;; amdgpu-corpus repo=pytorch/pytorch kind=compiled arch=gfx906 opt=O3
	.amdgcn_target "amdgcn-amd-amdhsa--gfx906"
	.amdhsa_code_object_version 6
	.section	.text._ZN2at6native12_GLOBAL__N_125multi_tensor_apply_kernelINS1_18TensorListMetadataILi2EEENS1_14UnaryOpFunctorIdLi2ELi1ELi1EEEJNS0_4ErfcIdEEEEEvT_T0_DpT1_,"axG",@progbits,_ZN2at6native12_GLOBAL__N_125multi_tensor_apply_kernelINS1_18TensorListMetadataILi2EEENS1_14UnaryOpFunctorIdLi2ELi1ELi1EEEJNS0_4ErfcIdEEEEEvT_T0_DpT1_,comdat
	.globl	_ZN2at6native12_GLOBAL__N_125multi_tensor_apply_kernelINS1_18TensorListMetadataILi2EEENS1_14UnaryOpFunctorIdLi2ELi1ELi1EEEJNS0_4ErfcIdEEEEEvT_T0_DpT1_ ; -- Begin function _ZN2at6native12_GLOBAL__N_125multi_tensor_apply_kernelINS1_18TensorListMetadataILi2EEENS1_14UnaryOpFunctorIdLi2ELi1ELi1EEEJNS0_4ErfcIdEEEEEvT_T0_DpT1_
	.p2align	8
	.type	_ZN2at6native12_GLOBAL__N_125multi_tensor_apply_kernelINS1_18TensorListMetadataILi2EEENS1_14UnaryOpFunctorIdLi2ELi1ELi1EEEJNS0_4ErfcIdEEEEEvT_T0_DpT1_,@function
_ZN2at6native12_GLOBAL__N_125multi_tensor_apply_kernelINS1_18TensorListMetadataILi2EEENS1_14UnaryOpFunctorIdLi2ELi1ELi1EEEJNS0_4ErfcIdEEEEEvT_T0_DpT1_: ; @_ZN2at6native12_GLOBAL__N_125multi_tensor_apply_kernelINS1_18TensorListMetadataILi2EEENS1_14UnaryOpFunctorIdLi2ELi1ELi1EEEJNS0_4ErfcIdEEEEEvT_T0_DpT1_
; %bb.0:
	v_mov_b32_e32 v1, s6
	global_load_ubyte v1, v1, s[4:5] offset:1536
	s_add_u32 s0, s4, s6
	s_mul_hi_u32 s3, s6, 3
	s_mul_i32 s6, s6, 3
	s_addc_u32 s7, s5, 0
	s_add_u32 s2, s0, s6
	s_addc_u32 s3, s7, s3
	s_load_dword s8, s[2:3], 0x740
	s_mov_b32 s1, 0
	s_mov_b32 s13, s1
	s_waitcnt lgkmcnt(0)
	s_ashr_i32 s9, s8, 31
	s_lshl_b64 s[10:11], s[8:9], 19
	s_lshl_b64 s[8:9], s[8:9], 16
	s_waitcnt vmcnt(0)
	v_readfirstlane_b32 s0, v1
	s_lshl_b32 s0, s0, 3
	s_load_dwordx2 s[14:15], s[4:5], s0 offset:0x400
	s_load_dwordx2 s[6:7], s[4:5], s0 offset:0x0
	;; [unrolled: 1-line block ×3, first 2 shown]
	s_waitcnt lgkmcnt(0)
	s_add_u32 s0, s6, s10
	s_and_b32 s12, s2, 31
	s_and_b32 s0, s0, 31
	s_sub_u32 s8, s14, s8
	s_subb_u32 s9, s15, s9
	s_and_b32 s14, s14, 3
	s_mov_b32 s15, s1
	s_or_b64 s[12:13], s[12:13], s[14:15]
	s_or_b64 s[0:1], s[12:13], s[0:1]
	s_cmp_eq_u64 s[0:1], 0
	s_mov_b64 s[0:1], -1
	s_cbranch_scc0 .LBB0_5
; %bb.1:
	v_mov_b32_e32 v1, 0x10000
	v_mov_b32_e32 v2, 0
	v_cmp_lt_i64_e32 vcc, s[8:9], v[1:2]
	v_mov_b32_e32 v2, 0
	s_and_b64 s[0:1], vcc, exec
	s_cselect_b32 s13, s9, 0
	s_cselect_b32 s12, s8, 0x10000
	v_lshlrev_b32_e32 v1, 2, v0
	v_cmp_gt_i64_e32 vcc, s[12:13], v[1:2]
	s_and_saveexec_b64 s[14:15], vcc
	s_cbranch_execz .LBB0_4
; %bb.2:
	s_load_dword s0, s[4:5], 0xc5c
	v_mov_b32_e32 v1, v2
	v_lshlrev_b32_e32 v2, 5, v0
	v_mov_b32_e32 v3, s11
	v_add_co_u32_e32 v11, vcc, s10, v2
	s_waitcnt lgkmcnt(0)
	s_and_b32 s33, s0, 0xffff
	s_mov_b32 s0, 0xfca7ab0c
	s_mov_b32 s1, 0x3e928af3
	v_mov_b32_e32 v6, s1
	v_mov_b32_e32 v5, s0
	s_mov_b32 s0, 0x37cfa789
	s_mov_b32 s1, 0xbe411663
	;; [unrolled: 1-line block ×15, first 2 shown]
	v_mov_b32_e32 v8, s1
	s_mov_b32 s44, 0xd9802b82
	s_mov_b32 s46, 0x8a03dcdb
	s_mov_b32 s48, 0x2eba62d8
	s_mov_b32 s50, 0xa56e15f1
	s_mov_b32 s52, 0x71c907de
	s_mov_b32 s54, 0x2cd770fb
	s_mov_b32 s56, 0x76d0a51a
	s_mov_b32 s58, 0xc022d0ed
	s_mov_b32 s60, 0x2fdbf62e
	s_mov_b32 s62, 0x3689fc43
	s_mov_b32 s64, 0x192d909b
	s_mov_b32 s66, 0x852ff070
	s_mov_b32 s68, 0xdfadea8f
	s_mov_b32 s70, 0xdff65910
	s_mov_b32 s72, 0x4de8f32
	s_mov_b32 s74, 0x3c3dbeb3
	s_mov_b32 s76, 0xfcfa6930
	s_mov_b32 s78, 0xf66fb8a3
	s_mov_b32 s80, 0xd154a2a8
	s_mov_b32 s82, 0xb74febf8
	s_mov_b32 s84, 0x41e48bfc
	v_mov_b32_e32 v10, v1
	s_mov_b32 s86, 0
	s_mov_b32 s88, 0
	v_addc_co_u32_e32 v12, vcc, 0, v3, vcc
	v_mov_b32_e32 v13, s7
	s_mov_b32 s17, 0x3ff71547
	s_mov_b32 s19, 0xbfe62e42
	;; [unrolled: 1-line block ×12, first 2 shown]
	v_mov_b32_e32 v14, 0x7ff00000
	s_mov_b32 s43, 0xbe41f39d
	v_mov_b32_e32 v7, s0
	s_mov_b32 s45, 0x3e7b45f1
	s_mov_b32 s47, 0x3e6d9048
	;; [unrolled: 1-line block ×21, first 2 shown]
	v_mov_b32_e32 v15, s3
	v_mov_b32_e32 v9, v0
	s_lshl_b32 s92, s33, 5
	s_mov_b32 s87, 0x40900000
	s_mov_b32 s89, 0xc090cc00
	s_mov_b64 s[90:91], 0
.LBB0_3:                                ; =>This Inner Loop Header: Depth=1
	v_add_co_u32_e32 v16, vcc, s6, v11
	v_addc_co_u32_e32 v17, vcc, v13, v12, vcc
	global_load_dwordx4 v[1:4], v[16:17], off offset:16
	s_nop 0
	global_load_dwordx4 v[16:19], v[16:17], off
	s_waitcnt vmcnt(0)
	v_mul_f64 v[20:21], v[16:17], -v[16:17]
	v_mul_f64 v[24:25], v[20:21], s[16:17]
	v_cmp_nlt_f64_e32 vcc, s[86:87], v[20:21]
	v_cmp_ngt_f64_e64 s[0:1], s[88:89], v[20:21]
	v_fma_f64 v[22:23], -v[16:17], v[16:17], -v[20:21]
	v_rndne_f64_e32 v[24:25], v[24:25]
	v_fma_f64 v[26:27], v[24:25], s[18:19], v[20:21]
	v_fma_f64 v[26:27], v[24:25], s[20:21], v[26:27]
	v_cvt_i32_f64_e32 v24, v[24:25]
	v_fma_f64 v[28:29], v[26:27], s[22:23], v[5:6]
	v_fma_f64 v[28:29], v[26:27], v[28:29], s[24:25]
	;; [unrolled: 1-line block ×9, first 2 shown]
	v_fma_f64 v[28:29], v[26:27], v[28:29], 1.0
	v_fma_f64 v[26:27], v[26:27], v[28:29], 1.0
	v_ldexp_f64 v[24:25], v[26:27], v24
	v_cndmask_b32_e32 v25, v14, v25, vcc
	s_and_b64 vcc, s[0:1], vcc
	v_cndmask_b32_e32 v20, 0, v24, vcc
	v_cndmask_b32_e64 v21, 0, v25, s[0:1]
	v_add_f64 v[24:25], |v[16:17]|, 4.0
	v_fma_f64 v[20:21], v[20:21], v[22:23], v[20:21]
	v_add_f64 v[22:23], |v[16:17]|, -4.0
	v_cmp_ngt_f64_e64 vcc, |v[16:17]|, s[84:85]
	v_rcp_f64_e32 v[26:27], v[24:25]
	v_fma_f64 v[28:29], -v[24:25], v[26:27], 1.0
	v_fma_f64 v[26:27], v[28:29], v[26:27], v[26:27]
	v_fma_f64 v[24:25], -v[24:25], v[26:27], 1.0
	v_fma_f64 v[24:25], v[24:25], v[26:27], v[26:27]
	v_mul_f64 v[22:23], v[22:23], v[24:25]
	v_add_f64 v[26:27], v[22:23], 1.0
	v_fma_f64 v[26:27], v[26:27], -4.0, |v[16:17]|
	v_fma_f64 v[26:27], -v[22:23], |v[16:17]|, v[26:27]
	v_fma_f64 v[22:23], v[24:25], v[26:27], v[22:23]
	v_fma_f64 v[24:25], v[22:23], s[42:43], v[7:8]
	;; [unrolled: 1-line block ×22, first 2 shown]
	v_add_f64 v[24:25], |v[16:17]|, |v[16:17]|
	v_add_f64 v[26:27], v[24:25], 1.0
	v_rcp_f64_e32 v[28:29], v[26:27]
	v_fma_f64 v[30:31], -v[26:27], v[28:29], 1.0
	v_fma_f64 v[28:29], v[30:31], v[28:29], v[28:29]
	v_fma_f64 v[26:27], -v[26:27], v[28:29], 1.0
	v_fma_f64 v[26:27], v[26:27], v[28:29], v[28:29]
	v_fma_f64 v[28:29], v[22:23], v[26:27], v[26:27]
	v_fma_f64 v[24:25], -v[28:29], v[24:25], 1.0
	v_add_f64 v[22:23], v[22:23], -v[28:29]
	v_add_f64 v[22:23], v[24:25], v[22:23]
	v_fma_f64 v[22:23], v[26:27], v[22:23], v[28:29]
	v_mul_f64 v[20:21], v[20:21], v[22:23]
	v_cndmask_b32_e32 v21, 0, v21, vcc
	v_cndmask_b32_e32 v20, 0, v20, vcc
	v_add_f64 v[22:23], -v[20:21], 2.0
	v_cmp_gt_f64_e32 vcc, 0, v[16:17]
	v_cndmask_b32_e32 v17, v21, v23, vcc
	v_cndmask_b32_e32 v16, v20, v22, vcc
	v_mul_f64 v[20:21], v[18:19], -v[18:19]
	v_mul_f64 v[24:25], v[20:21], s[16:17]
	v_cmp_nlt_f64_e32 vcc, s[86:87], v[20:21]
	v_cmp_ngt_f64_e64 s[0:1], s[88:89], v[20:21]
	v_fma_f64 v[22:23], -v[18:19], v[18:19], -v[20:21]
	v_rndne_f64_e32 v[24:25], v[24:25]
	v_fma_f64 v[26:27], v[24:25], s[18:19], v[20:21]
	v_fma_f64 v[26:27], v[24:25], s[20:21], v[26:27]
	v_cvt_i32_f64_e32 v24, v[24:25]
	v_fma_f64 v[28:29], v[26:27], s[22:23], v[5:6]
	v_fma_f64 v[28:29], v[26:27], v[28:29], s[24:25]
	;; [unrolled: 1-line block ×9, first 2 shown]
	v_fma_f64 v[28:29], v[26:27], v[28:29], 1.0
	v_fma_f64 v[26:27], v[26:27], v[28:29], 1.0
	v_ldexp_f64 v[24:25], v[26:27], v24
	v_cndmask_b32_e32 v25, v14, v25, vcc
	s_and_b64 vcc, s[0:1], vcc
	v_cndmask_b32_e32 v20, 0, v24, vcc
	v_cndmask_b32_e64 v21, 0, v25, s[0:1]
	v_add_f64 v[24:25], |v[18:19]|, 4.0
	v_fma_f64 v[20:21], v[20:21], v[22:23], v[20:21]
	v_add_f64 v[22:23], |v[18:19]|, -4.0
	v_cmp_ngt_f64_e64 vcc, |v[18:19]|, s[84:85]
	v_rcp_f64_e32 v[26:27], v[24:25]
	v_fma_f64 v[28:29], -v[24:25], v[26:27], 1.0
	v_fma_f64 v[26:27], v[28:29], v[26:27], v[26:27]
	v_fma_f64 v[24:25], -v[24:25], v[26:27], 1.0
	v_fma_f64 v[24:25], v[24:25], v[26:27], v[26:27]
	v_mul_f64 v[22:23], v[22:23], v[24:25]
	v_add_f64 v[26:27], v[22:23], 1.0
	v_fma_f64 v[26:27], v[26:27], -4.0, |v[18:19]|
	v_fma_f64 v[26:27], -v[22:23], |v[18:19]|, v[26:27]
	v_fma_f64 v[22:23], v[24:25], v[26:27], v[22:23]
	v_fma_f64 v[24:25], v[22:23], s[42:43], v[7:8]
	;; [unrolled: 1-line block ×22, first 2 shown]
	v_add_f64 v[24:25], |v[18:19]|, |v[18:19]|
	v_add_f64 v[26:27], v[24:25], 1.0
	v_rcp_f64_e32 v[28:29], v[26:27]
	v_fma_f64 v[30:31], -v[26:27], v[28:29], 1.0
	v_fma_f64 v[28:29], v[30:31], v[28:29], v[28:29]
	v_fma_f64 v[26:27], -v[26:27], v[28:29], 1.0
	v_fma_f64 v[26:27], v[26:27], v[28:29], v[28:29]
	v_fma_f64 v[28:29], v[22:23], v[26:27], v[26:27]
	v_fma_f64 v[24:25], -v[28:29], v[24:25], 1.0
	v_add_f64 v[22:23], v[22:23], -v[28:29]
	v_add_f64 v[22:23], v[24:25], v[22:23]
	v_fma_f64 v[22:23], v[26:27], v[22:23], v[28:29]
	v_mul_f64 v[20:21], v[20:21], v[22:23]
	v_cndmask_b32_e32 v21, 0, v21, vcc
	v_cndmask_b32_e32 v20, 0, v20, vcc
	v_add_f64 v[22:23], -v[20:21], 2.0
	v_cmp_gt_f64_e32 vcc, 0, v[18:19]
	v_cndmask_b32_e32 v19, v21, v23, vcc
	v_cndmask_b32_e32 v18, v20, v22, vcc
	v_mul_f64 v[20:21], v[1:2], -v[1:2]
	v_mul_f64 v[24:25], v[20:21], s[16:17]
	v_cmp_nlt_f64_e32 vcc, s[86:87], v[20:21]
	v_cmp_ngt_f64_e64 s[0:1], s[88:89], v[20:21]
	v_fma_f64 v[22:23], -v[1:2], v[1:2], -v[20:21]
	v_rndne_f64_e32 v[24:25], v[24:25]
	v_fma_f64 v[26:27], v[24:25], s[18:19], v[20:21]
	v_fma_f64 v[26:27], v[24:25], s[20:21], v[26:27]
	v_cvt_i32_f64_e32 v24, v[24:25]
	v_fma_f64 v[28:29], v[26:27], s[22:23], v[5:6]
	v_fma_f64 v[28:29], v[26:27], v[28:29], s[24:25]
	;; [unrolled: 1-line block ×9, first 2 shown]
	v_fma_f64 v[28:29], v[26:27], v[28:29], 1.0
	v_fma_f64 v[26:27], v[26:27], v[28:29], 1.0
	v_ldexp_f64 v[24:25], v[26:27], v24
	v_cndmask_b32_e32 v25, v14, v25, vcc
	s_and_b64 vcc, s[0:1], vcc
	v_cndmask_b32_e32 v20, 0, v24, vcc
	v_cndmask_b32_e64 v21, 0, v25, s[0:1]
	v_add_f64 v[24:25], |v[1:2]|, 4.0
	v_fma_f64 v[20:21], v[20:21], v[22:23], v[20:21]
	v_add_f64 v[22:23], |v[1:2]|, -4.0
	v_cmp_ngt_f64_e64 vcc, |v[1:2]|, s[84:85]
	v_rcp_f64_e32 v[26:27], v[24:25]
	v_fma_f64 v[28:29], -v[24:25], v[26:27], 1.0
	v_fma_f64 v[26:27], v[28:29], v[26:27], v[26:27]
	v_fma_f64 v[24:25], -v[24:25], v[26:27], 1.0
	v_fma_f64 v[24:25], v[24:25], v[26:27], v[26:27]
	v_mul_f64 v[22:23], v[22:23], v[24:25]
	v_add_f64 v[26:27], v[22:23], 1.0
	v_fma_f64 v[26:27], v[26:27], -4.0, |v[1:2]|
	v_fma_f64 v[26:27], -v[22:23], |v[1:2]|, v[26:27]
	v_fma_f64 v[22:23], v[24:25], v[26:27], v[22:23]
	v_fma_f64 v[24:25], v[22:23], s[42:43], v[7:8]
	;; [unrolled: 1-line block ×22, first 2 shown]
	v_add_f64 v[24:25], |v[1:2]|, |v[1:2]|
	v_add_f64 v[26:27], v[24:25], 1.0
	v_rcp_f64_e32 v[28:29], v[26:27]
	v_fma_f64 v[30:31], -v[26:27], v[28:29], 1.0
	v_fma_f64 v[28:29], v[30:31], v[28:29], v[28:29]
	v_fma_f64 v[26:27], -v[26:27], v[28:29], 1.0
	v_fma_f64 v[26:27], v[26:27], v[28:29], v[28:29]
	v_fma_f64 v[28:29], v[22:23], v[26:27], v[26:27]
	v_fma_f64 v[24:25], -v[28:29], v[24:25], 1.0
	v_add_f64 v[22:23], v[22:23], -v[28:29]
	v_add_f64 v[22:23], v[24:25], v[22:23]
	v_fma_f64 v[22:23], v[26:27], v[22:23], v[28:29]
	v_mul_f64 v[20:21], v[20:21], v[22:23]
	v_cndmask_b32_e32 v21, 0, v21, vcc
	v_cndmask_b32_e32 v20, 0, v20, vcc
	v_add_f64 v[22:23], -v[20:21], 2.0
	v_cmp_gt_f64_e32 vcc, 0, v[1:2]
	v_cndmask_b32_e32 v2, v21, v23, vcc
	v_cndmask_b32_e32 v1, v20, v22, vcc
	v_mul_f64 v[20:21], v[3:4], -v[3:4]
	v_mul_f64 v[24:25], v[20:21], s[16:17]
	v_cmp_nlt_f64_e32 vcc, s[86:87], v[20:21]
	v_cmp_ngt_f64_e64 s[0:1], s[88:89], v[20:21]
	v_fma_f64 v[22:23], -v[3:4], v[3:4], -v[20:21]
	v_rndne_f64_e32 v[24:25], v[24:25]
	v_fma_f64 v[26:27], v[24:25], s[18:19], v[20:21]
	v_fma_f64 v[26:27], v[24:25], s[20:21], v[26:27]
	v_cvt_i32_f64_e32 v24, v[24:25]
	v_fma_f64 v[28:29], v[26:27], s[22:23], v[5:6]
	v_fma_f64 v[28:29], v[26:27], v[28:29], s[24:25]
	;; [unrolled: 1-line block ×9, first 2 shown]
	v_fma_f64 v[28:29], v[26:27], v[28:29], 1.0
	v_fma_f64 v[26:27], v[26:27], v[28:29], 1.0
	v_ldexp_f64 v[24:25], v[26:27], v24
	v_cndmask_b32_e32 v25, v14, v25, vcc
	s_and_b64 vcc, s[0:1], vcc
	v_cndmask_b32_e32 v20, 0, v24, vcc
	v_cndmask_b32_e64 v21, 0, v25, s[0:1]
	v_add_f64 v[24:25], |v[3:4]|, 4.0
	v_fma_f64 v[20:21], v[20:21], v[22:23], v[20:21]
	v_add_f64 v[22:23], |v[3:4]|, -4.0
	v_cmp_ngt_f64_e64 vcc, |v[3:4]|, s[84:85]
	v_rcp_f64_e32 v[26:27], v[24:25]
	v_fma_f64 v[28:29], -v[24:25], v[26:27], 1.0
	v_fma_f64 v[26:27], v[28:29], v[26:27], v[26:27]
	v_fma_f64 v[24:25], -v[24:25], v[26:27], 1.0
	v_fma_f64 v[24:25], v[24:25], v[26:27], v[26:27]
	v_mul_f64 v[22:23], v[22:23], v[24:25]
	v_add_f64 v[26:27], v[22:23], 1.0
	v_fma_f64 v[26:27], v[26:27], -4.0, |v[3:4]|
	v_fma_f64 v[26:27], -v[22:23], |v[3:4]|, v[26:27]
	v_fma_f64 v[22:23], v[24:25], v[26:27], v[22:23]
	v_fma_f64 v[24:25], v[22:23], s[42:43], v[7:8]
	;; [unrolled: 1-line block ×22, first 2 shown]
	v_add_f64 v[24:25], |v[3:4]|, |v[3:4]|
	v_add_f64 v[26:27], v[24:25], 1.0
	v_rcp_f64_e32 v[28:29], v[26:27]
	v_fma_f64 v[30:31], -v[26:27], v[28:29], 1.0
	v_fma_f64 v[28:29], v[30:31], v[28:29], v[28:29]
	v_fma_f64 v[26:27], -v[26:27], v[28:29], 1.0
	v_fma_f64 v[26:27], v[26:27], v[28:29], v[28:29]
	v_fma_f64 v[28:29], v[22:23], v[26:27], v[26:27]
	v_fma_f64 v[24:25], -v[28:29], v[24:25], 1.0
	v_add_f64 v[22:23], v[22:23], -v[28:29]
	v_add_f64 v[22:23], v[24:25], v[22:23]
	v_fma_f64 v[22:23], v[26:27], v[22:23], v[28:29]
	v_mul_f64 v[20:21], v[20:21], v[22:23]
	v_cndmask_b32_e32 v21, 0, v21, vcc
	v_cndmask_b32_e32 v20, 0, v20, vcc
	v_add_f64 v[22:23], -v[20:21], 2.0
	v_cmp_gt_f64_e32 vcc, 0, v[3:4]
	v_cndmask_b32_e32 v4, v21, v23, vcc
	v_cndmask_b32_e32 v3, v20, v22, vcc
	v_add_co_u32_e32 v20, vcc, s2, v11
	v_addc_co_u32_e32 v21, vcc, v15, v12, vcc
	v_add_co_u32_e32 v9, vcc, s33, v9
	v_addc_co_u32_e32 v10, vcc, 0, v10, vcc
	global_store_dwordx4 v[20:21], v[16:19], off
	global_store_dwordx4 v[20:21], v[1:4], off offset:16
	v_add_co_u32_e32 v11, vcc, s92, v11
	v_lshlrev_b64 v[1:2], 2, v[9:10]
	v_addc_co_u32_e32 v12, vcc, 0, v12, vcc
	v_cmp_le_i64_e32 vcc, s[12:13], v[1:2]
	s_or_b64 s[90:91], vcc, s[90:91]
	s_andn2_b64 exec, exec, s[90:91]
	s_cbranch_execnz .LBB0_3
.LBB0_4:
	s_or_b64 exec, exec, s[14:15]
	s_mov_b64 s[0:1], 0
.LBB0_5:
	s_andn2_b64 vcc, exec, s[0:1]
	s_cbranch_vccnz .LBB0_25
; %bb.6:
	v_cmp_lt_i64_e64 s[0:1], s[8:9], 1
	s_and_b64 vcc, exec, s[0:1]
	s_cbranch_vccnz .LBB0_25
; %bb.7:
	v_mov_b32_e32 v1, 0x10000
	s_load_dword s4, s[4:5], 0xc5c
	v_mov_b32_e32 v2, 0
	v_cmp_lt_i64_e32 vcc, s[8:9], v[1:2]
	v_mov_b32_e32 v3, 0
	s_and_b64 s[0:1], vcc, exec
	v_cmp_lt_u64_e32 vcc, s[8:9], v[1:2]
	s_cselect_b32 s13, s9, 0
	s_cselect_b32 s12, s8, 0x10000
	s_waitcnt lgkmcnt(0)
	s_and_b32 s4, s4, 0xffff
	v_lshlrev_b32_e32 v2, 3, v0
	s_and_b64 s[0:1], vcc, exec
	v_mov_b32_e32 v1, s7
	v_add_co_u32_e32 v13, vcc, s6, v2
	v_mad_u64_u32 v[3:4], s[0:1], s4, 24, v[2:3]
	v_addc_co_u32_e32 v14, vcc, 0, v1, vcc
	v_mov_b32_e32 v1, s3
	v_add_co_u32_e32 v15, vcc, s2, v2
	v_addc_co_u32_e32 v16, vcc, 0, v1, vcc
	v_mov_b32_e32 v1, s7
	v_add_co_u32_e32 v17, vcc, s6, v3
	;; [unrolled: 3-line block ×3, first 2 shown]
	s_cselect_b32 s15, s9, 0
	s_cselect_b32 s14, s8, 0x10000
	v_addc_co_u32_e32 v20, vcc, v1, v4, vcc
	s_lshl_b32 s0, s4, 4
	v_add_co_u32_e32 v1, vcc, s0, v2
	v_addc_co_u32_e64 v2, s[0:1], 0, 0, vcc
	v_mov_b32_e32 v3, s7
	v_add_co_u32_e32 v21, vcc, s6, v1
	v_addc_co_u32_e32 v22, vcc, v3, v2, vcc
	v_mov_b32_e32 v3, s3
	v_add_co_u32_e32 v23, vcc, s2, v1
	v_addc_co_u32_e32 v24, vcc, v3, v2, vcc
	v_add_co_u32_e32 v25, vcc, s4, v0
	v_lshlrev_b32_e32 v1, 3, v25
	v_addc_co_u32_e64 v26, s[0:1], 0, 0, vcc
	v_mov_b32_e32 v2, s7
	v_add_co_u32_e32 v27, vcc, s6, v1
	v_addc_co_u32_e32 v28, vcc, 0, v2, vcc
	v_mov_b32_e32 v2, s3
	v_add_co_u32_e32 v29, vcc, s2, v1
	s_mul_i32 s8, s4, 3
	v_addc_co_u32_e32 v30, vcc, 0, v2, vcc
	s_lshl_b32 s5, s4, 1
	v_add_co_u32_e32 v31, vcc, s8, v0
	s_mov_b32 s16, 0x652b82fe
	s_mov_b32 s18, 0xfefa39ef
	;; [unrolled: 1-line block ×26, first 2 shown]
	v_addc_co_u32_e64 v32, s[0:1], 0, 0, vcc
	s_mov_b32 s70, 0xdff65910
	v_add_co_u32_e32 v33, vcc, s5, v0
	s_mov_b32 s72, 0x4de8f32
	s_mov_b32 s74, 0x3c3dbeb3
	;; [unrolled: 1-line block ×9, first 2 shown]
	s_lshl_b32 s33, s4, 2
	s_lshl_b32 s94, s4, 5
	s_mov_b32 s17, 0x3ff71547
	s_mov_b32 s19, 0xbfe62e42
	;; [unrolled: 1-line block ×27, first 2 shown]
	v_addc_co_u32_e64 v34, s[0:1], 0, 0, vcc
	s_mov_b32 s73, 0x3fb7fee0
	s_mov_b32 s75, 0xbfb9ddb2
	;; [unrolled: 1-line block ×7, first 2 shown]
	v_mov_b32_e32 v1, 0xfca7ab0c
	v_mov_b32_e32 v2, 0x3e928af3
	;; [unrolled: 1-line block ×5, first 2 shown]
	s_mov_b32 s87, 0x40900000
	s_mov_b32 s89, 0xc090cc00
	s_mov_b64 s[90:91], 0
	s_branch .LBB0_9
.LBB0_8:                                ;   in Loop: Header=BB0_9 Depth=1
	s_or_b64 exec, exec, s[2:3]
	v_add_co_u32_e32 v13, vcc, s94, v13
	v_addc_co_u32_e32 v14, vcc, 0, v14, vcc
	v_add_co_u32_e32 v15, vcc, s94, v15
	v_addc_co_u32_e32 v16, vcc, 0, v16, vcc
	;; [unrolled: 2-line block ×6, first 2 shown]
	s_add_u32 s90, s90, s33
	v_add_co_u32_e32 v27, vcc, s94, v27
	s_waitcnt vmcnt(0)
	v_mov_b32_e32 v5, s12
	s_addc_u32 s91, s91, 0
	v_addc_co_u32_e32 v28, vcc, 0, v28, vcc
	v_mov_b32_e32 v6, s13
	v_cmp_ge_i64_e32 vcc, s[90:91], v[5:6]
	v_add_co_u32_e64 v29, s[0:1], s94, v29
	v_addc_co_u32_e64 v30, s[0:1], 0, v30, s[0:1]
	s_cbranch_vccnz .LBB0_25
.LBB0_9:                                ; =>This Inner Loop Header: Depth=1
	v_mov_b32_e32 v6, s91
	v_add_co_u32_e32 v5, vcc, s90, v0
	v_addc_co_u32_e32 v6, vcc, 0, v6, vcc
	v_cmp_gt_u64_e64 s[4:5], s[14:15], v[5:6]
	v_mov_b32_e32 v9, 0
	v_mov_b32_e32 v11, 0
	;; [unrolled: 1-line block ×4, first 2 shown]
	s_and_saveexec_b64 s[0:1], s[4:5]
	s_cbranch_execz .LBB0_11
; %bb.10:                               ;   in Loop: Header=BB0_9 Depth=1
	v_mov_b32_e32 v6, s11
	v_add_co_u32_e32 v5, vcc, s10, v13
	v_addc_co_u32_e32 v6, vcc, v14, v6, vcc
	global_load_dwordx2 v[11:12], v[5:6], off
.LBB0_11:                               ;   in Loop: Header=BB0_9 Depth=1
	s_or_b64 exec, exec, s[0:1]
	v_mov_b32_e32 v6, s91
	v_add_co_u32_e32 v5, vcc, s90, v25
	v_addc_co_u32_e32 v6, vcc, v26, v6, vcc
	v_cmp_gt_u64_e64 s[2:3], s[14:15], v[5:6]
	s_and_saveexec_b64 s[0:1], s[2:3]
	s_cbranch_execz .LBB0_13
; %bb.12:                               ;   in Loop: Header=BB0_9 Depth=1
	v_mov_b32_e32 v6, s11
	v_add_co_u32_e32 v5, vcc, s10, v27
	v_addc_co_u32_e32 v6, vcc, v28, v6, vcc
	global_load_dwordx2 v[9:10], v[5:6], off
.LBB0_13:                               ;   in Loop: Header=BB0_9 Depth=1
	s_or_b64 exec, exec, s[0:1]
	v_mov_b32_e32 v6, s91
	v_add_co_u32_e32 v5, vcc, s90, v33
	v_addc_co_u32_e32 v6, vcc, v34, v6, vcc
	v_cmp_gt_u64_e64 s[0:1], s[14:15], v[5:6]
	v_mov_b32_e32 v5, 0
	v_mov_b32_e32 v7, 0
	;; [unrolled: 1-line block ×4, first 2 shown]
	s_and_saveexec_b64 s[6:7], s[0:1]
	s_cbranch_execz .LBB0_15
; %bb.14:                               ;   in Loop: Header=BB0_9 Depth=1
	v_mov_b32_e32 v8, s11
	v_add_co_u32_e32 v7, vcc, s10, v21
	v_addc_co_u32_e32 v8, vcc, v22, v8, vcc
	global_load_dwordx2 v[7:8], v[7:8], off
.LBB0_15:                               ;   in Loop: Header=BB0_9 Depth=1
	s_or_b64 exec, exec, s[6:7]
	v_mov_b32_e32 v37, s91
	v_add_co_u32_e32 v36, vcc, s90, v31
	v_addc_co_u32_e32 v37, vcc, v32, v37, vcc
	v_cmp_gt_u64_e32 vcc, s[14:15], v[36:37]
	s_and_saveexec_b64 s[8:9], vcc
	s_cbranch_execnz .LBB0_20
; %bb.16:                               ;   in Loop: Header=BB0_9 Depth=1
	s_or_b64 exec, exec, s[8:9]
	s_and_saveexec_b64 s[92:93], s[4:5]
	s_cbranch_execnz .LBB0_21
.LBB0_17:                               ;   in Loop: Header=BB0_9 Depth=1
	s_or_b64 exec, exec, s[92:93]
	s_and_saveexec_b64 s[6:7], s[2:3]
	s_cbranch_execnz .LBB0_22
.LBB0_18:                               ;   in Loop: Header=BB0_9 Depth=1
	s_or_b64 exec, exec, s[6:7]
	s_and_saveexec_b64 s[4:5], s[0:1]
	s_cbranch_execnz .LBB0_23
.LBB0_19:                               ;   in Loop: Header=BB0_9 Depth=1
	s_or_b64 exec, exec, s[4:5]
	s_and_saveexec_b64 s[2:3], vcc
	s_cbranch_execz .LBB0_8
	s_branch .LBB0_24
.LBB0_20:                               ;   in Loop: Header=BB0_9 Depth=1
	v_mov_b32_e32 v6, s11
	v_add_co_u32_e64 v5, s[6:7], s10, v17
	v_addc_co_u32_e64 v6, s[6:7], v18, v6, s[6:7]
	global_load_dwordx2 v[5:6], v[5:6], off
	s_or_b64 exec, exec, s[8:9]
	s_and_saveexec_b64 s[92:93], s[4:5]
	s_cbranch_execz .LBB0_17
.LBB0_21:                               ;   in Loop: Header=BB0_9 Depth=1
	s_waitcnt vmcnt(0)
	v_add_f64 v[36:37], |v[11:12]|, 4.0
	v_add_f64 v[48:49], |v[11:12]|, |v[11:12]|
	v_rcp_f64_e32 v[38:39], v[36:37]
	v_add_f64 v[50:51], v[48:49], 1.0
	v_rcp_f64_e32 v[52:53], v[50:51]
	v_fma_f64 v[40:41], -v[36:37], v[38:39], 1.0
	v_fma_f64 v[38:39], v[40:41], v[38:39], v[38:39]
	v_add_f64 v[40:41], |v[11:12]|, -4.0
	v_fma_f64 v[54:55], -v[50:51], v[52:53], 1.0
	v_fma_f64 v[36:37], -v[36:37], v[38:39], 1.0
	v_fma_f64 v[52:53], v[54:55], v[52:53], v[52:53]
	v_fma_f64 v[36:37], v[36:37], v[38:39], v[38:39]
	v_fma_f64 v[50:51], -v[50:51], v[52:53], 1.0
	v_mul_f64 v[38:39], v[40:41], v[36:37]
	v_fma_f64 v[50:51], v[50:51], v[52:53], v[52:53]
	v_add_f64 v[40:41], v[38:39], 1.0
	v_fma_f64 v[40:41], v[40:41], -4.0, |v[11:12]|
	v_fma_f64 v[40:41], -v[38:39], |v[11:12]|, v[40:41]
	v_fma_f64 v[36:37], v[36:37], v[40:41], v[38:39]
	v_mul_f64 v[40:41], v[11:12], -v[11:12]
	v_fma_f64 v[38:39], v[36:37], s[42:43], v[3:4]
	v_mul_f64 v[42:43], v[40:41], s[16:17]
	v_cmp_nlt_f64_e64 s[4:5], s[86:87], v[40:41]
	v_cmp_ngt_f64_e64 s[6:7], s[88:89], v[40:41]
	v_fma_f64 v[38:39], v[36:37], v[38:39], s[44:45]
	v_rndne_f64_e32 v[42:43], v[42:43]
	s_and_b64 s[8:9], s[6:7], s[4:5]
	v_fma_f64 v[38:39], v[36:37], v[38:39], s[46:47]
	v_fma_f64 v[44:45], v[42:43], s[18:19], v[40:41]
	v_fma_f64 v[40:41], -v[11:12], v[11:12], -v[40:41]
	v_fma_f64 v[38:39], v[36:37], v[38:39], s[48:49]
	v_fma_f64 v[44:45], v[42:43], s[20:21], v[44:45]
	;; [unrolled: 1-line block ×28, first 2 shown]
	v_fma_f64 v[38:39], v[44:45], v[46:47], 1.0
	v_fma_f64 v[46:47], v[36:37], v[50:51], v[50:51]
	v_fma_f64 v[38:39], v[44:45], v[38:39], 1.0
	v_cvt_i32_f64_e32 v44, v[42:43]
	v_fma_f64 v[42:43], -v[46:47], v[48:49], 1.0
	v_add_f64 v[36:37], v[36:37], -v[46:47]
	v_ldexp_f64 v[38:39], v[38:39], v44
	v_add_f64 v[36:37], v[42:43], v[36:37]
	v_cndmask_b32_e64 v39, v35, v39, s[4:5]
	v_cndmask_b32_e64 v38, 0, v38, s[8:9]
	;; [unrolled: 1-line block ×3, first 2 shown]
	v_fma_f64 v[38:39], v[38:39], v[40:41], v[38:39]
	v_cmp_ngt_f64_e64 s[4:5], |v[11:12]|, s[84:85]
	v_cmp_gt_f64_e64 s[6:7], 0, v[11:12]
	v_fma_f64 v[36:37], v[50:51], v[36:37], v[46:47]
	v_mul_f64 v[36:37], v[38:39], v[36:37]
	v_mov_b32_e32 v39, s11
	v_cndmask_b32_e64 v12, 0, v37, s[4:5]
	v_cndmask_b32_e64 v11, 0, v36, s[4:5]
	v_add_f64 v[36:37], -v[11:12], 2.0
	v_add_co_u32_e64 v38, s[4:5], s10, v15
	v_addc_co_u32_e64 v39, s[4:5], v16, v39, s[4:5]
	v_cndmask_b32_e64 v12, v12, v37, s[6:7]
	v_cndmask_b32_e64 v11, v11, v36, s[6:7]
	global_store_dwordx2 v[38:39], v[11:12], off
	s_or_b64 exec, exec, s[92:93]
	s_and_saveexec_b64 s[6:7], s[2:3]
	s_cbranch_execz .LBB0_18
.LBB0_22:                               ;   in Loop: Header=BB0_9 Depth=1
	s_waitcnt vmcnt(0)
	v_add_f64 v[11:12], |v[9:10]|, 4.0
	v_add_f64 v[46:47], |v[9:10]|, |v[9:10]|
	v_rcp_f64_e32 v[36:37], v[11:12]
	v_add_f64 v[48:49], v[46:47], 1.0
	v_rcp_f64_e32 v[50:51], v[48:49]
	v_fma_f64 v[38:39], -v[11:12], v[36:37], 1.0
	v_fma_f64 v[36:37], v[38:39], v[36:37], v[36:37]
	v_add_f64 v[38:39], |v[9:10]|, -4.0
	v_fma_f64 v[52:53], -v[48:49], v[50:51], 1.0
	v_fma_f64 v[11:12], -v[11:12], v[36:37], 1.0
	v_fma_f64 v[50:51], v[52:53], v[50:51], v[50:51]
	v_fma_f64 v[11:12], v[11:12], v[36:37], v[36:37]
	v_fma_f64 v[48:49], -v[48:49], v[50:51], 1.0
	v_mul_f64 v[36:37], v[38:39], v[11:12]
	v_fma_f64 v[48:49], v[48:49], v[50:51], v[50:51]
	v_add_f64 v[38:39], v[36:37], 1.0
	v_fma_f64 v[38:39], v[38:39], -4.0, |v[9:10]|
	v_fma_f64 v[38:39], -v[36:37], |v[9:10]|, v[38:39]
	v_fma_f64 v[11:12], v[11:12], v[38:39], v[36:37]
	v_mul_f64 v[38:39], v[9:10], -v[9:10]
	v_fma_f64 v[36:37], v[11:12], s[42:43], v[3:4]
	v_mul_f64 v[40:41], v[38:39], s[16:17]
	v_cmp_nlt_f64_e64 s[2:3], s[86:87], v[38:39]
	v_cmp_ngt_f64_e64 s[4:5], s[88:89], v[38:39]
	v_fma_f64 v[36:37], v[11:12], v[36:37], s[44:45]
	v_rndne_f64_e32 v[40:41], v[40:41]
	v_fma_f64 v[36:37], v[11:12], v[36:37], s[46:47]
	v_fma_f64 v[42:43], v[40:41], s[18:19], v[38:39]
	;; [unrolled: 1-line block ×4, first 2 shown]
	v_cvt_i32_f64_e32 v40, v[40:41]
	v_fma_f64 v[36:37], v[11:12], v[36:37], s[50:51]
	v_fma_f64 v[44:45], v[42:43], s[22:23], v[1:2]
	;; [unrolled: 1-line block ×19, first 2 shown]
	v_fma_f64 v[44:45], v[42:43], v[44:45], 1.0
	v_fma_f64 v[36:37], v[11:12], v[36:37], s[70:71]
	v_fma_f64 v[36:37], v[11:12], v[36:37], s[72:73]
	;; [unrolled: 1-line block ×7, first 2 shown]
	v_fma_f64 v[36:37], v[42:43], v[44:45], 1.0
	v_fma_f64 v[42:43], v[11:12], v[48:49], v[48:49]
	v_ldexp_f64 v[36:37], v[36:37], v40
	v_fma_f64 v[40:41], -v[42:43], v[46:47], 1.0
	v_add_f64 v[11:12], v[11:12], -v[42:43]
	v_cndmask_b32_e64 v44, v35, v37, s[2:3]
	v_fma_f64 v[37:38], -v[9:10], v[9:10], -v[38:39]
	s_and_b64 s[2:3], s[4:5], s[2:3]
	v_cndmask_b32_e64 v39, 0, v36, s[2:3]
	v_cmp_ngt_f64_e64 s[2:3], |v[9:10]|, s[84:85]
	v_add_f64 v[11:12], v[40:41], v[11:12]
	v_cndmask_b32_e64 v40, 0, v44, s[4:5]
	v_fma_f64 v[36:37], v[39:40], v[37:38], v[39:40]
	v_mov_b32_e32 v38, s11
	v_fma_f64 v[11:12], v[48:49], v[11:12], v[42:43]
	v_mul_f64 v[11:12], v[36:37], v[11:12]
	v_cndmask_b32_e64 v12, 0, v12, s[2:3]
	v_cndmask_b32_e64 v11, 0, v11, s[2:3]
	v_add_f64 v[36:37], -v[11:12], 2.0
	v_cmp_gt_f64_e64 s[2:3], 0, v[9:10]
	v_cndmask_b32_e64 v10, v12, v37, s[2:3]
	v_cndmask_b32_e64 v9, v11, v36, s[2:3]
	v_add_co_u32_e64 v11, s[2:3], s10, v29
	v_addc_co_u32_e64 v12, s[2:3], v30, v38, s[2:3]
	global_store_dwordx2 v[11:12], v[9:10], off
	s_or_b64 exec, exec, s[6:7]
	s_and_saveexec_b64 s[4:5], s[0:1]
	s_cbranch_execz .LBB0_19
.LBB0_23:                               ;   in Loop: Header=BB0_9 Depth=1
	s_waitcnt vmcnt(0)
	v_add_f64 v[9:10], |v[7:8]|, 4.0
	v_add_f64 v[44:45], |v[7:8]|, |v[7:8]|
	v_rcp_f64_e32 v[11:12], v[9:10]
	v_add_f64 v[46:47], v[44:45], 1.0
	v_rcp_f64_e32 v[48:49], v[46:47]
	v_fma_f64 v[36:37], -v[9:10], v[11:12], 1.0
	v_fma_f64 v[11:12], v[36:37], v[11:12], v[11:12]
	v_add_f64 v[36:37], |v[7:8]|, -4.0
	v_fma_f64 v[50:51], -v[46:47], v[48:49], 1.0
	v_fma_f64 v[9:10], -v[9:10], v[11:12], 1.0
	v_fma_f64 v[48:49], v[50:51], v[48:49], v[48:49]
	v_fma_f64 v[9:10], v[9:10], v[11:12], v[11:12]
	v_fma_f64 v[46:47], -v[46:47], v[48:49], 1.0
	v_mul_f64 v[11:12], v[36:37], v[9:10]
	v_fma_f64 v[46:47], v[46:47], v[48:49], v[48:49]
	v_add_f64 v[36:37], v[11:12], 1.0
	v_fma_f64 v[36:37], v[36:37], -4.0, |v[7:8]|
	v_fma_f64 v[36:37], -v[11:12], |v[7:8]|, v[36:37]
	v_fma_f64 v[9:10], v[9:10], v[36:37], v[11:12]
	v_mul_f64 v[36:37], v[7:8], -v[7:8]
	v_fma_f64 v[11:12], v[9:10], s[42:43], v[3:4]
	v_mul_f64 v[38:39], v[36:37], s[16:17]
	v_cmp_nlt_f64_e64 s[0:1], s[86:87], v[36:37]
	v_cmp_ngt_f64_e64 s[2:3], s[88:89], v[36:37]
	v_fma_f64 v[11:12], v[9:10], v[11:12], s[44:45]
	v_rndne_f64_e32 v[38:39], v[38:39]
	v_fma_f64 v[11:12], v[9:10], v[11:12], s[46:47]
	v_fma_f64 v[40:41], v[38:39], s[18:19], v[36:37]
	v_fma_f64 v[36:37], -v[7:8], v[7:8], -v[36:37]
	v_fma_f64 v[11:12], v[9:10], v[11:12], s[48:49]
	v_fma_f64 v[40:41], v[38:39], s[20:21], v[40:41]
	v_cvt_i32_f64_e32 v38, v[38:39]
	v_fma_f64 v[11:12], v[9:10], v[11:12], s[50:51]
	v_fma_f64 v[42:43], v[40:41], s[22:23], v[1:2]
	;; [unrolled: 1-line block ×19, first 2 shown]
	v_fma_f64 v[42:43], v[40:41], v[42:43], 1.0
	v_fma_f64 v[11:12], v[9:10], v[11:12], s[70:71]
	v_fma_f64 v[11:12], v[9:10], v[11:12], s[72:73]
	;; [unrolled: 1-line block ×7, first 2 shown]
	v_fma_f64 v[11:12], v[40:41], v[42:43], 1.0
	v_fma_f64 v[40:41], v[9:10], v[46:47], v[46:47]
	v_ldexp_f64 v[11:12], v[11:12], v38
	v_fma_f64 v[38:39], -v[40:41], v[44:45], 1.0
	v_add_f64 v[9:10], v[9:10], -v[40:41]
	v_cndmask_b32_e64 v12, v35, v12, s[0:1]
	s_and_b64 s[0:1], s[2:3], s[0:1]
	v_cndmask_b32_e64 v12, 0, v12, s[2:3]
	v_cndmask_b32_e64 v11, 0, v11, s[0:1]
	v_fma_f64 v[11:12], v[11:12], v[36:37], v[11:12]
	v_cmp_ngt_f64_e64 s[0:1], |v[7:8]|, s[84:85]
	v_mov_b32_e32 v36, s11
	v_add_f64 v[9:10], v[38:39], v[9:10]
	v_fma_f64 v[9:10], v[46:47], v[9:10], v[40:41]
	v_mul_f64 v[9:10], v[11:12], v[9:10]
	v_cndmask_b32_e64 v10, 0, v10, s[0:1]
	v_cndmask_b32_e64 v9, 0, v9, s[0:1]
	v_add_f64 v[11:12], -v[9:10], 2.0
	v_cmp_gt_f64_e64 s[0:1], 0, v[7:8]
	v_cndmask_b32_e64 v8, v10, v12, s[0:1]
	v_cndmask_b32_e64 v7, v9, v11, s[0:1]
	v_add_co_u32_e64 v9, s[0:1], s10, v23
	v_addc_co_u32_e64 v10, s[0:1], v24, v36, s[0:1]
	global_store_dwordx2 v[9:10], v[7:8], off
	s_or_b64 exec, exec, s[4:5]
	s_and_saveexec_b64 s[2:3], vcc
	s_cbranch_execz .LBB0_8
.LBB0_24:                               ;   in Loop: Header=BB0_9 Depth=1
	s_waitcnt vmcnt(0)
	v_add_f64 v[7:8], |v[5:6]|, 4.0
	v_add_f64 v[42:43], |v[5:6]|, |v[5:6]|
	v_rcp_f64_e32 v[9:10], v[7:8]
	v_add_f64 v[44:45], v[42:43], 1.0
	v_rcp_f64_e32 v[46:47], v[44:45]
	v_fma_f64 v[11:12], -v[7:8], v[9:10], 1.0
	v_fma_f64 v[9:10], v[11:12], v[9:10], v[9:10]
	v_add_f64 v[11:12], |v[5:6]|, -4.0
	v_fma_f64 v[48:49], -v[44:45], v[46:47], 1.0
	v_fma_f64 v[7:8], -v[7:8], v[9:10], 1.0
	v_fma_f64 v[46:47], v[48:49], v[46:47], v[46:47]
	v_fma_f64 v[7:8], v[7:8], v[9:10], v[9:10]
	v_fma_f64 v[44:45], -v[44:45], v[46:47], 1.0
	v_mul_f64 v[9:10], v[11:12], v[7:8]
	v_fma_f64 v[44:45], v[44:45], v[46:47], v[46:47]
	v_add_f64 v[11:12], v[9:10], 1.0
	v_fma_f64 v[11:12], v[11:12], -4.0, |v[5:6]|
	v_fma_f64 v[11:12], -v[9:10], |v[5:6]|, v[11:12]
	v_fma_f64 v[7:8], v[7:8], v[11:12], v[9:10]
	v_mul_f64 v[11:12], v[5:6], -v[5:6]
	v_fma_f64 v[9:10], v[7:8], s[42:43], v[3:4]
	v_mul_f64 v[36:37], v[11:12], s[16:17]
	v_cmp_nlt_f64_e32 vcc, s[86:87], v[11:12]
	v_cmp_ngt_f64_e64 s[0:1], s[88:89], v[11:12]
	v_fma_f64 v[9:10], v[7:8], v[9:10], s[44:45]
	v_rndne_f64_e32 v[36:37], v[36:37]
	v_fma_f64 v[9:10], v[7:8], v[9:10], s[46:47]
	v_fma_f64 v[38:39], v[36:37], s[18:19], v[11:12]
	;; [unrolled: 1-line block ×4, first 2 shown]
	v_cvt_i32_f64_e32 v36, v[36:37]
	v_fma_f64 v[9:10], v[7:8], v[9:10], s[50:51]
	v_fma_f64 v[40:41], v[38:39], s[22:23], v[1:2]
	;; [unrolled: 1-line block ×19, first 2 shown]
	v_fma_f64 v[40:41], v[38:39], v[40:41], 1.0
	v_fma_f64 v[9:10], v[7:8], v[9:10], s[70:71]
	v_fma_f64 v[9:10], v[7:8], v[9:10], s[72:73]
	;; [unrolled: 1-line block ×7, first 2 shown]
	v_fma_f64 v[9:10], v[38:39], v[40:41], 1.0
	v_fma_f64 v[38:39], v[7:8], v[44:45], v[44:45]
	v_ldexp_f64 v[9:10], v[9:10], v36
	v_fma_f64 v[36:37], -v[38:39], v[42:43], 1.0
	v_add_f64 v[7:8], v[7:8], -v[38:39]
	v_cndmask_b32_e32 v40, v35, v10, vcc
	v_fma_f64 v[10:11], -v[5:6], v[5:6], -v[11:12]
	s_and_b64 vcc, s[0:1], vcc
	v_add_f64 v[7:8], v[36:37], v[7:8]
	v_cndmask_b32_e64 v37, 0, v40, s[0:1]
	v_cndmask_b32_e32 v36, 0, v9, vcc
	v_fma_f64 v[9:10], v[36:37], v[10:11], v[36:37]
	v_cmp_ngt_f64_e64 vcc, |v[5:6]|, s[84:85]
	v_mov_b32_e32 v11, s11
	v_fma_f64 v[7:8], v[44:45], v[7:8], v[38:39]
	v_mul_f64 v[7:8], v[9:10], v[7:8]
	v_cndmask_b32_e32 v8, 0, v8, vcc
	v_cndmask_b32_e32 v7, 0, v7, vcc
	v_add_f64 v[9:10], -v[7:8], 2.0
	v_cmp_gt_f64_e32 vcc, 0, v[5:6]
	v_cndmask_b32_e32 v6, v8, v10, vcc
	v_cndmask_b32_e32 v5, v7, v9, vcc
	v_add_co_u32_e32 v7, vcc, s10, v19
	v_addc_co_u32_e32 v8, vcc, v20, v11, vcc
	global_store_dwordx2 v[7:8], v[5:6], off
	s_branch .LBB0_8
.LBB0_25:
	s_endpgm
	.section	.rodata,"a",@progbits
	.p2align	6, 0x0
	.amdhsa_kernel _ZN2at6native12_GLOBAL__N_125multi_tensor_apply_kernelINS1_18TensorListMetadataILi2EEENS1_14UnaryOpFunctorIdLi2ELi1ELi1EEEJNS0_4ErfcIdEEEEEvT_T0_DpT1_
		.amdhsa_group_segment_fixed_size 0
		.amdhsa_private_segment_fixed_size 0
		.amdhsa_kernarg_size 3408
		.amdhsa_user_sgpr_count 6
		.amdhsa_user_sgpr_private_segment_buffer 1
		.amdhsa_user_sgpr_dispatch_ptr 0
		.amdhsa_user_sgpr_queue_ptr 0
		.amdhsa_user_sgpr_kernarg_segment_ptr 1
		.amdhsa_user_sgpr_dispatch_id 0
		.amdhsa_user_sgpr_flat_scratch_init 0
		.amdhsa_user_sgpr_private_segment_size 0
		.amdhsa_uses_dynamic_stack 0
		.amdhsa_system_sgpr_private_segment_wavefront_offset 0
		.amdhsa_system_sgpr_workgroup_id_x 1
		.amdhsa_system_sgpr_workgroup_id_y 0
		.amdhsa_system_sgpr_workgroup_id_z 0
		.amdhsa_system_sgpr_workgroup_info 0
		.amdhsa_system_vgpr_workitem_id 0
		.amdhsa_next_free_vgpr 56
		.amdhsa_next_free_sgpr 95
		.amdhsa_reserve_vcc 1
		.amdhsa_reserve_flat_scratch 0
		.amdhsa_float_round_mode_32 0
		.amdhsa_float_round_mode_16_64 0
		.amdhsa_float_denorm_mode_32 3
		.amdhsa_float_denorm_mode_16_64 3
		.amdhsa_dx10_clamp 1
		.amdhsa_ieee_mode 1
		.amdhsa_fp16_overflow 0
		.amdhsa_exception_fp_ieee_invalid_op 0
		.amdhsa_exception_fp_denorm_src 0
		.amdhsa_exception_fp_ieee_div_zero 0
		.amdhsa_exception_fp_ieee_overflow 0
		.amdhsa_exception_fp_ieee_underflow 0
		.amdhsa_exception_fp_ieee_inexact 0
		.amdhsa_exception_int_div_zero 0
	.end_amdhsa_kernel
	.section	.text._ZN2at6native12_GLOBAL__N_125multi_tensor_apply_kernelINS1_18TensorListMetadataILi2EEENS1_14UnaryOpFunctorIdLi2ELi1ELi1EEEJNS0_4ErfcIdEEEEEvT_T0_DpT1_,"axG",@progbits,_ZN2at6native12_GLOBAL__N_125multi_tensor_apply_kernelINS1_18TensorListMetadataILi2EEENS1_14UnaryOpFunctorIdLi2ELi1ELi1EEEJNS0_4ErfcIdEEEEEvT_T0_DpT1_,comdat
.Lfunc_end0:
	.size	_ZN2at6native12_GLOBAL__N_125multi_tensor_apply_kernelINS1_18TensorListMetadataILi2EEENS1_14UnaryOpFunctorIdLi2ELi1ELi1EEEJNS0_4ErfcIdEEEEEvT_T0_DpT1_, .Lfunc_end0-_ZN2at6native12_GLOBAL__N_125multi_tensor_apply_kernelINS1_18TensorListMetadataILi2EEENS1_14UnaryOpFunctorIdLi2ELi1ELi1EEEJNS0_4ErfcIdEEEEEvT_T0_DpT1_
                                        ; -- End function
	.set _ZN2at6native12_GLOBAL__N_125multi_tensor_apply_kernelINS1_18TensorListMetadataILi2EEENS1_14UnaryOpFunctorIdLi2ELi1ELi1EEEJNS0_4ErfcIdEEEEEvT_T0_DpT1_.num_vgpr, 56
	.set _ZN2at6native12_GLOBAL__N_125multi_tensor_apply_kernelINS1_18TensorListMetadataILi2EEENS1_14UnaryOpFunctorIdLi2ELi1ELi1EEEJNS0_4ErfcIdEEEEEvT_T0_DpT1_.num_agpr, 0
	.set _ZN2at6native12_GLOBAL__N_125multi_tensor_apply_kernelINS1_18TensorListMetadataILi2EEENS1_14UnaryOpFunctorIdLi2ELi1ELi1EEEJNS0_4ErfcIdEEEEEvT_T0_DpT1_.numbered_sgpr, 95
	.set _ZN2at6native12_GLOBAL__N_125multi_tensor_apply_kernelINS1_18TensorListMetadataILi2EEENS1_14UnaryOpFunctorIdLi2ELi1ELi1EEEJNS0_4ErfcIdEEEEEvT_T0_DpT1_.num_named_barrier, 0
	.set _ZN2at6native12_GLOBAL__N_125multi_tensor_apply_kernelINS1_18TensorListMetadataILi2EEENS1_14UnaryOpFunctorIdLi2ELi1ELi1EEEJNS0_4ErfcIdEEEEEvT_T0_DpT1_.private_seg_size, 0
	.set _ZN2at6native12_GLOBAL__N_125multi_tensor_apply_kernelINS1_18TensorListMetadataILi2EEENS1_14UnaryOpFunctorIdLi2ELi1ELi1EEEJNS0_4ErfcIdEEEEEvT_T0_DpT1_.uses_vcc, 1
	.set _ZN2at6native12_GLOBAL__N_125multi_tensor_apply_kernelINS1_18TensorListMetadataILi2EEENS1_14UnaryOpFunctorIdLi2ELi1ELi1EEEJNS0_4ErfcIdEEEEEvT_T0_DpT1_.uses_flat_scratch, 0
	.set _ZN2at6native12_GLOBAL__N_125multi_tensor_apply_kernelINS1_18TensorListMetadataILi2EEENS1_14UnaryOpFunctorIdLi2ELi1ELi1EEEJNS0_4ErfcIdEEEEEvT_T0_DpT1_.has_dyn_sized_stack, 0
	.set _ZN2at6native12_GLOBAL__N_125multi_tensor_apply_kernelINS1_18TensorListMetadataILi2EEENS1_14UnaryOpFunctorIdLi2ELi1ELi1EEEJNS0_4ErfcIdEEEEEvT_T0_DpT1_.has_recursion, 0
	.set _ZN2at6native12_GLOBAL__N_125multi_tensor_apply_kernelINS1_18TensorListMetadataILi2EEENS1_14UnaryOpFunctorIdLi2ELi1ELi1EEEJNS0_4ErfcIdEEEEEvT_T0_DpT1_.has_indirect_call, 0
	.section	.AMDGPU.csdata,"",@progbits
; Kernel info:
; codeLenInByte = 7196
; TotalNumSgprs: 99
; NumVgprs: 56
; ScratchSize: 0
; MemoryBound: 0
; FloatMode: 240
; IeeeMode: 1
; LDSByteSize: 0 bytes/workgroup (compile time only)
; SGPRBlocks: 12
; VGPRBlocks: 13
; NumSGPRsForWavesPerEU: 99
; NumVGPRsForWavesPerEU: 56
; Occupancy: 4
; WaveLimiterHint : 0
; COMPUTE_PGM_RSRC2:SCRATCH_EN: 0
; COMPUTE_PGM_RSRC2:USER_SGPR: 6
; COMPUTE_PGM_RSRC2:TRAP_HANDLER: 0
; COMPUTE_PGM_RSRC2:TGID_X_EN: 1
; COMPUTE_PGM_RSRC2:TGID_Y_EN: 0
; COMPUTE_PGM_RSRC2:TGID_Z_EN: 0
; COMPUTE_PGM_RSRC2:TIDIG_COMP_CNT: 0
	.section	.text._ZN2at6native12_GLOBAL__N_125multi_tensor_apply_kernelINS1_18TensorListMetadataILi2EEENS1_14UnaryOpFunctorIfLi2ELi1ELi1EEEJNS0_4ErfcIfEEEEEvT_T0_DpT1_,"axG",@progbits,_ZN2at6native12_GLOBAL__N_125multi_tensor_apply_kernelINS1_18TensorListMetadataILi2EEENS1_14UnaryOpFunctorIfLi2ELi1ELi1EEEJNS0_4ErfcIfEEEEEvT_T0_DpT1_,comdat
	.globl	_ZN2at6native12_GLOBAL__N_125multi_tensor_apply_kernelINS1_18TensorListMetadataILi2EEENS1_14UnaryOpFunctorIfLi2ELi1ELi1EEEJNS0_4ErfcIfEEEEEvT_T0_DpT1_ ; -- Begin function _ZN2at6native12_GLOBAL__N_125multi_tensor_apply_kernelINS1_18TensorListMetadataILi2EEENS1_14UnaryOpFunctorIfLi2ELi1ELi1EEEJNS0_4ErfcIfEEEEEvT_T0_DpT1_
	.p2align	8
	.type	_ZN2at6native12_GLOBAL__N_125multi_tensor_apply_kernelINS1_18TensorListMetadataILi2EEENS1_14UnaryOpFunctorIfLi2ELi1ELi1EEEJNS0_4ErfcIfEEEEEvT_T0_DpT1_,@function
_ZN2at6native12_GLOBAL__N_125multi_tensor_apply_kernelINS1_18TensorListMetadataILi2EEENS1_14UnaryOpFunctorIfLi2ELi1ELi1EEEJNS0_4ErfcIfEEEEEvT_T0_DpT1_: ; @_ZN2at6native12_GLOBAL__N_125multi_tensor_apply_kernelINS1_18TensorListMetadataILi2EEENS1_14UnaryOpFunctorIfLi2ELi1ELi1EEEJNS0_4ErfcIfEEEEEvT_T0_DpT1_
; %bb.0:
	v_mov_b32_e32 v1, s6
	global_load_ubyte v1, v1, s[4:5] offset:1536
	s_add_u32 s0, s4, s6
	s_mul_hi_u32 s2, s6, 3
	s_mul_i32 s6, s6, 3
	s_addc_u32 s7, s5, 0
	s_add_u32 s6, s0, s6
	s_addc_u32 s7, s7, s2
	s_load_dword s6, s[6:7], 0x740
	s_mov_b32 s1, 0
	s_mov_b32 s3, s1
	s_waitcnt lgkmcnt(0)
	s_ashr_i32 s7, s6, 31
	s_lshl_b64 s[8:9], s[6:7], 18
	s_lshl_b64 s[6:7], s[6:7], 16
	s_waitcnt vmcnt(0)
	v_readfirstlane_b32 s0, v1
	s_lshl_b32 s0, s0, 3
	s_load_dwordx2 s[16:17], s[4:5], s0 offset:0x400
	s_load_dwordx2 s[12:13], s[4:5], s0 offset:0x0
	;; [unrolled: 1-line block ×3, first 2 shown]
	s_waitcnt lgkmcnt(0)
	s_add_u32 s0, s12, s8
	s_and_b32 s2, s10, 15
	s_and_b32 s0, s0, 15
	s_sub_u32 s14, s16, s6
	s_subb_u32 s15, s17, s7
	s_and_b32 s6, s16, 3
	s_mov_b32 s7, s1
	s_or_b64 s[2:3], s[2:3], s[6:7]
	s_or_b64 s[0:1], s[2:3], s[0:1]
	s_cmp_eq_u64 s[0:1], 0
	s_mov_b64 s[0:1], -1
	s_cbranch_scc0 .LBB1_5
; %bb.1:
	v_mov_b32_e32 v1, 0x10000
	v_mov_b32_e32 v2, 0
	v_cmp_lt_i64_e32 vcc, s[14:15], v[1:2]
	v_mov_b32_e32 v2, 0
	s_and_b64 s[0:1], vcc, exec
	s_cselect_b32 s17, s15, 0
	s_cselect_b32 s16, s14, 0x10000
	v_lshlrev_b32_e32 v1, 2, v0
	v_cmp_gt_i64_e32 vcc, s[16:17], v[1:2]
	s_and_saveexec_b64 s[18:19], vcc
	s_cbranch_execz .LBB1_4
; %bb.2:
	s_load_dword s0, s[4:5], 0xc5c
	v_mov_b32_e32 v1, v2
	v_lshlrev_b32_e32 v2, 4, v0
	v_mov_b32_e32 v3, s9
	v_add_co_u32_e32 v5, vcc, s8, v2
	s_waitcnt lgkmcnt(0)
	s_and_b32 s22, s0, 0xffff
	v_mov_b32_e32 v2, v1
	v_addc_co_u32_e32 v6, vcc, 0, v3, vcc
	s_lshl_b32 s23, s22, 4
	s_mov_b64 s[20:21], 0
	v_mov_b32_e32 v7, s13
	s_mov_b32 s24, 0x3fb8aa3b
	s_mov_b32 s25, 0xc2ce8ed0
	;; [unrolled: 1-line block ×3, first 2 shown]
	v_mov_b32_e32 v8, 0x7f800000
	v_mov_b32_e32 v9, 0x3aad2fb4
	v_mov_b32_e32 v10, 0x3c0da267
	v_mov_b32_e32 v11, 0xbc0415b1
	v_mov_b32_e32 v12, 0xbd5e0a18
	v_mov_b32_e32 v13, 0x3e27fe2a
	v_mov_b32_e32 v14, 0xbe2a03fd
	v_mov_b32_e32 v15, 0xbdbdfb0b
	v_mov_b32_e32 v16, 0x3e8dd01c
	s_mov_b32 s27, 0x4120ddfc
	v_mov_b32_e32 v17, s11
	v_mov_b32_e32 v1, v0
.LBB1_3:                                ; =>This Inner Loop Header: Depth=1
	v_add_co_u32_e32 v3, vcc, s12, v5
	v_addc_co_u32_e32 v4, vcc, v7, v6, vcc
	global_load_dwordx4 v[22:25], v[3:4], off
	v_add_co_u32_e32 v26, vcc, s10, v5
	v_addc_co_u32_e32 v27, vcc, v17, v6, vcc
	v_add_co_u32_e32 v1, vcc, s22, v1
	v_addc_co_u32_e32 v2, vcc, 0, v2, vcc
	v_add_co_u32_e32 v5, vcc, s23, v5
	v_lshlrev_b64 v[3:4], 2, v[1:2]
	v_addc_co_u32_e32 v6, vcc, 0, v6, vcc
	v_cmp_le_i64_e32 vcc, s[16:17], v[3:4]
	v_mov_b32_e32 v18, 0xbaa2d753
	v_mov_b32_e32 v19, 0xbaa2d753
	;; [unrolled: 1-line block ×4, first 2 shown]
	s_or_b64 s[20:21], vcc, s[20:21]
	s_waitcnt vmcnt(0)
	v_add_f32_e64 v28, |v22|, 2.0
	v_rcp_f32_e32 v28, v28
	v_add_f32_e64 v32, |v23|, 2.0
	v_add_f32_e64 v4, |v22|, -2.0
	v_rcp_f32_e32 v32, v32
	v_mul_f32_e32 v4, v4, v28
	v_add_f32_e64 v36, |v24|, 2.0
	v_add_f32_e32 v44, 1.0, v4
	v_add_f32_e64 v31, |v23|, -2.0
	v_rcp_f32_e32 v36, v36
	v_fma_f32 v44, v44, -2.0, |v22|
	v_fma_f32 v44, -v4, |v22|, v44
	v_mul_f32_e32 v31, v31, v32
	v_add_f32_e64 v39, |v25|, 2.0
	v_fmac_f32_e32 v4, v28, v44
	v_add_f32_e32 v44, 1.0, v31
	v_add_f32_e64 v35, |v24|, -2.0
	v_rcp_f32_e32 v39, v39
	v_fma_f32 v44, v44, -2.0, |v23|
	v_fma_f32 v44, -v31, |v23|, v44
	v_mul_f32_e32 v35, v35, v36
	v_fmac_f32_e32 v31, v32, v44
	v_add_f32_e32 v44, 1.0, v35
	v_add_f32_e64 v38, |v25|, -2.0
	v_fma_f32 v44, v44, -2.0, |v24|
	v_mul_f32_e64 v3, v22, -v22
	v_fma_f32 v44, -v35, |v24|, v44
	v_mul_f32_e32 v38, v38, v39
	v_mul_f32_e32 v40, 0x3fb8aa3b, v3
	v_fmac_f32_e32 v35, v36, v44
	v_add_f32_e32 v44, 1.0, v38
	v_mul_f32_e64 v30, v23, -v23
	v_mul_f32_e64 v34, v24, -v24
	v_fma_f32 v28, v3, s24, -v40
	v_rndne_f32_e32 v32, v40
	v_fma_f32 v44, v44, -2.0, |v25|
	v_mul_f32_e32 v41, 0x3fb8aa3b, v30
	v_mul_f32_e32 v42, 0x3fb8aa3b, v34
	v_fma_f32 v44, -v38, |v25|, v44
	v_fmac_f32_e32 v28, 0x32a5705f, v3
	v_sub_f32_e32 v40, v40, v32
	v_mul_f32_e64 v37, v25, -v25
	v_fma_f32 v36, v30, s24, -v41
	v_fmac_f32_e32 v38, v39, v44
	v_rndne_f32_e32 v39, v41
	v_fma_f32 v44, v34, s24, -v42
	v_add_f32_e32 v28, v40, v28
	v_rndne_f32_e32 v40, v42
	v_mul_f32_e32 v43, 0x3fb8aa3b, v37
	v_fmac_f32_e32 v36, 0x32a5705f, v30
	v_sub_f32_e32 v41, v41, v39
	v_fmac_f32_e32 v44, 0x32a5705f, v34
	v_sub_f32_e32 v42, v42, v40
	v_add_f32_e32 v36, v41, v36
	v_fma_f32 v41, v37, s24, -v43
	v_add_f32_e32 v42, v42, v44
	v_rndne_f32_e32 v44, v43
	v_cvt_i32_f32_e32 v32, v32
	v_exp_f32_e32 v28, v28
	v_fmac_f32_e32 v41, 0x32a5705f, v37
	v_sub_f32_e32 v43, v43, v44
	v_add_f32_e32 v41, v43, v41
	v_cvt_i32_f32_e32 v39, v39
	v_exp_f32_e32 v36, v36
	v_cvt_i32_f32_e32 v40, v40
	v_exp_f32_e32 v42, v42
	;; [unrolled: 2-line block ×3, first 2 shown]
	v_fmac_f32_e32 v18, 0xb9d6f8c4, v4
	v_fmac_f32_e32 v19, 0xb9d6f8c4, v31
	v_fmac_f32_e32 v20, 0xb9d6f8c4, v35
	v_fmac_f32_e32 v21, 0xb9d6f8c4, v38
	v_ldexp_f32 v28, v28, v32
	v_cmp_ngt_f32_e32 vcc, s25, v3
	v_fma_f32 v18, v4, v18, v9
	v_fma_f32 v19, v31, v19, v9
	;; [unrolled: 1-line block ×4, first 2 shown]
	v_cndmask_b32_e32 v28, 0, v28, vcc
	v_cmp_nlt_f32_e32 vcc, s26, v3
	v_fma_f32 v18, v4, v18, v10
	v_fma_f32 v19, v31, v19, v10
	v_fma_f32 v20, v35, v20, v10
	v_fma_f32 v21, v38, v21, v10
	v_add_f32_e64 v29, |v22|, |v22|
	v_add_f32_e64 v33, |v23|, |v23|
	;; [unrolled: 1-line block ×4, first 2 shown]
	v_ldexp_f32 v36, v36, v39
	v_fma_f32 v39, -v22, v22, -v3
	v_ldexp_f32 v40, v42, v40
	v_cmp_ngt_f32_e64 s[0:1], s25, v30
	v_cmp_ngt_f32_e64 s[2:3], s25, v34
	v_cndmask_b32_e32 v28, v8, v28, vcc
	v_fma_f32 v18, v4, v18, v11
	v_fma_f32 v19, v31, v19, v11
	;; [unrolled: 1-line block ×4, first 2 shown]
	v_add_f32_e32 v42, 1.0, v29
	v_ldexp_f32 v41, v41, v44
	v_fma_f32 v44, -v23, v23, -v30
	v_add_f32_e32 v3, 1.0, v33
	v_cndmask_b32_e64 v36, 0, v36, s[0:1]
	v_cmp_nlt_f32_e64 s[0:1], s26, v30
	v_fma_f32 v30, -v24, v24, -v34
	v_cndmask_b32_e64 v40, 0, v40, s[2:3]
	v_cmp_nlt_f32_e64 s[2:3], s26, v34
	v_add_f32_e32 v34, 1.0, v43
	v_fmac_f32_e32 v28, v28, v39
	v_add_f32_e32 v39, 1.0, v32
	v_fma_f32 v18, v4, v18, v12
	v_fma_f32 v19, v31, v19, v12
	;; [unrolled: 1-line block ×4, first 2 shown]
	v_rcp_f32_e32 v42, v42
	v_rcp_f32_e32 v3, v3
	;; [unrolled: 1-line block ×4, first 2 shown]
	v_fma_f32 v18, v4, v18, v13
	v_fma_f32 v19, v31, v19, v13
	;; [unrolled: 1-line block ×8, first 2 shown]
	v_cmp_ngt_f32_e64 s[6:7], s25, v37
	v_fma_f32 v18, v4, v18, v15
	v_fma_f32 v19, v31, v19, v15
	;; [unrolled: 1-line block ×4, first 2 shown]
	v_cndmask_b32_e64 v41, 0, v41, s[6:7]
	v_cmp_nlt_f32_e64 s[6:7], s26, v37
	v_cndmask_b32_e64 v40, v8, v40, s[2:3]
	v_fma_f32 v4, v4, v18, v16
	v_fma_f32 v18, v31, v19, v16
	;; [unrolled: 1-line block ×4, first 2 shown]
	v_fma_f32 v37, -v25, v25, -v37
	v_cndmask_b32_e64 v41, v8, v41, s[6:7]
	v_fmac_f32_e32 v40, v40, v30
	v_fma_f32 v21, v4, v42, v42
	v_fma_f32 v30, v18, v3, v3
	;; [unrolled: 1-line block ×4, first 2 shown]
	v_fmac_f32_e32 v41, v41, v37
	v_fma_f32 v29, -v21, v29, 1.0
	v_sub_f32_e32 v4, v4, v21
	v_fma_f32 v33, -v30, v33, 1.0
	v_sub_f32_e32 v18, v18, v30
	;; [unrolled: 2-line block ×4, first 2 shown]
	v_cndmask_b32_e64 v36, v8, v36, s[0:1]
	v_add_f32_e32 v4, v29, v4
	v_add_f32_e32 v18, v33, v18
	;; [unrolled: 1-line block ×4, first 2 shown]
	v_fmac_f32_e32 v36, v36, v44
	v_fmac_f32_e32 v21, v42, v4
	v_fmac_f32_e32 v30, v3, v18
	v_fmac_f32_e32 v31, v34, v19
	v_fmac_f32_e32 v35, v39, v20
	v_mul_f32_e32 v3, v28, v21
	v_mul_f32_e32 v4, v36, v30
	v_cmp_ngt_f32_e64 vcc, |v23|, s27
	v_mul_f32_e32 v18, v40, v31
	v_cmp_ngt_f32_e64 s[0:1], |v24|, s27
	v_mul_f32_e32 v19, v41, v35
	v_cmp_ngt_f32_e64 s[2:3], |v25|, s27
	v_cmp_ngt_f32_e64 s[6:7], |v22|, s27
	v_cndmask_b32_e64 v3, 0, v3, s[6:7]
	v_cndmask_b32_e32 v4, 0, v4, vcc
	v_cndmask_b32_e64 v20, 0, v18, s[0:1]
	v_cndmask_b32_e64 v21, 0, v19, s[2:3]
	v_sub_f32_e32 v18, 2.0, v3
	v_sub_f32_e32 v19, 2.0, v4
	v_cmp_gt_f32_e32 vcc, 0, v23
	v_sub_f32_e32 v23, 2.0, v20
	v_cmp_gt_f32_e64 s[0:1], 0, v24
	v_sub_f32_e32 v24, 2.0, v21
	v_cmp_gt_f32_e64 s[2:3], 0, v25
	v_cmp_gt_f32_e64 s[6:7], 0, v22
	v_cndmask_b32_e64 v18, v3, v18, s[6:7]
	v_cndmask_b32_e32 v19, v4, v19, vcc
	v_cndmask_b32_e64 v20, v20, v23, s[0:1]
	v_cndmask_b32_e64 v21, v21, v24, s[2:3]
	global_store_dwordx4 v[26:27], v[18:21], off
	s_andn2_b64 exec, exec, s[20:21]
	s_cbranch_execnz .LBB1_3
.LBB1_4:
	s_or_b64 exec, exec, s[18:19]
	s_mov_b64 s[0:1], 0
.LBB1_5:
	s_andn2_b64 vcc, exec, s[0:1]
	s_cbranch_vccnz .LBB1_25
; %bb.6:
	v_cmp_lt_i64_e64 s[0:1], s[14:15], 1
	s_and_b64 vcc, exec, s[0:1]
	s_cbranch_vccnz .LBB1_25
; %bb.7:
	v_mov_b32_e32 v1, 0x10000
	s_load_dword s2, s[4:5], 0xc5c
	v_mov_b32_e32 v2, 0
	v_cmp_lt_i64_e32 vcc, s[14:15], v[1:2]
	v_mov_b32_e32 v10, 0
	s_and_b64 s[0:1], vcc, exec
	v_cmp_lt_u64_e32 vcc, s[14:15], v[1:2]
	s_cselect_b32 s17, s15, 0
	s_cselect_b32 s16, s14, 0x10000
	s_waitcnt lgkmcnt(0)
	s_and_b32 s2, s2, 0xffff
	v_lshlrev_b32_e32 v9, 2, v0
	s_and_b64 s[0:1], vcc, exec
	v_mov_b32_e32 v2, s13
	v_add_co_u32_e32 v1, vcc, s12, v9
	v_mad_u64_u32 v[7:8], s[0:1], s2, 12, v[9:10]
	v_addc_co_u32_e32 v2, vcc, 0, v2, vcc
	v_mov_b32_e32 v4, s11
	v_add_co_u32_e32 v3, vcc, s10, v9
	v_addc_co_u32_e32 v4, vcc, 0, v4, vcc
	v_mov_b32_e32 v6, s13
	v_add_co_u32_e32 v5, vcc, s12, v7
	;; [unrolled: 3-line block ×3, first 2 shown]
	s_cselect_b32 s15, s15, 0
	s_cselect_b32 s14, s14, 0x10000
	v_addc_co_u32_e32 v8, vcc, v10, v8, vcc
	s_lshl_b32 s0, s2, 3
	v_add_co_u32_e32 v11, vcc, s0, v9
	v_addc_co_u32_e64 v12, s[0:1], 0, 0, vcc
	v_mov_b32_e32 v10, s13
	v_add_co_u32_e32 v9, vcc, s12, v11
	v_addc_co_u32_e32 v10, vcc, v10, v12, vcc
	v_mov_b32_e32 v13, s11
	v_add_co_u32_e32 v11, vcc, s10, v11
	v_addc_co_u32_e32 v12, vcc, v13, v12, vcc
	v_add_co_u32_e32 v13, vcc, s2, v0
	v_lshlrev_b32_e32 v17, 2, v13
	v_addc_co_u32_e64 v14, s[0:1], 0, 0, vcc
	v_mov_b32_e32 v16, s13
	v_add_co_u32_e32 v15, vcc, s12, v17
	v_addc_co_u32_e32 v16, vcc, 0, v16, vcc
	v_mov_b32_e32 v18, s11
	v_add_co_u32_e32 v17, vcc, s10, v17
	s_mul_i32 s4, s2, 3
	v_addc_co_u32_e32 v18, vcc, 0, v18, vcc
	s_lshl_b32 s3, s2, 1
	v_add_co_u32_e32 v19, vcc, s4, v0
	v_addc_co_u32_e64 v20, s[0:1], 0, 0, vcc
	v_add_co_u32_e32 v21, vcc, s3, v0
	s_lshl_b32 s18, s2, 2
	s_lshl_b32 s19, s2, 4
	s_mov_b64 s[10:11], 0
	s_mov_b32 s20, 0x3fb8aa3b
	s_mov_b32 s21, 0xc2ce8ed0
	;; [unrolled: 1-line block ×4, first 2 shown]
	v_addc_co_u32_e64 v22, s[0:1], 0, 0, vcc
	v_mov_b32_e32 v23, 0x3aad2fb4
	v_mov_b32_e32 v24, 0x3c0da267
	;; [unrolled: 1-line block ×9, first 2 shown]
	s_branch .LBB1_9
.LBB1_8:                                ;   in Loop: Header=BB1_9 Depth=1
	s_or_b64 exec, exec, s[0:1]
	v_add_co_u32_e32 v1, vcc, s19, v1
	v_addc_co_u32_e32 v2, vcc, 0, v2, vcc
	v_add_co_u32_e32 v3, vcc, s19, v3
	v_addc_co_u32_e32 v4, vcc, 0, v4, vcc
	;; [unrolled: 2-line block ×6, first 2 shown]
	s_add_u32 s10, s10, s18
	v_add_co_u32_e32 v15, vcc, s19, v15
	s_waitcnt vmcnt(0)
	v_mov_b32_e32 v33, s17
	s_addc_u32 s11, s11, 0
	v_addc_co_u32_e32 v16, vcc, 0, v16, vcc
	v_mov_b32_e32 v32, s16
	v_cmp_ge_i64_e32 vcc, s[10:11], v[32:33]
	v_add_co_u32_e64 v17, s[0:1], s19, v17
	v_addc_co_u32_e64 v18, s[0:1], 0, v18, s[0:1]
	s_cbranch_vccnz .LBB1_25
.LBB1_9:                                ; =>This Inner Loop Header: Depth=1
	v_mov_b32_e32 v33, s11
	v_add_co_u32_e32 v32, vcc, s10, v0
	v_addc_co_u32_e32 v33, vcc, 0, v33, vcc
	v_cmp_gt_u64_e64 s[4:5], s[14:15], v[32:33]
	v_mov_b32_e32 v35, 0
	s_and_saveexec_b64 s[0:1], s[4:5]
	s_cbranch_execz .LBB1_11
; %bb.10:                               ;   in Loop: Header=BB1_9 Depth=1
	v_mov_b32_e32 v33, s9
	v_add_co_u32_e32 v32, vcc, s8, v1
	v_addc_co_u32_e32 v33, vcc, v2, v33, vcc
	global_load_dword v35, v[32:33], off
.LBB1_11:                               ;   in Loop: Header=BB1_9 Depth=1
	s_or_b64 exec, exec, s[0:1]
	v_mov_b32_e32 v33, s11
	v_add_co_u32_e32 v32, vcc, s10, v13
	v_addc_co_u32_e32 v33, vcc, v14, v33, vcc
	v_cmp_gt_u64_e64 s[2:3], s[14:15], v[32:33]
	v_mov_b32_e32 v33, 0
	v_mov_b32_e32 v34, 0
	s_and_saveexec_b64 s[0:1], s[2:3]
	s_cbranch_execz .LBB1_13
; %bb.12:                               ;   in Loop: Header=BB1_9 Depth=1
	v_mov_b32_e32 v32, s9
	v_add_co_u32_e32 v36, vcc, s8, v15
	v_addc_co_u32_e32 v37, vcc, v16, v32, vcc
	global_load_dword v34, v[36:37], off
.LBB1_13:                               ;   in Loop: Header=BB1_9 Depth=1
	s_or_b64 exec, exec, s[0:1]
	v_mov_b32_e32 v32, s11
	v_add_co_u32_e32 v36, vcc, s10, v21
	v_addc_co_u32_e32 v37, vcc, v22, v32, vcc
	v_cmp_gt_u64_e64 s[0:1], s[14:15], v[36:37]
	s_and_saveexec_b64 s[6:7], s[0:1]
	s_cbranch_execz .LBB1_15
; %bb.14:                               ;   in Loop: Header=BB1_9 Depth=1
	v_mov_b32_e32 v33, s9
	v_add_co_u32_e32 v32, vcc, s8, v9
	v_addc_co_u32_e32 v33, vcc, v10, v33, vcc
	global_load_dword v33, v[32:33], off
.LBB1_15:                               ;   in Loop: Header=BB1_9 Depth=1
	s_or_b64 exec, exec, s[6:7]
	v_mov_b32_e32 v32, s11
	v_add_co_u32_e32 v36, vcc, s10, v19
	v_addc_co_u32_e32 v37, vcc, v20, v32, vcc
	v_cmp_gt_u64_e32 vcc, s[14:15], v[36:37]
	v_mov_b32_e32 v32, 0
	s_and_saveexec_b64 s[12:13], vcc
	s_cbranch_execnz .LBB1_20
; %bb.16:                               ;   in Loop: Header=BB1_9 Depth=1
	s_or_b64 exec, exec, s[12:13]
	s_and_saveexec_b64 s[6:7], s[4:5]
	s_cbranch_execnz .LBB1_21
.LBB1_17:                               ;   in Loop: Header=BB1_9 Depth=1
	s_or_b64 exec, exec, s[6:7]
	s_and_saveexec_b64 s[4:5], s[2:3]
	s_cbranch_execnz .LBB1_22
.LBB1_18:                               ;   in Loop: Header=BB1_9 Depth=1
	s_or_b64 exec, exec, s[4:5]
	s_and_saveexec_b64 s[2:3], s[0:1]
	s_cbranch_execnz .LBB1_23
.LBB1_19:                               ;   in Loop: Header=BB1_9 Depth=1
	s_or_b64 exec, exec, s[2:3]
	s_and_saveexec_b64 s[0:1], vcc
	s_cbranch_execz .LBB1_8
	s_branch .LBB1_24
.LBB1_20:                               ;   in Loop: Header=BB1_9 Depth=1
	v_mov_b32_e32 v32, s9
	v_add_co_u32_e64 v36, s[6:7], s8, v5
	v_addc_co_u32_e64 v37, s[6:7], v6, v32, s[6:7]
	global_load_dword v32, v[36:37], off
	s_or_b64 exec, exec, s[12:13]
	s_and_saveexec_b64 s[6:7], s[4:5]
	s_cbranch_execz .LBB1_17
.LBB1_21:                               ;   in Loop: Header=BB1_9 Depth=1
	s_waitcnt vmcnt(0)
	v_mul_f32_e64 v36, v35, -v35
	v_mul_f32_e32 v37, 0x3fb8aa3b, v36
	v_rndne_f32_e32 v38, v37
	v_sub_f32_e32 v39, v37, v38
	v_fma_f32 v37, v36, s20, -v37
	v_fmac_f32_e32 v37, 0x32a5705f, v36
	v_add_f32_e32 v37, v39, v37
	v_cvt_i32_f32_e32 v38, v38
	v_exp_f32_e32 v37, v37
	v_add_f32_e64 v40, |v35|, -2.0
	v_cmp_ngt_f32_e64 s[4:5], s21, v36
	v_ldexp_f32 v37, v37, v38
	v_add_f32_e64 v38, |v35|, 2.0
	v_rcp_f32_e32 v38, v38
	v_cndmask_b32_e64 v37, 0, v37, s[4:5]
	v_cmp_nlt_f32_e64 s[4:5], s22, v36
	v_cndmask_b32_e64 v37, v31, v37, s[4:5]
	v_mul_f32_e32 v40, v40, v38
	v_add_f32_e32 v41, 1.0, v40
	v_fma_f32 v41, v41, -2.0, |v35|
	v_fma_f32 v41, -v40, |v35|, v41
	v_fmac_f32_e32 v40, v38, v41
	v_mov_b32_e32 v38, 0xbaa2d753
	v_fmac_f32_e32 v38, 0xb9d6f8c4, v40
	v_fma_f32 v38, v40, v38, v23
	v_fma_f32 v36, -v35, v35, -v36
	v_fma_f32 v38, v40, v38, v24
	v_fmac_f32_e32 v37, v37, v36
	v_add_f32_e64 v36, |v35|, |v35|
	v_fma_f32 v38, v40, v38, v25
	v_add_f32_e32 v39, 1.0, v36
	v_fma_f32 v38, v40, v38, v26
	v_rcp_f32_e32 v39, v39
	v_fma_f32 v38, v40, v38, v27
	v_fma_f32 v38, v40, v38, v28
	;; [unrolled: 1-line block ×5, first 2 shown]
	v_fma_f32 v36, -v40, v36, 1.0
	v_sub_f32_e32 v38, v38, v40
	v_add_f32_e32 v36, v36, v38
	v_fmac_f32_e32 v40, v39, v36
	v_mul_f32_e32 v36, v37, v40
	v_cmp_ngt_f32_e64 s[4:5], |v35|, s23
	v_cndmask_b32_e64 v36, 0, v36, s[4:5]
	v_sub_f32_e32 v37, 2.0, v36
	v_cmp_gt_f32_e64 s[4:5], 0, v35
	v_cndmask_b32_e64 v37, v36, v37, s[4:5]
	v_mov_b32_e32 v36, s9
	v_add_co_u32_e64 v35, s[4:5], s8, v3
	v_addc_co_u32_e64 v36, s[4:5], v4, v36, s[4:5]
	global_store_dword v[35:36], v37, off
	s_or_b64 exec, exec, s[6:7]
	s_and_saveexec_b64 s[4:5], s[2:3]
	s_cbranch_execz .LBB1_18
.LBB1_22:                               ;   in Loop: Header=BB1_9 Depth=1
	s_waitcnt vmcnt(0)
	v_mul_f32_e64 v35, v34, -v34
	v_mul_f32_e32 v36, 0x3fb8aa3b, v35
	v_rndne_f32_e32 v37, v36
	v_sub_f32_e32 v38, v36, v37
	v_fma_f32 v36, v35, s20, -v36
	v_fmac_f32_e32 v36, 0x32a5705f, v35
	v_add_f32_e32 v36, v38, v36
	v_exp_f32_e32 v36, v36
	v_cvt_i32_f32_e32 v37, v37
	v_cmp_ngt_f32_e64 s[2:3], s21, v35
	v_fma_f32 v38, -v34, v34, -v35
	v_ldexp_f32 v36, v36, v37
	v_add_f32_e64 v37, |v34|, 2.0
	v_rcp_f32_e32 v37, v37
	v_cndmask_b32_e64 v36, 0, v36, s[2:3]
	v_cmp_nlt_f32_e64 s[2:3], s22, v35
	v_cndmask_b32_e64 v35, v31, v36, s[2:3]
	v_add_f32_e64 v36, |v34|, -2.0
	v_mul_f32_e32 v36, v36, v37
	v_fmac_f32_e32 v35, v35, v38
	v_add_f32_e32 v38, 1.0, v36
	v_fma_f32 v38, v38, -2.0, |v34|
	v_fma_f32 v38, -v36, |v34|, v38
	v_fmac_f32_e32 v36, v37, v38
	v_mov_b32_e32 v37, 0xbaa2d753
	v_fmac_f32_e32 v37, 0xb9d6f8c4, v36
	v_fma_f32 v37, v36, v37, v23
	v_fma_f32 v37, v36, v37, v24
	v_fma_f32 v37, v36, v37, v25
	v_add_f32_e64 v38, |v34|, |v34|
	v_fma_f32 v37, v36, v37, v26
	v_add_f32_e32 v39, 1.0, v38
	v_fma_f32 v37, v36, v37, v27
	v_rcp_f32_e32 v39, v39
	v_fma_f32 v37, v36, v37, v28
	v_fma_f32 v37, v36, v37, v29
	;; [unrolled: 1-line block ×4, first 2 shown]
	v_fma_f32 v38, -v37, v38, 1.0
	v_sub_f32_e32 v36, v36, v37
	v_add_f32_e32 v36, v38, v36
	v_fmac_f32_e32 v37, v39, v36
	v_mul_f32_e32 v35, v35, v37
	v_cmp_ngt_f32_e64 s[2:3], |v34|, s23
	v_cndmask_b32_e64 v35, 0, v35, s[2:3]
	v_sub_f32_e32 v36, 2.0, v35
	v_cmp_gt_f32_e64 s[2:3], 0, v34
	v_cndmask_b32_e64 v36, v35, v36, s[2:3]
	v_mov_b32_e32 v35, s9
	v_add_co_u32_e64 v34, s[2:3], s8, v17
	v_addc_co_u32_e64 v35, s[2:3], v18, v35, s[2:3]
	global_store_dword v[34:35], v36, off
	s_or_b64 exec, exec, s[4:5]
	s_and_saveexec_b64 s[2:3], s[0:1]
	s_cbranch_execz .LBB1_19
.LBB1_23:                               ;   in Loop: Header=BB1_9 Depth=1
	s_waitcnt vmcnt(0)
	v_mul_f32_e64 v34, v33, -v33
	v_mul_f32_e32 v35, 0x3fb8aa3b, v34
	v_rndne_f32_e32 v36, v35
	v_sub_f32_e32 v37, v35, v36
	v_fma_f32 v35, v34, s20, -v35
	v_fmac_f32_e32 v35, 0x32a5705f, v34
	v_add_f32_e32 v35, v37, v35
	v_exp_f32_e32 v35, v35
	v_cvt_i32_f32_e32 v36, v36
	v_cmp_ngt_f32_e64 s[0:1], s21, v34
	v_fma_f32 v37, -v33, v33, -v34
	v_ldexp_f32 v35, v35, v36
	v_add_f32_e64 v36, |v33|, 2.0
	v_rcp_f32_e32 v36, v36
	v_cndmask_b32_e64 v35, 0, v35, s[0:1]
	v_cmp_nlt_f32_e64 s[0:1], s22, v34
	v_cndmask_b32_e64 v34, v31, v35, s[0:1]
	v_add_f32_e64 v35, |v33|, -2.0
	v_mul_f32_e32 v35, v35, v36
	v_fmac_f32_e32 v34, v34, v37
	v_add_f32_e32 v37, 1.0, v35
	v_fma_f32 v37, v37, -2.0, |v33|
	v_fma_f32 v37, -v35, |v33|, v37
	v_fmac_f32_e32 v35, v36, v37
	v_mov_b32_e32 v36, 0xbaa2d753
	v_fmac_f32_e32 v36, 0xb9d6f8c4, v35
	v_fma_f32 v36, v35, v36, v23
	v_fma_f32 v36, v35, v36, v24
	;; [unrolled: 1-line block ×3, first 2 shown]
	v_add_f32_e64 v37, |v33|, |v33|
	v_fma_f32 v36, v35, v36, v26
	v_add_f32_e32 v38, 1.0, v37
	v_fma_f32 v36, v35, v36, v27
	v_rcp_f32_e32 v38, v38
	v_fma_f32 v36, v35, v36, v28
	v_fma_f32 v36, v35, v36, v29
	v_fma_f32 v35, v35, v36, v30
	v_fma_f32 v36, v35, v38, v38
	v_fma_f32 v37, -v36, v37, 1.0
	v_sub_f32_e32 v35, v35, v36
	v_add_f32_e32 v35, v37, v35
	v_fmac_f32_e32 v36, v38, v35
	v_mul_f32_e32 v34, v34, v36
	v_cmp_ngt_f32_e64 s[0:1], |v33|, s23
	v_cndmask_b32_e64 v34, 0, v34, s[0:1]
	v_sub_f32_e32 v35, 2.0, v34
	v_cmp_gt_f32_e64 s[0:1], 0, v33
	v_cndmask_b32_e64 v35, v34, v35, s[0:1]
	v_mov_b32_e32 v34, s9
	v_add_co_u32_e64 v33, s[0:1], s8, v11
	v_addc_co_u32_e64 v34, s[0:1], v12, v34, s[0:1]
	global_store_dword v[33:34], v35, off
	s_or_b64 exec, exec, s[2:3]
	s_and_saveexec_b64 s[0:1], vcc
	s_cbranch_execz .LBB1_8
.LBB1_24:                               ;   in Loop: Header=BB1_9 Depth=1
	s_waitcnt vmcnt(0)
	v_mul_f32_e64 v33, v32, -v32
	v_mul_f32_e32 v34, 0x3fb8aa3b, v33
	v_rndne_f32_e32 v35, v34
	v_sub_f32_e32 v36, v34, v35
	v_fma_f32 v34, v33, s20, -v34
	v_fmac_f32_e32 v34, 0x32a5705f, v33
	v_add_f32_e32 v34, v36, v34
	v_exp_f32_e32 v34, v34
	v_cvt_i32_f32_e32 v35, v35
	v_cmp_ngt_f32_e32 vcc, s21, v33
	v_fma_f32 v36, -v32, v32, -v33
	v_ldexp_f32 v34, v34, v35
	v_add_f32_e64 v35, |v32|, 2.0
	v_rcp_f32_e32 v35, v35
	v_cndmask_b32_e32 v34, 0, v34, vcc
	v_cmp_nlt_f32_e32 vcc, s22, v33
	v_cndmask_b32_e32 v33, v31, v34, vcc
	v_add_f32_e64 v34, |v32|, -2.0
	v_mul_f32_e32 v34, v34, v35
	v_fmac_f32_e32 v33, v33, v36
	v_add_f32_e32 v36, 1.0, v34
	v_fma_f32 v36, v36, -2.0, |v32|
	v_fma_f32 v36, -v34, |v32|, v36
	v_fmac_f32_e32 v34, v35, v36
	v_mov_b32_e32 v35, 0xbaa2d753
	v_fmac_f32_e32 v35, 0xb9d6f8c4, v34
	v_fma_f32 v35, v34, v35, v23
	v_fma_f32 v35, v34, v35, v24
	;; [unrolled: 1-line block ×3, first 2 shown]
	v_add_f32_e64 v36, |v32|, |v32|
	v_fma_f32 v35, v34, v35, v26
	v_add_f32_e32 v37, 1.0, v36
	v_fma_f32 v35, v34, v35, v27
	v_rcp_f32_e32 v37, v37
	v_fma_f32 v35, v34, v35, v28
	v_fma_f32 v35, v34, v35, v29
	;; [unrolled: 1-line block ×4, first 2 shown]
	v_fma_f32 v36, -v35, v36, 1.0
	v_sub_f32_e32 v34, v34, v35
	v_add_f32_e32 v34, v36, v34
	v_fmac_f32_e32 v35, v37, v34
	v_mul_f32_e32 v33, v33, v35
	v_cmp_ngt_f32_e64 vcc, |v32|, s23
	v_cndmask_b32_e32 v33, 0, v33, vcc
	v_sub_f32_e32 v34, 2.0, v33
	v_cmp_gt_f32_e32 vcc, 0, v32
	v_cndmask_b32_e32 v34, v33, v34, vcc
	v_mov_b32_e32 v33, s9
	v_add_co_u32_e32 v32, vcc, s8, v7
	v_addc_co_u32_e32 v33, vcc, v8, v33, vcc
	global_store_dword v[32:33], v34, off
	s_branch .LBB1_8
.LBB1_25:
	s_endpgm
	.section	.rodata,"a",@progbits
	.p2align	6, 0x0
	.amdhsa_kernel _ZN2at6native12_GLOBAL__N_125multi_tensor_apply_kernelINS1_18TensorListMetadataILi2EEENS1_14UnaryOpFunctorIfLi2ELi1ELi1EEEJNS0_4ErfcIfEEEEEvT_T0_DpT1_
		.amdhsa_group_segment_fixed_size 0
		.amdhsa_private_segment_fixed_size 0
		.amdhsa_kernarg_size 3408
		.amdhsa_user_sgpr_count 6
		.amdhsa_user_sgpr_private_segment_buffer 1
		.amdhsa_user_sgpr_dispatch_ptr 0
		.amdhsa_user_sgpr_queue_ptr 0
		.amdhsa_user_sgpr_kernarg_segment_ptr 1
		.amdhsa_user_sgpr_dispatch_id 0
		.amdhsa_user_sgpr_flat_scratch_init 0
		.amdhsa_user_sgpr_private_segment_size 0
		.amdhsa_uses_dynamic_stack 0
		.amdhsa_system_sgpr_private_segment_wavefront_offset 0
		.amdhsa_system_sgpr_workgroup_id_x 1
		.amdhsa_system_sgpr_workgroup_id_y 0
		.amdhsa_system_sgpr_workgroup_id_z 0
		.amdhsa_system_sgpr_workgroup_info 0
		.amdhsa_system_vgpr_workitem_id 0
		.amdhsa_next_free_vgpr 45
		.amdhsa_next_free_sgpr 28
		.amdhsa_reserve_vcc 1
		.amdhsa_reserve_flat_scratch 0
		.amdhsa_float_round_mode_32 0
		.amdhsa_float_round_mode_16_64 0
		.amdhsa_float_denorm_mode_32 3
		.amdhsa_float_denorm_mode_16_64 3
		.amdhsa_dx10_clamp 1
		.amdhsa_ieee_mode 1
		.amdhsa_fp16_overflow 0
		.amdhsa_exception_fp_ieee_invalid_op 0
		.amdhsa_exception_fp_denorm_src 0
		.amdhsa_exception_fp_ieee_div_zero 0
		.amdhsa_exception_fp_ieee_overflow 0
		.amdhsa_exception_fp_ieee_underflow 0
		.amdhsa_exception_fp_ieee_inexact 0
		.amdhsa_exception_int_div_zero 0
	.end_amdhsa_kernel
	.section	.text._ZN2at6native12_GLOBAL__N_125multi_tensor_apply_kernelINS1_18TensorListMetadataILi2EEENS1_14UnaryOpFunctorIfLi2ELi1ELi1EEEJNS0_4ErfcIfEEEEEvT_T0_DpT1_,"axG",@progbits,_ZN2at6native12_GLOBAL__N_125multi_tensor_apply_kernelINS1_18TensorListMetadataILi2EEENS1_14UnaryOpFunctorIfLi2ELi1ELi1EEEJNS0_4ErfcIfEEEEEvT_T0_DpT1_,comdat
.Lfunc_end1:
	.size	_ZN2at6native12_GLOBAL__N_125multi_tensor_apply_kernelINS1_18TensorListMetadataILi2EEENS1_14UnaryOpFunctorIfLi2ELi1ELi1EEEJNS0_4ErfcIfEEEEEvT_T0_DpT1_, .Lfunc_end1-_ZN2at6native12_GLOBAL__N_125multi_tensor_apply_kernelINS1_18TensorListMetadataILi2EEENS1_14UnaryOpFunctorIfLi2ELi1ELi1EEEJNS0_4ErfcIfEEEEEvT_T0_DpT1_
                                        ; -- End function
	.set _ZN2at6native12_GLOBAL__N_125multi_tensor_apply_kernelINS1_18TensorListMetadataILi2EEENS1_14UnaryOpFunctorIfLi2ELi1ELi1EEEJNS0_4ErfcIfEEEEEvT_T0_DpT1_.num_vgpr, 45
	.set _ZN2at6native12_GLOBAL__N_125multi_tensor_apply_kernelINS1_18TensorListMetadataILi2EEENS1_14UnaryOpFunctorIfLi2ELi1ELi1EEEJNS0_4ErfcIfEEEEEvT_T0_DpT1_.num_agpr, 0
	.set _ZN2at6native12_GLOBAL__N_125multi_tensor_apply_kernelINS1_18TensorListMetadataILi2EEENS1_14UnaryOpFunctorIfLi2ELi1ELi1EEEJNS0_4ErfcIfEEEEEvT_T0_DpT1_.numbered_sgpr, 28
	.set _ZN2at6native12_GLOBAL__N_125multi_tensor_apply_kernelINS1_18TensorListMetadataILi2EEENS1_14UnaryOpFunctorIfLi2ELi1ELi1EEEJNS0_4ErfcIfEEEEEvT_T0_DpT1_.num_named_barrier, 0
	.set _ZN2at6native12_GLOBAL__N_125multi_tensor_apply_kernelINS1_18TensorListMetadataILi2EEENS1_14UnaryOpFunctorIfLi2ELi1ELi1EEEJNS0_4ErfcIfEEEEEvT_T0_DpT1_.private_seg_size, 0
	.set _ZN2at6native12_GLOBAL__N_125multi_tensor_apply_kernelINS1_18TensorListMetadataILi2EEENS1_14UnaryOpFunctorIfLi2ELi1ELi1EEEJNS0_4ErfcIfEEEEEvT_T0_DpT1_.uses_vcc, 1
	.set _ZN2at6native12_GLOBAL__N_125multi_tensor_apply_kernelINS1_18TensorListMetadataILi2EEENS1_14UnaryOpFunctorIfLi2ELi1ELi1EEEJNS0_4ErfcIfEEEEEvT_T0_DpT1_.uses_flat_scratch, 0
	.set _ZN2at6native12_GLOBAL__N_125multi_tensor_apply_kernelINS1_18TensorListMetadataILi2EEENS1_14UnaryOpFunctorIfLi2ELi1ELi1EEEJNS0_4ErfcIfEEEEEvT_T0_DpT1_.has_dyn_sized_stack, 0
	.set _ZN2at6native12_GLOBAL__N_125multi_tensor_apply_kernelINS1_18TensorListMetadataILi2EEENS1_14UnaryOpFunctorIfLi2ELi1ELi1EEEJNS0_4ErfcIfEEEEEvT_T0_DpT1_.has_recursion, 0
	.set _ZN2at6native12_GLOBAL__N_125multi_tensor_apply_kernelINS1_18TensorListMetadataILi2EEENS1_14UnaryOpFunctorIfLi2ELi1ELi1EEEJNS0_4ErfcIfEEEEEvT_T0_DpT1_.has_indirect_call, 0
	.section	.AMDGPU.csdata,"",@progbits
; Kernel info:
; codeLenInByte = 3880
; TotalNumSgprs: 32
; NumVgprs: 45
; ScratchSize: 0
; MemoryBound: 0
; FloatMode: 240
; IeeeMode: 1
; LDSByteSize: 0 bytes/workgroup (compile time only)
; SGPRBlocks: 3
; VGPRBlocks: 11
; NumSGPRsForWavesPerEU: 32
; NumVGPRsForWavesPerEU: 45
; Occupancy: 5
; WaveLimiterHint : 0
; COMPUTE_PGM_RSRC2:SCRATCH_EN: 0
; COMPUTE_PGM_RSRC2:USER_SGPR: 6
; COMPUTE_PGM_RSRC2:TRAP_HANDLER: 0
; COMPUTE_PGM_RSRC2:TGID_X_EN: 1
; COMPUTE_PGM_RSRC2:TGID_Y_EN: 0
; COMPUTE_PGM_RSRC2:TGID_Z_EN: 0
; COMPUTE_PGM_RSRC2:TIDIG_COMP_CNT: 0
	.section	.text._ZN2at6native12_GLOBAL__N_125multi_tensor_apply_kernelINS1_18TensorListMetadataILi2EEENS1_14UnaryOpFunctorIN3c104HalfELi2ELi1ELi1EEEJNS0_4ErfcIfEEEEEvT_T0_DpT1_,"axG",@progbits,_ZN2at6native12_GLOBAL__N_125multi_tensor_apply_kernelINS1_18TensorListMetadataILi2EEENS1_14UnaryOpFunctorIN3c104HalfELi2ELi1ELi1EEEJNS0_4ErfcIfEEEEEvT_T0_DpT1_,comdat
	.globl	_ZN2at6native12_GLOBAL__N_125multi_tensor_apply_kernelINS1_18TensorListMetadataILi2EEENS1_14UnaryOpFunctorIN3c104HalfELi2ELi1ELi1EEEJNS0_4ErfcIfEEEEEvT_T0_DpT1_ ; -- Begin function _ZN2at6native12_GLOBAL__N_125multi_tensor_apply_kernelINS1_18TensorListMetadataILi2EEENS1_14UnaryOpFunctorIN3c104HalfELi2ELi1ELi1EEEJNS0_4ErfcIfEEEEEvT_T0_DpT1_
	.p2align	8
	.type	_ZN2at6native12_GLOBAL__N_125multi_tensor_apply_kernelINS1_18TensorListMetadataILi2EEENS1_14UnaryOpFunctorIN3c104HalfELi2ELi1ELi1EEEJNS0_4ErfcIfEEEEEvT_T0_DpT1_,@function
_ZN2at6native12_GLOBAL__N_125multi_tensor_apply_kernelINS1_18TensorListMetadataILi2EEENS1_14UnaryOpFunctorIN3c104HalfELi2ELi1ELi1EEEJNS0_4ErfcIfEEEEEvT_T0_DpT1_: ; @_ZN2at6native12_GLOBAL__N_125multi_tensor_apply_kernelINS1_18TensorListMetadataILi2EEENS1_14UnaryOpFunctorIN3c104HalfELi2ELi1ELi1EEEJNS0_4ErfcIfEEEEEvT_T0_DpT1_
; %bb.0:
	v_mov_b32_e32 v1, s6
	global_load_ubyte v1, v1, s[4:5] offset:1536
	s_add_u32 s0, s4, s6
	s_mul_hi_u32 s2, s6, 3
	s_mul_i32 s6, s6, 3
	s_addc_u32 s7, s5, 0
	s_add_u32 s6, s0, s6
	s_addc_u32 s7, s7, s2
	s_load_dword s6, s[6:7], 0x740
	s_mov_b32 s1, 0
	s_mov_b32 s3, s1
	s_waitcnt lgkmcnt(0)
	s_ashr_i32 s7, s6, 31
	s_lshl_b64 s[8:9], s[6:7], 17
	s_lshl_b64 s[6:7], s[6:7], 16
	s_waitcnt vmcnt(0)
	v_readfirstlane_b32 s0, v1
	s_lshl_b32 s0, s0, 3
	s_load_dwordx2 s[16:17], s[4:5], s0 offset:0x400
	s_load_dwordx2 s[12:13], s[4:5], s0 offset:0x0
	;; [unrolled: 1-line block ×3, first 2 shown]
	s_waitcnt lgkmcnt(0)
	s_add_u32 s0, s12, s8
	s_and_b32 s2, s10, 7
	s_and_b32 s0, s0, 7
	s_sub_u32 s14, s16, s6
	s_subb_u32 s15, s17, s7
	s_and_b32 s6, s16, 3
	s_mov_b32 s7, s1
	s_or_b64 s[2:3], s[2:3], s[6:7]
	s_or_b64 s[0:1], s[2:3], s[0:1]
	s_cmp_eq_u64 s[0:1], 0
	s_mov_b64 s[0:1], -1
	s_cbranch_scc0 .LBB2_5
; %bb.1:
	v_mov_b32_e32 v1, 0x10000
	v_mov_b32_e32 v2, 0
	v_cmp_lt_i64_e32 vcc, s[14:15], v[1:2]
	v_mov_b32_e32 v2, 0
	s_and_b64 s[0:1], vcc, exec
	s_cselect_b32 s17, s15, 0
	s_cselect_b32 s16, s14, 0x10000
	v_lshlrev_b32_e32 v1, 2, v0
	v_cmp_gt_i64_e32 vcc, s[16:17], v[1:2]
	s_and_saveexec_b64 s[18:19], vcc
	s_cbranch_execz .LBB2_4
; %bb.2:
	s_load_dword s0, s[4:5], 0xc5c
	v_lshlrev_b32_e32 v3, 3, v0
	v_mov_b32_e32 v1, v2
	v_mov_b32_e32 v4, s9
	v_add_co_u32_e32 v7, vcc, s8, v3
	s_waitcnt lgkmcnt(0)
	s_and_b32 s22, s0, 0xffff
	v_addc_co_u32_e32 v8, vcc, 0, v4, vcc
	v_mov_b32_e32 v4, v1
	s_lshl_b32 s23, s22, 3
	s_mov_b64 s[20:21], 0
	v_mov_b32_e32 v9, s13
	s_mov_b32 s24, 0x3fb8aa3b
	s_mov_b32 s25, 0xc2ce8ed0
	;; [unrolled: 1-line block ×3, first 2 shown]
	v_mov_b32_e32 v10, 0x7f800000
	s_mov_b32 s27, -2.0
	v_mov_b32_e32 v11, 0x3aad2fb4
	v_mov_b32_e32 v12, 0x3c0da267
	;; [unrolled: 1-line block ×8, first 2 shown]
	s_mov_b32 s28, 0x4120ddfc
	v_mov_b32_e32 v19, s11
	v_mov_b32_e32 v3, v0
.LBB2_3:                                ; =>This Inner Loop Header: Depth=1
	v_add_co_u32_e32 v5, vcc, s12, v7
	v_addc_co_u32_e32 v6, vcc, v9, v8, vcc
	global_load_dwordx2 v[5:6], v[5:6], off
	v_mov_b32_e32 v1, 0xbaa2d753
	v_mov_b32_e32 v26, 0xbaa2d753
	;; [unrolled: 1-line block ×4, first 2 shown]
	s_waitcnt vmcnt(0)
	v_cvt_f32_f16_e32 v22, v5
	v_cvt_f32_f16_sdwa v25, v5 dst_sel:DWORD dst_unused:UNUSED_PAD src0_sel:WORD_1
	v_cvt_f32_f16_e32 v24, v6
	v_cvt_f32_f16_sdwa v23, v6 dst_sel:DWORD dst_unused:UNUSED_PAD src0_sel:WORD_1
	v_add_f32_e64 v28, |v22|, 2.0
	v_rcp_f32_e32 v28, v28
	v_add_f32_e64 v30, |v25|, 2.0
	v_add_f32_e64 v27, |v22|, -2.0
	v_rcp_f32_e32 v30, v30
	v_mul_f32_e32 v43, v27, v28
	v_add_f32_e32 v27, 1.0, v43
	v_add_f32_e64 v29, |v25|, -2.0
	v_fma_mix_f32 v27, v27, s27, |v5| op_sel_hi:[0,0,1]
	v_fma_mix_f32 v27, -v43, |v5|, v27 op_sel_hi:[0,1,0]
	v_mul_f32_e32 v44, v29, v30
	v_mul_f32_e64 v31, v22, -v22
	v_mul_f32_e64 v32, v25, -v25
	v_add_f32_e64 v35, |v24|, 2.0
	v_fmac_f32_e32 v43, v28, v27
	v_add_f32_e32 v28, 1.0, v44
	v_mul_f32_e64 v33, v24, -v24
	v_mul_f32_e32 v37, 0x3fb8aa3b, v31
	v_mul_f32_e32 v38, 0x3fb8aa3b, v32
	v_rcp_f32_e32 v35, v35
	v_fma_mix_f32 v28, v28, s27, |v5| op_sel:[0,0,1] op_sel_hi:[0,0,1]
	v_mul_f32_e64 v36, v23, -v23
	v_mul_f32_e32 v39, 0x3fb8aa3b, v33
	v_fma_f32 v41, v31, s24, -v37
	v_rndne_f32_e32 v42, v37
	v_fma_f32 v27, v32, s24, -v38
	v_fma_mix_f32 v28, -v44, |v5|, v28 op_sel:[0,1,0] op_sel_hi:[0,1,0]
	v_rndne_f32_e32 v29, v38
	v_mul_f32_e32 v40, 0x3fb8aa3b, v36
	v_fmac_f32_e32 v44, v30, v28
	v_fma_f32 v28, v33, s24, -v39
	v_fmac_f32_e32 v41, 0x32a5705f, v31
	v_sub_f32_e32 v30, v37, v42
	v_rndne_f32_e32 v37, v39
	v_fmac_f32_e32 v27, 0x32a5705f, v32
	v_sub_f32_e32 v38, v38, v29
	v_add_f32_e64 v34, |v24|, -2.0
	v_add_f32_e32 v30, v30, v41
	v_add_f32_e32 v38, v38, v27
	v_fma_f32 v27, v36, s24, -v40
	v_fmac_f32_e32 v28, 0x32a5705f, v33
	v_sub_f32_e32 v39, v39, v37
	v_rndne_f32_e32 v41, v40
	v_add_f32_e32 v39, v39, v28
	v_fmac_f32_e32 v27, 0x32a5705f, v36
	v_sub_f32_e32 v28, v40, v41
	v_mul_f32_e32 v34, v34, v35
	v_add_f32_e32 v40, v28, v27
	v_add_f32_e32 v27, 1.0, v34
	v_fma_mix_f32 v27, v27, s27, |v6| op_sel_hi:[0,0,1]
	v_cvt_i32_f32_e32 v29, v29
	v_exp_f32_e32 v38, v38
	v_fma_mix_f32 v27, -v34, |v6|, v27 op_sel_hi:[0,1,0]
	v_fmac_f32_e32 v34, v35, v27
	v_add_co_u32_e32 v27, vcc, s10, v7
	v_addc_co_u32_e32 v28, vcc, v19, v8, vcc
	v_add_co_u32_e32 v3, vcc, s22, v3
	v_cvt_i32_f32_e32 v35, v42
	v_exp_f32_e32 v30, v30
	v_ldexp_f32 v38, v38, v29
	v_add_f32_e64 v29, |v23|, 2.0
	v_addc_co_u32_e32 v4, vcc, 0, v4, vcc
	v_rcp_f32_e32 v29, v29
	v_add_co_u32_e32 v7, vcc, s23, v7
	v_cvt_i32_f32_e32 v37, v37
	v_exp_f32_e32 v39, v39
	v_addc_co_u32_e32 v8, vcc, 0, v8, vcc
	v_ldexp_f32 v35, v30, v35
	v_add_f32_e64 v30, |v23|, -2.0
	v_cmp_ngt_f32_e32 vcc, s25, v31
	v_mul_f32_e32 v42, v30, v29
	v_cndmask_b32_e32 v35, 0, v35, vcc
	v_cmp_nlt_f32_e32 vcc, s26, v31
	v_ldexp_f32 v37, v39, v37
	v_add_f32_e32 v30, 1.0, v42
	v_cvt_i32_f32_e32 v39, v41
	v_exp_f32_e32 v40, v40
	v_cndmask_b32_e32 v35, v10, v35, vcc
	v_cmp_ngt_f32_e32 vcc, s25, v32
	v_fma_mix_f32 v30, v30, s27, |v6| op_sel:[0,0,1] op_sel_hi:[0,0,1]
	v_cndmask_b32_e32 v38, 0, v38, vcc
	v_cmp_nlt_f32_e32 vcc, s26, v32
	v_fma_mix_f32 v30, -v42, |v6|, v30 op_sel:[0,1,0] op_sel_hi:[0,1,0]
	v_cndmask_b32_e32 v38, v10, v38, vcc
	v_cmp_ngt_f32_e32 vcc, s25, v33
	v_fmac_f32_e32 v42, v29, v30
	v_cndmask_b32_e32 v37, 0, v37, vcc
	v_cmp_nlt_f32_e32 vcc, s26, v33
	v_fmac_f32_e32 v1, 0xb9d6f8c4, v43
	v_ldexp_f32 v39, v40, v39
	v_cndmask_b32_e32 v37, v10, v37, vcc
	v_cmp_ngt_f32_e32 vcc, s25, v36
	v_fma_f32 v1, v43, v1, v11
	v_fmac_f32_e32 v26, 0xb9d6f8c4, v42
	v_cndmask_b32_e32 v39, 0, v39, vcc
	v_cmp_nlt_f32_e32 vcc, s26, v36
	v_fma_f32 v1, v43, v1, v12
	v_fmac_f32_e32 v20, 0xb9d6f8c4, v44
	v_fmac_f32_e32 v21, 0xb9d6f8c4, v34
	v_fma_f32 v26, v42, v26, v11
	v_add_f32_e64 v40, |v22|, |v22|
	v_fma_mix_f32 v36, -v6, v6, -v36 op_sel:[1,1,0] op_sel_hi:[1,1,0]
	v_cndmask_b32_e32 v39, v10, v39, vcc
	v_fma_f32 v1, v43, v1, v13
	v_fma_f32 v20, v44, v20, v11
	;; [unrolled: 1-line block ×4, first 2 shown]
	v_fma_mix_f32 v31, -v5, v5, -v31 op_sel_hi:[1,1,0]
	v_fmac_f32_e32 v39, v39, v36
	v_add_f32_e32 v36, 1.0, v40
	v_fma_f32 v1, v43, v1, v14
	v_fma_f32 v20, v44, v20, v12
	;; [unrolled: 1-line block ×4, first 2 shown]
	v_fmac_f32_e32 v35, v35, v31
	v_add_f32_e64 v31, |v25|, |v25|
	v_fma_f32 v1, v43, v1, v15
	v_fma_f32 v20, v44, v20, v13
	;; [unrolled: 1-line block ×3, first 2 shown]
	v_rcp_f32_e32 v36, v36
	v_fma_f32 v26, v42, v26, v14
	v_fma_mix_f32 v32, -v5, v5, -v32 op_sel:[1,1,0] op_sel_hi:[1,1,0]
	v_fma_f32 v1, v43, v1, v16
	v_add_f32_e32 v41, 1.0, v31
	v_fma_f32 v20, v44, v20, v14
	v_fma_f32 v21, v34, v21, v14
	;; [unrolled: 1-line block ×3, first 2 shown]
	v_fmac_f32_e32 v38, v38, v32
	v_add_f32_e64 v32, |v24|, |v24|
	v_fma_f32 v1, v43, v1, v17
	v_fma_f32 v20, v44, v20, v15
	;; [unrolled: 1-line block ×3, first 2 shown]
	v_rcp_f32_e32 v41, v41
	v_fma_f32 v26, v42, v26, v16
	v_fma_mix_f32 v33, -v6, v6, -v33 op_sel_hi:[1,1,0]
	v_fma_f32 v1, v43, v1, v18
	v_fma_f32 v20, v44, v20, v16
	v_add_f32_e32 v43, 1.0, v32
	v_fma_f32 v21, v34, v21, v16
	v_fma_f32 v26, v42, v26, v17
	v_fmac_f32_e32 v37, v37, v33
	v_add_f32_e64 v33, |v23|, |v23|
	v_fma_f32 v20, v44, v20, v17
	v_fma_f32 v21, v34, v21, v17
	v_rcp_f32_e32 v43, v43
	v_fma_f32 v26, v42, v26, v18
	v_fma_f32 v42, v1, v36, v36
	;; [unrolled: 1-line block ×4, first 2 shown]
	v_add_f32_e32 v34, 1.0, v33
	v_fma_f32 v40, -v42, v40, 1.0
	v_sub_f32_e32 v1, v1, v42
	v_rcp_f32_e32 v34, v34
	v_add_f32_e32 v1, v40, v1
	v_fma_f32 v40, v20, v41, v41
	v_fma_f32 v31, -v40, v31, 1.0
	v_sub_f32_e32 v20, v20, v40
	v_add_f32_e32 v20, v31, v20
	v_fma_f32 v31, v21, v43, v43
	v_fma_f32 v32, -v31, v32, 1.0
	v_sub_f32_e32 v21, v21, v31
	;; [unrolled: 4-line block ×3, first 2 shown]
	v_add_f32_e32 v26, v33, v26
	v_fmac_f32_e32 v42, v36, v1
	v_fmac_f32_e32 v40, v41, v20
	v_fmac_f32_e32 v31, v43, v21
	v_fmac_f32_e32 v32, v34, v26
	v_mul_f32_e32 v1, v35, v42
	v_mul_f32_e32 v20, v38, v40
	v_cmp_ngt_f32_e64 vcc, |v25|, s28
	v_mul_f32_e32 v21, v37, v31
	v_cmp_ngt_f32_e64 s[0:1], |v24|, s28
	v_mul_f32_e32 v24, v39, v32
	v_cmp_ngt_f32_e64 s[2:3], |v23|, s28
	v_cmp_ngt_f32_e64 s[6:7], |v22|, s28
	v_cndmask_b32_e64 v1, 0, v1, s[6:7]
	v_cndmask_b32_e32 v20, 0, v20, vcc
	v_cndmask_b32_e64 v21, 0, v21, s[0:1]
	v_cndmask_b32_e64 v22, 0, v24, s[2:3]
	v_sub_f32_e32 v23, 2.0, v1
	v_sub_f32_e32 v24, 2.0, v20
	v_cmp_lt_f16_sdwa vcc, v5, v2 src0_sel:WORD_1 src1_sel:DWORD
	v_sub_f32_e32 v25, 2.0, v21
	v_cmp_gt_f16_e64 s[0:1], 0, v6
	v_sub_f32_e32 v26, 2.0, v22
	v_cmp_lt_f16_sdwa s[2:3], v6, v2 src0_sel:WORD_1 src1_sel:DWORD
	v_cmp_gt_f16_e64 s[6:7], 0, v5
	v_cndmask_b32_e64 v1, v1, v23, s[6:7]
	v_cndmask_b32_e32 v5, v20, v24, vcc
	v_cndmask_b32_e64 v6, v21, v25, s[0:1]
	v_cndmask_b32_e64 v20, v22, v26, s[2:3]
	v_lshlrev_b64 v[29:30], 2, v[3:4]
	v_cvt_f16_f32_e32 v1, v1
	v_cvt_f16_f32_e32 v5, v5
	;; [unrolled: 1-line block ×4, first 2 shown]
	v_cmp_le_i64_e32 vcc, s[16:17], v[29:30]
	v_pack_b32_f16 v5, v1, v5
	s_or_b64 s[20:21], vcc, s[20:21]
	v_pack_b32_f16 v6, v6, v20
	global_store_dwordx2 v[27:28], v[5:6], off
	s_andn2_b64 exec, exec, s[20:21]
	s_cbranch_execnz .LBB2_3
.LBB2_4:
	s_or_b64 exec, exec, s[18:19]
	s_mov_b64 s[0:1], 0
.LBB2_5:
	s_andn2_b64 vcc, exec, s[0:1]
	s_cbranch_vccnz .LBB2_25
; %bb.6:
	v_cmp_lt_i64_e64 s[0:1], s[14:15], 1
	s_and_b64 vcc, exec, s[0:1]
	s_cbranch_vccnz .LBB2_25
; %bb.7:
	v_mov_b32_e32 v1, 0x10000
	s_load_dword s2, s[4:5], 0xc5c
	v_mov_b32_e32 v2, 0
	v_cmp_lt_i64_e32 vcc, s[14:15], v[1:2]
	v_mov_b32_e32 v10, 0
	s_and_b64 s[0:1], vcc, exec
	v_cmp_lt_u64_e32 vcc, s[14:15], v[1:2]
	s_cselect_b32 s17, s15, 0
	s_cselect_b32 s16, s14, 0x10000
	s_waitcnt lgkmcnt(0)
	s_and_b32 s2, s2, 0xffff
	v_lshlrev_b32_e32 v9, 1, v0
	s_and_b64 s[0:1], vcc, exec
	v_mov_b32_e32 v2, s13
	v_add_co_u32_e32 v1, vcc, s12, v9
	v_mad_u64_u32 v[7:8], s[0:1], s2, 6, v[9:10]
	v_addc_co_u32_e32 v2, vcc, 0, v2, vcc
	v_mov_b32_e32 v4, s11
	v_add_co_u32_e32 v3, vcc, s10, v9
	v_addc_co_u32_e32 v4, vcc, 0, v4, vcc
	v_mov_b32_e32 v6, s13
	v_add_co_u32_e32 v5, vcc, s12, v7
	;; [unrolled: 3-line block ×3, first 2 shown]
	s_cselect_b32 s15, s15, 0
	s_cselect_b32 s14, s14, 0x10000
	s_lshl_b32 s18, s2, 2
	v_addc_co_u32_e32 v8, vcc, v10, v8, vcc
	v_add_co_u32_e32 v11, vcc, s18, v9
	v_addc_co_u32_e64 v12, s[0:1], 0, 0, vcc
	v_mov_b32_e32 v10, s13
	v_add_co_u32_e32 v9, vcc, s12, v11
	v_addc_co_u32_e32 v10, vcc, v10, v12, vcc
	v_mov_b32_e32 v13, s11
	v_add_co_u32_e32 v11, vcc, s10, v11
	v_addc_co_u32_e32 v12, vcc, v13, v12, vcc
	v_add_co_u32_e32 v13, vcc, s2, v0
	v_lshlrev_b32_e32 v17, 1, v13
	v_addc_co_u32_e64 v14, s[0:1], 0, 0, vcc
	v_mov_b32_e32 v16, s13
	v_add_co_u32_e32 v15, vcc, s12, v17
	v_addc_co_u32_e32 v16, vcc, 0, v16, vcc
	v_mov_b32_e32 v18, s11
	v_add_co_u32_e32 v17, vcc, s10, v17
	s_mul_i32 s4, s2, 3
	v_addc_co_u32_e32 v18, vcc, 0, v18, vcc
	s_lshl_b32 s3, s2, 1
	v_add_co_u32_e32 v19, vcc, s4, v0
	v_addc_co_u32_e64 v20, s[0:1], 0, 0, vcc
	v_add_co_u32_e32 v21, vcc, s3, v0
	s_lshl_b32 s19, s2, 3
	s_mov_b64 s[10:11], 0
	s_mov_b32 s20, 0x3fb8aa3b
	s_mov_b32 s21, 0xc2ce8ed0
	;; [unrolled: 1-line block ×3, first 2 shown]
	s_mov_b32 s23, -2.0
	s_mov_b32 s24, 0x4120ddfc
	v_addc_co_u32_e64 v22, s[0:1], 0, 0, vcc
	v_mov_b32_e32 v23, 0x3aad2fb4
	v_mov_b32_e32 v24, 0x3c0da267
	;; [unrolled: 1-line block ×9, first 2 shown]
	s_branch .LBB2_9
.LBB2_8:                                ;   in Loop: Header=BB2_9 Depth=1
	s_or_b64 exec, exec, s[0:1]
	v_add_co_u32_e32 v1, vcc, s19, v1
	v_addc_co_u32_e32 v2, vcc, 0, v2, vcc
	v_add_co_u32_e32 v3, vcc, s19, v3
	v_addc_co_u32_e32 v4, vcc, 0, v4, vcc
	;; [unrolled: 2-line block ×6, first 2 shown]
	s_add_u32 s10, s10, s18
	v_add_co_u32_e32 v15, vcc, s19, v15
	s_waitcnt vmcnt(0)
	v_mov_b32_e32 v33, s17
	s_addc_u32 s11, s11, 0
	v_addc_co_u32_e32 v16, vcc, 0, v16, vcc
	v_mov_b32_e32 v32, s16
	v_cmp_ge_i64_e32 vcc, s[10:11], v[32:33]
	v_add_co_u32_e64 v17, s[0:1], s19, v17
	v_addc_co_u32_e64 v18, s[0:1], 0, v18, s[0:1]
	s_cbranch_vccnz .LBB2_25
.LBB2_9:                                ; =>This Inner Loop Header: Depth=1
	v_mov_b32_e32 v33, s11
	v_add_co_u32_e32 v32, vcc, s10, v0
	v_addc_co_u32_e32 v33, vcc, 0, v33, vcc
	v_cmp_gt_u64_e64 s[4:5], s[14:15], v[32:33]
	v_mov_b32_e32 v35, 0
	s_and_saveexec_b64 s[0:1], s[4:5]
	s_cbranch_execz .LBB2_11
; %bb.10:                               ;   in Loop: Header=BB2_9 Depth=1
	v_mov_b32_e32 v33, s9
	v_add_co_u32_e32 v32, vcc, s8, v1
	v_addc_co_u32_e32 v33, vcc, v2, v33, vcc
	global_load_ushort v35, v[32:33], off
.LBB2_11:                               ;   in Loop: Header=BB2_9 Depth=1
	s_or_b64 exec, exec, s[0:1]
	v_mov_b32_e32 v33, s11
	v_add_co_u32_e32 v32, vcc, s10, v13
	v_addc_co_u32_e32 v33, vcc, v14, v33, vcc
	v_cmp_gt_u64_e64 s[2:3], s[14:15], v[32:33]
	v_mov_b32_e32 v33, 0
	v_mov_b32_e32 v34, 0
	s_and_saveexec_b64 s[0:1], s[2:3]
	s_cbranch_execz .LBB2_13
; %bb.12:                               ;   in Loop: Header=BB2_9 Depth=1
	v_mov_b32_e32 v32, s9
	v_add_co_u32_e32 v36, vcc, s8, v15
	v_addc_co_u32_e32 v37, vcc, v16, v32, vcc
	global_load_ushort v34, v[36:37], off
.LBB2_13:                               ;   in Loop: Header=BB2_9 Depth=1
	s_or_b64 exec, exec, s[0:1]
	v_mov_b32_e32 v32, s11
	v_add_co_u32_e32 v36, vcc, s10, v21
	v_addc_co_u32_e32 v37, vcc, v22, v32, vcc
	v_cmp_gt_u64_e64 s[0:1], s[14:15], v[36:37]
	s_and_saveexec_b64 s[6:7], s[0:1]
	s_cbranch_execz .LBB2_15
; %bb.14:                               ;   in Loop: Header=BB2_9 Depth=1
	v_mov_b32_e32 v33, s9
	v_add_co_u32_e32 v32, vcc, s8, v9
	v_addc_co_u32_e32 v33, vcc, v10, v33, vcc
	global_load_ushort v33, v[32:33], off
.LBB2_15:                               ;   in Loop: Header=BB2_9 Depth=1
	s_or_b64 exec, exec, s[6:7]
	v_mov_b32_e32 v32, s11
	v_add_co_u32_e32 v36, vcc, s10, v19
	v_addc_co_u32_e32 v37, vcc, v20, v32, vcc
	v_cmp_gt_u64_e32 vcc, s[14:15], v[36:37]
	v_mov_b32_e32 v32, 0
	s_and_saveexec_b64 s[12:13], vcc
	s_cbranch_execnz .LBB2_20
; %bb.16:                               ;   in Loop: Header=BB2_9 Depth=1
	s_or_b64 exec, exec, s[12:13]
	s_and_saveexec_b64 s[12:13], s[4:5]
	s_cbranch_execnz .LBB2_21
.LBB2_17:                               ;   in Loop: Header=BB2_9 Depth=1
	s_or_b64 exec, exec, s[12:13]
	s_and_saveexec_b64 s[4:5], s[2:3]
	s_cbranch_execnz .LBB2_22
.LBB2_18:                               ;   in Loop: Header=BB2_9 Depth=1
	s_or_b64 exec, exec, s[4:5]
	s_and_saveexec_b64 s[2:3], s[0:1]
	s_cbranch_execnz .LBB2_23
.LBB2_19:                               ;   in Loop: Header=BB2_9 Depth=1
	s_or_b64 exec, exec, s[2:3]
	s_and_saveexec_b64 s[0:1], vcc
	s_cbranch_execz .LBB2_8
	s_branch .LBB2_24
.LBB2_20:                               ;   in Loop: Header=BB2_9 Depth=1
	v_mov_b32_e32 v32, s9
	v_add_co_u32_e64 v36, s[6:7], s8, v5
	v_addc_co_u32_e64 v37, s[6:7], v6, v32, s[6:7]
	global_load_ushort v32, v[36:37], off
	s_or_b64 exec, exec, s[12:13]
	s_and_saveexec_b64 s[12:13], s[4:5]
	s_cbranch_execz .LBB2_17
.LBB2_21:                               ;   in Loop: Header=BB2_9 Depth=1
	s_waitcnt vmcnt(0)
	v_cvt_f32_f16_e32 v36, v35
	v_mul_f32_e64 v37, v36, -v36
	v_mul_f32_e32 v38, 0x3fb8aa3b, v37
	v_rndne_f32_e32 v39, v38
	v_fma_f32 v40, v37, s20, -v38
	v_sub_f32_e32 v38, v38, v39
	v_fmac_f32_e32 v40, 0x32a5705f, v37
	v_add_f32_e32 v38, v38, v40
	v_cvt_i32_f32_e32 v39, v39
	v_exp_f32_e32 v38, v38
	v_fma_mix_f32 v40, -v35, v35, -v37 op_sel_hi:[1,1,0]
	v_cmp_ngt_f32_e64 s[4:5], s21, v37
	v_cmp_nlt_f32_e64 s[6:7], s22, v37
	v_ldexp_f32 v37, v38, v39
	v_add_f32_e64 v39, |v36|, 2.0
	v_rcp_f32_e32 v39, v39
	v_add_f32_e64 v41, |v36|, -2.0
	v_cndmask_b32_e64 v37, 0, v37, s[4:5]
	v_cndmask_b32_e64 v37, v31, v37, s[6:7]
	v_mul_f32_e32 v41, v41, v39
	v_add_f32_e32 v42, 1.0, v41
	v_fma_mix_f32 v42, v42, s23, |v35| op_sel_hi:[0,0,1]
	v_fma_mix_f32 v42, -v41, |v35|, v42 op_sel_hi:[0,1,0]
	v_fmac_f32_e32 v41, v39, v42
	v_mov_b32_e32 v39, 0xbaa2d753
	v_fmac_f32_e32 v39, 0xb9d6f8c4, v41
	v_fma_f32 v39, v41, v39, v23
	v_fma_f32 v39, v41, v39, v24
	v_add_f32_e64 v38, |v36|, |v36|
	v_fma_f32 v39, v41, v39, v25
	v_fmac_f32_e32 v37, v37, v40
	v_add_f32_e32 v40, 1.0, v38
	v_fma_f32 v39, v41, v39, v26
	v_rcp_f32_e32 v40, v40
	v_fma_f32 v39, v41, v39, v27
	v_fma_f32 v39, v41, v39, v28
	;; [unrolled: 1-line block ×5, first 2 shown]
	v_fma_f32 v38, -v41, v38, 1.0
	v_sub_f32_e32 v39, v39, v41
	v_add_f32_e32 v38, v38, v39
	v_fmac_f32_e32 v41, v40, v38
	v_mul_f32_e32 v37, v37, v41
	v_cmp_ngt_f32_e64 s[4:5], |v36|, s24
	v_cndmask_b32_e64 v36, 0, v37, s[4:5]
	v_sub_f32_e32 v37, 2.0, v36
	v_cmp_gt_f16_e64 s[4:5], 0, v35
	v_cndmask_b32_e64 v35, v36, v37, s[4:5]
	v_cvt_f16_f32_e32 v37, v35
	v_mov_b32_e32 v36, s9
	v_add_co_u32_e64 v35, s[4:5], s8, v3
	v_addc_co_u32_e64 v36, s[4:5], v4, v36, s[4:5]
	global_store_short v[35:36], v37, off
	s_or_b64 exec, exec, s[12:13]
	s_and_saveexec_b64 s[4:5], s[2:3]
	s_cbranch_execz .LBB2_18
.LBB2_22:                               ;   in Loop: Header=BB2_9 Depth=1
	s_waitcnt vmcnt(0)
	v_cvt_f32_f16_e32 v35, v34
	v_mul_f32_e64 v36, v35, -v35
	v_mul_f32_e32 v37, 0x3fb8aa3b, v36
	v_rndne_f32_e32 v38, v37
	v_fma_f32 v39, v36, s20, -v37
	v_sub_f32_e32 v37, v37, v38
	v_fmac_f32_e32 v39, 0x32a5705f, v36
	v_add_f32_e32 v37, v37, v39
	v_cvt_i32_f32_e32 v38, v38
	v_exp_f32_e32 v37, v37
	v_add_f32_e64 v39, |v35|, 2.0
	v_cmp_ngt_f32_e64 s[2:3], s21, v36
	v_fma_mix_f32 v40, -v34, v34, -v36 op_sel_hi:[1,1,0]
	v_ldexp_f32 v37, v37, v38
	v_rcp_f32_e32 v38, v39
	v_cndmask_b32_e64 v37, 0, v37, s[2:3]
	v_cmp_nlt_f32_e64 s[2:3], s22, v36
	v_cndmask_b32_e64 v36, v31, v37, s[2:3]
	v_add_f32_e64 v37, |v35|, -2.0
	v_mul_f32_e32 v37, v37, v38
	v_add_f32_e32 v39, 1.0, v37
	v_fma_mix_f32 v39, v39, s23, |v34| op_sel_hi:[0,0,1]
	v_fma_mix_f32 v39, -v37, |v34|, v39 op_sel_hi:[0,1,0]
	v_fmac_f32_e32 v37, v38, v39
	v_mov_b32_e32 v38, 0xbaa2d753
	v_fmac_f32_e32 v38, 0xb9d6f8c4, v37
	v_fma_f32 v38, v37, v38, v23
	v_fma_f32 v38, v37, v38, v24
	;; [unrolled: 1-line block ×3, first 2 shown]
	v_add_f32_e64 v39, |v35|, |v35|
	v_fmac_f32_e32 v36, v36, v40
	v_fma_f32 v38, v37, v38, v26
	v_add_f32_e32 v40, 1.0, v39
	v_fma_f32 v38, v37, v38, v27
	v_rcp_f32_e32 v40, v40
	v_fma_f32 v38, v37, v38, v28
	v_fma_f32 v38, v37, v38, v29
	;; [unrolled: 1-line block ×4, first 2 shown]
	v_fma_f32 v39, -v38, v39, 1.0
	v_sub_f32_e32 v37, v37, v38
	v_add_f32_e32 v37, v39, v37
	v_fmac_f32_e32 v38, v40, v37
	v_mul_f32_e32 v36, v36, v38
	v_cmp_ngt_f32_e64 s[2:3], |v35|, s24
	v_cndmask_b32_e64 v35, 0, v36, s[2:3]
	v_sub_f32_e32 v36, 2.0, v35
	v_cmp_gt_f16_e64 s[2:3], 0, v34
	v_cndmask_b32_e64 v34, v35, v36, s[2:3]
	v_cvt_f16_f32_e32 v36, v34
	v_mov_b32_e32 v35, s9
	v_add_co_u32_e64 v34, s[2:3], s8, v17
	v_addc_co_u32_e64 v35, s[2:3], v18, v35, s[2:3]
	global_store_short v[34:35], v36, off
	s_or_b64 exec, exec, s[4:5]
	s_and_saveexec_b64 s[2:3], s[0:1]
	s_cbranch_execz .LBB2_19
.LBB2_23:                               ;   in Loop: Header=BB2_9 Depth=1
	s_waitcnt vmcnt(0)
	v_cvt_f32_f16_e32 v34, v33
	v_mul_f32_e64 v35, v34, -v34
	v_mul_f32_e32 v36, 0x3fb8aa3b, v35
	v_rndne_f32_e32 v37, v36
	v_fma_f32 v38, v35, s20, -v36
	v_sub_f32_e32 v36, v36, v37
	v_fmac_f32_e32 v38, 0x32a5705f, v35
	v_add_f32_e32 v36, v36, v38
	v_cvt_i32_f32_e32 v37, v37
	v_exp_f32_e32 v36, v36
	v_add_f32_e64 v38, |v34|, 2.0
	v_cmp_ngt_f32_e64 s[0:1], s21, v35
	v_fma_mix_f32 v39, -v33, v33, -v35 op_sel_hi:[1,1,0]
	v_ldexp_f32 v36, v36, v37
	v_rcp_f32_e32 v37, v38
	v_cndmask_b32_e64 v36, 0, v36, s[0:1]
	v_cmp_nlt_f32_e64 s[0:1], s22, v35
	v_cndmask_b32_e64 v35, v31, v36, s[0:1]
	v_add_f32_e64 v36, |v34|, -2.0
	v_mul_f32_e32 v36, v36, v37
	v_add_f32_e32 v38, 1.0, v36
	v_fma_mix_f32 v38, v38, s23, |v33| op_sel_hi:[0,0,1]
	v_fma_mix_f32 v38, -v36, |v33|, v38 op_sel_hi:[0,1,0]
	v_fmac_f32_e32 v36, v37, v38
	v_mov_b32_e32 v37, 0xbaa2d753
	v_fmac_f32_e32 v37, 0xb9d6f8c4, v36
	v_fma_f32 v37, v36, v37, v23
	v_fma_f32 v37, v36, v37, v24
	v_fma_f32 v37, v36, v37, v25
	v_add_f32_e64 v38, |v34|, |v34|
	v_fmac_f32_e32 v35, v35, v39
	v_fma_f32 v37, v36, v37, v26
	v_add_f32_e32 v39, 1.0, v38
	v_fma_f32 v37, v36, v37, v27
	v_rcp_f32_e32 v39, v39
	v_fma_f32 v37, v36, v37, v28
	v_fma_f32 v37, v36, v37, v29
	;; [unrolled: 1-line block ×4, first 2 shown]
	v_fma_f32 v38, -v37, v38, 1.0
	v_sub_f32_e32 v36, v36, v37
	v_add_f32_e32 v36, v38, v36
	v_fmac_f32_e32 v37, v39, v36
	v_mul_f32_e32 v35, v35, v37
	v_cmp_ngt_f32_e64 s[0:1], |v34|, s24
	v_cndmask_b32_e64 v34, 0, v35, s[0:1]
	v_sub_f32_e32 v35, 2.0, v34
	v_cmp_gt_f16_e64 s[0:1], 0, v33
	v_cndmask_b32_e64 v33, v34, v35, s[0:1]
	v_cvt_f16_f32_e32 v35, v33
	v_mov_b32_e32 v34, s9
	v_add_co_u32_e64 v33, s[0:1], s8, v11
	v_addc_co_u32_e64 v34, s[0:1], v12, v34, s[0:1]
	global_store_short v[33:34], v35, off
	s_or_b64 exec, exec, s[2:3]
	s_and_saveexec_b64 s[0:1], vcc
	s_cbranch_execz .LBB2_8
.LBB2_24:                               ;   in Loop: Header=BB2_9 Depth=1
	s_waitcnt vmcnt(0)
	v_cvt_f32_f16_e32 v33, v32
	v_mul_f32_e64 v34, v33, -v33
	v_mul_f32_e32 v35, 0x3fb8aa3b, v34
	v_rndne_f32_e32 v36, v35
	v_fma_f32 v37, v34, s20, -v35
	v_sub_f32_e32 v35, v35, v36
	v_fmac_f32_e32 v37, 0x32a5705f, v34
	v_add_f32_e32 v35, v35, v37
	v_cvt_i32_f32_e32 v36, v36
	v_exp_f32_e32 v35, v35
	v_add_f32_e64 v37, |v33|, 2.0
	v_cmp_ngt_f32_e32 vcc, s21, v34
	v_fma_mix_f32 v38, -v32, v32, -v34 op_sel_hi:[1,1,0]
	v_ldexp_f32 v35, v35, v36
	v_rcp_f32_e32 v36, v37
	v_cndmask_b32_e32 v35, 0, v35, vcc
	v_cmp_nlt_f32_e32 vcc, s22, v34
	v_cndmask_b32_e32 v34, v31, v35, vcc
	v_add_f32_e64 v35, |v33|, -2.0
	v_mul_f32_e32 v35, v35, v36
	v_add_f32_e32 v37, 1.0, v35
	v_fma_mix_f32 v37, v37, s23, |v32| op_sel_hi:[0,0,1]
	v_fma_mix_f32 v37, -v35, |v32|, v37 op_sel_hi:[0,1,0]
	v_fmac_f32_e32 v35, v36, v37
	v_mov_b32_e32 v36, 0xbaa2d753
	v_fmac_f32_e32 v36, 0xb9d6f8c4, v35
	v_fma_f32 v36, v35, v36, v23
	v_fma_f32 v36, v35, v36, v24
	;; [unrolled: 1-line block ×3, first 2 shown]
	v_add_f32_e64 v37, |v33|, |v33|
	v_fmac_f32_e32 v34, v34, v38
	v_fma_f32 v36, v35, v36, v26
	v_add_f32_e32 v38, 1.0, v37
	v_fma_f32 v36, v35, v36, v27
	v_rcp_f32_e32 v38, v38
	v_fma_f32 v36, v35, v36, v28
	v_fma_f32 v36, v35, v36, v29
	;; [unrolled: 1-line block ×4, first 2 shown]
	v_fma_f32 v37, -v36, v37, 1.0
	v_sub_f32_e32 v35, v35, v36
	v_add_f32_e32 v35, v37, v35
	v_fmac_f32_e32 v36, v38, v35
	v_mul_f32_e32 v34, v34, v36
	v_cmp_ngt_f32_e64 vcc, |v33|, s24
	v_cndmask_b32_e32 v33, 0, v34, vcc
	v_sub_f32_e32 v34, 2.0, v33
	v_cmp_gt_f16_e32 vcc, 0, v32
	v_cndmask_b32_e32 v32, v33, v34, vcc
	v_cvt_f16_f32_e32 v34, v32
	v_mov_b32_e32 v33, s9
	v_add_co_u32_e32 v32, vcc, s8, v7
	v_addc_co_u32_e32 v33, vcc, v8, v33, vcc
	global_store_short v[32:33], v34, off
	s_branch .LBB2_8
.LBB2_25:
	s_endpgm
	.section	.rodata,"a",@progbits
	.p2align	6, 0x0
	.amdhsa_kernel _ZN2at6native12_GLOBAL__N_125multi_tensor_apply_kernelINS1_18TensorListMetadataILi2EEENS1_14UnaryOpFunctorIN3c104HalfELi2ELi1ELi1EEEJNS0_4ErfcIfEEEEEvT_T0_DpT1_
		.amdhsa_group_segment_fixed_size 0
		.amdhsa_private_segment_fixed_size 0
		.amdhsa_kernarg_size 3408
		.amdhsa_user_sgpr_count 6
		.amdhsa_user_sgpr_private_segment_buffer 1
		.amdhsa_user_sgpr_dispatch_ptr 0
		.amdhsa_user_sgpr_queue_ptr 0
		.amdhsa_user_sgpr_kernarg_segment_ptr 1
		.amdhsa_user_sgpr_dispatch_id 0
		.amdhsa_user_sgpr_flat_scratch_init 0
		.amdhsa_user_sgpr_private_segment_size 0
		.amdhsa_uses_dynamic_stack 0
		.amdhsa_system_sgpr_private_segment_wavefront_offset 0
		.amdhsa_system_sgpr_workgroup_id_x 1
		.amdhsa_system_sgpr_workgroup_id_y 0
		.amdhsa_system_sgpr_workgroup_id_z 0
		.amdhsa_system_sgpr_workgroup_info 0
		.amdhsa_system_vgpr_workitem_id 0
		.amdhsa_next_free_vgpr 45
		.amdhsa_next_free_sgpr 29
		.amdhsa_reserve_vcc 1
		.amdhsa_reserve_flat_scratch 0
		.amdhsa_float_round_mode_32 0
		.amdhsa_float_round_mode_16_64 0
		.amdhsa_float_denorm_mode_32 3
		.amdhsa_float_denorm_mode_16_64 3
		.amdhsa_dx10_clamp 1
		.amdhsa_ieee_mode 1
		.amdhsa_fp16_overflow 0
		.amdhsa_exception_fp_ieee_invalid_op 0
		.amdhsa_exception_fp_denorm_src 0
		.amdhsa_exception_fp_ieee_div_zero 0
		.amdhsa_exception_fp_ieee_overflow 0
		.amdhsa_exception_fp_ieee_underflow 0
		.amdhsa_exception_fp_ieee_inexact 0
		.amdhsa_exception_int_div_zero 0
	.end_amdhsa_kernel
	.section	.text._ZN2at6native12_GLOBAL__N_125multi_tensor_apply_kernelINS1_18TensorListMetadataILi2EEENS1_14UnaryOpFunctorIN3c104HalfELi2ELi1ELi1EEEJNS0_4ErfcIfEEEEEvT_T0_DpT1_,"axG",@progbits,_ZN2at6native12_GLOBAL__N_125multi_tensor_apply_kernelINS1_18TensorListMetadataILi2EEENS1_14UnaryOpFunctorIN3c104HalfELi2ELi1ELi1EEEJNS0_4ErfcIfEEEEEvT_T0_DpT1_,comdat
.Lfunc_end2:
	.size	_ZN2at6native12_GLOBAL__N_125multi_tensor_apply_kernelINS1_18TensorListMetadataILi2EEENS1_14UnaryOpFunctorIN3c104HalfELi2ELi1ELi1EEEJNS0_4ErfcIfEEEEEvT_T0_DpT1_, .Lfunc_end2-_ZN2at6native12_GLOBAL__N_125multi_tensor_apply_kernelINS1_18TensorListMetadataILi2EEENS1_14UnaryOpFunctorIN3c104HalfELi2ELi1ELi1EEEJNS0_4ErfcIfEEEEEvT_T0_DpT1_
                                        ; -- End function
	.set _ZN2at6native12_GLOBAL__N_125multi_tensor_apply_kernelINS1_18TensorListMetadataILi2EEENS1_14UnaryOpFunctorIN3c104HalfELi2ELi1ELi1EEEJNS0_4ErfcIfEEEEEvT_T0_DpT1_.num_vgpr, 45
	.set _ZN2at6native12_GLOBAL__N_125multi_tensor_apply_kernelINS1_18TensorListMetadataILi2EEENS1_14UnaryOpFunctorIN3c104HalfELi2ELi1ELi1EEEJNS0_4ErfcIfEEEEEvT_T0_DpT1_.num_agpr, 0
	.set _ZN2at6native12_GLOBAL__N_125multi_tensor_apply_kernelINS1_18TensorListMetadataILi2EEENS1_14UnaryOpFunctorIN3c104HalfELi2ELi1ELi1EEEJNS0_4ErfcIfEEEEEvT_T0_DpT1_.numbered_sgpr, 29
	.set _ZN2at6native12_GLOBAL__N_125multi_tensor_apply_kernelINS1_18TensorListMetadataILi2EEENS1_14UnaryOpFunctorIN3c104HalfELi2ELi1ELi1EEEJNS0_4ErfcIfEEEEEvT_T0_DpT1_.num_named_barrier, 0
	.set _ZN2at6native12_GLOBAL__N_125multi_tensor_apply_kernelINS1_18TensorListMetadataILi2EEENS1_14UnaryOpFunctorIN3c104HalfELi2ELi1ELi1EEEJNS0_4ErfcIfEEEEEvT_T0_DpT1_.private_seg_size, 0
	.set _ZN2at6native12_GLOBAL__N_125multi_tensor_apply_kernelINS1_18TensorListMetadataILi2EEENS1_14UnaryOpFunctorIN3c104HalfELi2ELi1ELi1EEEJNS0_4ErfcIfEEEEEvT_T0_DpT1_.uses_vcc, 1
	.set _ZN2at6native12_GLOBAL__N_125multi_tensor_apply_kernelINS1_18TensorListMetadataILi2EEENS1_14UnaryOpFunctorIN3c104HalfELi2ELi1ELi1EEEJNS0_4ErfcIfEEEEEvT_T0_DpT1_.uses_flat_scratch, 0
	.set _ZN2at6native12_GLOBAL__N_125multi_tensor_apply_kernelINS1_18TensorListMetadataILi2EEENS1_14UnaryOpFunctorIN3c104HalfELi2ELi1ELi1EEEJNS0_4ErfcIfEEEEEvT_T0_DpT1_.has_dyn_sized_stack, 0
	.set _ZN2at6native12_GLOBAL__N_125multi_tensor_apply_kernelINS1_18TensorListMetadataILi2EEENS1_14UnaryOpFunctorIN3c104HalfELi2ELi1ELi1EEEJNS0_4ErfcIfEEEEEvT_T0_DpT1_.has_recursion, 0
	.set _ZN2at6native12_GLOBAL__N_125multi_tensor_apply_kernelINS1_18TensorListMetadataILi2EEENS1_14UnaryOpFunctorIN3c104HalfELi2ELi1ELi1EEEJNS0_4ErfcIfEEEEEvT_T0_DpT1_.has_indirect_call, 0
	.section	.AMDGPU.csdata,"",@progbits
; Kernel info:
; codeLenInByte = 3928
; TotalNumSgprs: 33
; NumVgprs: 45
; ScratchSize: 0
; MemoryBound: 0
; FloatMode: 240
; IeeeMode: 1
; LDSByteSize: 0 bytes/workgroup (compile time only)
; SGPRBlocks: 4
; VGPRBlocks: 11
; NumSGPRsForWavesPerEU: 33
; NumVGPRsForWavesPerEU: 45
; Occupancy: 5
; WaveLimiterHint : 0
; COMPUTE_PGM_RSRC2:SCRATCH_EN: 0
; COMPUTE_PGM_RSRC2:USER_SGPR: 6
; COMPUTE_PGM_RSRC2:TRAP_HANDLER: 0
; COMPUTE_PGM_RSRC2:TGID_X_EN: 1
; COMPUTE_PGM_RSRC2:TGID_Y_EN: 0
; COMPUTE_PGM_RSRC2:TGID_Z_EN: 0
; COMPUTE_PGM_RSRC2:TIDIG_COMP_CNT: 0
	.section	.text._ZN2at6native12_GLOBAL__N_125multi_tensor_apply_kernelINS1_18TensorListMetadataILi2EEENS1_14UnaryOpFunctorIN3c108BFloat16ELi2ELi1ELi1EEEJNS0_4ErfcIfEEEEEvT_T0_DpT1_,"axG",@progbits,_ZN2at6native12_GLOBAL__N_125multi_tensor_apply_kernelINS1_18TensorListMetadataILi2EEENS1_14UnaryOpFunctorIN3c108BFloat16ELi2ELi1ELi1EEEJNS0_4ErfcIfEEEEEvT_T0_DpT1_,comdat
	.globl	_ZN2at6native12_GLOBAL__N_125multi_tensor_apply_kernelINS1_18TensorListMetadataILi2EEENS1_14UnaryOpFunctorIN3c108BFloat16ELi2ELi1ELi1EEEJNS0_4ErfcIfEEEEEvT_T0_DpT1_ ; -- Begin function _ZN2at6native12_GLOBAL__N_125multi_tensor_apply_kernelINS1_18TensorListMetadataILi2EEENS1_14UnaryOpFunctorIN3c108BFloat16ELi2ELi1ELi1EEEJNS0_4ErfcIfEEEEEvT_T0_DpT1_
	.p2align	8
	.type	_ZN2at6native12_GLOBAL__N_125multi_tensor_apply_kernelINS1_18TensorListMetadataILi2EEENS1_14UnaryOpFunctorIN3c108BFloat16ELi2ELi1ELi1EEEJNS0_4ErfcIfEEEEEvT_T0_DpT1_,@function
_ZN2at6native12_GLOBAL__N_125multi_tensor_apply_kernelINS1_18TensorListMetadataILi2EEENS1_14UnaryOpFunctorIN3c108BFloat16ELi2ELi1ELi1EEEJNS0_4ErfcIfEEEEEvT_T0_DpT1_: ; @_ZN2at6native12_GLOBAL__N_125multi_tensor_apply_kernelINS1_18TensorListMetadataILi2EEENS1_14UnaryOpFunctorIN3c108BFloat16ELi2ELi1ELi1EEEJNS0_4ErfcIfEEEEEvT_T0_DpT1_
; %bb.0:
	v_mov_b32_e32 v1, s6
	global_load_ubyte v1, v1, s[4:5] offset:1536
	s_add_u32 s0, s4, s6
	s_mul_hi_u32 s2, s6, 3
	s_mul_i32 s6, s6, 3
	s_addc_u32 s7, s5, 0
	s_add_u32 s6, s0, s6
	s_addc_u32 s7, s7, s2
	s_load_dword s12, s[6:7], 0x740
	s_mov_b32 s1, 0
	s_mov_b32 s3, s1
	s_waitcnt lgkmcnt(0)
	s_ashr_i32 s13, s12, 31
	s_lshl_b64 s[8:9], s[12:13], 17
	s_lshl_b64 s[12:13], s[12:13], 16
	s_waitcnt vmcnt(0)
	v_readfirstlane_b32 s0, v1
	s_lshl_b32 s0, s0, 3
	s_load_dwordx2 s[14:15], s[4:5], s0 offset:0x400
	s_load_dwordx2 s[10:11], s[4:5], s0 offset:0x0
	s_load_dwordx2 s[6:7], s[4:5], s0 offset:0x200
	s_waitcnt lgkmcnt(0)
	s_add_u32 s0, s10, s8
	s_and_b32 s2, s6, 7
	s_and_b32 s0, s0, 7
	s_sub_u32 s12, s14, s12
	s_subb_u32 s13, s15, s13
	s_and_b32 s14, s14, 3
	s_mov_b32 s15, s1
	s_or_b64 s[2:3], s[2:3], s[14:15]
	s_or_b64 s[0:1], s[2:3], s[0:1]
	s_cmp_eq_u64 s[0:1], 0
	s_mov_b64 s[0:1], -1
	s_cbranch_scc0 .LBB3_5
; %bb.1:
	v_mov_b32_e32 v1, 0x10000
	v_mov_b32_e32 v2, 0
	v_cmp_lt_i64_e32 vcc, s[12:13], v[1:2]
	v_mov_b32_e32 v2, 0
	s_and_b64 s[0:1], vcc, exec
	s_cselect_b32 s15, s13, 0
	s_cselect_b32 s14, s12, 0x10000
	v_lshlrev_b32_e32 v1, 2, v0
	v_cmp_gt_i64_e32 vcc, s[14:15], v[1:2]
	s_and_saveexec_b64 s[16:17], vcc
	s_cbranch_execz .LBB3_4
; %bb.2:
	s_load_dword s0, s[4:5], 0xc5c
	v_mov_b32_e32 v1, v2
	v_lshlrev_b32_e32 v2, 3, v0
	v_mov_b32_e32 v3, s9
	v_add_co_u32_e32 v7, vcc, s8, v2
	s_waitcnt lgkmcnt(0)
	s_and_b32 s20, s0, 0xffff
	v_mov_b32_e32 v2, v1
	v_addc_co_u32_e32 v8, vcc, 0, v3, vcc
	s_lshl_b32 s21, s20, 3
	s_mov_b64 s[18:19], 0
	v_mov_b32_e32 v9, s11
	s_mov_b32 s22, 0x3fb8aa3b
	s_mov_b32 s23, 0xc2ce8ed0
	s_mov_b32 s24, 0x42b17218
	v_mov_b32_e32 v10, 0x7f800000
	v_mov_b32_e32 v11, 0x3aad2fb4
	;; [unrolled: 1-line block ×9, first 2 shown]
	s_mov_b32 s25, 0x4120ddfc
	s_movk_i32 s26, 0x7fff
	v_mov_b32_e32 v19, s7
	v_mov_b32_e32 v20, 0x7fc00000
	;; [unrolled: 1-line block ×4, first 2 shown]
.LBB3_3:                                ; =>This Inner Loop Header: Depth=1
	v_add_co_u32_e32 v3, vcc, s10, v7
	v_addc_co_u32_e32 v4, vcc, v9, v8, vcc
	global_load_dwordx2 v[3:4], v[3:4], off
	v_add_co_u32_e32 v5, vcc, s6, v7
	v_addc_co_u32_e32 v6, vcc, v19, v8, vcc
	v_add_co_u32_e32 v1, vcc, s20, v1
	v_addc_co_u32_e32 v2, vcc, 0, v2, vcc
	v_add_co_u32_e32 v7, vcc, s21, v7
	v_lshlrev_b64 v[26:27], 2, v[1:2]
	v_addc_co_u32_e32 v8, vcc, 0, v8, vcc
	v_cmp_le_i64_e32 vcc, s[14:15], v[26:27]
	v_mov_b32_e32 v22, 0xbaa2d753
	v_mov_b32_e32 v23, 0xbaa2d753
	;; [unrolled: 1-line block ×4, first 2 shown]
	s_or_b64 s[18:19], vcc, s[18:19]
	s_waitcnt vmcnt(0)
	v_lshlrev_b32_e32 v27, 16, v3
	v_add_f32_e64 v30, |v27|, 2.0
	v_rcp_f32_e32 v30, v30
	v_and_b32_e32 v26, 0xffff0000, v3
	v_add_f32_e64 v33, |v26|, 2.0
	v_add_f32_e64 v29, |v27|, -2.0
	v_rcp_f32_e32 v33, v33
	v_alignbit_b32 v3, v4, v3, 16
	v_and_b32_e32 v4, 0xffff0000, v4
	v_mul_f32_e32 v29, v29, v30
	v_add_f32_e64 v36, |v4|, 2.0
	v_add_f32_e32 v44, 1.0, v29
	v_add_f32_e64 v32, |v26|, -2.0
	v_rcp_f32_e32 v36, v36
	v_fma_f32 v44, v44, -2.0, |v27|
	v_and_b32_e32 v3, 0xffff0000, v3
	v_fma_f32 v44, -v29, |v27|, v44
	v_mul_f32_e32 v32, v32, v33
	v_add_f32_e64 v41, |v3|, 2.0
	v_fmac_f32_e32 v29, v30, v44
	v_add_f32_e32 v44, 1.0, v32
	v_add_f32_e64 v35, |v4|, -2.0
	v_fma_f32 v44, v44, -2.0, |v26|
	v_rcp_f32_e32 v41, v41
	v_fma_f32 v44, -v32, |v26|, v44
	v_mul_f32_e32 v35, v35, v36
	v_fmac_f32_e32 v32, v33, v44
	v_add_f32_e32 v44, 1.0, v35
	v_add_f32_e64 v40, |v3|, -2.0
	v_fma_f32 v44, v44, -2.0, |v4|
	v_mul_f32_e64 v28, v27, -v27
	v_fma_f32 v44, -v35, |v4|, v44
	v_mul_f32_e32 v40, v40, v41
	v_mul_f32_e64 v31, v26, -v26
	v_mul_f32_e32 v37, 0x3fb8aa3b, v28
	v_fmac_f32_e32 v35, v36, v44
	v_add_f32_e32 v44, 1.0, v40
	v_mul_f32_e64 v34, v4, -v4
	v_mul_f32_e32 v38, 0x3fb8aa3b, v31
	v_fma_f32 v43, v28, s22, -v37
	v_rndne_f32_e32 v30, v37
	v_fma_f32 v44, v44, -2.0, |v3|
	v_mul_f32_e32 v42, 0x3fb8aa3b, v34
	v_fma_f32 v33, v31, s22, -v38
	v_rndne_f32_e32 v36, v38
	v_fma_f32 v44, -v40, |v3|, v44
	v_fmac_f32_e32 v43, 0x32a5705f, v28
	v_sub_f32_e32 v37, v37, v30
	v_mul_f32_e64 v39, v3, -v3
	v_fmac_f32_e32 v40, v41, v44
	v_fma_f32 v44, v34, s22, -v42
	v_add_f32_e32 v37, v37, v43
	v_rndne_f32_e32 v43, v42
	v_fmac_f32_e32 v33, 0x32a5705f, v31
	v_sub_f32_e32 v38, v38, v36
	v_mul_f32_e32 v41, 0x3fb8aa3b, v39
	v_add_f32_e32 v33, v38, v33
	v_fmac_f32_e32 v44, 0x32a5705f, v34
	v_sub_f32_e32 v42, v42, v43
	v_cvt_i32_f32_e32 v30, v30
	v_exp_f32_e32 v37, v37
	v_fma_f32 v38, v39, s22, -v41
	v_add_f32_e32 v42, v42, v44
	v_rndne_f32_e32 v44, v41
	v_cvt_i32_f32_e32 v36, v36
	v_exp_f32_e32 v33, v33
	v_fmac_f32_e32 v38, 0x32a5705f, v39
	v_sub_f32_e32 v41, v41, v44
	v_cvt_i32_f32_e32 v43, v43
	v_exp_f32_e32 v42, v42
	v_add_f32_e32 v38, v41, v38
	v_ldexp_f32 v30, v37, v30
	v_cmp_ngt_f32_e32 vcc, s23, v28
	v_cvt_i32_f32_e32 v44, v44
	v_exp_f32_e32 v38, v38
	v_fmac_f32_e32 v22, 0xb9d6f8c4, v29
	v_fmac_f32_e32 v23, 0xb9d6f8c4, v32
	v_fmac_f32_e32 v25, 0xb9d6f8c4, v35
	v_ldexp_f32 v33, v33, v36
	v_cndmask_b32_e32 v30, 0, v30, vcc
	v_cmp_nlt_f32_e32 vcc, s24, v28
	v_cmp_ngt_f32_e64 s[0:1], s23, v31
	v_fma_f32 v22, v29, v22, v11
	v_fma_f32 v23, v32, v23, v11
	v_fmac_f32_e32 v24, 0xb9d6f8c4, v40
	v_fma_f32 v25, v35, v25, v11
	v_ldexp_f32 v42, v42, v43
	v_cndmask_b32_e64 v33, 0, v33, s[0:1]
	v_cmp_nlt_f32_e64 s[0:1], s24, v31
	v_cndmask_b32_e32 v30, v10, v30, vcc
	v_cmp_ngt_f32_e32 vcc, s23, v34
	v_fma_f32 v22, v29, v22, v12
	v_fma_f32 v23, v32, v23, v12
	;; [unrolled: 1-line block ×4, first 2 shown]
	v_add_f32_e64 v41, |v27|, |v27|
	v_add_f32_e64 v37, |v26|, |v26|
	;; [unrolled: 1-line block ×3, first 2 shown]
	v_fma_f32 v43, -v27, v27, -v28
	v_fma_f32 v31, -v26, v26, -v31
	v_cndmask_b32_e32 v42, 0, v42, vcc
	v_cmp_nlt_f32_e32 vcc, s24, v34
	v_cndmask_b32_e64 v33, v10, v33, s[0:1]
	v_fma_f32 v22, v29, v22, v13
	v_fma_f32 v23, v32, v23, v13
	;; [unrolled: 1-line block ×4, first 2 shown]
	v_add_f32_e32 v28, 1.0, v41
	v_ldexp_f32 v38, v38, v44
	v_add_f32_e32 v44, 1.0, v37
	v_fmac_f32_e32 v30, v30, v43
	v_add_f32_e64 v43, |v3|, |v3|
	v_fma_f32 v34, -v4, v4, -v34
	v_fmac_f32_e32 v33, v33, v31
	v_add_f32_e32 v31, 1.0, v36
	v_cndmask_b32_e32 v42, v10, v42, vcc
	v_fma_f32 v22, v29, v22, v14
	v_fma_f32 v23, v32, v23, v14
	;; [unrolled: 1-line block ×4, first 2 shown]
	v_rcp_f32_e32 v28, v28
	v_rcp_f32_e32 v44, v44
	v_fmac_f32_e32 v42, v42, v34
	v_add_f32_e32 v34, 1.0, v43
	v_rcp_f32_e32 v31, v31
	v_fma_f32 v22, v29, v22, v15
	v_fma_f32 v23, v32, v23, v15
	;; [unrolled: 1-line block ×4, first 2 shown]
	v_rcp_f32_e32 v34, v34
	v_fma_f32 v22, v29, v22, v16
	v_fma_f32 v23, v32, v23, v16
	;; [unrolled: 1-line block ×4, first 2 shown]
	v_cmp_ngt_f32_e64 s[0:1], s23, v39
	v_fma_f32 v22, v29, v22, v17
	v_fma_f32 v23, v32, v23, v17
	;; [unrolled: 1-line block ×4, first 2 shown]
	v_cndmask_b32_e64 v38, 0, v38, s[0:1]
	v_cmp_nlt_f32_e64 s[0:1], s24, v39
	v_fma_f32 v22, v29, v22, v18
	v_fma_f32 v23, v32, v23, v18
	;; [unrolled: 1-line block ×4, first 2 shown]
	v_fma_f32 v39, -v3, v3, -v39
	v_cndmask_b32_e64 v38, v10, v38, s[0:1]
	v_fma_f32 v29, v22, v28, v28
	v_fma_f32 v32, v23, v44, v44
	;; [unrolled: 1-line block ×4, first 2 shown]
	v_fmac_f32_e32 v38, v38, v39
	v_fma_f32 v39, -v29, v41, 1.0
	v_sub_f32_e32 v22, v22, v29
	v_fma_f32 v37, -v32, v37, 1.0
	v_sub_f32_e32 v23, v23, v32
	v_fma_f32 v40, v24, v34, v34
	v_fma_f32 v36, -v35, v36, 1.0
	v_sub_f32_e32 v25, v25, v35
	v_add_f32_e32 v22, v39, v22
	v_add_f32_e32 v23, v37, v23
	v_fma_f32 v37, -v40, v43, 1.0
	v_sub_f32_e32 v24, v24, v40
	v_add_f32_e32 v25, v36, v25
	v_fmac_f32_e32 v29, v28, v22
	v_fmac_f32_e32 v32, v44, v23
	v_add_f32_e32 v22, v37, v24
	v_fmac_f32_e32 v35, v31, v25
	v_mul_f32_e32 v23, v30, v29
	v_mul_f32_e32 v24, v33, v32
	v_cmp_ngt_f32_e64 vcc, |v26|, s25
	v_fmac_f32_e32 v40, v34, v22
	v_mul_f32_e32 v22, v42, v35
	v_cmp_ngt_f32_e64 s[0:1], |v4|, s25
	v_cmp_ngt_f32_e64 s[2:3], |v27|, s25
	v_cndmask_b32_e64 v23, 0, v23, s[2:3]
	v_cndmask_b32_e32 v24, 0, v24, vcc
	v_mul_f32_e32 v25, v38, v40
	v_cmp_ngt_f32_e64 vcc, |v3|, s25
	v_cndmask_b32_e64 v22, 0, v22, s[0:1]
	v_sub_f32_e32 v28, 2.0, v23
	v_sub_f32_e32 v29, 2.0, v24
	v_cmp_gt_f32_e64 s[0:1], 0, v26
	v_cndmask_b32_e32 v25, 0, v25, vcc
	v_sub_f32_e32 v26, 2.0, v22
	v_cmp_gt_f32_e32 vcc, 0, v4
	v_cmp_gt_f32_e64 s[2:3], 0, v27
	v_cndmask_b32_e64 v4, v23, v28, s[2:3]
	v_cndmask_b32_e64 v23, v24, v29, s[0:1]
	v_sub_f32_e32 v24, 2.0, v25
	v_cmp_gt_f32_e64 s[0:1], 0, v3
	v_cndmask_b32_e32 v3, v22, v26, vcc
	v_bfe_u32 v22, v4, 16, 1
	v_bfe_u32 v26, v23, 16, 1
	v_cndmask_b32_e64 v24, v25, v24, s[0:1]
	v_bfe_u32 v25, v3, 16, 1
	v_add3_u32 v22, v4, v22, s26
	v_add3_u32 v26, v23, v26, s26
	v_bfe_u32 v27, v24, 16, 1
	v_add3_u32 v25, v3, v25, s26
	v_lshrrev_b32_e32 v22, 16, v22
	v_and_b32_e32 v26, 0xffff0000, v26
	v_add3_u32 v27, v24, v27, s26
	v_and_b32_e32 v25, 0xffff0000, v25
	v_cmp_o_f32_e32 vcc, v3, v3
	v_cmp_o_f32_e64 s[0:1], v23, v23
	v_cmp_o_f32_e64 s[2:3], v4, v4
	v_lshrrev_b32_e32 v3, 16, v27
	v_cndmask_b32_e32 v4, v20, v25, vcc
	v_cndmask_b32_e64 v23, v20, v26, s[0:1]
	v_cndmask_b32_e64 v22, v21, v22, s[2:3]
	v_cmp_o_f32_e32 vcc, v24, v24
	v_cndmask_b32_e32 v3, v21, v3, vcc
	v_or_b32_e32 v22, v22, v23
	v_or3_b32 v4, 0, v3, v4
	v_or3_b32 v3, v22, 0, 0
	global_store_dwordx2 v[5:6], v[3:4], off
	s_andn2_b64 exec, exec, s[18:19]
	s_cbranch_execnz .LBB3_3
.LBB3_4:
	s_or_b64 exec, exec, s[16:17]
	s_mov_b64 s[0:1], 0
.LBB3_5:
	s_andn2_b64 vcc, exec, s[0:1]
	s_cbranch_vccnz .LBB3_25
; %bb.6:
	v_cmp_lt_i64_e64 s[0:1], s[12:13], 1
	s_and_b64 vcc, exec, s[0:1]
	s_cbranch_vccnz .LBB3_25
; %bb.7:
	v_mov_b32_e32 v1, 0x10000
	s_load_dword s2, s[4:5], 0xc5c
	v_mov_b32_e32 v2, 0
	v_cmp_lt_i64_e32 vcc, s[12:13], v[1:2]
	v_mov_b32_e32 v10, 0
	s_and_b64 s[0:1], vcc, exec
	v_cmp_lt_u64_e32 vcc, s[12:13], v[1:2]
	s_cselect_b32 s15, s13, 0
	s_cselect_b32 s14, s12, 0x10000
	s_waitcnt lgkmcnt(0)
	s_and_b32 s2, s2, 0xffff
	v_lshlrev_b32_e32 v9, 1, v0
	s_and_b64 s[0:1], vcc, exec
	v_mov_b32_e32 v2, s11
	v_add_co_u32_e32 v1, vcc, s10, v9
	v_mad_u64_u32 v[7:8], s[0:1], s2, 6, v[9:10]
	v_addc_co_u32_e32 v2, vcc, 0, v2, vcc
	v_mov_b32_e32 v4, s7
	v_add_co_u32_e32 v3, vcc, s6, v9
	v_addc_co_u32_e32 v4, vcc, 0, v4, vcc
	v_mov_b32_e32 v6, s11
	v_add_co_u32_e32 v5, vcc, s10, v7
	v_addc_co_u32_e32 v6, vcc, v6, v8, vcc
	v_mov_b32_e32 v10, s7
	v_add_co_u32_e32 v7, vcc, s6, v7
	s_cselect_b32 s13, s13, 0
	s_cselect_b32 s12, s12, 0x10000
	s_lshl_b32 s18, s2, 2
	v_addc_co_u32_e32 v8, vcc, v10, v8, vcc
	v_add_co_u32_e32 v11, vcc, s18, v9
	v_addc_co_u32_e64 v12, s[0:1], 0, 0, vcc
	v_mov_b32_e32 v10, s11
	v_add_co_u32_e32 v9, vcc, s10, v11
	v_addc_co_u32_e32 v10, vcc, v10, v12, vcc
	v_mov_b32_e32 v13, s7
	v_add_co_u32_e32 v11, vcc, s6, v11
	v_addc_co_u32_e32 v12, vcc, v13, v12, vcc
	v_add_co_u32_e32 v13, vcc, s2, v0
	v_lshlrev_b32_e32 v17, 1, v13
	v_addc_co_u32_e64 v14, s[0:1], 0, 0, vcc
	v_mov_b32_e32 v16, s11
	v_add_co_u32_e32 v15, vcc, s10, v17
	v_addc_co_u32_e32 v16, vcc, 0, v16, vcc
	v_mov_b32_e32 v18, s7
	v_add_co_u32_e32 v17, vcc, s6, v17
	s_mul_i32 s4, s2, 3
	v_addc_co_u32_e32 v18, vcc, 0, v18, vcc
	s_lshl_b32 s3, s2, 1
	v_add_co_u32_e32 v19, vcc, s4, v0
	v_addc_co_u32_e64 v20, s[0:1], 0, 0, vcc
	v_add_co_u32_e32 v21, vcc, s3, v0
	s_lshl_b32 s19, s2, 3
	s_mov_b64 s[10:11], 0
	s_mov_b32 s20, 0x3fb8aa3b
	s_mov_b32 s21, 0xc2ce8ed0
	s_mov_b32 s22, 0x42b17218
	s_mov_b32 s23, 0x4120ddfc
	s_movk_i32 s24, 0x7fff
	v_addc_co_u32_e64 v22, s[0:1], 0, 0, vcc
	v_mov_b32_e32 v23, 0x3aad2fb4
	v_mov_b32_e32 v24, 0x3c0da267
	;; [unrolled: 1-line block ×10, first 2 shown]
	s_branch .LBB3_9
.LBB3_8:                                ;   in Loop: Header=BB3_9 Depth=1
	s_or_b64 exec, exec, s[2:3]
	v_add_co_u32_e32 v1, vcc, s19, v1
	v_addc_co_u32_e32 v2, vcc, 0, v2, vcc
	v_add_co_u32_e32 v3, vcc, s19, v3
	v_addc_co_u32_e32 v4, vcc, 0, v4, vcc
	;; [unrolled: 2-line block ×6, first 2 shown]
	s_add_u32 s10, s10, s18
	v_add_co_u32_e32 v15, vcc, s19, v15
	v_mov_b32_e32 v34, s15
	s_addc_u32 s11, s11, 0
	v_addc_co_u32_e32 v16, vcc, 0, v16, vcc
	v_mov_b32_e32 v33, s14
	v_cmp_ge_i64_e32 vcc, s[10:11], v[33:34]
	v_add_co_u32_e64 v17, s[0:1], s19, v17
	v_addc_co_u32_e64 v18, s[0:1], 0, v18, s[0:1]
	s_cbranch_vccnz .LBB3_25
.LBB3_9:                                ; =>This Inner Loop Header: Depth=1
	v_mov_b32_e32 v34, s11
	v_add_co_u32_e32 v33, vcc, s10, v0
	v_addc_co_u32_e32 v34, vcc, 0, v34, vcc
	v_cmp_gt_u64_e32 vcc, s[12:13], v[33:34]
	v_mov_b32_e32 v36, 0
	s_and_saveexec_b64 s[2:3], vcc
	s_cbranch_execz .LBB3_11
; %bb.10:                               ;   in Loop: Header=BB3_9 Depth=1
	v_mov_b32_e32 v34, s9
	v_add_co_u32_e64 v33, s[0:1], s8, v1
	v_addc_co_u32_e64 v34, s[0:1], v2, v34, s[0:1]
	global_load_ushort v33, v[33:34], off
	s_waitcnt vmcnt(0)
	v_lshlrev_b32_e32 v36, 16, v33
.LBB3_11:                               ;   in Loop: Header=BB3_9 Depth=1
	s_or_b64 exec, exec, s[2:3]
	v_mov_b32_e32 v34, s11
	v_add_co_u32_e64 v33, s[0:1], s10, v13
	v_addc_co_u32_e64 v34, s[0:1], v14, v34, s[0:1]
	v_cmp_gt_u64_e64 s[4:5], s[12:13], v[33:34]
	v_mov_b32_e32 v34, 0
	v_mov_b32_e32 v35, 0
	s_and_saveexec_b64 s[2:3], s[4:5]
	s_cbranch_execz .LBB3_13
; %bb.12:                               ;   in Loop: Header=BB3_9 Depth=1
	v_mov_b32_e32 v33, s9
	v_add_co_u32_e64 v37, s[0:1], s8, v15
	v_addc_co_u32_e64 v38, s[0:1], v16, v33, s[0:1]
	global_load_ushort v33, v[37:38], off
	s_waitcnt vmcnt(0)
	v_lshlrev_b32_e32 v35, 16, v33
.LBB3_13:                               ;   in Loop: Header=BB3_9 Depth=1
	s_or_b64 exec, exec, s[2:3]
	v_mov_b32_e32 v33, s11
	v_add_co_u32_e64 v37, s[0:1], s10, v21
	v_addc_co_u32_e64 v38, s[0:1], v22, v33, s[0:1]
	v_cmp_gt_u64_e64 s[2:3], s[12:13], v[37:38]
	s_and_saveexec_b64 s[6:7], s[2:3]
	s_cbranch_execz .LBB3_15
; %bb.14:                               ;   in Loop: Header=BB3_9 Depth=1
	v_mov_b32_e32 v34, s9
	v_add_co_u32_e64 v33, s[0:1], s8, v9
	v_addc_co_u32_e64 v34, s[0:1], v10, v34, s[0:1]
	global_load_ushort v33, v[33:34], off
	s_waitcnt vmcnt(0)
	v_lshlrev_b32_e32 v34, 16, v33
.LBB3_15:                               ;   in Loop: Header=BB3_9 Depth=1
	s_or_b64 exec, exec, s[6:7]
	v_mov_b32_e32 v33, s11
	v_add_co_u32_e64 v37, s[0:1], s10, v19
	v_addc_co_u32_e64 v38, s[0:1], v20, v33, s[0:1]
	v_cmp_gt_u64_e64 s[0:1], s[12:13], v[37:38]
	v_mov_b32_e32 v33, 0
	s_and_saveexec_b64 s[16:17], s[0:1]
	s_cbranch_execnz .LBB3_20
; %bb.16:                               ;   in Loop: Header=BB3_9 Depth=1
	s_or_b64 exec, exec, s[16:17]
	s_and_saveexec_b64 s[6:7], vcc
	s_cbranch_execnz .LBB3_21
.LBB3_17:                               ;   in Loop: Header=BB3_9 Depth=1
	s_or_b64 exec, exec, s[6:7]
	s_and_saveexec_b64 s[6:7], s[4:5]
	s_cbranch_execnz .LBB3_22
.LBB3_18:                               ;   in Loop: Header=BB3_9 Depth=1
	s_or_b64 exec, exec, s[6:7]
	s_and_saveexec_b64 s[4:5], s[2:3]
	s_cbranch_execnz .LBB3_23
.LBB3_19:                               ;   in Loop: Header=BB3_9 Depth=1
	s_or_b64 exec, exec, s[4:5]
	s_and_saveexec_b64 s[2:3], s[0:1]
	s_cbranch_execz .LBB3_8
	s_branch .LBB3_24
.LBB3_20:                               ;   in Loop: Header=BB3_9 Depth=1
	v_mov_b32_e32 v33, s9
	v_add_co_u32_e64 v37, s[6:7], s8, v5
	v_addc_co_u32_e64 v38, s[6:7], v6, v33, s[6:7]
	global_load_ushort v33, v[37:38], off
	s_waitcnt vmcnt(0)
	v_lshlrev_b32_e32 v33, 16, v33
	s_or_b64 exec, exec, s[16:17]
	s_and_saveexec_b64 s[6:7], vcc
	s_cbranch_execz .LBB3_17
.LBB3_21:                               ;   in Loop: Header=BB3_9 Depth=1
	v_mul_f32_e64 v37, v36, -v36
	v_mul_f32_e32 v38, 0x3fb8aa3b, v37
	v_rndne_f32_e32 v39, v38
	v_sub_f32_e32 v40, v38, v39
	v_fma_f32 v38, v37, s20, -v38
	v_fmac_f32_e32 v38, 0x32a5705f, v37
	v_add_f32_e32 v38, v40, v38
	v_cvt_i32_f32_e32 v39, v39
	v_exp_f32_e32 v38, v38
	v_add_f32_e64 v41, |v36|, -2.0
	v_cmp_ngt_f32_e32 vcc, s21, v37
	v_ldexp_f32 v38, v38, v39
	v_add_f32_e64 v39, |v36|, 2.0
	v_rcp_f32_e32 v39, v39
	v_cndmask_b32_e32 v38, 0, v38, vcc
	v_cmp_nlt_f32_e32 vcc, s22, v37
	v_cndmask_b32_e32 v38, v31, v38, vcc
	v_mul_f32_e32 v41, v41, v39
	v_add_f32_e32 v42, 1.0, v41
	v_fma_f32 v42, v42, -2.0, |v36|
	v_fma_f32 v42, -v41, |v36|, v42
	v_fmac_f32_e32 v41, v39, v42
	v_mov_b32_e32 v39, 0xbaa2d753
	v_fmac_f32_e32 v39, 0xb9d6f8c4, v41
	v_fma_f32 v39, v41, v39, v23
	v_fma_f32 v37, -v36, v36, -v37
	v_fma_f32 v39, v41, v39, v24
	v_fmac_f32_e32 v38, v38, v37
	v_add_f32_e64 v37, |v36|, |v36|
	v_fma_f32 v39, v41, v39, v25
	v_add_f32_e32 v40, 1.0, v37
	v_fma_f32 v39, v41, v39, v26
	v_rcp_f32_e32 v40, v40
	v_fma_f32 v39, v41, v39, v27
	v_fma_f32 v39, v41, v39, v28
	;; [unrolled: 1-line block ×5, first 2 shown]
	v_fma_f32 v37, -v41, v37, 1.0
	v_sub_f32_e32 v39, v39, v41
	v_add_f32_e32 v37, v37, v39
	v_fmac_f32_e32 v41, v40, v37
	v_mul_f32_e32 v37, v38, v41
	v_cmp_ngt_f32_e64 vcc, |v36|, s23
	v_cndmask_b32_e32 v37, 0, v37, vcc
	v_sub_f32_e32 v38, 2.0, v37
	v_cmp_gt_f32_e32 vcc, 0, v36
	v_cndmask_b32_e32 v36, v37, v38, vcc
	v_bfe_u32 v37, v36, 16, 1
	v_add3_u32 v37, v36, v37, s24
	v_cmp_o_f32_e32 vcc, v36, v36
	v_cndmask_b32_sdwa v38, v32, v37, vcc dst_sel:DWORD dst_unused:UNUSED_PAD src0_sel:DWORD src1_sel:WORD_1
	v_mov_b32_e32 v37, s9
	v_add_co_u32_e32 v36, vcc, s8, v3
	v_addc_co_u32_e32 v37, vcc, v4, v37, vcc
	global_store_short v[36:37], v38, off
	s_or_b64 exec, exec, s[6:7]
	s_and_saveexec_b64 s[6:7], s[4:5]
	s_cbranch_execz .LBB3_18
.LBB3_22:                               ;   in Loop: Header=BB3_9 Depth=1
	v_mul_f32_e64 v36, v35, -v35
	v_mul_f32_e32 v37, 0x3fb8aa3b, v36
	v_rndne_f32_e32 v38, v37
	v_sub_f32_e32 v39, v37, v38
	v_fma_f32 v37, v36, s20, -v37
	v_fmac_f32_e32 v37, 0x32a5705f, v36
	v_add_f32_e32 v37, v39, v37
	v_exp_f32_e32 v37, v37
	v_cvt_i32_f32_e32 v38, v38
	v_cmp_ngt_f32_e32 vcc, s21, v36
	v_fma_f32 v39, -v35, v35, -v36
	v_ldexp_f32 v37, v37, v38
	v_add_f32_e64 v38, |v35|, 2.0
	v_rcp_f32_e32 v38, v38
	v_cndmask_b32_e32 v37, 0, v37, vcc
	v_cmp_nlt_f32_e32 vcc, s22, v36
	v_cndmask_b32_e32 v36, v31, v37, vcc
	v_add_f32_e64 v37, |v35|, -2.0
	v_mul_f32_e32 v37, v37, v38
	v_fmac_f32_e32 v36, v36, v39
	v_add_f32_e32 v39, 1.0, v37
	v_fma_f32 v39, v39, -2.0, |v35|
	v_fma_f32 v39, -v37, |v35|, v39
	v_fmac_f32_e32 v37, v38, v39
	v_mov_b32_e32 v38, 0xbaa2d753
	v_fmac_f32_e32 v38, 0xb9d6f8c4, v37
	v_fma_f32 v38, v37, v38, v23
	v_fma_f32 v38, v37, v38, v24
	;; [unrolled: 1-line block ×3, first 2 shown]
	v_add_f32_e64 v39, |v35|, |v35|
	v_fma_f32 v38, v37, v38, v26
	v_add_f32_e32 v40, 1.0, v39
	v_fma_f32 v38, v37, v38, v27
	v_rcp_f32_e32 v40, v40
	v_fma_f32 v38, v37, v38, v28
	v_fma_f32 v38, v37, v38, v29
	v_fma_f32 v37, v37, v38, v30
	v_fma_f32 v38, v37, v40, v40
	v_fma_f32 v39, -v38, v39, 1.0
	v_sub_f32_e32 v37, v37, v38
	v_add_f32_e32 v37, v39, v37
	v_fmac_f32_e32 v38, v40, v37
	v_mul_f32_e32 v36, v36, v38
	v_cmp_ngt_f32_e64 vcc, |v35|, s23
	v_cndmask_b32_e32 v36, 0, v36, vcc
	v_sub_f32_e32 v37, 2.0, v36
	v_cmp_gt_f32_e32 vcc, 0, v35
	v_cndmask_b32_e32 v35, v36, v37, vcc
	v_bfe_u32 v36, v35, 16, 1
	v_add3_u32 v36, v35, v36, s24
	v_cmp_o_f32_e32 vcc, v35, v35
	v_cndmask_b32_sdwa v37, v32, v36, vcc dst_sel:DWORD dst_unused:UNUSED_PAD src0_sel:DWORD src1_sel:WORD_1
	v_mov_b32_e32 v36, s9
	v_add_co_u32_e32 v35, vcc, s8, v17
	v_addc_co_u32_e32 v36, vcc, v18, v36, vcc
	global_store_short v[35:36], v37, off
	s_or_b64 exec, exec, s[6:7]
	s_and_saveexec_b64 s[4:5], s[2:3]
	s_cbranch_execz .LBB3_19
.LBB3_23:                               ;   in Loop: Header=BB3_9 Depth=1
	v_mul_f32_e64 v35, v34, -v34
	v_mul_f32_e32 v36, 0x3fb8aa3b, v35
	v_rndne_f32_e32 v37, v36
	v_sub_f32_e32 v38, v36, v37
	v_fma_f32 v36, v35, s20, -v36
	v_fmac_f32_e32 v36, 0x32a5705f, v35
	v_add_f32_e32 v36, v38, v36
	v_exp_f32_e32 v36, v36
	v_cvt_i32_f32_e32 v37, v37
	v_cmp_ngt_f32_e32 vcc, s21, v35
	v_fma_f32 v38, -v34, v34, -v35
	v_ldexp_f32 v36, v36, v37
	v_add_f32_e64 v37, |v34|, 2.0
	v_rcp_f32_e32 v37, v37
	v_cndmask_b32_e32 v36, 0, v36, vcc
	v_cmp_nlt_f32_e32 vcc, s22, v35
	v_cndmask_b32_e32 v35, v31, v36, vcc
	v_add_f32_e64 v36, |v34|, -2.0
	v_mul_f32_e32 v36, v36, v37
	v_fmac_f32_e32 v35, v35, v38
	v_add_f32_e32 v38, 1.0, v36
	v_fma_f32 v38, v38, -2.0, |v34|
	v_fma_f32 v38, -v36, |v34|, v38
	v_fmac_f32_e32 v36, v37, v38
	v_mov_b32_e32 v37, 0xbaa2d753
	v_fmac_f32_e32 v37, 0xb9d6f8c4, v36
	v_fma_f32 v37, v36, v37, v23
	v_fma_f32 v37, v36, v37, v24
	;; [unrolled: 1-line block ×3, first 2 shown]
	v_add_f32_e64 v38, |v34|, |v34|
	v_fma_f32 v37, v36, v37, v26
	v_add_f32_e32 v39, 1.0, v38
	v_fma_f32 v37, v36, v37, v27
	v_rcp_f32_e32 v39, v39
	v_fma_f32 v37, v36, v37, v28
	v_fma_f32 v37, v36, v37, v29
	;; [unrolled: 1-line block ×4, first 2 shown]
	v_fma_f32 v38, -v37, v38, 1.0
	v_sub_f32_e32 v36, v36, v37
	v_add_f32_e32 v36, v38, v36
	v_fmac_f32_e32 v37, v39, v36
	v_mul_f32_e32 v35, v35, v37
	v_cmp_ngt_f32_e64 vcc, |v34|, s23
	v_cndmask_b32_e32 v35, 0, v35, vcc
	v_sub_f32_e32 v36, 2.0, v35
	v_cmp_gt_f32_e32 vcc, 0, v34
	v_cndmask_b32_e32 v34, v35, v36, vcc
	v_bfe_u32 v35, v34, 16, 1
	v_add3_u32 v35, v34, v35, s24
	v_cmp_o_f32_e32 vcc, v34, v34
	v_cndmask_b32_sdwa v36, v32, v35, vcc dst_sel:DWORD dst_unused:UNUSED_PAD src0_sel:DWORD src1_sel:WORD_1
	v_mov_b32_e32 v35, s9
	v_add_co_u32_e32 v34, vcc, s8, v11
	v_addc_co_u32_e32 v35, vcc, v12, v35, vcc
	global_store_short v[34:35], v36, off
	s_or_b64 exec, exec, s[4:5]
	s_and_saveexec_b64 s[2:3], s[0:1]
	s_cbranch_execz .LBB3_8
.LBB3_24:                               ;   in Loop: Header=BB3_9 Depth=1
	v_mul_f32_e64 v34, v33, -v33
	v_mul_f32_e32 v35, 0x3fb8aa3b, v34
	v_rndne_f32_e32 v36, v35
	v_sub_f32_e32 v37, v35, v36
	v_fma_f32 v35, v34, s20, -v35
	v_fmac_f32_e32 v35, 0x32a5705f, v34
	v_add_f32_e32 v35, v37, v35
	v_exp_f32_e32 v35, v35
	v_cvt_i32_f32_e32 v36, v36
	v_cmp_ngt_f32_e32 vcc, s21, v34
	v_fma_f32 v37, -v33, v33, -v34
	v_ldexp_f32 v35, v35, v36
	v_add_f32_e64 v36, |v33|, 2.0
	v_rcp_f32_e32 v36, v36
	v_cndmask_b32_e32 v35, 0, v35, vcc
	v_cmp_nlt_f32_e32 vcc, s22, v34
	v_cndmask_b32_e32 v34, v31, v35, vcc
	v_add_f32_e64 v35, |v33|, -2.0
	v_mul_f32_e32 v35, v35, v36
	v_fmac_f32_e32 v34, v34, v37
	v_add_f32_e32 v37, 1.0, v35
	v_fma_f32 v37, v37, -2.0, |v33|
	v_fma_f32 v37, -v35, |v33|, v37
	v_fmac_f32_e32 v35, v36, v37
	v_mov_b32_e32 v36, 0xbaa2d753
	v_fmac_f32_e32 v36, 0xb9d6f8c4, v35
	v_fma_f32 v36, v35, v36, v23
	v_fma_f32 v36, v35, v36, v24
	;; [unrolled: 1-line block ×3, first 2 shown]
	v_add_f32_e64 v37, |v33|, |v33|
	v_fma_f32 v36, v35, v36, v26
	v_add_f32_e32 v38, 1.0, v37
	v_fma_f32 v36, v35, v36, v27
	v_rcp_f32_e32 v38, v38
	v_fma_f32 v36, v35, v36, v28
	v_fma_f32 v36, v35, v36, v29
	;; [unrolled: 1-line block ×4, first 2 shown]
	v_fma_f32 v37, -v36, v37, 1.0
	v_sub_f32_e32 v35, v35, v36
	v_add_f32_e32 v35, v37, v35
	v_fmac_f32_e32 v36, v38, v35
	v_mul_f32_e32 v34, v34, v36
	v_cmp_ngt_f32_e64 vcc, |v33|, s23
	v_cndmask_b32_e32 v34, 0, v34, vcc
	v_sub_f32_e32 v35, 2.0, v34
	v_cmp_gt_f32_e32 vcc, 0, v33
	v_cndmask_b32_e32 v33, v34, v35, vcc
	v_bfe_u32 v34, v33, 16, 1
	v_add3_u32 v34, v33, v34, s24
	v_cmp_o_f32_e32 vcc, v33, v33
	v_cndmask_b32_sdwa v35, v32, v34, vcc dst_sel:DWORD dst_unused:UNUSED_PAD src0_sel:DWORD src1_sel:WORD_1
	v_mov_b32_e32 v34, s9
	v_add_co_u32_e32 v33, vcc, s8, v7
	v_addc_co_u32_e32 v34, vcc, v8, v34, vcc
	global_store_short v[33:34], v35, off
	s_branch .LBB3_8
.LBB3_25:
	s_endpgm
	.section	.rodata,"a",@progbits
	.p2align	6, 0x0
	.amdhsa_kernel _ZN2at6native12_GLOBAL__N_125multi_tensor_apply_kernelINS1_18TensorListMetadataILi2EEENS1_14UnaryOpFunctorIN3c108BFloat16ELi2ELi1ELi1EEEJNS0_4ErfcIfEEEEEvT_T0_DpT1_
		.amdhsa_group_segment_fixed_size 0
		.amdhsa_private_segment_fixed_size 0
		.amdhsa_kernarg_size 3408
		.amdhsa_user_sgpr_count 6
		.amdhsa_user_sgpr_private_segment_buffer 1
		.amdhsa_user_sgpr_dispatch_ptr 0
		.amdhsa_user_sgpr_queue_ptr 0
		.amdhsa_user_sgpr_kernarg_segment_ptr 1
		.amdhsa_user_sgpr_dispatch_id 0
		.amdhsa_user_sgpr_flat_scratch_init 0
		.amdhsa_user_sgpr_private_segment_size 0
		.amdhsa_uses_dynamic_stack 0
		.amdhsa_system_sgpr_private_segment_wavefront_offset 0
		.amdhsa_system_sgpr_workgroup_id_x 1
		.amdhsa_system_sgpr_workgroup_id_y 0
		.amdhsa_system_sgpr_workgroup_id_z 0
		.amdhsa_system_sgpr_workgroup_info 0
		.amdhsa_system_vgpr_workitem_id 0
		.amdhsa_next_free_vgpr 45
		.amdhsa_next_free_sgpr 27
		.amdhsa_reserve_vcc 1
		.amdhsa_reserve_flat_scratch 0
		.amdhsa_float_round_mode_32 0
		.amdhsa_float_round_mode_16_64 0
		.amdhsa_float_denorm_mode_32 3
		.amdhsa_float_denorm_mode_16_64 3
		.amdhsa_dx10_clamp 1
		.amdhsa_ieee_mode 1
		.amdhsa_fp16_overflow 0
		.amdhsa_exception_fp_ieee_invalid_op 0
		.amdhsa_exception_fp_denorm_src 0
		.amdhsa_exception_fp_ieee_div_zero 0
		.amdhsa_exception_fp_ieee_overflow 0
		.amdhsa_exception_fp_ieee_underflow 0
		.amdhsa_exception_fp_ieee_inexact 0
		.amdhsa_exception_int_div_zero 0
	.end_amdhsa_kernel
	.section	.text._ZN2at6native12_GLOBAL__N_125multi_tensor_apply_kernelINS1_18TensorListMetadataILi2EEENS1_14UnaryOpFunctorIN3c108BFloat16ELi2ELi1ELi1EEEJNS0_4ErfcIfEEEEEvT_T0_DpT1_,"axG",@progbits,_ZN2at6native12_GLOBAL__N_125multi_tensor_apply_kernelINS1_18TensorListMetadataILi2EEENS1_14UnaryOpFunctorIN3c108BFloat16ELi2ELi1ELi1EEEJNS0_4ErfcIfEEEEEvT_T0_DpT1_,comdat
.Lfunc_end3:
	.size	_ZN2at6native12_GLOBAL__N_125multi_tensor_apply_kernelINS1_18TensorListMetadataILi2EEENS1_14UnaryOpFunctorIN3c108BFloat16ELi2ELi1ELi1EEEJNS0_4ErfcIfEEEEEvT_T0_DpT1_, .Lfunc_end3-_ZN2at6native12_GLOBAL__N_125multi_tensor_apply_kernelINS1_18TensorListMetadataILi2EEENS1_14UnaryOpFunctorIN3c108BFloat16ELi2ELi1ELi1EEEJNS0_4ErfcIfEEEEEvT_T0_DpT1_
                                        ; -- End function
	.set _ZN2at6native12_GLOBAL__N_125multi_tensor_apply_kernelINS1_18TensorListMetadataILi2EEENS1_14UnaryOpFunctorIN3c108BFloat16ELi2ELi1ELi1EEEJNS0_4ErfcIfEEEEEvT_T0_DpT1_.num_vgpr, 45
	.set _ZN2at6native12_GLOBAL__N_125multi_tensor_apply_kernelINS1_18TensorListMetadataILi2EEENS1_14UnaryOpFunctorIN3c108BFloat16ELi2ELi1ELi1EEEJNS0_4ErfcIfEEEEEvT_T0_DpT1_.num_agpr, 0
	.set _ZN2at6native12_GLOBAL__N_125multi_tensor_apply_kernelINS1_18TensorListMetadataILi2EEENS1_14UnaryOpFunctorIN3c108BFloat16ELi2ELi1ELi1EEEJNS0_4ErfcIfEEEEEvT_T0_DpT1_.numbered_sgpr, 27
	.set _ZN2at6native12_GLOBAL__N_125multi_tensor_apply_kernelINS1_18TensorListMetadataILi2EEENS1_14UnaryOpFunctorIN3c108BFloat16ELi2ELi1ELi1EEEJNS0_4ErfcIfEEEEEvT_T0_DpT1_.num_named_barrier, 0
	.set _ZN2at6native12_GLOBAL__N_125multi_tensor_apply_kernelINS1_18TensorListMetadataILi2EEENS1_14UnaryOpFunctorIN3c108BFloat16ELi2ELi1ELi1EEEJNS0_4ErfcIfEEEEEvT_T0_DpT1_.private_seg_size, 0
	.set _ZN2at6native12_GLOBAL__N_125multi_tensor_apply_kernelINS1_18TensorListMetadataILi2EEENS1_14UnaryOpFunctorIN3c108BFloat16ELi2ELi1ELi1EEEJNS0_4ErfcIfEEEEEvT_T0_DpT1_.uses_vcc, 1
	.set _ZN2at6native12_GLOBAL__N_125multi_tensor_apply_kernelINS1_18TensorListMetadataILi2EEENS1_14UnaryOpFunctorIN3c108BFloat16ELi2ELi1ELi1EEEJNS0_4ErfcIfEEEEEvT_T0_DpT1_.uses_flat_scratch, 0
	.set _ZN2at6native12_GLOBAL__N_125multi_tensor_apply_kernelINS1_18TensorListMetadataILi2EEENS1_14UnaryOpFunctorIN3c108BFloat16ELi2ELi1ELi1EEEJNS0_4ErfcIfEEEEEvT_T0_DpT1_.has_dyn_sized_stack, 0
	.set _ZN2at6native12_GLOBAL__N_125multi_tensor_apply_kernelINS1_18TensorListMetadataILi2EEENS1_14UnaryOpFunctorIN3c108BFloat16ELi2ELi1ELi1EEEJNS0_4ErfcIfEEEEEvT_T0_DpT1_.has_recursion, 0
	.set _ZN2at6native12_GLOBAL__N_125multi_tensor_apply_kernelINS1_18TensorListMetadataILi2EEENS1_14UnaryOpFunctorIN3c108BFloat16ELi2ELi1ELi1EEEJNS0_4ErfcIfEEEEEvT_T0_DpT1_.has_indirect_call, 0
	.section	.AMDGPU.csdata,"",@progbits
; Kernel info:
; codeLenInByte = 4144
; TotalNumSgprs: 31
; NumVgprs: 45
; ScratchSize: 0
; MemoryBound: 0
; FloatMode: 240
; IeeeMode: 1
; LDSByteSize: 0 bytes/workgroup (compile time only)
; SGPRBlocks: 3
; VGPRBlocks: 11
; NumSGPRsForWavesPerEU: 31
; NumVGPRsForWavesPerEU: 45
; Occupancy: 5
; WaveLimiterHint : 0
; COMPUTE_PGM_RSRC2:SCRATCH_EN: 0
; COMPUTE_PGM_RSRC2:USER_SGPR: 6
; COMPUTE_PGM_RSRC2:TRAP_HANDLER: 0
; COMPUTE_PGM_RSRC2:TGID_X_EN: 1
; COMPUTE_PGM_RSRC2:TGID_Y_EN: 0
; COMPUTE_PGM_RSRC2:TGID_Z_EN: 0
; COMPUTE_PGM_RSRC2:TIDIG_COMP_CNT: 0
	.section	.text._ZN2at6native12_GLOBAL__N_125multi_tensor_apply_kernelINS1_18TensorListMetadataILi1EEENS1_14UnaryOpFunctorIdLi1ELi1ELi0EEEJNS0_4ErfcIdEEEEEvT_T0_DpT1_,"axG",@progbits,_ZN2at6native12_GLOBAL__N_125multi_tensor_apply_kernelINS1_18TensorListMetadataILi1EEENS1_14UnaryOpFunctorIdLi1ELi1ELi0EEEJNS0_4ErfcIdEEEEEvT_T0_DpT1_,comdat
	.globl	_ZN2at6native12_GLOBAL__N_125multi_tensor_apply_kernelINS1_18TensorListMetadataILi1EEENS1_14UnaryOpFunctorIdLi1ELi1ELi0EEEJNS0_4ErfcIdEEEEEvT_T0_DpT1_ ; -- Begin function _ZN2at6native12_GLOBAL__N_125multi_tensor_apply_kernelINS1_18TensorListMetadataILi1EEENS1_14UnaryOpFunctorIdLi1ELi1ELi0EEEJNS0_4ErfcIdEEEEEvT_T0_DpT1_
	.p2align	8
	.type	_ZN2at6native12_GLOBAL__N_125multi_tensor_apply_kernelINS1_18TensorListMetadataILi1EEENS1_14UnaryOpFunctorIdLi1ELi1ELi0EEEJNS0_4ErfcIdEEEEEvT_T0_DpT1_,@function
_ZN2at6native12_GLOBAL__N_125multi_tensor_apply_kernelINS1_18TensorListMetadataILi1EEENS1_14UnaryOpFunctorIdLi1ELi1ELi0EEEJNS0_4ErfcIdEEEEEvT_T0_DpT1_: ; @_ZN2at6native12_GLOBAL__N_125multi_tensor_apply_kernelINS1_18TensorListMetadataILi1EEENS1_14UnaryOpFunctorIdLi1ELi1ELi0EEEJNS0_4ErfcIdEEEEEvT_T0_DpT1_
; %bb.0:
	v_mov_b32_e32 v1, s6
	global_load_ubyte v1, v1, s[4:5] offset:1760
	s_add_u32 s0, s4, s6
	s_mul_hi_u32 s1, s6, 3
	s_mul_i32 s6, s6, 3
	s_addc_u32 s2, s5, 0
	s_add_u32 s0, s0, s6
	s_addc_u32 s1, s2, s1
	s_load_dword s0, s[0:1], 0x820
                                        ; implicit-def: $vgpr38 : SGPR spill to VGPR lane
	s_waitcnt vmcnt(0)
	v_readfirstlane_b32 s1, v1
	s_lshl_b32 s1, s1, 3
	s_load_dwordx2 s[2:3], s[4:5], s1 offset:0x370
	v_writelane_b32 v38, s4, 0
	s_load_dwordx2 s[6:7], s[4:5], s1 offset:0x0
                                        ; kill: killed $sgpr1
	s_waitcnt lgkmcnt(0)
	s_ashr_i32 s1, s0, 31
	v_writelane_b32 v38, s5, 1
	s_lshl_b64 s[8:9], s[0:1], 19
	v_writelane_b32 v38, s8, 2
	v_writelane_b32 v38, s9, 3
	s_lshl_b64 s[0:1], s[0:1], 16
	v_writelane_b32 v38, s6, 4
	s_and_b32 s4, s6, 31
	s_mov_b32 s5, 0
	v_writelane_b32 v38, s7, 5
	s_sub_u32 s6, s2, s0
	s_subb_u32 s7, s3, s1
	s_and_b32 s0, s2, 3
	s_mov_b32 s1, s5
	s_or_b64 s[0:1], s[4:5], s[0:1]
	s_cmp_eq_u64 s[0:1], 0
	s_cbranch_scc1 .LBB4_21
; %bb.1:
	v_writelane_b32 v38, s6, 6
	v_cmp_lt_i64_e64 s[0:1], s[6:7], 1
	v_writelane_b32 v38, s7, 7
	s_and_b64 vcc, exec, s[0:1]
	s_cbranch_vccnz .LBB4_20
; %bb.2:
	v_readlane_b32 s0, v38, 0
	v_readlane_b32 s1, v38, 1
	v_mov_b32_e32 v1, 0x10000
	v_readlane_b32 s4, v38, 6
	s_load_dword s2, s[0:1], 0xd3c
	v_mov_b32_e32 v2, 0
	v_readlane_b32 s5, v38, 7
	v_cmp_lt_i64_e32 vcc, s[4:5], v[1:2]
	v_readlane_b32 s6, v38, 4
	s_and_b64 s[0:1], vcc, exec
	v_cmp_lt_u64_e32 vcc, s[4:5], v[1:2]
	s_cselect_b32 s19, s5, 0
	s_cselect_b32 s18, s4, 0x10000
	s_waitcnt lgkmcnt(0)
	s_and_b32 s2, s2, 0xffff
	s_and_b64 s[0:1], vcc, exec
	s_cselect_b32 s21, s5, 0
	s_cselect_b32 s20, s4, 0x10000
	s_lshl_b32 s3, s2, 1
	s_lshl_b32 s33, s2, 2
	v_readlane_b32 s8, v38, 2
	v_readlane_b32 s7, v38, 5
	;; [unrolled: 1-line block ×3, first 2 shown]
	s_add_u32 s5, s6, s8
	v_lshlrev_b32_e32 v1, 3, v0
	s_addc_u32 s6, s7, s9
	v_mov_b32_e32 v2, s6
	v_add_co_u32_e32 v1, vcc, s5, v1
	s_mul_i32 s0, s2, 3
	v_addc_co_u32_e32 v2, vcc, 0, v2, vcc
	v_add_co_u32_e32 v23, vcc, s0, v0
	v_addc_co_u32_e64 v24, s[0:1], 0, 0, vcc
	v_add_co_u32_e32 v25, vcc, s3, v0
	v_addc_co_u32_e64 v26, s[0:1], 0, 0, vcc
	v_add_co_u32_e32 v27, vcc, s2, v0
	v_lshlrev_b32_e32 v3, 3, v27
	v_addc_co_u32_e64 v28, s[0:1], 0, 0, vcc
	v_mov_b32_e32 v4, s6
	v_add_co_u32_e32 v3, vcc, s5, v3
	s_mov_b32 s22, 0x652b82fe
	s_mov_b32 s24, 0xfefa39ef
	;; [unrolled: 1-line block ×36, first 2 shown]
	s_lshl_b32 s16, s2, 5
	s_mul_i32 s17, s2, 24
	s_lshl_b32 s4, s2, 4
	v_addc_co_u32_e32 v4, vcc, 0, v4, vcc
	s_mov_b32 s23, 0x3ff71547
	s_mov_b32 s25, 0xbfe62e42
	;; [unrolled: 1-line block ×34, first 2 shown]
	v_mov_b32_e32 v5, 0xfca7ab0c
	v_mov_b32_e32 v6, 0x3e928af3
	;; [unrolled: 1-line block ×5, first 2 shown]
	s_mov_b32 s93, 0x40900000
	s_mov_b32 s95, 0xc090cc00
	s_mov_b64 s[14:15], 0
	s_branch .LBB4_4
.LBB4_3:                                ;   in Loop: Header=BB4_4 Depth=1
	s_or_b64 exec, exec, s[2:3]
	s_add_u32 s14, s14, s33
	v_add_co_u32_e32 v1, vcc, s16, v1
	s_waitcnt vmcnt(0)
	v_mov_b32_e32 v9, s18
	s_addc_u32 s15, s15, 0
	v_addc_co_u32_e32 v2, vcc, 0, v2, vcc
	v_mov_b32_e32 v10, s19
	v_cmp_lt_i64_e32 vcc, s[14:15], v[9:10]
	v_add_co_u32_e64 v3, s[0:1], s16, v3
	v_addc_co_u32_e64 v4, s[0:1], 0, v4, s[0:1]
	s_cbranch_vccz .LBB4_20
.LBB4_4:                                ; =>This Inner Loop Header: Depth=1
	v_mov_b32_e32 v10, s15
	v_add_co_u32_e32 v9, vcc, s14, v0
	v_addc_co_u32_e32 v10, vcc, 0, v10, vcc
	v_cmp_gt_u64_e64 s[6:7], s[20:21], v[9:10]
	v_mov_b32_e32 v13, 0
	v_mov_b32_e32 v15, 0
	;; [unrolled: 1-line block ×4, first 2 shown]
	s_and_saveexec_b64 s[0:1], s[6:7]
	s_cbranch_execz .LBB4_6
; %bb.5:                                ;   in Loop: Header=BB4_4 Depth=1
	global_load_dwordx2 v[15:16], v[1:2], off
.LBB4_6:                                ;   in Loop: Header=BB4_4 Depth=1
	s_or_b64 exec, exec, s[0:1]
	v_mov_b32_e32 v10, s15
	v_add_co_u32_e32 v9, vcc, s14, v27
	v_addc_co_u32_e32 v10, vcc, v28, v10, vcc
	v_cmp_gt_u64_e64 s[2:3], s[20:21], v[9:10]
	s_and_saveexec_b64 s[0:1], s[2:3]
	s_cbranch_execz .LBB4_8
; %bb.7:                                ;   in Loop: Header=BB4_4 Depth=1
	global_load_dwordx2 v[13:14], v[3:4], off
.LBB4_8:                                ;   in Loop: Header=BB4_4 Depth=1
	s_or_b64 exec, exec, s[0:1]
	v_mov_b32_e32 v10, s15
	v_add_co_u32_e32 v9, vcc, s14, v25
	v_addc_co_u32_e32 v10, vcc, v26, v10, vcc
	v_cmp_gt_u64_e64 s[0:1], s[20:21], v[9:10]
	v_mov_b32_e32 v9, 0
	v_mov_b32_e32 v11, 0
	;; [unrolled: 1-line block ×4, first 2 shown]
	s_and_saveexec_b64 s[8:9], s[0:1]
	s_cbranch_execz .LBB4_10
; %bb.9:                                ;   in Loop: Header=BB4_4 Depth=1
	v_add_co_u32_e32 v11, vcc, s4, v1
	v_addc_co_u32_e32 v12, vcc, 0, v2, vcc
	global_load_dwordx2 v[11:12], v[11:12], off
.LBB4_10:                               ;   in Loop: Header=BB4_4 Depth=1
	s_or_b64 exec, exec, s[8:9]
	v_mov_b32_e32 v18, s15
	v_add_co_u32_e32 v17, vcc, s14, v23
	v_addc_co_u32_e32 v18, vcc, v24, v18, vcc
	v_cmp_gt_u64_e32 vcc, s[20:21], v[17:18]
	s_and_saveexec_b64 s[10:11], vcc
	s_cbranch_execnz .LBB4_15
; %bb.11:                               ;   in Loop: Header=BB4_4 Depth=1
	s_or_b64 exec, exec, s[10:11]
	s_and_saveexec_b64 s[12:13], s[6:7]
	s_cbranch_execnz .LBB4_16
.LBB4_12:                               ;   in Loop: Header=BB4_4 Depth=1
	s_or_b64 exec, exec, s[12:13]
	s_and_saveexec_b64 s[8:9], s[2:3]
	s_cbranch_execnz .LBB4_17
.LBB4_13:                               ;   in Loop: Header=BB4_4 Depth=1
	s_or_b64 exec, exec, s[8:9]
	s_and_saveexec_b64 s[6:7], s[0:1]
	s_cbranch_execnz .LBB4_18
.LBB4_14:                               ;   in Loop: Header=BB4_4 Depth=1
	s_or_b64 exec, exec, s[6:7]
	s_and_saveexec_b64 s[2:3], vcc
	s_cbranch_execz .LBB4_3
	s_branch .LBB4_19
.LBB4_15:                               ;   in Loop: Header=BB4_4 Depth=1
	v_add_co_u32_e64 v9, s[8:9], s17, v1
	v_addc_co_u32_e64 v10, s[8:9], 0, v2, s[8:9]
	global_load_dwordx2 v[9:10], v[9:10], off
	s_or_b64 exec, exec, s[10:11]
	s_and_saveexec_b64 s[12:13], s[6:7]
	s_cbranch_execz .LBB4_12
.LBB4_16:                               ;   in Loop: Header=BB4_4 Depth=1
	s_waitcnt vmcnt(0)
	v_mul_f64 v[17:18], v[15:16], -v[15:16]
	v_cmp_gt_f64_e64 s[6:7], 0, v[15:16]
	v_mul_f64 v[19:20], v[17:18], s[22:23]
	v_cmp_nlt_f64_e64 s[8:9], s[92:93], v[17:18]
	v_cmp_ngt_f64_e64 s[10:11], s[94:95], v[17:18]
	v_rndne_f64_e32 v[19:20], v[19:20]
	v_fma_f64 v[21:22], v[19:20], s[24:25], v[17:18]
	v_fma_f64 v[17:18], -v[15:16], v[15:16], -v[17:18]
	v_fma_f64 v[21:22], v[19:20], s[26:27], v[21:22]
	v_cvt_i32_f64_e32 v19, v[19:20]
	v_fma_f64 v[30:31], v[21:22], s[28:29], v[5:6]
	v_fma_f64 v[30:31], v[21:22], v[30:31], s[30:31]
	;; [unrolled: 1-line block ×9, first 2 shown]
	v_fma_f64 v[30:31], v[21:22], v[30:31], 1.0
	v_fma_f64 v[21:22], v[21:22], v[30:31], 1.0
	v_ldexp_f64 v[19:20], v[21:22], v19
	v_add_f64 v[21:22], |v[15:16]|, |v[15:16]|
	v_cndmask_b32_e64 v20, v29, v20, s[8:9]
	s_and_b64 s[8:9], s[10:11], s[8:9]
	v_cndmask_b32_e64 v19, 0, v19, s[8:9]
	v_cndmask_b32_e64 v20, 0, v20, s[10:11]
	v_fma_f64 v[17:18], v[19:20], v[17:18], v[19:20]
	v_add_f64 v[19:20], v[21:22], 1.0
	v_cmp_ngt_f64_e64 s[8:9], |v[15:16]|, s[90:91]
	v_rcp_f64_e32 v[30:31], v[19:20]
	v_fma_f64 v[32:33], -v[19:20], v[30:31], 1.0
	v_fma_f64 v[30:31], v[32:33], v[30:31], v[30:31]
	v_fma_f64 v[19:20], -v[19:20], v[30:31], 1.0
	v_fma_f64 v[19:20], v[19:20], v[30:31], v[30:31]
	v_add_f64 v[30:31], |v[15:16]|, 4.0
	v_rcp_f64_e32 v[32:33], v[30:31]
	v_fma_f64 v[34:35], -v[30:31], v[32:33], 1.0
	v_fma_f64 v[32:33], v[34:35], v[32:33], v[32:33]
	v_fma_f64 v[30:31], -v[30:31], v[32:33], 1.0
	v_fma_f64 v[30:31], v[30:31], v[32:33], v[32:33]
	v_add_f64 v[32:33], |v[15:16]|, -4.0
	v_mul_f64 v[32:33], v[32:33], v[30:31]
	v_add_f64 v[34:35], v[32:33], 1.0
	v_fma_f64 v[34:35], v[34:35], -4.0, |v[15:16]|
	v_fma_f64 v[34:35], -v[32:33], |v[15:16]|, v[34:35]
	v_fma_f64 v[30:31], v[30:31], v[34:35], v[32:33]
	v_fma_f64 v[32:33], v[30:31], s[48:49], v[7:8]
	v_fma_f64 v[32:33], v[30:31], v[32:33], s[50:51]
	v_fma_f64 v[32:33], v[30:31], v[32:33], s[52:53]
	v_fma_f64 v[32:33], v[30:31], v[32:33], s[54:55]
	v_fma_f64 v[32:33], v[30:31], v[32:33], s[56:57]
	v_fma_f64 v[32:33], v[30:31], v[32:33], s[58:59]
	v_fma_f64 v[32:33], v[30:31], v[32:33], s[60:61]
	v_fma_f64 v[32:33], v[30:31], v[32:33], s[62:63]
	v_fma_f64 v[32:33], v[30:31], v[32:33], s[64:65]
	v_fma_f64 v[32:33], v[30:31], v[32:33], s[66:67]
	v_fma_f64 v[32:33], v[30:31], v[32:33], s[68:69]
	v_fma_f64 v[32:33], v[30:31], v[32:33], s[70:71]
	v_fma_f64 v[32:33], v[30:31], v[32:33], s[72:73]
	v_fma_f64 v[32:33], v[30:31], v[32:33], s[74:75]
	v_fma_f64 v[32:33], v[30:31], v[32:33], s[76:77]
	v_fma_f64 v[32:33], v[30:31], v[32:33], s[78:79]
	v_fma_f64 v[32:33], v[30:31], v[32:33], s[80:81]
	v_fma_f64 v[32:33], v[30:31], v[32:33], s[82:83]
	v_fma_f64 v[32:33], v[30:31], v[32:33], s[84:85]
	v_fma_f64 v[32:33], v[30:31], v[32:33], s[86:87]
	v_fma_f64 v[30:31], v[30:31], v[32:33], s[88:89]
	v_fma_f64 v[32:33], v[30:31], v[19:20], v[19:20]
	v_fma_f64 v[21:22], -v[32:33], v[21:22], 1.0
	v_add_f64 v[30:31], v[30:31], -v[32:33]
	v_add_f64 v[21:22], v[21:22], v[30:31]
	v_fma_f64 v[19:20], v[19:20], v[21:22], v[32:33]
	v_mul_f64 v[17:18], v[17:18], v[19:20]
	v_cndmask_b32_e64 v16, 0, v18, s[8:9]
	v_cndmask_b32_e64 v15, 0, v17, s[8:9]
	v_add_f64 v[17:18], -v[15:16], 2.0
	v_cndmask_b32_e64 v16, v16, v18, s[6:7]
	v_cndmask_b32_e64 v15, v15, v17, s[6:7]
	global_store_dwordx2 v[1:2], v[15:16], off
	s_or_b64 exec, exec, s[12:13]
	s_and_saveexec_b64 s[8:9], s[2:3]
	s_cbranch_execz .LBB4_13
.LBB4_17:                               ;   in Loop: Header=BB4_4 Depth=1
	s_waitcnt vmcnt(0)
	v_mul_f64 v[15:16], v[13:14], -v[13:14]
	v_mul_f64 v[19:20], v[15:16], s[22:23]
	v_cmp_nlt_f64_e64 s[2:3], s[92:93], v[15:16]
	v_cmp_ngt_f64_e64 s[6:7], s[94:95], v[15:16]
	v_fma_f64 v[17:18], -v[13:14], v[13:14], -v[15:16]
	v_rndne_f64_e32 v[19:20], v[19:20]
	v_fma_f64 v[21:22], v[19:20], s[24:25], v[15:16]
	v_fma_f64 v[21:22], v[19:20], s[26:27], v[21:22]
	v_cvt_i32_f64_e32 v19, v[19:20]
	v_fma_f64 v[30:31], v[21:22], s[28:29], v[5:6]
	v_fma_f64 v[30:31], v[21:22], v[30:31], s[30:31]
	;; [unrolled: 1-line block ×9, first 2 shown]
	v_fma_f64 v[30:31], v[21:22], v[30:31], 1.0
	v_fma_f64 v[21:22], v[21:22], v[30:31], 1.0
	v_ldexp_f64 v[19:20], v[21:22], v19
	v_cndmask_b32_e64 v20, v29, v20, s[2:3]
	s_and_b64 s[2:3], s[6:7], s[2:3]
	v_cndmask_b32_e64 v15, 0, v19, s[2:3]
	v_cndmask_b32_e64 v16, 0, v20, s[6:7]
	v_add_f64 v[19:20], |v[13:14]|, 4.0
	v_fma_f64 v[15:16], v[15:16], v[17:18], v[15:16]
	v_add_f64 v[17:18], |v[13:14]|, -4.0
	v_cmp_ngt_f64_e64 s[2:3], |v[13:14]|, s[90:91]
	v_rcp_f64_e32 v[21:22], v[19:20]
	v_fma_f64 v[30:31], -v[19:20], v[21:22], 1.0
	v_fma_f64 v[21:22], v[30:31], v[21:22], v[21:22]
	v_fma_f64 v[19:20], -v[19:20], v[21:22], 1.0
	v_fma_f64 v[19:20], v[19:20], v[21:22], v[21:22]
	v_mul_f64 v[17:18], v[17:18], v[19:20]
	v_add_f64 v[21:22], v[17:18], 1.0
	v_fma_f64 v[21:22], v[21:22], -4.0, |v[13:14]|
	v_fma_f64 v[21:22], -v[17:18], |v[13:14]|, v[21:22]
	v_fma_f64 v[17:18], v[19:20], v[21:22], v[17:18]
	v_fma_f64 v[19:20], v[17:18], s[48:49], v[7:8]
	;; [unrolled: 1-line block ×22, first 2 shown]
	v_add_f64 v[19:20], |v[13:14]|, |v[13:14]|
	v_add_f64 v[21:22], v[19:20], 1.0
	v_rcp_f64_e32 v[30:31], v[21:22]
	v_fma_f64 v[32:33], -v[21:22], v[30:31], 1.0
	v_fma_f64 v[30:31], v[32:33], v[30:31], v[30:31]
	v_fma_f64 v[21:22], -v[21:22], v[30:31], 1.0
	v_fma_f64 v[21:22], v[21:22], v[30:31], v[30:31]
	v_fma_f64 v[30:31], v[17:18], v[21:22], v[21:22]
	v_fma_f64 v[19:20], -v[30:31], v[19:20], 1.0
	v_add_f64 v[17:18], v[17:18], -v[30:31]
	v_add_f64 v[17:18], v[19:20], v[17:18]
	v_fma_f64 v[17:18], v[21:22], v[17:18], v[30:31]
	v_mul_f64 v[15:16], v[15:16], v[17:18]
	v_cndmask_b32_e64 v16, 0, v16, s[2:3]
	v_cndmask_b32_e64 v15, 0, v15, s[2:3]
	v_add_f64 v[17:18], -v[15:16], 2.0
	v_cmp_gt_f64_e64 s[2:3], 0, v[13:14]
	v_cndmask_b32_e64 v14, v16, v18, s[2:3]
	v_cndmask_b32_e64 v13, v15, v17, s[2:3]
	global_store_dwordx2 v[3:4], v[13:14], off
	s_or_b64 exec, exec, s[8:9]
	s_and_saveexec_b64 s[6:7], s[0:1]
	s_cbranch_execz .LBB4_14
.LBB4_18:                               ;   in Loop: Header=BB4_4 Depth=1
	s_waitcnt vmcnt(0)
	v_mul_f64 v[13:14], v[11:12], -v[11:12]
	v_mul_f64 v[17:18], v[13:14], s[22:23]
	v_cmp_nlt_f64_e64 s[0:1], s[92:93], v[13:14]
	v_cmp_ngt_f64_e64 s[2:3], s[94:95], v[13:14]
	v_fma_f64 v[15:16], -v[11:12], v[11:12], -v[13:14]
	v_rndne_f64_e32 v[17:18], v[17:18]
	v_fma_f64 v[19:20], v[17:18], s[24:25], v[13:14]
	v_fma_f64 v[19:20], v[17:18], s[26:27], v[19:20]
	v_cvt_i32_f64_e32 v17, v[17:18]
	v_fma_f64 v[21:22], v[19:20], s[28:29], v[5:6]
	v_fma_f64 v[21:22], v[19:20], v[21:22], s[30:31]
	;; [unrolled: 1-line block ×9, first 2 shown]
	v_fma_f64 v[21:22], v[19:20], v[21:22], 1.0
	v_fma_f64 v[19:20], v[19:20], v[21:22], 1.0
	v_ldexp_f64 v[17:18], v[19:20], v17
	v_cndmask_b32_e64 v18, v29, v18, s[0:1]
	s_and_b64 s[0:1], s[2:3], s[0:1]
	v_cndmask_b32_e64 v13, 0, v17, s[0:1]
	v_cndmask_b32_e64 v14, 0, v18, s[2:3]
	v_add_f64 v[17:18], |v[11:12]|, 4.0
	v_fma_f64 v[13:14], v[13:14], v[15:16], v[13:14]
	v_add_f64 v[15:16], |v[11:12]|, -4.0
	v_cmp_ngt_f64_e64 s[0:1], |v[11:12]|, s[90:91]
	v_rcp_f64_e32 v[19:20], v[17:18]
	v_fma_f64 v[21:22], -v[17:18], v[19:20], 1.0
	v_fma_f64 v[19:20], v[21:22], v[19:20], v[19:20]
	v_fma_f64 v[17:18], -v[17:18], v[19:20], 1.0
	v_fma_f64 v[17:18], v[17:18], v[19:20], v[19:20]
	v_mul_f64 v[15:16], v[15:16], v[17:18]
	v_add_f64 v[19:20], v[15:16], 1.0
	v_fma_f64 v[19:20], v[19:20], -4.0, |v[11:12]|
	v_fma_f64 v[19:20], -v[15:16], |v[11:12]|, v[19:20]
	v_fma_f64 v[15:16], v[17:18], v[19:20], v[15:16]
	v_fma_f64 v[17:18], v[15:16], s[48:49], v[7:8]
	;; [unrolled: 1-line block ×22, first 2 shown]
	v_add_f64 v[17:18], |v[11:12]|, |v[11:12]|
	v_add_f64 v[19:20], v[17:18], 1.0
	v_rcp_f64_e32 v[21:22], v[19:20]
	v_fma_f64 v[30:31], -v[19:20], v[21:22], 1.0
	v_fma_f64 v[21:22], v[30:31], v[21:22], v[21:22]
	v_fma_f64 v[19:20], -v[19:20], v[21:22], 1.0
	v_fma_f64 v[19:20], v[19:20], v[21:22], v[21:22]
	v_fma_f64 v[21:22], v[15:16], v[19:20], v[19:20]
	v_fma_f64 v[17:18], -v[21:22], v[17:18], 1.0
	v_add_f64 v[15:16], v[15:16], -v[21:22]
	v_add_f64 v[15:16], v[17:18], v[15:16]
	v_fma_f64 v[15:16], v[19:20], v[15:16], v[21:22]
	v_mul_f64 v[13:14], v[13:14], v[15:16]
	v_cndmask_b32_e64 v14, 0, v14, s[0:1]
	v_cndmask_b32_e64 v13, 0, v13, s[0:1]
	v_add_f64 v[15:16], -v[13:14], 2.0
	v_cmp_gt_f64_e64 s[0:1], 0, v[11:12]
	v_cndmask_b32_e64 v12, v14, v16, s[0:1]
	v_cndmask_b32_e64 v11, v13, v15, s[0:1]
	v_add_co_u32_e64 v13, s[0:1], s4, v1
	v_addc_co_u32_e64 v14, s[0:1], 0, v2, s[0:1]
	global_store_dwordx2 v[13:14], v[11:12], off
	s_or_b64 exec, exec, s[6:7]
	s_and_saveexec_b64 s[2:3], vcc
	s_cbranch_execz .LBB4_3
.LBB4_19:                               ;   in Loop: Header=BB4_4 Depth=1
	s_waitcnt vmcnt(0)
	v_add_f64 v[11:12], |v[9:10]|, 4.0
	v_add_f64 v[30:31], |v[9:10]|, |v[9:10]|
	v_rcp_f64_e32 v[13:14], v[11:12]
	v_add_f64 v[32:33], v[30:31], 1.0
	v_rcp_f64_e32 v[34:35], v[32:33]
	v_fma_f64 v[15:16], -v[11:12], v[13:14], 1.0
	v_fma_f64 v[13:14], v[15:16], v[13:14], v[13:14]
	v_add_f64 v[15:16], |v[9:10]|, -4.0
	v_fma_f64 v[36:37], -v[32:33], v[34:35], 1.0
	v_fma_f64 v[11:12], -v[11:12], v[13:14], 1.0
	v_fma_f64 v[34:35], v[36:37], v[34:35], v[34:35]
	v_fma_f64 v[11:12], v[11:12], v[13:14], v[13:14]
	v_fma_f64 v[32:33], -v[32:33], v[34:35], 1.0
	v_mul_f64 v[13:14], v[15:16], v[11:12]
	v_fma_f64 v[32:33], v[32:33], v[34:35], v[34:35]
	v_add_f64 v[15:16], v[13:14], 1.0
	v_fma_f64 v[15:16], v[15:16], -4.0, |v[9:10]|
	v_fma_f64 v[15:16], -v[13:14], |v[9:10]|, v[15:16]
	v_fma_f64 v[11:12], v[11:12], v[15:16], v[13:14]
	v_mul_f64 v[15:16], v[9:10], -v[9:10]
	v_fma_f64 v[13:14], v[11:12], s[48:49], v[7:8]
	v_mul_f64 v[17:18], v[15:16], s[22:23]
	v_cmp_nlt_f64_e32 vcc, s[92:93], v[15:16]
	v_cmp_ngt_f64_e64 s[0:1], s[94:95], v[15:16]
	v_fma_f64 v[13:14], v[11:12], v[13:14], s[50:51]
	v_rndne_f64_e32 v[17:18], v[17:18]
	v_fma_f64 v[13:14], v[11:12], v[13:14], s[52:53]
	v_fma_f64 v[19:20], v[17:18], s[24:25], v[15:16]
	;; [unrolled: 1-line block ×4, first 2 shown]
	v_cvt_i32_f64_e32 v17, v[17:18]
	v_fma_f64 v[13:14], v[11:12], v[13:14], s[56:57]
	v_fma_f64 v[21:22], v[19:20], s[28:29], v[5:6]
	;; [unrolled: 1-line block ×19, first 2 shown]
	v_fma_f64 v[21:22], v[19:20], v[21:22], 1.0
	v_fma_f64 v[13:14], v[11:12], v[13:14], s[76:77]
	v_fma_f64 v[13:14], v[11:12], v[13:14], s[78:79]
	;; [unrolled: 1-line block ×7, first 2 shown]
	v_fma_f64 v[13:14], v[19:20], v[21:22], 1.0
	v_fma_f64 v[19:20], v[11:12], v[32:33], v[32:33]
	v_ldexp_f64 v[13:14], v[13:14], v17
	v_fma_f64 v[17:18], -v[19:20], v[30:31], 1.0
	v_add_f64 v[11:12], v[11:12], -v[19:20]
	v_cndmask_b32_e32 v21, v29, v14, vcc
	v_fma_f64 v[14:15], -v[9:10], v[9:10], -v[15:16]
	s_and_b64 vcc, s[0:1], vcc
	v_cndmask_b32_e32 v16, 0, v13, vcc
	v_cmp_ngt_f64_e64 vcc, |v[9:10]|, s[90:91]
	v_add_f64 v[11:12], v[17:18], v[11:12]
	v_cndmask_b32_e64 v17, 0, v21, s[0:1]
	v_fma_f64 v[13:14], v[16:17], v[14:15], v[16:17]
	v_fma_f64 v[11:12], v[32:33], v[11:12], v[19:20]
	v_mul_f64 v[11:12], v[13:14], v[11:12]
	v_cndmask_b32_e32 v12, 0, v12, vcc
	v_cndmask_b32_e32 v11, 0, v11, vcc
	v_add_f64 v[13:14], -v[11:12], 2.0
	v_cmp_gt_f64_e32 vcc, 0, v[9:10]
	v_cndmask_b32_e32 v10, v12, v14, vcc
	v_cndmask_b32_e32 v9, v11, v13, vcc
	v_add_co_u32_e32 v11, vcc, s17, v1
	v_addc_co_u32_e32 v12, vcc, 0, v2, vcc
	global_store_dwordx2 v[11:12], v[9:10], off
	s_branch .LBB4_3
.LBB4_20:
	v_readlane_b32 s6, v38, 6
	v_readlane_b32 s7, v38, 7
	s_cbranch_execz .LBB4_22
	s_branch .LBB4_25
.LBB4_21:
.LBB4_22:
	v_mov_b32_e32 v1, 0x10000
	v_mov_b32_e32 v2, 0
	v_cmp_lt_i64_e32 vcc, s[6:7], v[1:2]
	v_mov_b32_e32 v2, 0
	s_and_b64 s[0:1], vcc, exec
	s_cselect_b32 s3, s7, 0
	s_cselect_b32 s2, s6, 0x10000
	v_lshlrev_b32_e32 v1, 2, v0
	v_cmp_gt_i64_e32 vcc, s[2:3], v[1:2]
	s_and_saveexec_b64 s[0:1], vcc
	s_cbranch_execz .LBB4_25
; %bb.23:
	v_readlane_b32 s0, v38, 0
	v_readlane_b32 s1, v38, 1
	s_load_dword s0, s[0:1], 0xd3c
	v_readlane_b32 s4, v38, 2
	v_readlane_b32 s5, v38, 3
	v_mov_b32_e32 v1, v2
	v_lshlrev_b32_e32 v2, 5, v0
	s_waitcnt lgkmcnt(0)
	s_and_b32 s33, s0, 0xffff
	v_readlane_b32 s0, v38, 4
	v_readlane_b32 s1, v38, 5
	s_add_u32 s0, s0, s4
	s_addc_u32 s1, s1, s5
	v_mov_b32_e32 v3, s1
	v_add_co_u32_e32 v2, vcc, s0, v2
	s_mov_b32 s0, 0xfca7ab0c
	s_mov_b32 s1, 0x3e928af3
	v_mov_b32_e32 v13, s1
	v_mov_b32_e32 v12, s0
	s_mov_b32 s0, 0x37cfa789
	v_addc_co_u32_e32 v3, vcc, 0, v3, vcc
	s_mov_b32 s1, 0xbe411663
	v_add_co_u32_e32 v10, vcc, 16, v2
	s_mov_b32 s6, 0x652b82fe
	s_mov_b32 s8, 0xfefa39ef
	s_mov_b32 s10, 0x3b39803f
	s_mov_b32 s12, 0x6a5dcb37
	s_mov_b32 s14, 0x623fde64
	s_mov_b32 s16, 0x7c89e6b0
	s_mov_b32 s18, 0x14761f6e
	s_mov_b32 s20, 0x1852b7b0
	s_mov_b32 s22, 0x11122322
	s_mov_b32 s24, 0x555502a1
	s_mov_b32 s26, 0x55555511
	s_mov_b32 s28, 11
	s_mov_b32 s30, 0
	s_mov_b32 s34, 0
	s_mov_b32 s36, 0x54df3c0e
	v_mov_b32_e32 v15, s1
	s_mov_b32 s38, 0xd9802b82
	s_mov_b32 s40, 0x8a03dcdb
	s_mov_b32 s42, 0x2eba62d8
	s_mov_b32 s44, 0xa56e15f1
	s_mov_b32 s46, 0x71c907de
	s_mov_b32 s48, 0x2cd770fb
	s_mov_b32 s50, 0x76d0a51a
	s_mov_b32 s52, 0xc022d0ed
	s_mov_b32 s54, 0x2fdbf62e
	s_mov_b32 s56, 0x3689fc43
	s_mov_b32 s58, 0x192d909b
	s_mov_b32 s60, 0x852ff070
	s_mov_b32 s62, 0xdfadea8f
	s_mov_b32 s64, 0xdff65910
	s_mov_b32 s66, 0x4de8f32
	s_mov_b32 s68, 0x3c3dbeb3
	s_mov_b32 s70, 0xfcfa6930
	s_mov_b32 s72, 0xf66fb8a3
	s_mov_b32 s74, 0xd154a2a8
	s_mov_b32 s76, 0xb74febf8
	s_mov_b32 s78, 0x41e48bfc
	v_addc_co_u32_e32 v11, vcc, 0, v3, vcc
	s_lshl_b32 s80, s33, 5
	s_mov_b64 s[4:5], 0
	s_mov_b32 s7, 0x3ff71547
	s_mov_b32 s9, 0xbfe62e42
	;; [unrolled: 1-line block ×13, first 2 shown]
	v_mov_b32_e32 v18, 0x7ff00000
	s_mov_b32 s35, 0xc090cc00
	s_mov_b32 s37, 0xbe41f39d
	v_mov_b32_e32 v14, s0
	s_mov_b32 s39, 0x3e7b45f1
	s_mov_b32 s41, 0x3e6d9048
	;; [unrolled: 1-line block ×21, first 2 shown]
.LBB4_24:                               ; =>This Inner Loop Header: Depth=1
	global_load_dwordx4 v[2:5], v[10:11], off
	global_load_dwordx4 v[6:9], v[10:11], off offset:-16
	s_waitcnt vmcnt(0)
	v_mul_f64 v[16:17], v[6:7], -v[6:7]
	v_mul_f64 v[21:22], v[16:17], s[6:7]
	v_cmp_nlt_f64_e32 vcc, s[30:31], v[16:17]
	v_cmp_ngt_f64_e64 s[0:1], s[34:35], v[16:17]
	v_fma_f64 v[19:20], -v[6:7], v[6:7], -v[16:17]
	v_rndne_f64_e32 v[21:22], v[21:22]
	v_fma_f64 v[23:24], v[21:22], s[8:9], v[16:17]
	v_fma_f64 v[23:24], v[21:22], s[10:11], v[23:24]
	v_cvt_i32_f64_e32 v21, v[21:22]
	v_fma_f64 v[25:26], v[23:24], s[12:13], v[12:13]
	v_fma_f64 v[25:26], v[23:24], v[25:26], s[14:15]
	;; [unrolled: 1-line block ×9, first 2 shown]
	v_fma_f64 v[25:26], v[23:24], v[25:26], 1.0
	v_fma_f64 v[23:24], v[23:24], v[25:26], 1.0
	v_ldexp_f64 v[21:22], v[23:24], v21
	v_cndmask_b32_e32 v22, v18, v22, vcc
	s_and_b64 vcc, s[0:1], vcc
	v_cndmask_b32_e32 v16, 0, v21, vcc
	v_cndmask_b32_e64 v17, 0, v22, s[0:1]
	v_add_f64 v[21:22], |v[6:7]|, 4.0
	v_fma_f64 v[16:17], v[16:17], v[19:20], v[16:17]
	v_add_f64 v[19:20], |v[6:7]|, -4.0
	v_cmp_ngt_f64_e64 vcc, |v[6:7]|, s[78:79]
	v_rcp_f64_e32 v[23:24], v[21:22]
	v_fma_f64 v[25:26], -v[21:22], v[23:24], 1.0
	v_fma_f64 v[23:24], v[25:26], v[23:24], v[23:24]
	v_fma_f64 v[21:22], -v[21:22], v[23:24], 1.0
	v_fma_f64 v[21:22], v[21:22], v[23:24], v[23:24]
	v_mul_f64 v[19:20], v[19:20], v[21:22]
	v_add_f64 v[23:24], v[19:20], 1.0
	v_fma_f64 v[23:24], v[23:24], -4.0, |v[6:7]|
	v_fma_f64 v[23:24], -v[19:20], |v[6:7]|, v[23:24]
	v_fma_f64 v[19:20], v[21:22], v[23:24], v[19:20]
	v_fma_f64 v[21:22], v[19:20], s[36:37], v[14:15]
	v_fma_f64 v[21:22], v[19:20], v[21:22], s[38:39]
	v_fma_f64 v[21:22], v[19:20], v[21:22], s[40:41]
	v_fma_f64 v[21:22], v[19:20], v[21:22], s[42:43]
	v_fma_f64 v[21:22], v[19:20], v[21:22], s[44:45]
	v_fma_f64 v[21:22], v[19:20], v[21:22], s[46:47]
	v_fma_f64 v[21:22], v[19:20], v[21:22], s[48:49]
	v_fma_f64 v[21:22], v[19:20], v[21:22], s[50:51]
	v_fma_f64 v[21:22], v[19:20], v[21:22], s[52:53]
	v_fma_f64 v[21:22], v[19:20], v[21:22], s[54:55]
	v_fma_f64 v[21:22], v[19:20], v[21:22], s[56:57]
	v_fma_f64 v[21:22], v[19:20], v[21:22], s[58:59]
	v_fma_f64 v[21:22], v[19:20], v[21:22], s[60:61]
	v_fma_f64 v[21:22], v[19:20], v[21:22], s[62:63]
	v_fma_f64 v[21:22], v[19:20], v[21:22], s[64:65]
	v_fma_f64 v[21:22], v[19:20], v[21:22], s[66:67]
	v_fma_f64 v[21:22], v[19:20], v[21:22], s[68:69]
	v_fma_f64 v[21:22], v[19:20], v[21:22], s[70:71]
	v_fma_f64 v[21:22], v[19:20], v[21:22], s[72:73]
	v_fma_f64 v[21:22], v[19:20], v[21:22], s[74:75]
	v_fma_f64 v[19:20], v[19:20], v[21:22], s[76:77]
	v_add_f64 v[21:22], |v[6:7]|, |v[6:7]|
	v_add_f64 v[23:24], v[21:22], 1.0
	v_rcp_f64_e32 v[25:26], v[23:24]
	v_fma_f64 v[27:28], -v[23:24], v[25:26], 1.0
	v_fma_f64 v[25:26], v[27:28], v[25:26], v[25:26]
	v_fma_f64 v[23:24], -v[23:24], v[25:26], 1.0
	v_fma_f64 v[23:24], v[23:24], v[25:26], v[25:26]
	v_fma_f64 v[25:26], v[19:20], v[23:24], v[23:24]
	v_fma_f64 v[21:22], -v[25:26], v[21:22], 1.0
	v_add_f64 v[19:20], v[19:20], -v[25:26]
	v_add_f64 v[19:20], v[21:22], v[19:20]
	v_fma_f64 v[19:20], v[23:24], v[19:20], v[25:26]
	v_mul_f64 v[16:17], v[16:17], v[19:20]
	v_cndmask_b32_e32 v17, 0, v17, vcc
	v_cndmask_b32_e32 v16, 0, v16, vcc
	v_add_f64 v[19:20], -v[16:17], 2.0
	v_cmp_gt_f64_e32 vcc, 0, v[6:7]
	v_cndmask_b32_e32 v7, v17, v20, vcc
	v_cndmask_b32_e32 v6, v16, v19, vcc
	v_mul_f64 v[16:17], v[8:9], -v[8:9]
	v_mul_f64 v[21:22], v[16:17], s[6:7]
	v_cmp_nlt_f64_e32 vcc, s[30:31], v[16:17]
	v_cmp_ngt_f64_e64 s[0:1], s[34:35], v[16:17]
	v_fma_f64 v[19:20], -v[8:9], v[8:9], -v[16:17]
	v_rndne_f64_e32 v[21:22], v[21:22]
	v_fma_f64 v[23:24], v[21:22], s[8:9], v[16:17]
	v_fma_f64 v[23:24], v[21:22], s[10:11], v[23:24]
	v_cvt_i32_f64_e32 v21, v[21:22]
	v_fma_f64 v[25:26], v[23:24], s[12:13], v[12:13]
	v_fma_f64 v[25:26], v[23:24], v[25:26], s[14:15]
	;; [unrolled: 1-line block ×9, first 2 shown]
	v_fma_f64 v[25:26], v[23:24], v[25:26], 1.0
	v_fma_f64 v[23:24], v[23:24], v[25:26], 1.0
	v_ldexp_f64 v[21:22], v[23:24], v21
	v_cndmask_b32_e32 v22, v18, v22, vcc
	s_and_b64 vcc, s[0:1], vcc
	v_cndmask_b32_e32 v16, 0, v21, vcc
	v_cndmask_b32_e64 v17, 0, v22, s[0:1]
	v_add_f64 v[21:22], |v[8:9]|, 4.0
	v_fma_f64 v[16:17], v[16:17], v[19:20], v[16:17]
	v_add_f64 v[19:20], |v[8:9]|, -4.0
	v_cmp_ngt_f64_e64 vcc, |v[8:9]|, s[78:79]
	v_rcp_f64_e32 v[23:24], v[21:22]
	v_fma_f64 v[25:26], -v[21:22], v[23:24], 1.0
	v_fma_f64 v[23:24], v[25:26], v[23:24], v[23:24]
	v_fma_f64 v[21:22], -v[21:22], v[23:24], 1.0
	v_fma_f64 v[21:22], v[21:22], v[23:24], v[23:24]
	v_mul_f64 v[19:20], v[19:20], v[21:22]
	v_add_f64 v[23:24], v[19:20], 1.0
	v_fma_f64 v[23:24], v[23:24], -4.0, |v[8:9]|
	v_fma_f64 v[23:24], -v[19:20], |v[8:9]|, v[23:24]
	v_fma_f64 v[19:20], v[21:22], v[23:24], v[19:20]
	v_fma_f64 v[21:22], v[19:20], s[36:37], v[14:15]
	;; [unrolled: 1-line block ×22, first 2 shown]
	v_add_f64 v[21:22], |v[8:9]|, |v[8:9]|
	v_add_f64 v[23:24], v[21:22], 1.0
	v_rcp_f64_e32 v[25:26], v[23:24]
	v_fma_f64 v[27:28], -v[23:24], v[25:26], 1.0
	v_fma_f64 v[25:26], v[27:28], v[25:26], v[25:26]
	v_fma_f64 v[23:24], -v[23:24], v[25:26], 1.0
	v_fma_f64 v[23:24], v[23:24], v[25:26], v[25:26]
	v_fma_f64 v[25:26], v[19:20], v[23:24], v[23:24]
	v_fma_f64 v[21:22], -v[25:26], v[21:22], 1.0
	v_add_f64 v[19:20], v[19:20], -v[25:26]
	v_add_f64 v[19:20], v[21:22], v[19:20]
	v_fma_f64 v[19:20], v[23:24], v[19:20], v[25:26]
	v_mul_f64 v[16:17], v[16:17], v[19:20]
	v_cndmask_b32_e32 v17, 0, v17, vcc
	v_cndmask_b32_e32 v16, 0, v16, vcc
	v_add_f64 v[19:20], -v[16:17], 2.0
	v_cmp_gt_f64_e32 vcc, 0, v[8:9]
	v_cndmask_b32_e32 v9, v17, v20, vcc
	v_cndmask_b32_e32 v8, v16, v19, vcc
	v_mul_f64 v[16:17], v[2:3], -v[2:3]
	v_mul_f64 v[21:22], v[16:17], s[6:7]
	v_cmp_nlt_f64_e32 vcc, s[30:31], v[16:17]
	v_cmp_ngt_f64_e64 s[0:1], s[34:35], v[16:17]
	v_fma_f64 v[19:20], -v[2:3], v[2:3], -v[16:17]
	v_rndne_f64_e32 v[21:22], v[21:22]
	v_fma_f64 v[23:24], v[21:22], s[8:9], v[16:17]
	v_fma_f64 v[23:24], v[21:22], s[10:11], v[23:24]
	v_cvt_i32_f64_e32 v21, v[21:22]
	v_fma_f64 v[25:26], v[23:24], s[12:13], v[12:13]
	v_fma_f64 v[25:26], v[23:24], v[25:26], s[14:15]
	;; [unrolled: 1-line block ×9, first 2 shown]
	v_fma_f64 v[25:26], v[23:24], v[25:26], 1.0
	v_fma_f64 v[23:24], v[23:24], v[25:26], 1.0
	v_ldexp_f64 v[21:22], v[23:24], v21
	v_cndmask_b32_e32 v22, v18, v22, vcc
	s_and_b64 vcc, s[0:1], vcc
	v_cndmask_b32_e32 v16, 0, v21, vcc
	v_cndmask_b32_e64 v17, 0, v22, s[0:1]
	v_add_f64 v[21:22], |v[2:3]|, 4.0
	v_fma_f64 v[16:17], v[16:17], v[19:20], v[16:17]
	v_add_f64 v[19:20], |v[2:3]|, -4.0
	v_cmp_ngt_f64_e64 vcc, |v[2:3]|, s[78:79]
	v_rcp_f64_e32 v[23:24], v[21:22]
	v_fma_f64 v[25:26], -v[21:22], v[23:24], 1.0
	v_fma_f64 v[23:24], v[25:26], v[23:24], v[23:24]
	v_fma_f64 v[21:22], -v[21:22], v[23:24], 1.0
	v_fma_f64 v[21:22], v[21:22], v[23:24], v[23:24]
	v_mul_f64 v[19:20], v[19:20], v[21:22]
	v_add_f64 v[23:24], v[19:20], 1.0
	v_fma_f64 v[23:24], v[23:24], -4.0, |v[2:3]|
	v_fma_f64 v[23:24], -v[19:20], |v[2:3]|, v[23:24]
	v_fma_f64 v[19:20], v[21:22], v[23:24], v[19:20]
	v_fma_f64 v[21:22], v[19:20], s[36:37], v[14:15]
	;; [unrolled: 1-line block ×22, first 2 shown]
	v_add_f64 v[21:22], |v[2:3]|, |v[2:3]|
	v_add_f64 v[23:24], v[21:22], 1.0
	v_rcp_f64_e32 v[25:26], v[23:24]
	v_fma_f64 v[27:28], -v[23:24], v[25:26], 1.0
	v_fma_f64 v[25:26], v[27:28], v[25:26], v[25:26]
	v_fma_f64 v[23:24], -v[23:24], v[25:26], 1.0
	v_fma_f64 v[23:24], v[23:24], v[25:26], v[25:26]
	v_fma_f64 v[25:26], v[19:20], v[23:24], v[23:24]
	v_fma_f64 v[21:22], -v[25:26], v[21:22], 1.0
	v_add_f64 v[19:20], v[19:20], -v[25:26]
	v_add_f64 v[19:20], v[21:22], v[19:20]
	v_fma_f64 v[19:20], v[23:24], v[19:20], v[25:26]
	v_mul_f64 v[16:17], v[16:17], v[19:20]
	v_cndmask_b32_e32 v17, 0, v17, vcc
	v_cndmask_b32_e32 v16, 0, v16, vcc
	v_add_f64 v[19:20], -v[16:17], 2.0
	v_cmp_gt_f64_e32 vcc, 0, v[2:3]
	v_cndmask_b32_e32 v3, v17, v20, vcc
	v_cndmask_b32_e32 v2, v16, v19, vcc
	v_mul_f64 v[16:17], v[4:5], -v[4:5]
	v_mul_f64 v[21:22], v[16:17], s[6:7]
	v_cmp_nlt_f64_e32 vcc, s[30:31], v[16:17]
	v_cmp_ngt_f64_e64 s[0:1], s[34:35], v[16:17]
	v_fma_f64 v[19:20], -v[4:5], v[4:5], -v[16:17]
	v_rndne_f64_e32 v[21:22], v[21:22]
	v_fma_f64 v[23:24], v[21:22], s[8:9], v[16:17]
	v_fma_f64 v[23:24], v[21:22], s[10:11], v[23:24]
	v_cvt_i32_f64_e32 v21, v[21:22]
	v_fma_f64 v[25:26], v[23:24], s[12:13], v[12:13]
	v_fma_f64 v[25:26], v[23:24], v[25:26], s[14:15]
	;; [unrolled: 1-line block ×9, first 2 shown]
	v_fma_f64 v[25:26], v[23:24], v[25:26], 1.0
	v_fma_f64 v[23:24], v[23:24], v[25:26], 1.0
	v_ldexp_f64 v[21:22], v[23:24], v21
	v_cndmask_b32_e32 v22, v18, v22, vcc
	s_and_b64 vcc, s[0:1], vcc
	v_cndmask_b32_e32 v16, 0, v21, vcc
	v_cndmask_b32_e64 v17, 0, v22, s[0:1]
	v_add_f64 v[21:22], |v[4:5]|, 4.0
	v_fma_f64 v[16:17], v[16:17], v[19:20], v[16:17]
	v_add_f64 v[19:20], |v[4:5]|, -4.0
	v_cmp_ngt_f64_e64 vcc, |v[4:5]|, s[78:79]
	v_rcp_f64_e32 v[23:24], v[21:22]
	v_fma_f64 v[25:26], -v[21:22], v[23:24], 1.0
	v_fma_f64 v[23:24], v[25:26], v[23:24], v[23:24]
	v_fma_f64 v[21:22], -v[21:22], v[23:24], 1.0
	v_fma_f64 v[21:22], v[21:22], v[23:24], v[23:24]
	v_mul_f64 v[19:20], v[19:20], v[21:22]
	v_add_f64 v[23:24], v[19:20], 1.0
	v_fma_f64 v[23:24], v[23:24], -4.0, |v[4:5]|
	v_fma_f64 v[23:24], -v[19:20], |v[4:5]|, v[23:24]
	v_fma_f64 v[19:20], v[21:22], v[23:24], v[19:20]
	v_fma_f64 v[21:22], v[19:20], s[36:37], v[14:15]
	;; [unrolled: 1-line block ×22, first 2 shown]
	v_add_f64 v[21:22], |v[4:5]|, |v[4:5]|
	v_add_f64 v[23:24], v[21:22], 1.0
	v_rcp_f64_e32 v[25:26], v[23:24]
	v_fma_f64 v[27:28], -v[23:24], v[25:26], 1.0
	v_fma_f64 v[25:26], v[27:28], v[25:26], v[25:26]
	v_fma_f64 v[23:24], -v[23:24], v[25:26], 1.0
	v_fma_f64 v[23:24], v[23:24], v[25:26], v[25:26]
	v_fma_f64 v[25:26], v[19:20], v[23:24], v[23:24]
	v_fma_f64 v[21:22], -v[25:26], v[21:22], 1.0
	v_add_f64 v[19:20], v[19:20], -v[25:26]
	v_add_f64 v[19:20], v[21:22], v[19:20]
	v_fma_f64 v[19:20], v[23:24], v[19:20], v[25:26]
	v_mul_f64 v[16:17], v[16:17], v[19:20]
	v_cndmask_b32_e32 v17, 0, v17, vcc
	v_cndmask_b32_e32 v16, 0, v16, vcc
	v_add_f64 v[19:20], -v[16:17], 2.0
	v_cmp_gt_f64_e32 vcc, 0, v[4:5]
	v_cndmask_b32_e32 v5, v17, v20, vcc
	v_cndmask_b32_e32 v4, v16, v19, vcc
	v_add_co_u32_e32 v0, vcc, s33, v0
	v_addc_co_u32_e32 v1, vcc, 0, v1, vcc
	global_store_dwordx4 v[10:11], v[6:9], off offset:-16
	global_store_dwordx4 v[10:11], v[2:5], off
	v_add_co_u32_e32 v10, vcc, s80, v10
	v_lshlrev_b64 v[2:3], 2, v[0:1]
	v_addc_co_u32_e32 v11, vcc, 0, v11, vcc
	v_cmp_le_i64_e32 vcc, s[2:3], v[2:3]
	s_or_b64 s[4:5], vcc, s[4:5]
	s_andn2_b64 exec, exec, s[4:5]
	s_cbranch_execnz .LBB4_24
.LBB4_25:
	s_endpgm
	.section	.rodata,"a",@progbits
	.p2align	6, 0x0
	.amdhsa_kernel _ZN2at6native12_GLOBAL__N_125multi_tensor_apply_kernelINS1_18TensorListMetadataILi1EEENS1_14UnaryOpFunctorIdLi1ELi1ELi0EEEJNS0_4ErfcIdEEEEEvT_T0_DpT1_
		.amdhsa_group_segment_fixed_size 0
		.amdhsa_private_segment_fixed_size 0
		.amdhsa_kernarg_size 3632
		.amdhsa_user_sgpr_count 6
		.amdhsa_user_sgpr_private_segment_buffer 1
		.amdhsa_user_sgpr_dispatch_ptr 0
		.amdhsa_user_sgpr_queue_ptr 0
		.amdhsa_user_sgpr_kernarg_segment_ptr 1
		.amdhsa_user_sgpr_dispatch_id 0
		.amdhsa_user_sgpr_flat_scratch_init 0
		.amdhsa_user_sgpr_private_segment_size 0
		.amdhsa_uses_dynamic_stack 0
		.amdhsa_system_sgpr_private_segment_wavefront_offset 0
		.amdhsa_system_sgpr_workgroup_id_x 1
		.amdhsa_system_sgpr_workgroup_id_y 0
		.amdhsa_system_sgpr_workgroup_id_z 0
		.amdhsa_system_sgpr_workgroup_info 0
		.amdhsa_system_vgpr_workitem_id 0
		.amdhsa_next_free_vgpr 39
		.amdhsa_next_free_sgpr 96
		.amdhsa_reserve_vcc 1
		.amdhsa_reserve_flat_scratch 0
		.amdhsa_float_round_mode_32 0
		.amdhsa_float_round_mode_16_64 0
		.amdhsa_float_denorm_mode_32 3
		.amdhsa_float_denorm_mode_16_64 3
		.amdhsa_dx10_clamp 1
		.amdhsa_ieee_mode 1
		.amdhsa_fp16_overflow 0
		.amdhsa_exception_fp_ieee_invalid_op 0
		.amdhsa_exception_fp_denorm_src 0
		.amdhsa_exception_fp_ieee_div_zero 0
		.amdhsa_exception_fp_ieee_overflow 0
		.amdhsa_exception_fp_ieee_underflow 0
		.amdhsa_exception_fp_ieee_inexact 0
		.amdhsa_exception_int_div_zero 0
	.end_amdhsa_kernel
	.section	.text._ZN2at6native12_GLOBAL__N_125multi_tensor_apply_kernelINS1_18TensorListMetadataILi1EEENS1_14UnaryOpFunctorIdLi1ELi1ELi0EEEJNS0_4ErfcIdEEEEEvT_T0_DpT1_,"axG",@progbits,_ZN2at6native12_GLOBAL__N_125multi_tensor_apply_kernelINS1_18TensorListMetadataILi1EEENS1_14UnaryOpFunctorIdLi1ELi1ELi0EEEJNS0_4ErfcIdEEEEEvT_T0_DpT1_,comdat
.Lfunc_end4:
	.size	_ZN2at6native12_GLOBAL__N_125multi_tensor_apply_kernelINS1_18TensorListMetadataILi1EEENS1_14UnaryOpFunctorIdLi1ELi1ELi0EEEJNS0_4ErfcIdEEEEEvT_T0_DpT1_, .Lfunc_end4-_ZN2at6native12_GLOBAL__N_125multi_tensor_apply_kernelINS1_18TensorListMetadataILi1EEENS1_14UnaryOpFunctorIdLi1ELi1ELi0EEEJNS0_4ErfcIdEEEEEvT_T0_DpT1_
                                        ; -- End function
	.set _ZN2at6native12_GLOBAL__N_125multi_tensor_apply_kernelINS1_18TensorListMetadataILi1EEENS1_14UnaryOpFunctorIdLi1ELi1ELi0EEEJNS0_4ErfcIdEEEEEvT_T0_DpT1_.num_vgpr, 39
	.set _ZN2at6native12_GLOBAL__N_125multi_tensor_apply_kernelINS1_18TensorListMetadataILi1EEENS1_14UnaryOpFunctorIdLi1ELi1ELi0EEEJNS0_4ErfcIdEEEEEvT_T0_DpT1_.num_agpr, 0
	.set _ZN2at6native12_GLOBAL__N_125multi_tensor_apply_kernelINS1_18TensorListMetadataILi1EEENS1_14UnaryOpFunctorIdLi1ELi1ELi0EEEJNS0_4ErfcIdEEEEEvT_T0_DpT1_.numbered_sgpr, 96
	.set _ZN2at6native12_GLOBAL__N_125multi_tensor_apply_kernelINS1_18TensorListMetadataILi1EEENS1_14UnaryOpFunctorIdLi1ELi1ELi0EEEJNS0_4ErfcIdEEEEEvT_T0_DpT1_.num_named_barrier, 0
	.set _ZN2at6native12_GLOBAL__N_125multi_tensor_apply_kernelINS1_18TensorListMetadataILi1EEENS1_14UnaryOpFunctorIdLi1ELi1ELi0EEEJNS0_4ErfcIdEEEEEvT_T0_DpT1_.private_seg_size, 0
	.set _ZN2at6native12_GLOBAL__N_125multi_tensor_apply_kernelINS1_18TensorListMetadataILi1EEENS1_14UnaryOpFunctorIdLi1ELi1ELi0EEEJNS0_4ErfcIdEEEEEvT_T0_DpT1_.uses_vcc, 1
	.set _ZN2at6native12_GLOBAL__N_125multi_tensor_apply_kernelINS1_18TensorListMetadataILi1EEENS1_14UnaryOpFunctorIdLi1ELi1ELi0EEEJNS0_4ErfcIdEEEEEvT_T0_DpT1_.uses_flat_scratch, 0
	.set _ZN2at6native12_GLOBAL__N_125multi_tensor_apply_kernelINS1_18TensorListMetadataILi1EEENS1_14UnaryOpFunctorIdLi1ELi1ELi0EEEJNS0_4ErfcIdEEEEEvT_T0_DpT1_.has_dyn_sized_stack, 0
	.set _ZN2at6native12_GLOBAL__N_125multi_tensor_apply_kernelINS1_18TensorListMetadataILi1EEENS1_14UnaryOpFunctorIdLi1ELi1ELi0EEEJNS0_4ErfcIdEEEEEvT_T0_DpT1_.has_recursion, 0
	.set _ZN2at6native12_GLOBAL__N_125multi_tensor_apply_kernelINS1_18TensorListMetadataILi1EEENS1_14UnaryOpFunctorIdLi1ELi1ELi0EEEJNS0_4ErfcIdEEEEEvT_T0_DpT1_.has_indirect_call, 0
	.section	.AMDGPU.csdata,"",@progbits
; Kernel info:
; codeLenInByte = 7116
; TotalNumSgprs: 100
; NumVgprs: 39
; ScratchSize: 0
; MemoryBound: 0
; FloatMode: 240
; IeeeMode: 1
; LDSByteSize: 0 bytes/workgroup (compile time only)
; SGPRBlocks: 12
; VGPRBlocks: 9
; NumSGPRsForWavesPerEU: 100
; NumVGPRsForWavesPerEU: 39
; Occupancy: 6
; WaveLimiterHint : 0
; COMPUTE_PGM_RSRC2:SCRATCH_EN: 0
; COMPUTE_PGM_RSRC2:USER_SGPR: 6
; COMPUTE_PGM_RSRC2:TRAP_HANDLER: 0
; COMPUTE_PGM_RSRC2:TGID_X_EN: 1
; COMPUTE_PGM_RSRC2:TGID_Y_EN: 0
; COMPUTE_PGM_RSRC2:TGID_Z_EN: 0
; COMPUTE_PGM_RSRC2:TIDIG_COMP_CNT: 0
	.section	.text._ZN2at6native12_GLOBAL__N_125multi_tensor_apply_kernelINS1_18TensorListMetadataILi1EEENS1_14UnaryOpFunctorIfLi1ELi1ELi0EEEJNS0_4ErfcIfEEEEEvT_T0_DpT1_,"axG",@progbits,_ZN2at6native12_GLOBAL__N_125multi_tensor_apply_kernelINS1_18TensorListMetadataILi1EEENS1_14UnaryOpFunctorIfLi1ELi1ELi0EEEJNS0_4ErfcIfEEEEEvT_T0_DpT1_,comdat
	.globl	_ZN2at6native12_GLOBAL__N_125multi_tensor_apply_kernelINS1_18TensorListMetadataILi1EEENS1_14UnaryOpFunctorIfLi1ELi1ELi0EEEJNS0_4ErfcIfEEEEEvT_T0_DpT1_ ; -- Begin function _ZN2at6native12_GLOBAL__N_125multi_tensor_apply_kernelINS1_18TensorListMetadataILi1EEENS1_14UnaryOpFunctorIfLi1ELi1ELi0EEEJNS0_4ErfcIfEEEEEvT_T0_DpT1_
	.p2align	8
	.type	_ZN2at6native12_GLOBAL__N_125multi_tensor_apply_kernelINS1_18TensorListMetadataILi1EEENS1_14UnaryOpFunctorIfLi1ELi1ELi0EEEJNS0_4ErfcIfEEEEEvT_T0_DpT1_,@function
_ZN2at6native12_GLOBAL__N_125multi_tensor_apply_kernelINS1_18TensorListMetadataILi1EEENS1_14UnaryOpFunctorIfLi1ELi1ELi0EEEJNS0_4ErfcIfEEEEEvT_T0_DpT1_: ; @_ZN2at6native12_GLOBAL__N_125multi_tensor_apply_kernelINS1_18TensorListMetadataILi1EEENS1_14UnaryOpFunctorIfLi1ELi1ELi0EEEJNS0_4ErfcIfEEEEEvT_T0_DpT1_
; %bb.0:
	v_mov_b32_e32 v1, s6
	global_load_ubyte v1, v1, s[4:5] offset:1760
	s_add_u32 s0, s4, s6
	s_mul_hi_u32 s1, s6, 3
	s_mul_i32 s6, s6, 3
	s_addc_u32 s2, s5, 0
	s_add_u32 s0, s0, s6
	s_addc_u32 s1, s2, s1
	s_load_dword s0, s[0:1], 0x820
	s_mov_b32 s7, 0
	s_waitcnt vmcnt(0)
	v_readfirstlane_b32 s1, v1
	s_lshl_b32 s1, s1, 3
	s_load_dwordx2 s[2:3], s[4:5], s1 offset:0x370
	s_load_dwordx2 s[10:11], s[4:5], s1 offset:0x0
	s_waitcnt lgkmcnt(0)
	s_ashr_i32 s1, s0, 31
	s_lshl_b64 s[12:13], s[0:1], 18
	s_lshl_b64 s[0:1], s[0:1], 16
	s_and_b32 s6, s10, 15
	s_sub_u32 s14, s2, s0
	s_subb_u32 s15, s3, s1
	s_and_b32 s0, s2, 3
	s_mov_b32 s1, s7
	s_or_b64 s[0:1], s[6:7], s[0:1]
	s_cmp_eq_u64 s[0:1], 0
	s_cbranch_scc1 .LBB5_21
; %bb.1:
	v_cmp_lt_i64_e64 s[0:1], s[14:15], 1
	s_and_b64 vcc, exec, s[0:1]
	s_cbranch_vccnz .LBB5_20
; %bb.2:
	v_mov_b32_e32 v1, 0x10000
	s_load_dword s2, s[4:5], 0xd3c
	v_mov_b32_e32 v2, 0
	v_cmp_lt_i64_e32 vcc, s[14:15], v[1:2]
	s_mov_b64 s[20:21], 0
	s_and_b64 s[0:1], vcc, exec
	v_cmp_lt_u64_e32 vcc, s[14:15], v[1:2]
	s_cselect_b32 s17, s15, 0
	s_cselect_b32 s16, s14, 0x10000
	s_waitcnt lgkmcnt(0)
	s_and_b32 s2, s2, 0xffff
	s_and_b64 s[0:1], vcc, exec
	s_cselect_b32 s19, s15, 0
	s_cselect_b32 s18, s14, 0x10000
	s_lshl_b32 s3, s2, 1
	s_lshl_b32 s24, s2, 2
	s_add_u32 s6, s10, s12
	v_lshlrev_b32_e32 v1, 2, v0
	s_addc_u32 s7, s11, s13
	v_mov_b32_e32 v2, s7
	v_add_co_u32_e32 v1, vcc, s6, v1
	s_mul_i32 s0, s2, 3
	v_addc_co_u32_e32 v2, vcc, 0, v2, vcc
	v_add_co_u32_e32 v5, vcc, s0, v0
	v_addc_co_u32_e64 v6, s[0:1], 0, 0, vcc
	v_add_co_u32_e32 v7, vcc, s3, v0
	v_addc_co_u32_e64 v8, s[0:1], 0, 0, vcc
	v_add_co_u32_e32 v9, vcc, s2, v0
	v_lshlrev_b32_e32 v3, 2, v9
	v_addc_co_u32_e64 v10, s[0:1], 0, 0, vcc
	v_mov_b32_e32 v4, s7
	v_add_co_u32_e32 v3, vcc, s6, v3
	s_lshl_b32 s25, s2, 4
	s_mul_i32 s26, s2, 12
	s_lshl_b32 s27, s2, 3
	v_addc_co_u32_e32 v4, vcc, 0, v4, vcc
	s_mov_b32 s28, 0x3fb8aa3b
	s_mov_b32 s29, 0xc2ce8ed0
	;; [unrolled: 1-line block ×3, first 2 shown]
	v_mov_b32_e32 v11, 0x3aad2fb4
	v_mov_b32_e32 v12, 0x3c0da267
	;; [unrolled: 1-line block ×8, first 2 shown]
	s_mov_b32 s31, 0x4120ddfc
	v_mov_b32_e32 v19, 0x7f800000
	s_branch .LBB5_4
.LBB5_3:                                ;   in Loop: Header=BB5_4 Depth=1
	s_or_b64 exec, exec, s[0:1]
	s_add_u32 s20, s20, s24
	v_add_co_u32_e32 v1, vcc, s25, v1
	s_waitcnt vmcnt(0)
	v_mov_b32_e32 v21, s17
	s_addc_u32 s21, s21, 0
	v_addc_co_u32_e32 v2, vcc, 0, v2, vcc
	v_mov_b32_e32 v20, s16
	v_cmp_lt_i64_e32 vcc, s[20:21], v[20:21]
	v_add_co_u32_e64 v3, s[0:1], s25, v3
	v_addc_co_u32_e64 v4, s[0:1], 0, v4, s[0:1]
	s_cbranch_vccz .LBB5_20
.LBB5_4:                                ; =>This Inner Loop Header: Depth=1
	v_mov_b32_e32 v21, s21
	v_add_co_u32_e32 v20, vcc, s20, v0
	v_addc_co_u32_e32 v21, vcc, 0, v21, vcc
	v_cmp_gt_u64_e64 s[6:7], s[18:19], v[20:21]
	v_mov_b32_e32 v23, 0
	s_and_saveexec_b64 s[0:1], s[6:7]
	s_cbranch_execz .LBB5_6
; %bb.5:                                ;   in Loop: Header=BB5_4 Depth=1
	global_load_dword v23, v[1:2], off
.LBB5_6:                                ;   in Loop: Header=BB5_4 Depth=1
	s_or_b64 exec, exec, s[0:1]
	v_mov_b32_e32 v21, s21
	v_add_co_u32_e32 v20, vcc, s20, v9
	v_addc_co_u32_e32 v21, vcc, v10, v21, vcc
	v_cmp_gt_u64_e64 s[2:3], s[18:19], v[20:21]
	v_mov_b32_e32 v21, 0
	v_mov_b32_e32 v22, 0
	s_and_saveexec_b64 s[0:1], s[2:3]
	s_cbranch_execz .LBB5_8
; %bb.7:                                ;   in Loop: Header=BB5_4 Depth=1
	global_load_dword v22, v[3:4], off
.LBB5_8:                                ;   in Loop: Header=BB5_4 Depth=1
	s_or_b64 exec, exec, s[0:1]
	v_mov_b32_e32 v20, s21
	v_add_co_u32_e32 v24, vcc, s20, v7
	v_addc_co_u32_e32 v25, vcc, v8, v20, vcc
	v_cmp_gt_u64_e64 s[0:1], s[18:19], v[24:25]
	s_and_saveexec_b64 s[8:9], s[0:1]
	s_cbranch_execz .LBB5_10
; %bb.9:                                ;   in Loop: Header=BB5_4 Depth=1
	v_add_co_u32_e32 v20, vcc, s27, v1
	v_addc_co_u32_e32 v21, vcc, 0, v2, vcc
	global_load_dword v21, v[20:21], off
.LBB5_10:                               ;   in Loop: Header=BB5_4 Depth=1
	s_or_b64 exec, exec, s[8:9]
	v_mov_b32_e32 v20, s21
	v_add_co_u32_e32 v24, vcc, s20, v5
	v_addc_co_u32_e32 v25, vcc, v6, v20, vcc
	v_cmp_gt_u64_e32 vcc, s[18:19], v[24:25]
	v_mov_b32_e32 v20, 0
	s_and_saveexec_b64 s[22:23], vcc
	s_cbranch_execnz .LBB5_15
; %bb.11:                               ;   in Loop: Header=BB5_4 Depth=1
	s_or_b64 exec, exec, s[22:23]
	s_and_saveexec_b64 s[8:9], s[6:7]
	s_cbranch_execnz .LBB5_16
.LBB5_12:                               ;   in Loop: Header=BB5_4 Depth=1
	s_or_b64 exec, exec, s[8:9]
	s_and_saveexec_b64 s[6:7], s[2:3]
	s_cbranch_execnz .LBB5_17
.LBB5_13:                               ;   in Loop: Header=BB5_4 Depth=1
	s_or_b64 exec, exec, s[6:7]
	s_and_saveexec_b64 s[2:3], s[0:1]
	s_cbranch_execnz .LBB5_18
.LBB5_14:                               ;   in Loop: Header=BB5_4 Depth=1
	s_or_b64 exec, exec, s[2:3]
	s_and_saveexec_b64 s[0:1], vcc
	s_cbranch_execz .LBB5_3
	s_branch .LBB5_19
.LBB5_15:                               ;   in Loop: Header=BB5_4 Depth=1
	v_add_co_u32_e64 v24, s[8:9], s26, v1
	v_addc_co_u32_e64 v25, s[8:9], 0, v2, s[8:9]
	global_load_dword v20, v[24:25], off
	s_or_b64 exec, exec, s[22:23]
	s_and_saveexec_b64 s[8:9], s[6:7]
	s_cbranch_execz .LBB5_12
.LBB5_16:                               ;   in Loop: Header=BB5_4 Depth=1
	s_waitcnt vmcnt(0)
	v_mul_f32_e64 v24, v23, -v23
	v_mul_f32_e32 v25, 0x3fb8aa3b, v24
	v_rndne_f32_e32 v26, v25
	v_sub_f32_e32 v27, v25, v26
	v_fma_f32 v25, v24, s28, -v25
	v_fmac_f32_e32 v25, 0x32a5705f, v24
	v_add_f32_e32 v25, v27, v25
	v_cvt_i32_f32_e32 v26, v26
	v_exp_f32_e32 v25, v25
	v_add_f32_e64 v27, |v23|, -2.0
	v_cmp_ngt_f32_e64 s[6:7], s29, v24
	v_ldexp_f32 v25, v25, v26
	v_add_f32_e64 v26, |v23|, 2.0
	v_rcp_f32_e32 v26, v26
	v_cndmask_b32_e64 v25, 0, v25, s[6:7]
	v_cmp_nlt_f32_e64 s[6:7], s30, v24
	v_cndmask_b32_e64 v25, v19, v25, s[6:7]
	v_mul_f32_e32 v27, v27, v26
	v_add_f32_e32 v28, 1.0, v27
	v_fma_f32 v28, v28, -2.0, |v23|
	v_fma_f32 v28, -v27, |v23|, v28
	v_fmac_f32_e32 v27, v26, v28
	v_mov_b32_e32 v28, 0xbaa2d753
	v_fmac_f32_e32 v28, 0xb9d6f8c4, v27
	v_fma_f32 v28, v27, v28, v11
	v_fma_f32 v24, -v23, v23, -v24
	v_fma_f32 v28, v27, v28, v12
	v_fmac_f32_e32 v25, v25, v24
	v_add_f32_e64 v24, |v23|, |v23|
	v_fma_f32 v28, v27, v28, v13
	v_add_f32_e32 v26, 1.0, v24
	v_fma_f32 v28, v27, v28, v14
	v_rcp_f32_e32 v26, v26
	v_fma_f32 v28, v27, v28, v15
	v_fma_f32 v28, v27, v28, v16
	v_fma_f32 v28, v27, v28, v17
	v_fma_f32 v27, v27, v28, v18
	v_fma_f32 v28, v27, v26, v26
	v_fma_f32 v24, -v28, v24, 1.0
	v_sub_f32_e32 v27, v27, v28
	v_add_f32_e32 v24, v24, v27
	v_fmac_f32_e32 v28, v26, v24
	v_mul_f32_e32 v24, v25, v28
	v_cmp_ngt_f32_e64 s[6:7], |v23|, s31
	v_cndmask_b32_e64 v24, 0, v24, s[6:7]
	v_sub_f32_e32 v25, 2.0, v24
	v_cmp_gt_f32_e64 s[6:7], 0, v23
	v_cndmask_b32_e64 v23, v24, v25, s[6:7]
	global_store_dword v[1:2], v23, off
	s_or_b64 exec, exec, s[8:9]
	s_and_saveexec_b64 s[6:7], s[2:3]
	s_cbranch_execz .LBB5_13
.LBB5_17:                               ;   in Loop: Header=BB5_4 Depth=1
	s_waitcnt vmcnt(0)
	v_mul_f32_e64 v23, v22, -v22
	v_mul_f32_e32 v24, 0x3fb8aa3b, v23
	v_rndne_f32_e32 v25, v24
	v_sub_f32_e32 v26, v24, v25
	v_fma_f32 v24, v23, s28, -v24
	v_fmac_f32_e32 v24, 0x32a5705f, v23
	v_add_f32_e32 v24, v26, v24
	v_exp_f32_e32 v24, v24
	v_cvt_i32_f32_e32 v25, v25
	v_cmp_ngt_f32_e64 s[2:3], s29, v23
	v_fma_f32 v26, -v22, v22, -v23
	v_ldexp_f32 v24, v24, v25
	v_add_f32_e64 v25, |v22|, 2.0
	v_rcp_f32_e32 v25, v25
	v_cndmask_b32_e64 v24, 0, v24, s[2:3]
	v_cmp_nlt_f32_e64 s[2:3], s30, v23
	v_cndmask_b32_e64 v23, v19, v24, s[2:3]
	v_add_f32_e64 v24, |v22|, -2.0
	v_mul_f32_e32 v24, v24, v25
	v_fmac_f32_e32 v23, v23, v26
	v_add_f32_e32 v26, 1.0, v24
	v_fma_f32 v26, v26, -2.0, |v22|
	v_fma_f32 v26, -v24, |v22|, v26
	v_fmac_f32_e32 v24, v25, v26
	v_mov_b32_e32 v25, 0xbaa2d753
	v_fmac_f32_e32 v25, 0xb9d6f8c4, v24
	v_fma_f32 v25, v24, v25, v11
	v_fma_f32 v25, v24, v25, v12
	;; [unrolled: 1-line block ×3, first 2 shown]
	v_add_f32_e64 v26, |v22|, |v22|
	v_fma_f32 v25, v24, v25, v14
	v_add_f32_e32 v27, 1.0, v26
	v_fma_f32 v25, v24, v25, v15
	v_rcp_f32_e32 v27, v27
	v_fma_f32 v25, v24, v25, v16
	v_fma_f32 v25, v24, v25, v17
	;; [unrolled: 1-line block ×4, first 2 shown]
	v_fma_f32 v26, -v25, v26, 1.0
	v_sub_f32_e32 v24, v24, v25
	v_add_f32_e32 v24, v26, v24
	v_fmac_f32_e32 v25, v27, v24
	v_mul_f32_e32 v23, v23, v25
	v_cmp_ngt_f32_e64 s[2:3], |v22|, s31
	v_cndmask_b32_e64 v23, 0, v23, s[2:3]
	v_sub_f32_e32 v24, 2.0, v23
	v_cmp_gt_f32_e64 s[2:3], 0, v22
	v_cndmask_b32_e64 v22, v23, v24, s[2:3]
	global_store_dword v[3:4], v22, off
	s_or_b64 exec, exec, s[6:7]
	s_and_saveexec_b64 s[2:3], s[0:1]
	s_cbranch_execz .LBB5_14
.LBB5_18:                               ;   in Loop: Header=BB5_4 Depth=1
	s_waitcnt vmcnt(0)
	v_mul_f32_e64 v22, v21, -v21
	v_mul_f32_e32 v23, 0x3fb8aa3b, v22
	v_rndne_f32_e32 v24, v23
	v_sub_f32_e32 v25, v23, v24
	v_fma_f32 v23, v22, s28, -v23
	v_fmac_f32_e32 v23, 0x32a5705f, v22
	v_add_f32_e32 v23, v25, v23
	v_exp_f32_e32 v23, v23
	v_cvt_i32_f32_e32 v24, v24
	v_cmp_ngt_f32_e64 s[0:1], s29, v22
	v_fma_f32 v25, -v21, v21, -v22
	v_ldexp_f32 v23, v23, v24
	v_add_f32_e64 v24, |v21|, 2.0
	v_rcp_f32_e32 v24, v24
	v_cndmask_b32_e64 v23, 0, v23, s[0:1]
	v_cmp_nlt_f32_e64 s[0:1], s30, v22
	v_cndmask_b32_e64 v22, v19, v23, s[0:1]
	v_add_f32_e64 v23, |v21|, -2.0
	v_mul_f32_e32 v23, v23, v24
	v_fmac_f32_e32 v22, v22, v25
	v_add_f32_e32 v25, 1.0, v23
	v_fma_f32 v25, v25, -2.0, |v21|
	v_fma_f32 v25, -v23, |v21|, v25
	v_fmac_f32_e32 v23, v24, v25
	v_mov_b32_e32 v24, 0xbaa2d753
	v_fmac_f32_e32 v24, 0xb9d6f8c4, v23
	v_fma_f32 v24, v23, v24, v11
	v_fma_f32 v24, v23, v24, v12
	;; [unrolled: 1-line block ×3, first 2 shown]
	v_add_f32_e64 v25, |v21|, |v21|
	v_fma_f32 v24, v23, v24, v14
	v_add_f32_e32 v26, 1.0, v25
	v_fma_f32 v24, v23, v24, v15
	v_rcp_f32_e32 v26, v26
	v_fma_f32 v24, v23, v24, v16
	v_fma_f32 v24, v23, v24, v17
	;; [unrolled: 1-line block ×4, first 2 shown]
	v_fma_f32 v25, -v24, v25, 1.0
	v_sub_f32_e32 v23, v23, v24
	v_add_f32_e32 v23, v25, v23
	v_fmac_f32_e32 v24, v26, v23
	v_mul_f32_e32 v22, v22, v24
	v_cmp_ngt_f32_e64 s[0:1], |v21|, s31
	v_cndmask_b32_e64 v22, 0, v22, s[0:1]
	v_sub_f32_e32 v23, 2.0, v22
	v_cmp_gt_f32_e64 s[0:1], 0, v21
	v_cndmask_b32_e64 v23, v22, v23, s[0:1]
	v_add_co_u32_e64 v21, s[0:1], s27, v1
	v_addc_co_u32_e64 v22, s[0:1], 0, v2, s[0:1]
	global_store_dword v[21:22], v23, off
	s_or_b64 exec, exec, s[2:3]
	s_and_saveexec_b64 s[0:1], vcc
	s_cbranch_execz .LBB5_3
.LBB5_19:                               ;   in Loop: Header=BB5_4 Depth=1
	s_waitcnt vmcnt(0)
	v_mul_f32_e64 v21, v20, -v20
	v_mul_f32_e32 v22, 0x3fb8aa3b, v21
	v_rndne_f32_e32 v23, v22
	v_sub_f32_e32 v24, v22, v23
	v_fma_f32 v22, v21, s28, -v22
	v_fmac_f32_e32 v22, 0x32a5705f, v21
	v_add_f32_e32 v22, v24, v22
	v_exp_f32_e32 v22, v22
	v_cvt_i32_f32_e32 v23, v23
	v_cmp_ngt_f32_e32 vcc, s29, v21
	v_fma_f32 v24, -v20, v20, -v21
	v_ldexp_f32 v22, v22, v23
	v_add_f32_e64 v23, |v20|, 2.0
	v_rcp_f32_e32 v23, v23
	v_cndmask_b32_e32 v22, 0, v22, vcc
	v_cmp_nlt_f32_e32 vcc, s30, v21
	v_cndmask_b32_e32 v21, v19, v22, vcc
	v_add_f32_e64 v22, |v20|, -2.0
	v_mul_f32_e32 v22, v22, v23
	v_fmac_f32_e32 v21, v21, v24
	v_add_f32_e32 v24, 1.0, v22
	v_fma_f32 v24, v24, -2.0, |v20|
	v_fma_f32 v24, -v22, |v20|, v24
	v_fmac_f32_e32 v22, v23, v24
	v_mov_b32_e32 v23, 0xbaa2d753
	v_fmac_f32_e32 v23, 0xb9d6f8c4, v22
	v_fma_f32 v23, v22, v23, v11
	v_fma_f32 v23, v22, v23, v12
	;; [unrolled: 1-line block ×3, first 2 shown]
	v_add_f32_e64 v24, |v20|, |v20|
	v_fma_f32 v23, v22, v23, v14
	v_add_f32_e32 v25, 1.0, v24
	v_fma_f32 v23, v22, v23, v15
	v_rcp_f32_e32 v25, v25
	v_fma_f32 v23, v22, v23, v16
	v_fma_f32 v23, v22, v23, v17
	;; [unrolled: 1-line block ×4, first 2 shown]
	v_fma_f32 v24, -v23, v24, 1.0
	v_sub_f32_e32 v22, v22, v23
	v_add_f32_e32 v22, v24, v22
	v_fmac_f32_e32 v23, v25, v22
	v_mul_f32_e32 v21, v21, v23
	v_cmp_ngt_f32_e64 vcc, |v20|, s31
	v_cndmask_b32_e32 v21, 0, v21, vcc
	v_sub_f32_e32 v22, 2.0, v21
	v_cmp_gt_f32_e32 vcc, 0, v20
	v_cndmask_b32_e32 v22, v21, v22, vcc
	v_add_co_u32_e32 v20, vcc, s26, v1
	v_addc_co_u32_e32 v21, vcc, 0, v2, vcc
	global_store_dword v[20:21], v22, off
	s_branch .LBB5_3
.LBB5_20:
	s_cbranch_execz .LBB5_22
	s_branch .LBB5_25
.LBB5_21:
.LBB5_22:
	v_mov_b32_e32 v1, 0x10000
	v_mov_b32_e32 v2, 0
	v_cmp_lt_i64_e32 vcc, s[14:15], v[1:2]
	v_mov_b32_e32 v2, 0
	s_and_b64 s[0:1], vcc, exec
	s_cselect_b32 s3, s15, 0
	s_cselect_b32 s2, s14, 0x10000
	v_lshlrev_b32_e32 v1, 2, v0
	v_cmp_gt_i64_e32 vcc, s[2:3], v[1:2]
	s_and_saveexec_b64 s[0:1], vcc
	s_cbranch_execz .LBB5_25
; %bb.23:
	s_load_dword s0, s[4:5], 0xd3c
	v_mov_b32_e32 v1, v2
	v_lshlrev_b32_e32 v2, 4, v0
	s_mov_b64 s[4:5], 0
	s_mov_b32 s8, 0x3fb8aa3b
	s_waitcnt lgkmcnt(0)
	s_and_b32 s6, s0, 0xffff
	s_add_u32 s0, s10, s12
	s_addc_u32 s1, s11, s13
	v_mov_b32_e32 v3, s1
	v_add_co_u32_e32 v2, vcc, s0, v2
	v_addc_co_u32_e32 v3, vcc, 0, v3, vcc
	v_add_co_u32_e32 v6, vcc, 8, v2
	v_addc_co_u32_e32 v7, vcc, 0, v3, vcc
	s_lshl_b32 s7, s6, 4
	s_mov_b32 s9, 0xc2ce8ed0
	s_mov_b32 s10, 0x42b17218
	v_mov_b32_e32 v8, 0x7f800000
	v_mov_b32_e32 v9, 0x3aad2fb4
	;; [unrolled: 1-line block ×9, first 2 shown]
	s_mov_b32 s11, 0x4120ddfc
.LBB5_24:                               ; =>This Inner Loop Header: Depth=1
	global_load_dwordx4 v[2:5], v[6:7], off offset:-8
	v_mov_b32_e32 v17, 0xbaa2d753
	s_waitcnt vmcnt(0)
	v_add_f32_e64 v20, |v2|, 2.0
	v_rcp_f32_e32 v20, v20
	v_add_f32_e64 v19, |v2|, -2.0
	v_add_f32_e64 v21, |v2|, |v2|
	v_add_f32_e64 v24, |v3|, 2.0
	v_mul_f32_e32 v19, v19, v20
	v_add_f32_e32 v27, 1.0, v19
	v_fma_f32 v27, v27, -2.0, |v2|
	v_fma_f32 v27, -v19, |v2|, v27
	v_fmac_f32_e32 v19, v20, v27
	v_fmac_f32_e32 v17, 0xb9d6f8c4, v19
	v_fma_f32 v17, v19, v17, v9
	v_fma_f32 v17, v19, v17, v10
	;; [unrolled: 1-line block ×3, first 2 shown]
	v_add_f32_e32 v20, 1.0, v21
	v_fma_f32 v17, v19, v17, v12
	v_rcp_f32_e32 v20, v20
	v_fma_f32 v17, v19, v17, v13
	v_fma_f32 v17, v19, v17, v14
	v_rcp_f32_e32 v24, v24
	v_fma_f32 v17, v19, v17, v15
	v_fma_f32 v17, v19, v17, v16
	;; [unrolled: 1-line block ×3, first 2 shown]
	v_mul_f32_e64 v18, v2, -v2
	v_add_f32_e64 v23, |v3|, -2.0
	v_fma_f32 v21, -v19, v21, 1.0
	v_sub_f32_e32 v17, v17, v19
	v_mul_f32_e32 v26, 0x3fb8aa3b, v18
	v_mul_f32_e32 v23, v23, v24
	v_add_f32_e32 v17, v21, v17
	v_add_f32_e32 v27, 1.0, v23
	v_rndne_f32_e32 v21, v26
	v_fmac_f32_e32 v19, v20, v17
	v_fma_f32 v17, v18, s8, -v26
	v_fma_f32 v27, v27, -2.0, |v3|
	v_sub_f32_e32 v26, v26, v21
	v_fmac_f32_e32 v17, 0x32a5705f, v18
	v_mul_f32_e64 v22, v3, -v3
	v_fma_f32 v27, -v23, |v3|, v27
	v_add_f32_e32 v17, v26, v17
	v_fmac_f32_e32 v23, v24, v27
	v_mul_f32_e32 v24, 0x3fb8aa3b, v22
	v_cvt_i32_f32_e32 v21, v21
	v_exp_f32_e32 v17, v17
	v_rndne_f32_e32 v20, v24
	v_fma_f32 v26, v22, s8, -v24
	v_sub_f32_e32 v24, v24, v20
	v_fmac_f32_e32 v26, 0x32a5705f, v22
	v_add_f32_e32 v24, v24, v26
	v_cvt_i32_f32_e32 v20, v20
	v_exp_f32_e32 v24, v24
	v_ldexp_f32 v17, v17, v21
	v_mov_b32_e32 v21, 0xbaa2d753
	v_fmac_f32_e32 v21, 0xb9d6f8c4, v23
	v_cmp_ngt_f32_e32 vcc, s9, v18
	v_fma_f32 v21, v23, v21, v9
	v_cndmask_b32_e32 v17, 0, v17, vcc
	v_cmp_nlt_f32_e32 vcc, s10, v18
	v_fma_f32 v21, v23, v21, v10
	v_ldexp_f32 v20, v24, v20
	v_add_f32_e64 v24, |v3|, |v3|
	v_fma_f32 v18, -v2, v2, -v18
	v_cndmask_b32_e32 v17, v8, v17, vcc
	v_fma_f32 v21, v23, v21, v11
	v_fmac_f32_e32 v17, v17, v18
	v_add_f32_e32 v18, 1.0, v24
	v_fma_f32 v21, v23, v21, v12
	v_rcp_f32_e32 v18, v18
	v_fma_f32 v21, v23, v21, v13
	v_fma_f32 v21, v23, v21, v14
	;; [unrolled: 1-line block ×4, first 2 shown]
	v_cmp_ngt_f32_e64 s[0:1], s9, v22
	v_fma_f32 v23, v21, v18, v18
	v_cndmask_b32_e64 v20, 0, v20, s[0:1]
	v_cmp_nlt_f32_e64 s[0:1], s10, v22
	v_fma_f32 v24, -v23, v24, 1.0
	v_sub_f32_e32 v21, v21, v23
	v_fma_f32 v22, -v3, v3, -v22
	v_cndmask_b32_e64 v20, v8, v20, s[0:1]
	v_add_f32_e32 v21, v24, v21
	v_fmac_f32_e32 v20, v20, v22
	v_fmac_f32_e32 v23, v18, v21
	v_mul_f32_e32 v17, v17, v19
	v_cmp_ngt_f32_e64 vcc, |v2|, s11
	v_mul_f32_e32 v18, v20, v23
	v_cndmask_b32_e32 v17, 0, v17, vcc
	v_cmp_ngt_f32_e64 vcc, |v3|, s11
	v_cndmask_b32_e32 v18, 0, v18, vcc
	v_sub_f32_e32 v19, 2.0, v17
	v_cmp_gt_f32_e32 vcc, 0, v2
	v_sub_f32_e32 v20, 2.0, v18
	v_cndmask_b32_e32 v2, v17, v19, vcc
	v_cmp_gt_f32_e32 vcc, 0, v3
	v_cndmask_b32_e32 v3, v18, v20, vcc
	v_add_f32_e64 v18, |v4|, 2.0
	v_rcp_f32_e32 v18, v18
	v_add_f32_e64 v19, |v4|, -2.0
	v_mul_f32_e64 v25, v4, -v4
	v_mul_f32_e32 v27, 0x3fb8aa3b, v25
	v_mul_f32_e32 v19, v19, v18
	v_add_f32_e32 v20, 1.0, v19
	v_fma_f32 v20, v20, -2.0, |v4|
	v_fma_f32 v20, -v19, |v4|, v20
	v_fmac_f32_e32 v19, v18, v20
	v_mov_b32_e32 v18, 0xbaa2d753
	v_fmac_f32_e32 v18, 0xb9d6f8c4, v19
	v_fma_f32 v18, v19, v18, v9
	v_rndne_f32_e32 v26, v27
	v_fma_f32 v28, v25, s8, -v27
	v_fma_f32 v18, v19, v18, v10
	v_sub_f32_e32 v27, v27, v26
	v_fmac_f32_e32 v28, 0x32a5705f, v25
	v_fma_f32 v18, v19, v18, v11
	v_add_f32_e64 v20, |v4|, |v4|
	v_add_f32_e32 v27, v27, v28
	v_fma_f32 v18, v19, v18, v12
	v_add_f32_e32 v21, 1.0, v20
	v_cvt_i32_f32_e32 v26, v26
	v_exp_f32_e32 v27, v27
	v_fma_f32 v18, v19, v18, v13
	v_rcp_f32_e32 v21, v21
	v_fma_f32 v18, v19, v18, v14
	v_fma_f32 v18, v19, v18, v15
	;; [unrolled: 1-line block ×3, first 2 shown]
	v_ldexp_f32 v17, v27, v26
	v_cmp_ngt_f32_e32 vcc, s9, v25
	v_fma_f32 v19, v18, v21, v21
	v_cndmask_b32_e32 v17, 0, v17, vcc
	v_cmp_nlt_f32_e32 vcc, s10, v25
	v_fma_f32 v20, -v19, v20, 1.0
	v_sub_f32_e32 v18, v18, v19
	v_fma_f32 v22, -v4, v4, -v25
	v_cndmask_b32_e32 v17, v8, v17, vcc
	v_add_f32_e32 v18, v20, v18
	v_fmac_f32_e32 v17, v17, v22
	v_fmac_f32_e32 v19, v21, v18
	v_mul_f32_e32 v17, v17, v19
	v_mul_f32_e64 v19, v5, -v5
	v_mul_f32_e32 v20, 0x3fb8aa3b, v19
	v_rndne_f32_e32 v21, v20
	v_sub_f32_e32 v22, v20, v21
	v_fma_f32 v20, v19, s8, -v20
	v_fmac_f32_e32 v20, 0x32a5705f, v19
	v_add_f32_e32 v20, v22, v20
	v_exp_f32_e32 v20, v20
	v_cvt_i32_f32_e32 v21, v21
	v_cmp_ngt_f32_e64 vcc, |v4|, s11
	v_cndmask_b32_e32 v17, 0, v17, vcc
	v_sub_f32_e32 v18, 2.0, v17
	v_cmp_gt_f32_e32 vcc, 0, v4
	v_cndmask_b32_e32 v4, v17, v18, vcc
	v_ldexp_f32 v18, v20, v21
	v_add_f32_e64 v20, |v5|, 2.0
	v_cmp_ngt_f32_e32 vcc, s9, v19
	v_rcp_f32_e32 v20, v20
	v_cndmask_b32_e32 v18, 0, v18, vcc
	v_cmp_nlt_f32_e32 vcc, s10, v19
	v_fma_f32 v17, -v5, v5, -v19
	v_cndmask_b32_e32 v18, v8, v18, vcc
	v_fmac_f32_e32 v18, v18, v17
	v_add_f32_e64 v17, |v5|, -2.0
	v_mul_f32_e32 v17, v17, v20
	v_add_f32_e32 v19, 1.0, v17
	v_fma_f32 v19, v19, -2.0, |v5|
	v_fma_f32 v19, -v17, |v5|, v19
	v_fmac_f32_e32 v17, v20, v19
	v_mov_b32_e32 v19, 0xbaa2d753
	v_fmac_f32_e32 v19, 0xb9d6f8c4, v17
	v_fma_f32 v19, v17, v19, v9
	v_fma_f32 v19, v17, v19, v10
	;; [unrolled: 1-line block ×3, first 2 shown]
	v_add_f32_e64 v20, |v5|, |v5|
	v_fma_f32 v19, v17, v19, v12
	v_add_f32_e32 v21, 1.0, v20
	v_fma_f32 v19, v17, v19, v13
	v_rcp_f32_e32 v21, v21
	v_fma_f32 v19, v17, v19, v14
	v_fma_f32 v19, v17, v19, v15
	;; [unrolled: 1-line block ×4, first 2 shown]
	v_fma_f32 v20, -v19, v20, 1.0
	v_sub_f32_e32 v17, v17, v19
	v_add_f32_e32 v17, v20, v17
	v_fmac_f32_e32 v19, v21, v17
	v_mul_f32_e32 v17, v18, v19
	v_cmp_ngt_f32_e64 vcc, |v5|, s11
	v_cndmask_b32_e32 v19, 0, v17, vcc
	v_add_co_u32_e32 v0, vcc, s6, v0
	v_addc_co_u32_e32 v1, vcc, 0, v1, vcc
	v_lshlrev_b64 v[17:18], 2, v[0:1]
	v_sub_f32_e32 v20, 2.0, v19
	v_cmp_gt_f32_e32 vcc, 0, v5
	v_cndmask_b32_e32 v5, v19, v20, vcc
	v_cmp_le_i64_e32 vcc, s[2:3], v[17:18]
	global_store_dwordx4 v[6:7], v[2:5], off offset:-8
	s_or_b64 s[4:5], vcc, s[4:5]
	v_add_co_u32_e32 v6, vcc, s7, v6
	v_addc_co_u32_e32 v7, vcc, 0, v7, vcc
	s_andn2_b64 exec, exec, s[4:5]
	s_cbranch_execnz .LBB5_24
.LBB5_25:
	s_endpgm
	.section	.rodata,"a",@progbits
	.p2align	6, 0x0
	.amdhsa_kernel _ZN2at6native12_GLOBAL__N_125multi_tensor_apply_kernelINS1_18TensorListMetadataILi1EEENS1_14UnaryOpFunctorIfLi1ELi1ELi0EEEJNS0_4ErfcIfEEEEEvT_T0_DpT1_
		.amdhsa_group_segment_fixed_size 0
		.amdhsa_private_segment_fixed_size 0
		.amdhsa_kernarg_size 3632
		.amdhsa_user_sgpr_count 6
		.amdhsa_user_sgpr_private_segment_buffer 1
		.amdhsa_user_sgpr_dispatch_ptr 0
		.amdhsa_user_sgpr_queue_ptr 0
		.amdhsa_user_sgpr_kernarg_segment_ptr 1
		.amdhsa_user_sgpr_dispatch_id 0
		.amdhsa_user_sgpr_flat_scratch_init 0
		.amdhsa_user_sgpr_private_segment_size 0
		.amdhsa_uses_dynamic_stack 0
		.amdhsa_system_sgpr_private_segment_wavefront_offset 0
		.amdhsa_system_sgpr_workgroup_id_x 1
		.amdhsa_system_sgpr_workgroup_id_y 0
		.amdhsa_system_sgpr_workgroup_id_z 0
		.amdhsa_system_sgpr_workgroup_info 0
		.amdhsa_system_vgpr_workitem_id 0
		.amdhsa_next_free_vgpr 29
		.amdhsa_next_free_sgpr 32
		.amdhsa_reserve_vcc 1
		.amdhsa_reserve_flat_scratch 0
		.amdhsa_float_round_mode_32 0
		.amdhsa_float_round_mode_16_64 0
		.amdhsa_float_denorm_mode_32 3
		.amdhsa_float_denorm_mode_16_64 3
		.amdhsa_dx10_clamp 1
		.amdhsa_ieee_mode 1
		.amdhsa_fp16_overflow 0
		.amdhsa_exception_fp_ieee_invalid_op 0
		.amdhsa_exception_fp_denorm_src 0
		.amdhsa_exception_fp_ieee_div_zero 0
		.amdhsa_exception_fp_ieee_overflow 0
		.amdhsa_exception_fp_ieee_underflow 0
		.amdhsa_exception_fp_ieee_inexact 0
		.amdhsa_exception_int_div_zero 0
	.end_amdhsa_kernel
	.section	.text._ZN2at6native12_GLOBAL__N_125multi_tensor_apply_kernelINS1_18TensorListMetadataILi1EEENS1_14UnaryOpFunctorIfLi1ELi1ELi0EEEJNS0_4ErfcIfEEEEEvT_T0_DpT1_,"axG",@progbits,_ZN2at6native12_GLOBAL__N_125multi_tensor_apply_kernelINS1_18TensorListMetadataILi1EEENS1_14UnaryOpFunctorIfLi1ELi1ELi0EEEJNS0_4ErfcIfEEEEEvT_T0_DpT1_,comdat
.Lfunc_end5:
	.size	_ZN2at6native12_GLOBAL__N_125multi_tensor_apply_kernelINS1_18TensorListMetadataILi1EEENS1_14UnaryOpFunctorIfLi1ELi1ELi0EEEJNS0_4ErfcIfEEEEEvT_T0_DpT1_, .Lfunc_end5-_ZN2at6native12_GLOBAL__N_125multi_tensor_apply_kernelINS1_18TensorListMetadataILi1EEENS1_14UnaryOpFunctorIfLi1ELi1ELi0EEEJNS0_4ErfcIfEEEEEvT_T0_DpT1_
                                        ; -- End function
	.set _ZN2at6native12_GLOBAL__N_125multi_tensor_apply_kernelINS1_18TensorListMetadataILi1EEENS1_14UnaryOpFunctorIfLi1ELi1ELi0EEEJNS0_4ErfcIfEEEEEvT_T0_DpT1_.num_vgpr, 29
	.set _ZN2at6native12_GLOBAL__N_125multi_tensor_apply_kernelINS1_18TensorListMetadataILi1EEENS1_14UnaryOpFunctorIfLi1ELi1ELi0EEEJNS0_4ErfcIfEEEEEvT_T0_DpT1_.num_agpr, 0
	.set _ZN2at6native12_GLOBAL__N_125multi_tensor_apply_kernelINS1_18TensorListMetadataILi1EEENS1_14UnaryOpFunctorIfLi1ELi1ELi0EEEJNS0_4ErfcIfEEEEEvT_T0_DpT1_.numbered_sgpr, 32
	.set _ZN2at6native12_GLOBAL__N_125multi_tensor_apply_kernelINS1_18TensorListMetadataILi1EEENS1_14UnaryOpFunctorIfLi1ELi1ELi0EEEJNS0_4ErfcIfEEEEEvT_T0_DpT1_.num_named_barrier, 0
	.set _ZN2at6native12_GLOBAL__N_125multi_tensor_apply_kernelINS1_18TensorListMetadataILi1EEENS1_14UnaryOpFunctorIfLi1ELi1ELi0EEEJNS0_4ErfcIfEEEEEvT_T0_DpT1_.private_seg_size, 0
	.set _ZN2at6native12_GLOBAL__N_125multi_tensor_apply_kernelINS1_18TensorListMetadataILi1EEENS1_14UnaryOpFunctorIfLi1ELi1ELi0EEEJNS0_4ErfcIfEEEEEvT_T0_DpT1_.uses_vcc, 1
	.set _ZN2at6native12_GLOBAL__N_125multi_tensor_apply_kernelINS1_18TensorListMetadataILi1EEENS1_14UnaryOpFunctorIfLi1ELi1ELi0EEEJNS0_4ErfcIfEEEEEvT_T0_DpT1_.uses_flat_scratch, 0
	.set _ZN2at6native12_GLOBAL__N_125multi_tensor_apply_kernelINS1_18TensorListMetadataILi1EEENS1_14UnaryOpFunctorIfLi1ELi1ELi0EEEJNS0_4ErfcIfEEEEEvT_T0_DpT1_.has_dyn_sized_stack, 0
	.set _ZN2at6native12_GLOBAL__N_125multi_tensor_apply_kernelINS1_18TensorListMetadataILi1EEENS1_14UnaryOpFunctorIfLi1ELi1ELi0EEEJNS0_4ErfcIfEEEEEvT_T0_DpT1_.has_recursion, 0
	.set _ZN2at6native12_GLOBAL__N_125multi_tensor_apply_kernelINS1_18TensorListMetadataILi1EEENS1_14UnaryOpFunctorIfLi1ELi1ELi0EEEJNS0_4ErfcIfEEEEEvT_T0_DpT1_.has_indirect_call, 0
	.section	.AMDGPU.csdata,"",@progbits
; Kernel info:
; codeLenInByte = 3544
; TotalNumSgprs: 36
; NumVgprs: 29
; ScratchSize: 0
; MemoryBound: 0
; FloatMode: 240
; IeeeMode: 1
; LDSByteSize: 0 bytes/workgroup (compile time only)
; SGPRBlocks: 4
; VGPRBlocks: 7
; NumSGPRsForWavesPerEU: 36
; NumVGPRsForWavesPerEU: 29
; Occupancy: 8
; WaveLimiterHint : 0
; COMPUTE_PGM_RSRC2:SCRATCH_EN: 0
; COMPUTE_PGM_RSRC2:USER_SGPR: 6
; COMPUTE_PGM_RSRC2:TRAP_HANDLER: 0
; COMPUTE_PGM_RSRC2:TGID_X_EN: 1
; COMPUTE_PGM_RSRC2:TGID_Y_EN: 0
; COMPUTE_PGM_RSRC2:TGID_Z_EN: 0
; COMPUTE_PGM_RSRC2:TIDIG_COMP_CNT: 0
	.section	.text._ZN2at6native12_GLOBAL__N_125multi_tensor_apply_kernelINS1_18TensorListMetadataILi1EEENS1_14UnaryOpFunctorIN3c104HalfELi1ELi1ELi0EEEJNS0_4ErfcIfEEEEEvT_T0_DpT1_,"axG",@progbits,_ZN2at6native12_GLOBAL__N_125multi_tensor_apply_kernelINS1_18TensorListMetadataILi1EEENS1_14UnaryOpFunctorIN3c104HalfELi1ELi1ELi0EEEJNS0_4ErfcIfEEEEEvT_T0_DpT1_,comdat
	.globl	_ZN2at6native12_GLOBAL__N_125multi_tensor_apply_kernelINS1_18TensorListMetadataILi1EEENS1_14UnaryOpFunctorIN3c104HalfELi1ELi1ELi0EEEJNS0_4ErfcIfEEEEEvT_T0_DpT1_ ; -- Begin function _ZN2at6native12_GLOBAL__N_125multi_tensor_apply_kernelINS1_18TensorListMetadataILi1EEENS1_14UnaryOpFunctorIN3c104HalfELi1ELi1ELi0EEEJNS0_4ErfcIfEEEEEvT_T0_DpT1_
	.p2align	8
	.type	_ZN2at6native12_GLOBAL__N_125multi_tensor_apply_kernelINS1_18TensorListMetadataILi1EEENS1_14UnaryOpFunctorIN3c104HalfELi1ELi1ELi0EEEJNS0_4ErfcIfEEEEEvT_T0_DpT1_,@function
_ZN2at6native12_GLOBAL__N_125multi_tensor_apply_kernelINS1_18TensorListMetadataILi1EEENS1_14UnaryOpFunctorIN3c104HalfELi1ELi1ELi0EEEJNS0_4ErfcIfEEEEEvT_T0_DpT1_: ; @_ZN2at6native12_GLOBAL__N_125multi_tensor_apply_kernelINS1_18TensorListMetadataILi1EEENS1_14UnaryOpFunctorIN3c104HalfELi1ELi1ELi0EEEJNS0_4ErfcIfEEEEEvT_T0_DpT1_
; %bb.0:
	v_mov_b32_e32 v1, s6
	global_load_ubyte v1, v1, s[4:5] offset:1760
	s_add_u32 s0, s4, s6
	s_mul_hi_u32 s1, s6, 3
	s_mul_i32 s6, s6, 3
	s_addc_u32 s2, s5, 0
	s_add_u32 s0, s0, s6
	s_addc_u32 s1, s2, s1
	s_load_dword s0, s[0:1], 0x820
	s_mov_b32 s7, 0
	s_waitcnt vmcnt(0)
	v_readfirstlane_b32 s1, v1
	s_lshl_b32 s1, s1, 3
	s_load_dwordx2 s[2:3], s[4:5], s1 offset:0x370
	s_load_dwordx2 s[10:11], s[4:5], s1 offset:0x0
	s_waitcnt lgkmcnt(0)
	s_ashr_i32 s1, s0, 31
	s_lshl_b64 s[12:13], s[0:1], 17
	s_lshl_b64 s[0:1], s[0:1], 16
	s_and_b32 s6, s10, 7
	s_sub_u32 s14, s2, s0
	s_subb_u32 s15, s3, s1
	s_and_b32 s0, s2, 3
	s_mov_b32 s1, s7
	s_or_b64 s[0:1], s[6:7], s[0:1]
	s_cmp_eq_u64 s[0:1], 0
	s_cbranch_scc1 .LBB6_21
; %bb.1:
	v_cmp_lt_i64_e64 s[0:1], s[14:15], 1
	s_and_b64 vcc, exec, s[0:1]
	s_cbranch_vccnz .LBB6_20
; %bb.2:
	v_mov_b32_e32 v1, 0x10000
	s_load_dword s2, s[4:5], 0xd3c
	v_mov_b32_e32 v2, 0
	v_cmp_lt_i64_e32 vcc, s[14:15], v[1:2]
	s_mov_b64 s[20:21], 0
	s_and_b64 s[0:1], vcc, exec
	v_cmp_lt_u64_e32 vcc, s[14:15], v[1:2]
	s_cselect_b32 s17, s15, 0
	s_cselect_b32 s16, s14, 0x10000
	s_waitcnt lgkmcnt(0)
	s_and_b32 s2, s2, 0xffff
	s_and_b64 s[0:1], vcc, exec
	s_cselect_b32 s19, s15, 0
	s_cselect_b32 s18, s14, 0x10000
	s_lshl_b32 s3, s2, 1
	s_lshl_b32 s24, s2, 2
	s_add_u32 s6, s10, s12
	v_lshlrev_b32_e32 v1, 1, v0
	s_addc_u32 s7, s11, s13
	v_mov_b32_e32 v2, s7
	v_add_co_u32_e32 v1, vcc, s6, v1
	s_mul_i32 s0, s2, 3
	v_addc_co_u32_e32 v2, vcc, 0, v2, vcc
	v_add_co_u32_e32 v5, vcc, s0, v0
	v_addc_co_u32_e64 v6, s[0:1], 0, 0, vcc
	v_add_co_u32_e32 v7, vcc, s3, v0
	v_addc_co_u32_e64 v8, s[0:1], 0, 0, vcc
	v_add_co_u32_e32 v9, vcc, s2, v0
	v_lshlrev_b32_e32 v3, 1, v9
	v_addc_co_u32_e64 v10, s[0:1], 0, 0, vcc
	v_mov_b32_e32 v4, s7
	v_add_co_u32_e32 v3, vcc, s6, v3
	s_lshl_b32 s25, s2, 3
	s_mul_i32 s26, s2, 6
	v_addc_co_u32_e32 v4, vcc, 0, v4, vcc
	s_mov_b32 s27, 0x3fb8aa3b
	s_mov_b32 s28, 0xc2ce8ed0
	;; [unrolled: 1-line block ×3, first 2 shown]
	s_mov_b32 s30, -2.0
	v_mov_b32_e32 v11, 0x3aad2fb4
	v_mov_b32_e32 v12, 0x3c0da267
	;; [unrolled: 1-line block ×8, first 2 shown]
	s_mov_b32 s31, 0x4120ddfc
	v_mov_b32_e32 v19, 0x7f800000
	s_branch .LBB6_4
.LBB6_3:                                ;   in Loop: Header=BB6_4 Depth=1
	s_or_b64 exec, exec, s[0:1]
	s_add_u32 s20, s20, s24
	v_add_co_u32_e32 v1, vcc, s25, v1
	s_waitcnt vmcnt(0)
	v_mov_b32_e32 v21, s17
	s_addc_u32 s21, s21, 0
	v_addc_co_u32_e32 v2, vcc, 0, v2, vcc
	v_mov_b32_e32 v20, s16
	v_cmp_lt_i64_e32 vcc, s[20:21], v[20:21]
	v_add_co_u32_e64 v3, s[0:1], s25, v3
	v_addc_co_u32_e64 v4, s[0:1], 0, v4, s[0:1]
	s_cbranch_vccz .LBB6_20
.LBB6_4:                                ; =>This Inner Loop Header: Depth=1
	v_mov_b32_e32 v21, s21
	v_add_co_u32_e32 v20, vcc, s20, v0
	v_addc_co_u32_e32 v21, vcc, 0, v21, vcc
	v_cmp_gt_u64_e64 s[6:7], s[18:19], v[20:21]
	v_mov_b32_e32 v23, 0
	s_and_saveexec_b64 s[0:1], s[6:7]
	s_cbranch_execz .LBB6_6
; %bb.5:                                ;   in Loop: Header=BB6_4 Depth=1
	global_load_ushort v23, v[1:2], off
.LBB6_6:                                ;   in Loop: Header=BB6_4 Depth=1
	s_or_b64 exec, exec, s[0:1]
	v_mov_b32_e32 v21, s21
	v_add_co_u32_e32 v20, vcc, s20, v9
	v_addc_co_u32_e32 v21, vcc, v10, v21, vcc
	v_cmp_gt_u64_e64 s[2:3], s[18:19], v[20:21]
	v_mov_b32_e32 v21, 0
	v_mov_b32_e32 v22, 0
	s_and_saveexec_b64 s[0:1], s[2:3]
	s_cbranch_execz .LBB6_8
; %bb.7:                                ;   in Loop: Header=BB6_4 Depth=1
	global_load_ushort v22, v[3:4], off
.LBB6_8:                                ;   in Loop: Header=BB6_4 Depth=1
	s_or_b64 exec, exec, s[0:1]
	v_mov_b32_e32 v20, s21
	v_add_co_u32_e32 v24, vcc, s20, v7
	v_addc_co_u32_e32 v25, vcc, v8, v20, vcc
	v_cmp_gt_u64_e64 s[0:1], s[18:19], v[24:25]
	s_and_saveexec_b64 s[8:9], s[0:1]
	s_cbranch_execz .LBB6_10
; %bb.9:                                ;   in Loop: Header=BB6_4 Depth=1
	v_add_co_u32_e32 v20, vcc, s24, v1
	v_addc_co_u32_e32 v21, vcc, 0, v2, vcc
	global_load_ushort v21, v[20:21], off
.LBB6_10:                               ;   in Loop: Header=BB6_4 Depth=1
	s_or_b64 exec, exec, s[8:9]
	v_mov_b32_e32 v20, s21
	v_add_co_u32_e32 v24, vcc, s20, v5
	v_addc_co_u32_e32 v25, vcc, v6, v20, vcc
	v_cmp_gt_u64_e32 vcc, s[18:19], v[24:25]
	v_mov_b32_e32 v20, 0
	s_and_saveexec_b64 s[22:23], vcc
	s_cbranch_execnz .LBB6_15
; %bb.11:                               ;   in Loop: Header=BB6_4 Depth=1
	s_or_b64 exec, exec, s[22:23]
	s_and_saveexec_b64 s[8:9], s[6:7]
	s_cbranch_execnz .LBB6_16
.LBB6_12:                               ;   in Loop: Header=BB6_4 Depth=1
	s_or_b64 exec, exec, s[8:9]
	s_and_saveexec_b64 s[6:7], s[2:3]
	s_cbranch_execnz .LBB6_17
.LBB6_13:                               ;   in Loop: Header=BB6_4 Depth=1
	s_or_b64 exec, exec, s[6:7]
	s_and_saveexec_b64 s[2:3], s[0:1]
	s_cbranch_execnz .LBB6_18
.LBB6_14:                               ;   in Loop: Header=BB6_4 Depth=1
	s_or_b64 exec, exec, s[2:3]
	s_and_saveexec_b64 s[0:1], vcc
	s_cbranch_execz .LBB6_3
	s_branch .LBB6_19
.LBB6_15:                               ;   in Loop: Header=BB6_4 Depth=1
	v_add_co_u32_e64 v24, s[8:9], s26, v1
	v_addc_co_u32_e64 v25, s[8:9], 0, v2, s[8:9]
	global_load_ushort v20, v[24:25], off
	s_or_b64 exec, exec, s[22:23]
	s_and_saveexec_b64 s[8:9], s[6:7]
	s_cbranch_execz .LBB6_12
.LBB6_16:                               ;   in Loop: Header=BB6_4 Depth=1
	s_waitcnt vmcnt(0)
	v_cvt_f32_f16_e32 v24, v23
	v_mul_f32_e64 v25, v24, -v24
	v_mul_f32_e32 v26, 0x3fb8aa3b, v25
	v_rndne_f32_e32 v27, v26
	v_fma_f32 v28, v25, s27, -v26
	v_sub_f32_e32 v26, v26, v27
	v_fmac_f32_e32 v28, 0x32a5705f, v25
	v_add_f32_e32 v26, v26, v28
	v_cvt_i32_f32_e32 v27, v27
	v_exp_f32_e32 v26, v26
	v_add_f32_e64 v28, |v24|, 2.0
	v_cmp_ngt_f32_e64 s[6:7], s28, v25
	v_fma_mix_f32 v29, -v23, v23, -v25 op_sel_hi:[1,1,0]
	v_ldexp_f32 v26, v26, v27
	v_rcp_f32_e32 v27, v28
	v_cndmask_b32_e64 v26, 0, v26, s[6:7]
	v_cmp_nlt_f32_e64 s[6:7], s29, v25
	v_cndmask_b32_e64 v25, v19, v26, s[6:7]
	v_add_f32_e64 v26, |v24|, -2.0
	v_mul_f32_e32 v26, v26, v27
	v_add_f32_e32 v28, 1.0, v26
	v_fma_mix_f32 v28, v28, s30, |v23| op_sel_hi:[0,0,1]
	v_fma_mix_f32 v28, -v26, |v23|, v28 op_sel_hi:[0,1,0]
	v_fmac_f32_e32 v26, v27, v28
	v_mov_b32_e32 v28, 0xbaa2d753
	v_fmac_f32_e32 v28, 0xb9d6f8c4, v26
	v_fma_f32 v28, v26, v28, v11
	v_fma_f32 v28, v26, v28, v12
	v_add_f32_e64 v27, |v24|, |v24|
	v_fma_f32 v28, v26, v28, v13
	v_fmac_f32_e32 v25, v25, v29
	v_fma_f32 v28, v26, v28, v14
	v_add_f32_e32 v29, 1.0, v27
	v_fma_f32 v28, v26, v28, v15
	v_rcp_f32_e32 v29, v29
	v_fma_f32 v28, v26, v28, v16
	v_fma_f32 v28, v26, v28, v17
	;; [unrolled: 1-line block ×4, first 2 shown]
	v_fma_f32 v27, -v28, v27, 1.0
	v_sub_f32_e32 v26, v26, v28
	v_add_f32_e32 v26, v27, v26
	v_fmac_f32_e32 v28, v29, v26
	v_mul_f32_e32 v25, v25, v28
	v_cmp_ngt_f32_e64 s[6:7], |v24|, s31
	v_cndmask_b32_e64 v24, 0, v25, s[6:7]
	v_sub_f32_e32 v25, 2.0, v24
	v_cmp_gt_f16_e64 s[6:7], 0, v23
	v_cndmask_b32_e64 v23, v24, v25, s[6:7]
	v_cvt_f16_f32_e32 v23, v23
	global_store_short v[1:2], v23, off
	s_or_b64 exec, exec, s[8:9]
	s_and_saveexec_b64 s[6:7], s[2:3]
	s_cbranch_execz .LBB6_13
.LBB6_17:                               ;   in Loop: Header=BB6_4 Depth=1
	s_waitcnt vmcnt(0)
	v_cvt_f32_f16_e32 v23, v22
	v_mul_f32_e64 v24, v23, -v23
	v_mul_f32_e32 v25, 0x3fb8aa3b, v24
	v_rndne_f32_e32 v26, v25
	v_fma_f32 v27, v24, s27, -v25
	v_sub_f32_e32 v25, v25, v26
	v_fmac_f32_e32 v27, 0x32a5705f, v24
	v_add_f32_e32 v25, v25, v27
	v_cvt_i32_f32_e32 v26, v26
	v_exp_f32_e32 v25, v25
	v_add_f32_e64 v27, |v23|, 2.0
	v_cmp_ngt_f32_e64 s[2:3], s28, v24
	v_fma_mix_f32 v28, -v22, v22, -v24 op_sel_hi:[1,1,0]
	v_ldexp_f32 v25, v25, v26
	v_rcp_f32_e32 v26, v27
	v_cndmask_b32_e64 v25, 0, v25, s[2:3]
	v_cmp_nlt_f32_e64 s[2:3], s29, v24
	v_cndmask_b32_e64 v24, v19, v25, s[2:3]
	v_add_f32_e64 v25, |v23|, -2.0
	v_mul_f32_e32 v25, v25, v26
	v_add_f32_e32 v27, 1.0, v25
	v_fma_mix_f32 v27, v27, s30, |v22| op_sel_hi:[0,0,1]
	v_fma_mix_f32 v27, -v25, |v22|, v27 op_sel_hi:[0,1,0]
	v_fmac_f32_e32 v25, v26, v27
	v_mov_b32_e32 v26, 0xbaa2d753
	v_fmac_f32_e32 v26, 0xb9d6f8c4, v25
	v_fma_f32 v26, v25, v26, v11
	v_fma_f32 v26, v25, v26, v12
	;; [unrolled: 1-line block ×3, first 2 shown]
	v_add_f32_e64 v27, |v23|, |v23|
	v_fmac_f32_e32 v24, v24, v28
	v_fma_f32 v26, v25, v26, v14
	v_add_f32_e32 v28, 1.0, v27
	v_fma_f32 v26, v25, v26, v15
	v_rcp_f32_e32 v28, v28
	v_fma_f32 v26, v25, v26, v16
	v_fma_f32 v26, v25, v26, v17
	;; [unrolled: 1-line block ×4, first 2 shown]
	v_fma_f32 v27, -v26, v27, 1.0
	v_sub_f32_e32 v25, v25, v26
	v_add_f32_e32 v25, v27, v25
	v_fmac_f32_e32 v26, v28, v25
	v_mul_f32_e32 v24, v24, v26
	v_cmp_ngt_f32_e64 s[2:3], |v23|, s31
	v_cndmask_b32_e64 v23, 0, v24, s[2:3]
	v_sub_f32_e32 v24, 2.0, v23
	v_cmp_gt_f16_e64 s[2:3], 0, v22
	v_cndmask_b32_e64 v22, v23, v24, s[2:3]
	v_cvt_f16_f32_e32 v22, v22
	global_store_short v[3:4], v22, off
	s_or_b64 exec, exec, s[6:7]
	s_and_saveexec_b64 s[2:3], s[0:1]
	s_cbranch_execz .LBB6_14
.LBB6_18:                               ;   in Loop: Header=BB6_4 Depth=1
	s_waitcnt vmcnt(0)
	v_cvt_f32_f16_e32 v22, v21
	v_mul_f32_e64 v23, v22, -v22
	v_mul_f32_e32 v24, 0x3fb8aa3b, v23
	v_rndne_f32_e32 v25, v24
	v_fma_f32 v26, v23, s27, -v24
	v_sub_f32_e32 v24, v24, v25
	v_fmac_f32_e32 v26, 0x32a5705f, v23
	v_add_f32_e32 v24, v24, v26
	v_cvt_i32_f32_e32 v25, v25
	v_exp_f32_e32 v24, v24
	v_add_f32_e64 v26, |v22|, 2.0
	v_cmp_ngt_f32_e64 s[0:1], s28, v23
	v_fma_mix_f32 v27, -v21, v21, -v23 op_sel_hi:[1,1,0]
	v_ldexp_f32 v24, v24, v25
	v_rcp_f32_e32 v25, v26
	v_cndmask_b32_e64 v24, 0, v24, s[0:1]
	v_cmp_nlt_f32_e64 s[0:1], s29, v23
	v_cndmask_b32_e64 v23, v19, v24, s[0:1]
	v_add_f32_e64 v24, |v22|, -2.0
	v_mul_f32_e32 v24, v24, v25
	v_add_f32_e32 v26, 1.0, v24
	v_fma_mix_f32 v26, v26, s30, |v21| op_sel_hi:[0,0,1]
	v_fma_mix_f32 v26, -v24, |v21|, v26 op_sel_hi:[0,1,0]
	v_fmac_f32_e32 v24, v25, v26
	v_mov_b32_e32 v25, 0xbaa2d753
	v_fmac_f32_e32 v25, 0xb9d6f8c4, v24
	v_fma_f32 v25, v24, v25, v11
	v_fma_f32 v25, v24, v25, v12
	;; [unrolled: 1-line block ×3, first 2 shown]
	v_add_f32_e64 v26, |v22|, |v22|
	v_fmac_f32_e32 v23, v23, v27
	v_fma_f32 v25, v24, v25, v14
	v_add_f32_e32 v27, 1.0, v26
	v_fma_f32 v25, v24, v25, v15
	v_rcp_f32_e32 v27, v27
	v_fma_f32 v25, v24, v25, v16
	v_fma_f32 v25, v24, v25, v17
	;; [unrolled: 1-line block ×4, first 2 shown]
	v_fma_f32 v26, -v25, v26, 1.0
	v_sub_f32_e32 v24, v24, v25
	v_add_f32_e32 v24, v26, v24
	v_fmac_f32_e32 v25, v27, v24
	v_mul_f32_e32 v23, v23, v25
	v_cmp_ngt_f32_e64 s[0:1], |v22|, s31
	v_cndmask_b32_e64 v22, 0, v23, s[0:1]
	v_sub_f32_e32 v23, 2.0, v22
	v_cmp_gt_f16_e64 s[0:1], 0, v21
	v_cndmask_b32_e64 v21, v22, v23, s[0:1]
	v_cvt_f16_f32_e32 v23, v21
	v_add_co_u32_e64 v21, s[0:1], s24, v1
	v_addc_co_u32_e64 v22, s[0:1], 0, v2, s[0:1]
	global_store_short v[21:22], v23, off
	s_or_b64 exec, exec, s[2:3]
	s_and_saveexec_b64 s[0:1], vcc
	s_cbranch_execz .LBB6_3
.LBB6_19:                               ;   in Loop: Header=BB6_4 Depth=1
	s_waitcnt vmcnt(0)
	v_cvt_f32_f16_e32 v21, v20
	v_mul_f32_e64 v22, v21, -v21
	v_mul_f32_e32 v23, 0x3fb8aa3b, v22
	v_rndne_f32_e32 v24, v23
	v_fma_f32 v25, v22, s27, -v23
	v_sub_f32_e32 v23, v23, v24
	v_fmac_f32_e32 v25, 0x32a5705f, v22
	v_add_f32_e32 v23, v23, v25
	v_cvt_i32_f32_e32 v24, v24
	v_exp_f32_e32 v23, v23
	v_add_f32_e64 v25, |v21|, 2.0
	v_cmp_ngt_f32_e32 vcc, s28, v22
	v_fma_mix_f32 v26, -v20, v20, -v22 op_sel_hi:[1,1,0]
	v_ldexp_f32 v23, v23, v24
	v_rcp_f32_e32 v24, v25
	v_cndmask_b32_e32 v23, 0, v23, vcc
	v_cmp_nlt_f32_e32 vcc, s29, v22
	v_cndmask_b32_e32 v22, v19, v23, vcc
	v_add_f32_e64 v23, |v21|, -2.0
	v_mul_f32_e32 v23, v23, v24
	v_add_f32_e32 v25, 1.0, v23
	v_fma_mix_f32 v25, v25, s30, |v20| op_sel_hi:[0,0,1]
	v_fma_mix_f32 v25, -v23, |v20|, v25 op_sel_hi:[0,1,0]
	v_fmac_f32_e32 v23, v24, v25
	v_mov_b32_e32 v24, 0xbaa2d753
	v_fmac_f32_e32 v24, 0xb9d6f8c4, v23
	v_fma_f32 v24, v23, v24, v11
	v_fma_f32 v24, v23, v24, v12
	;; [unrolled: 1-line block ×3, first 2 shown]
	v_add_f32_e64 v25, |v21|, |v21|
	v_fmac_f32_e32 v22, v22, v26
	v_fma_f32 v24, v23, v24, v14
	v_add_f32_e32 v26, 1.0, v25
	v_fma_f32 v24, v23, v24, v15
	v_rcp_f32_e32 v26, v26
	v_fma_f32 v24, v23, v24, v16
	v_fma_f32 v24, v23, v24, v17
	;; [unrolled: 1-line block ×4, first 2 shown]
	v_fma_f32 v25, -v24, v25, 1.0
	v_sub_f32_e32 v23, v23, v24
	v_add_f32_e32 v23, v25, v23
	v_fmac_f32_e32 v24, v26, v23
	v_mul_f32_e32 v22, v22, v24
	v_cmp_ngt_f32_e64 vcc, |v21|, s31
	v_cndmask_b32_e32 v21, 0, v22, vcc
	v_sub_f32_e32 v22, 2.0, v21
	v_cmp_gt_f16_e32 vcc, 0, v20
	v_cndmask_b32_e32 v20, v21, v22, vcc
	v_cvt_f16_f32_e32 v22, v20
	v_add_co_u32_e32 v20, vcc, s26, v1
	v_addc_co_u32_e32 v21, vcc, 0, v2, vcc
	global_store_short v[20:21], v22, off
	s_branch .LBB6_3
.LBB6_20:
	s_cbranch_execz .LBB6_22
	s_branch .LBB6_25
.LBB6_21:
.LBB6_22:
	v_mov_b32_e32 v1, 0x10000
	v_mov_b32_e32 v2, 0
	v_cmp_lt_i64_e32 vcc, s[14:15], v[1:2]
	v_mov_b32_e32 v2, 0
	s_and_b64 s[0:1], vcc, exec
	s_cselect_b32 s3, s15, 0
	s_cselect_b32 s2, s14, 0x10000
	v_lshlrev_b32_e32 v1, 2, v0
	v_cmp_gt_i64_e32 vcc, s[2:3], v[1:2]
	s_and_saveexec_b64 s[0:1], vcc
	s_cbranch_execz .LBB6_25
; %bb.23:
	s_load_dword s0, s[4:5], 0xd3c
	v_lshlrev_b32_e32 v3, 3, v0
	v_mov_b32_e32 v1, v2
	s_mov_b64 s[4:5], 0
	s_mov_b32 s8, 0x3fb8aa3b
	s_waitcnt lgkmcnt(0)
	s_and_b32 s6, s0, 0xffff
	s_add_u32 s0, s10, s12
	s_addc_u32 s1, s11, s13
	v_mov_b32_e32 v4, s1
	v_add_co_u32_e32 v3, vcc, s0, v3
	v_addc_co_u32_e32 v4, vcc, 0, v4, vcc
	v_add_co_u32_e32 v3, vcc, 4, v3
	v_addc_co_u32_e32 v4, vcc, 0, v4, vcc
	s_lshl_b32 s7, s6, 3
	s_mov_b32 s9, 0xc2ce8ed0
	s_mov_b32 s10, 0x42b17218
	v_mov_b32_e32 v7, 0x7f800000
	s_mov_b32 s11, -2.0
	v_mov_b32_e32 v8, 0x3aad2fb4
	v_mov_b32_e32 v9, 0x3c0da267
	;; [unrolled: 1-line block ×8, first 2 shown]
	s_mov_b32 s12, 0x4120ddfc
.LBB6_24:                               ; =>This Inner Loop Header: Depth=1
	global_load_dwordx2 v[5:6], v[3:4], off offset:-4
	v_mov_b32_e32 v17, 0xbaa2d753
	v_mov_b32_e32 v18, 0xbaa2d753
	s_waitcnt vmcnt(0)
	v_cvt_f32_f16_e32 v16, v5
	v_cvt_f32_f16_sdwa v19, v5 dst_sel:DWORD dst_unused:UNUSED_PAD src0_sel:WORD_1
	v_add_f32_e64 v22, |v16|, 2.0
	v_rcp_f32_e32 v22, v22
	v_add_f32_e64 v21, |v16|, -2.0
	v_add_f32_e64 v25, |v19|, 2.0
	v_rcp_f32_e32 v25, v25
	v_mul_f32_e32 v21, v21, v22
	v_add_f32_e32 v26, 1.0, v21
	v_fma_mix_f32 v26, v26, s11, |v5| op_sel_hi:[0,0,1]
	v_fma_mix_f32 v26, -v21, |v5|, v26 op_sel_hi:[0,1,0]
	v_fmac_f32_e32 v21, v22, v26
	v_add_f32_e64 v22, |v19|, -2.0
	v_mul_f32_e32 v22, v22, v25
	v_fmac_f32_e32 v17, 0xb9d6f8c4, v21
	v_add_f32_e32 v26, 1.0, v22
	v_fma_f32 v17, v21, v17, v8
	v_fma_mix_f32 v26, v26, s11, |v5| op_sel:[0,0,1] op_sel_hi:[0,0,1]
	v_fma_f32 v17, v21, v17, v9
	v_add_f32_e64 v23, |v16|, |v16|
	v_fma_mix_f32 v26, -v22, |v5|, v26 op_sel:[0,1,0] op_sel_hi:[0,1,0]
	v_fma_f32 v17, v21, v17, v10
	v_fmac_f32_e32 v22, v25, v26
	v_add_f32_e32 v26, 1.0, v23
	v_fma_f32 v17, v21, v17, v11
	v_rcp_f32_e32 v26, v26
	v_fma_f32 v17, v21, v17, v12
	v_fma_f32 v17, v21, v17, v13
	;; [unrolled: 1-line block ×4, first 2 shown]
	v_fmac_f32_e32 v18, 0xb9d6f8c4, v22
	v_fma_f32 v21, v17, v26, v26
	v_fma_f32 v18, v22, v18, v8
	v_fma_f32 v23, -v21, v23, 1.0
	v_sub_f32_e32 v17, v17, v21
	v_fma_f32 v18, v22, v18, v9
	v_add_f32_e64 v25, |v19|, |v19|
	v_add_f32_e32 v17, v23, v17
	v_fma_f32 v18, v22, v18, v10
	v_fmac_f32_e32 v21, v26, v17
	v_add_f32_e32 v26, 1.0, v25
	v_fma_f32 v18, v22, v18, v11
	v_rcp_f32_e32 v26, v26
	v_fma_f32 v18, v22, v18, v12
	v_fma_f32 v18, v22, v18, v13
	;; [unrolled: 1-line block ×5, first 2 shown]
	v_mul_f32_e64 v20, v16, -v16
	v_fma_f32 v25, -v22, v25, 1.0
	v_sub_f32_e32 v18, v18, v22
	v_mul_f32_e32 v23, 0x3fb8aa3b, v20
	v_add_f32_e32 v18, v25, v18
	v_mul_f32_e64 v24, v19, -v19
	v_rndne_f32_e32 v25, v23
	v_fmac_f32_e32 v22, v26, v18
	v_fma_f32 v18, v20, s8, -v23
	v_mul_f32_e32 v17, 0x3fb8aa3b, v24
	v_sub_f32_e32 v23, v23, v25
	v_fmac_f32_e32 v18, 0x32a5705f, v20
	v_fma_f32 v26, v24, s8, -v17
	v_add_f32_e32 v18, v23, v18
	v_rndne_f32_e32 v23, v17
	v_fmac_f32_e32 v26, 0x32a5705f, v24
	v_sub_f32_e32 v17, v17, v23
	v_add_f32_e32 v17, v17, v26
	v_cvt_f32_f16_e32 v26, v6
	v_cvt_i32_f32_e32 v25, v25
	v_exp_f32_e32 v18, v18
	v_cvt_i32_f32_e32 v23, v23
	v_mul_f32_e64 v27, v26, -v26
	v_mul_f32_e32 v28, 0x3fb8aa3b, v27
	v_exp_f32_e32 v17, v17
	v_rndne_f32_e32 v29, v28
	v_fma_f32 v30, v27, s8, -v28
	v_sub_f32_e32 v28, v28, v29
	v_fmac_f32_e32 v30, 0x32a5705f, v27
	v_add_f32_e32 v28, v28, v30
	v_ldexp_f32 v18, v18, v25
	v_ldexp_f32 v17, v17, v23
	v_cvt_i32_f32_e32 v23, v29
	v_exp_f32_e32 v25, v28
	v_cmp_ngt_f32_e32 vcc, s9, v20
	v_cndmask_b32_e32 v18, 0, v18, vcc
	v_cmp_nlt_f32_e32 vcc, s10, v20
	v_cmp_ngt_f32_e64 s[0:1], s9, v24
	v_fma_mix_f32 v20, -v5, v5, -v20 op_sel_hi:[1,1,0]
	v_cndmask_b32_e64 v17, 0, v17, s[0:1]
	v_cmp_nlt_f32_e64 s[0:1], s10, v24
	v_cndmask_b32_e32 v18, v7, v18, vcc
	v_ldexp_f32 v23, v25, v23
	v_fma_mix_f32 v24, -v5, v5, -v24 op_sel:[1,1,0] op_sel_hi:[1,1,0]
	v_fmac_f32_e32 v18, v18, v20
	v_cmp_ngt_f32_e32 vcc, s9, v27
	v_cndmask_b32_e64 v17, v7, v17, s[0:1]
	v_cndmask_b32_e32 v23, 0, v23, vcc
	v_fmac_f32_e32 v17, v17, v24
	v_mul_f32_e32 v18, v18, v21
	v_cmp_ngt_f32_e64 vcc, |v16|, s12
	v_mul_f32_e32 v17, v17, v22
	v_cndmask_b32_e32 v16, 0, v18, vcc
	v_cmp_ngt_f32_e64 vcc, |v19|, s12
	v_cndmask_b32_e32 v17, 0, v17, vcc
	v_sub_f32_e32 v19, 2.0, v16
	v_cmp_gt_f16_e32 vcc, 0, v5
	v_cndmask_b32_e32 v16, v16, v19, vcc
	v_add_f32_e64 v19, |v26|, 2.0
	v_rcp_f32_e32 v19, v19
	v_cmp_nlt_f32_e32 vcc, s10, v27
	v_fma_mix_f32 v20, -v6, v6, -v27 op_sel_hi:[1,1,0]
	v_cndmask_b32_e32 v21, v7, v23, vcc
	v_fmac_f32_e32 v21, v21, v20
	v_add_f32_e64 v20, |v26|, -2.0
	v_mul_f32_e32 v20, v20, v19
	v_add_f32_e32 v22, 1.0, v20
	v_fma_mix_f32 v22, v22, s11, |v6| op_sel_hi:[0,0,1]
	v_fma_mix_f32 v22, -v20, |v6|, v22 op_sel_hi:[0,1,0]
	v_fmac_f32_e32 v20, v19, v22
	v_mov_b32_e32 v19, 0xbaa2d753
	v_fmac_f32_e32 v19, 0xb9d6f8c4, v20
	v_fma_f32 v19, v20, v19, v8
	v_fma_f32 v19, v20, v19, v9
	;; [unrolled: 1-line block ×3, first 2 shown]
	v_add_f32_e64 v22, |v26|, |v26|
	v_fma_f32 v19, v20, v19, v11
	v_add_f32_e32 v23, 1.0, v22
	v_fma_f32 v19, v20, v19, v12
	v_rcp_f32_e32 v23, v23
	v_fma_f32 v19, v20, v19, v13
	v_fma_f32 v19, v20, v19, v14
	;; [unrolled: 1-line block ×4, first 2 shown]
	v_fma_f32 v22, -v20, v22, 1.0
	v_sub_f32_e32 v19, v19, v20
	v_add_f32_e32 v19, v22, v19
	v_fmac_f32_e32 v20, v23, v19
	v_mul_f32_e32 v19, v21, v20
	v_cvt_f32_f16_sdwa v20, v6 dst_sel:DWORD dst_unused:UNUSED_PAD src0_sel:WORD_1
	v_cmp_ngt_f32_e64 vcc, |v26|, s12
	v_cndmask_b32_e32 v19, 0, v19, vcc
	v_sub_f32_e32 v21, 2.0, v19
	v_mul_f32_e64 v22, v20, -v20
	v_mul_f32_e32 v23, 0x3fb8aa3b, v22
	v_fma_f32 v24, v22, s8, -v23
	v_rndne_f32_e32 v25, v23
	v_fmac_f32_e32 v24, 0x32a5705f, v22
	v_sub_f32_e32 v23, v23, v25
	v_add_f32_e32 v23, v23, v24
	v_exp_f32_e32 v23, v23
	v_cvt_i32_f32_e32 v24, v25
	v_cmp_gt_f16_e32 vcc, 0, v6
	v_cndmask_b32_e32 v19, v19, v21, vcc
	v_cmp_ngt_f32_e32 vcc, s9, v22
	v_ldexp_f32 v23, v23, v24
	v_add_f32_e64 v24, |v20|, 2.0
	v_rcp_f32_e32 v24, v24
	v_cndmask_b32_e32 v23, 0, v23, vcc
	v_cmp_nlt_f32_e32 vcc, s10, v22
	v_fma_mix_f32 v21, -v6, v6, -v22 op_sel:[1,1,0] op_sel_hi:[1,1,0]
	v_cndmask_b32_e32 v22, v7, v23, vcc
	v_fmac_f32_e32 v22, v22, v21
	v_add_f32_e64 v21, |v20|, -2.0
	v_mul_f32_e32 v21, v21, v24
	v_add_f32_e32 v23, 1.0, v21
	v_fma_mix_f32 v23, v23, s11, |v6| op_sel:[0,0,1] op_sel_hi:[0,0,1]
	v_fma_mix_f32 v23, -v21, |v6|, v23 op_sel:[0,1,0] op_sel_hi:[0,1,0]
	v_fmac_f32_e32 v21, v24, v23
	v_mov_b32_e32 v23, 0xbaa2d753
	v_fmac_f32_e32 v23, 0xb9d6f8c4, v21
	v_fma_f32 v23, v21, v23, v8
	v_fma_f32 v23, v21, v23, v9
	v_fma_f32 v23, v21, v23, v10
	v_add_f32_e64 v24, |v20|, |v20|
	v_fma_f32 v23, v21, v23, v11
	v_add_f32_e32 v25, 1.0, v24
	v_fma_f32 v23, v21, v23, v12
	v_rcp_f32_e32 v25, v25
	v_fma_f32 v23, v21, v23, v13
	v_fma_f32 v23, v21, v23, v14
	;; [unrolled: 1-line block ×4, first 2 shown]
	v_fma_f32 v24, -v23, v24, 1.0
	v_sub_f32_e32 v21, v21, v23
	v_add_f32_e32 v21, v24, v21
	v_fmac_f32_e32 v23, v25, v21
	v_mul_f32_e32 v21, v22, v23
	v_cmp_ngt_f32_e64 vcc, |v20|, s12
	v_cndmask_b32_e32 v20, 0, v21, vcc
	v_sub_f32_e32 v21, 2.0, v20
	v_cmp_lt_f16_sdwa vcc, v6, v2 src0_sel:WORD_1 src1_sel:DWORD
	v_sub_f32_e32 v18, 2.0, v17
	v_cndmask_b32_e32 v6, v20, v21, vcc
	v_cmp_lt_f16_sdwa vcc, v5, v2 src0_sel:WORD_1 src1_sel:DWORD
	v_cndmask_b32_e32 v5, v17, v18, vcc
	v_add_co_u32_e32 v0, vcc, s6, v0
	v_cvt_f16_f32_e32 v16, v16
	v_cvt_f16_f32_e32 v19, v19
	v_cvt_f16_f32_e32 v6, v6
	v_cvt_f16_f32_e32 v5, v5
	v_addc_co_u32_e32 v1, vcc, 0, v1, vcc
	v_lshlrev_b64 v[17:18], 2, v[0:1]
	v_pack_b32_f16 v6, v19, v6
	v_cmp_le_i64_e32 vcc, s[2:3], v[17:18]
	v_pack_b32_f16 v5, v16, v5
	global_store_dwordx2 v[3:4], v[5:6], off offset:-4
	s_or_b64 s[4:5], vcc, s[4:5]
	v_add_co_u32_e32 v3, vcc, s7, v3
	v_addc_co_u32_e32 v4, vcc, 0, v4, vcc
	s_andn2_b64 exec, exec, s[4:5]
	s_cbranch_execnz .LBB6_24
.LBB6_25:
	s_endpgm
	.section	.rodata,"a",@progbits
	.p2align	6, 0x0
	.amdhsa_kernel _ZN2at6native12_GLOBAL__N_125multi_tensor_apply_kernelINS1_18TensorListMetadataILi1EEENS1_14UnaryOpFunctorIN3c104HalfELi1ELi1ELi0EEEJNS0_4ErfcIfEEEEEvT_T0_DpT1_
		.amdhsa_group_segment_fixed_size 0
		.amdhsa_private_segment_fixed_size 0
		.amdhsa_kernarg_size 3632
		.amdhsa_user_sgpr_count 6
		.amdhsa_user_sgpr_private_segment_buffer 1
		.amdhsa_user_sgpr_dispatch_ptr 0
		.amdhsa_user_sgpr_queue_ptr 0
		.amdhsa_user_sgpr_kernarg_segment_ptr 1
		.amdhsa_user_sgpr_dispatch_id 0
		.amdhsa_user_sgpr_flat_scratch_init 0
		.amdhsa_user_sgpr_private_segment_size 0
		.amdhsa_uses_dynamic_stack 0
		.amdhsa_system_sgpr_private_segment_wavefront_offset 0
		.amdhsa_system_sgpr_workgroup_id_x 1
		.amdhsa_system_sgpr_workgroup_id_y 0
		.amdhsa_system_sgpr_workgroup_id_z 0
		.amdhsa_system_sgpr_workgroup_info 0
		.amdhsa_system_vgpr_workitem_id 0
		.amdhsa_next_free_vgpr 31
		.amdhsa_next_free_sgpr 32
		.amdhsa_reserve_vcc 1
		.amdhsa_reserve_flat_scratch 0
		.amdhsa_float_round_mode_32 0
		.amdhsa_float_round_mode_16_64 0
		.amdhsa_float_denorm_mode_32 3
		.amdhsa_float_denorm_mode_16_64 3
		.amdhsa_dx10_clamp 1
		.amdhsa_ieee_mode 1
		.amdhsa_fp16_overflow 0
		.amdhsa_exception_fp_ieee_invalid_op 0
		.amdhsa_exception_fp_denorm_src 0
		.amdhsa_exception_fp_ieee_div_zero 0
		.amdhsa_exception_fp_ieee_overflow 0
		.amdhsa_exception_fp_ieee_underflow 0
		.amdhsa_exception_fp_ieee_inexact 0
		.amdhsa_exception_int_div_zero 0
	.end_amdhsa_kernel
	.section	.text._ZN2at6native12_GLOBAL__N_125multi_tensor_apply_kernelINS1_18TensorListMetadataILi1EEENS1_14UnaryOpFunctorIN3c104HalfELi1ELi1ELi0EEEJNS0_4ErfcIfEEEEEvT_T0_DpT1_,"axG",@progbits,_ZN2at6native12_GLOBAL__N_125multi_tensor_apply_kernelINS1_18TensorListMetadataILi1EEENS1_14UnaryOpFunctorIN3c104HalfELi1ELi1ELi0EEEJNS0_4ErfcIfEEEEEvT_T0_DpT1_,comdat
.Lfunc_end6:
	.size	_ZN2at6native12_GLOBAL__N_125multi_tensor_apply_kernelINS1_18TensorListMetadataILi1EEENS1_14UnaryOpFunctorIN3c104HalfELi1ELi1ELi0EEEJNS0_4ErfcIfEEEEEvT_T0_DpT1_, .Lfunc_end6-_ZN2at6native12_GLOBAL__N_125multi_tensor_apply_kernelINS1_18TensorListMetadataILi1EEENS1_14UnaryOpFunctorIN3c104HalfELi1ELi1ELi0EEEJNS0_4ErfcIfEEEEEvT_T0_DpT1_
                                        ; -- End function
	.set _ZN2at6native12_GLOBAL__N_125multi_tensor_apply_kernelINS1_18TensorListMetadataILi1EEENS1_14UnaryOpFunctorIN3c104HalfELi1ELi1ELi0EEEJNS0_4ErfcIfEEEEEvT_T0_DpT1_.num_vgpr, 31
	.set _ZN2at6native12_GLOBAL__N_125multi_tensor_apply_kernelINS1_18TensorListMetadataILi1EEENS1_14UnaryOpFunctorIN3c104HalfELi1ELi1ELi0EEEJNS0_4ErfcIfEEEEEvT_T0_DpT1_.num_agpr, 0
	.set _ZN2at6native12_GLOBAL__N_125multi_tensor_apply_kernelINS1_18TensorListMetadataILi1EEENS1_14UnaryOpFunctorIN3c104HalfELi1ELi1ELi0EEEJNS0_4ErfcIfEEEEEvT_T0_DpT1_.numbered_sgpr, 32
	.set _ZN2at6native12_GLOBAL__N_125multi_tensor_apply_kernelINS1_18TensorListMetadataILi1EEENS1_14UnaryOpFunctorIN3c104HalfELi1ELi1ELi0EEEJNS0_4ErfcIfEEEEEvT_T0_DpT1_.num_named_barrier, 0
	.set _ZN2at6native12_GLOBAL__N_125multi_tensor_apply_kernelINS1_18TensorListMetadataILi1EEENS1_14UnaryOpFunctorIN3c104HalfELi1ELi1ELi0EEEJNS0_4ErfcIfEEEEEvT_T0_DpT1_.private_seg_size, 0
	.set _ZN2at6native12_GLOBAL__N_125multi_tensor_apply_kernelINS1_18TensorListMetadataILi1EEENS1_14UnaryOpFunctorIN3c104HalfELi1ELi1ELi0EEEJNS0_4ErfcIfEEEEEvT_T0_DpT1_.uses_vcc, 1
	.set _ZN2at6native12_GLOBAL__N_125multi_tensor_apply_kernelINS1_18TensorListMetadataILi1EEENS1_14UnaryOpFunctorIN3c104HalfELi1ELi1ELi0EEEJNS0_4ErfcIfEEEEEvT_T0_DpT1_.uses_flat_scratch, 0
	.set _ZN2at6native12_GLOBAL__N_125multi_tensor_apply_kernelINS1_18TensorListMetadataILi1EEENS1_14UnaryOpFunctorIN3c104HalfELi1ELi1ELi0EEEJNS0_4ErfcIfEEEEEvT_T0_DpT1_.has_dyn_sized_stack, 0
	.set _ZN2at6native12_GLOBAL__N_125multi_tensor_apply_kernelINS1_18TensorListMetadataILi1EEENS1_14UnaryOpFunctorIN3c104HalfELi1ELi1ELi0EEEJNS0_4ErfcIfEEEEEvT_T0_DpT1_.has_recursion, 0
	.set _ZN2at6native12_GLOBAL__N_125multi_tensor_apply_kernelINS1_18TensorListMetadataILi1EEENS1_14UnaryOpFunctorIN3c104HalfELi1ELi1ELi0EEEJNS0_4ErfcIfEEEEEvT_T0_DpT1_.has_indirect_call, 0
	.section	.AMDGPU.csdata,"",@progbits
; Kernel info:
; codeLenInByte = 3644
; TotalNumSgprs: 36
; NumVgprs: 31
; ScratchSize: 0
; MemoryBound: 0
; FloatMode: 240
; IeeeMode: 1
; LDSByteSize: 0 bytes/workgroup (compile time only)
; SGPRBlocks: 4
; VGPRBlocks: 7
; NumSGPRsForWavesPerEU: 36
; NumVGPRsForWavesPerEU: 31
; Occupancy: 8
; WaveLimiterHint : 0
; COMPUTE_PGM_RSRC2:SCRATCH_EN: 0
; COMPUTE_PGM_RSRC2:USER_SGPR: 6
; COMPUTE_PGM_RSRC2:TRAP_HANDLER: 0
; COMPUTE_PGM_RSRC2:TGID_X_EN: 1
; COMPUTE_PGM_RSRC2:TGID_Y_EN: 0
; COMPUTE_PGM_RSRC2:TGID_Z_EN: 0
; COMPUTE_PGM_RSRC2:TIDIG_COMP_CNT: 0
	.section	.text._ZN2at6native12_GLOBAL__N_125multi_tensor_apply_kernelINS1_18TensorListMetadataILi1EEENS1_14UnaryOpFunctorIN3c108BFloat16ELi1ELi1ELi0EEEJNS0_4ErfcIfEEEEEvT_T0_DpT1_,"axG",@progbits,_ZN2at6native12_GLOBAL__N_125multi_tensor_apply_kernelINS1_18TensorListMetadataILi1EEENS1_14UnaryOpFunctorIN3c108BFloat16ELi1ELi1ELi0EEEJNS0_4ErfcIfEEEEEvT_T0_DpT1_,comdat
	.globl	_ZN2at6native12_GLOBAL__N_125multi_tensor_apply_kernelINS1_18TensorListMetadataILi1EEENS1_14UnaryOpFunctorIN3c108BFloat16ELi1ELi1ELi0EEEJNS0_4ErfcIfEEEEEvT_T0_DpT1_ ; -- Begin function _ZN2at6native12_GLOBAL__N_125multi_tensor_apply_kernelINS1_18TensorListMetadataILi1EEENS1_14UnaryOpFunctorIN3c108BFloat16ELi1ELi1ELi0EEEJNS0_4ErfcIfEEEEEvT_T0_DpT1_
	.p2align	8
	.type	_ZN2at6native12_GLOBAL__N_125multi_tensor_apply_kernelINS1_18TensorListMetadataILi1EEENS1_14UnaryOpFunctorIN3c108BFloat16ELi1ELi1ELi0EEEJNS0_4ErfcIfEEEEEvT_T0_DpT1_,@function
_ZN2at6native12_GLOBAL__N_125multi_tensor_apply_kernelINS1_18TensorListMetadataILi1EEENS1_14UnaryOpFunctorIN3c108BFloat16ELi1ELi1ELi0EEEJNS0_4ErfcIfEEEEEvT_T0_DpT1_: ; @_ZN2at6native12_GLOBAL__N_125multi_tensor_apply_kernelINS1_18TensorListMetadataILi1EEENS1_14UnaryOpFunctorIN3c108BFloat16ELi1ELi1ELi0EEEJNS0_4ErfcIfEEEEEvT_T0_DpT1_
; %bb.0:
	v_mov_b32_e32 v1, s6
	global_load_ubyte v1, v1, s[4:5] offset:1760
	s_add_u32 s0, s4, s6
	s_mul_hi_u32 s1, s6, 3
	s_mul_i32 s6, s6, 3
	s_addc_u32 s2, s5, 0
	s_add_u32 s0, s0, s6
	s_addc_u32 s1, s2, s1
	s_load_dword s0, s[0:1], 0x820
	s_mov_b32 s7, 0
	s_waitcnt vmcnt(0)
	v_readfirstlane_b32 s1, v1
	s_lshl_b32 s1, s1, 3
	s_load_dwordx2 s[2:3], s[4:5], s1 offset:0x370
	s_load_dwordx2 s[10:11], s[4:5], s1 offset:0x0
	s_waitcnt lgkmcnt(0)
	s_ashr_i32 s1, s0, 31
	s_lshl_b64 s[12:13], s[0:1], 17
	s_lshl_b64 s[0:1], s[0:1], 16
	s_and_b32 s6, s10, 7
	s_sub_u32 s14, s2, s0
	s_subb_u32 s15, s3, s1
	s_and_b32 s0, s2, 3
	s_mov_b32 s1, s7
	s_or_b64 s[0:1], s[6:7], s[0:1]
	s_cmp_eq_u64 s[0:1], 0
	s_cbranch_scc1 .LBB7_21
; %bb.1:
	v_cmp_lt_i64_e64 s[0:1], s[14:15], 1
	s_and_b64 vcc, exec, s[0:1]
	s_cbranch_vccnz .LBB7_20
; %bb.2:
	v_mov_b32_e32 v1, 0x10000
	s_load_dword s2, s[4:5], 0xd3c
	v_mov_b32_e32 v2, 0
	v_cmp_lt_i64_e32 vcc, s[14:15], v[1:2]
	s_mov_b64 s[20:21], 0
	s_and_b64 s[0:1], vcc, exec
	v_cmp_lt_u64_e32 vcc, s[14:15], v[1:2]
	s_cselect_b32 s17, s15, 0
	s_cselect_b32 s16, s14, 0x10000
	s_waitcnt lgkmcnt(0)
	s_and_b32 s2, s2, 0xffff
	s_and_b64 s[0:1], vcc, exec
	s_cselect_b32 s19, s15, 0
	s_cselect_b32 s18, s14, 0x10000
	s_lshl_b32 s3, s2, 1
	s_lshl_b32 s24, s2, 2
	s_add_u32 s6, s10, s12
	v_lshlrev_b32_e32 v1, 1, v0
	s_addc_u32 s7, s11, s13
	v_mov_b32_e32 v2, s7
	v_add_co_u32_e32 v1, vcc, s6, v1
	s_mul_i32 s0, s2, 3
	v_addc_co_u32_e32 v2, vcc, 0, v2, vcc
	v_add_co_u32_e32 v5, vcc, s0, v0
	v_addc_co_u32_e64 v6, s[0:1], 0, 0, vcc
	v_add_co_u32_e32 v7, vcc, s3, v0
	v_addc_co_u32_e64 v8, s[0:1], 0, 0, vcc
	v_add_co_u32_e32 v9, vcc, s2, v0
	v_lshlrev_b32_e32 v3, 1, v9
	v_addc_co_u32_e64 v10, s[0:1], 0, 0, vcc
	v_mov_b32_e32 v4, s7
	v_add_co_u32_e32 v3, vcc, s6, v3
	s_lshl_b32 s25, s2, 3
	s_mul_i32 s26, s2, 6
	v_addc_co_u32_e32 v4, vcc, 0, v4, vcc
	s_mov_b32 s27, 0x3fb8aa3b
	s_mov_b32 s28, 0xc2ce8ed0
	;; [unrolled: 1-line block ×3, first 2 shown]
	v_mov_b32_e32 v11, 0x3aad2fb4
	v_mov_b32_e32 v12, 0x3c0da267
	;; [unrolled: 1-line block ×8, first 2 shown]
	s_mov_b32 s30, 0x4120ddfc
	s_movk_i32 s31, 0x7fff
	v_mov_b32_e32 v19, 0x7f800000
	v_mov_b32_e32 v20, 0x7fc0
	s_branch .LBB7_4
.LBB7_3:                                ;   in Loop: Header=BB7_4 Depth=1
	s_or_b64 exec, exec, s[2:3]
	s_add_u32 s20, s20, s24
	v_add_co_u32_e32 v1, vcc, s25, v1
	v_mov_b32_e32 v22, s17
	s_addc_u32 s21, s21, 0
	v_addc_co_u32_e32 v2, vcc, 0, v2, vcc
	v_mov_b32_e32 v21, s16
	v_cmp_lt_i64_e32 vcc, s[20:21], v[21:22]
	v_add_co_u32_e64 v3, s[0:1], s25, v3
	v_addc_co_u32_e64 v4, s[0:1], 0, v4, s[0:1]
	s_cbranch_vccz .LBB7_20
.LBB7_4:                                ; =>This Inner Loop Header: Depth=1
	v_mov_b32_e32 v22, s21
	v_add_co_u32_e32 v21, vcc, s20, v0
	v_addc_co_u32_e32 v22, vcc, 0, v22, vcc
	v_cmp_gt_u64_e32 vcc, s[18:19], v[21:22]
	v_mov_b32_e32 v24, 0
	s_and_saveexec_b64 s[0:1], vcc
	s_cbranch_execz .LBB7_6
; %bb.5:                                ;   in Loop: Header=BB7_4 Depth=1
	global_load_ushort v21, v[1:2], off
	s_waitcnt vmcnt(0)
	v_lshlrev_b32_e32 v24, 16, v21
.LBB7_6:                                ;   in Loop: Header=BB7_4 Depth=1
	s_or_b64 exec, exec, s[0:1]
	v_mov_b32_e32 v22, s21
	v_add_co_u32_e64 v21, s[0:1], s20, v9
	v_addc_co_u32_e64 v22, s[0:1], v10, v22, s[0:1]
	v_cmp_gt_u64_e64 s[6:7], s[18:19], v[21:22]
	v_mov_b32_e32 v22, 0
	v_mov_b32_e32 v23, 0
	s_and_saveexec_b64 s[0:1], s[6:7]
	s_cbranch_execz .LBB7_8
; %bb.7:                                ;   in Loop: Header=BB7_4 Depth=1
	global_load_ushort v21, v[3:4], off
	s_waitcnt vmcnt(0)
	v_lshlrev_b32_e32 v23, 16, v21
.LBB7_8:                                ;   in Loop: Header=BB7_4 Depth=1
	s_or_b64 exec, exec, s[0:1]
	v_mov_b32_e32 v21, s21
	v_add_co_u32_e64 v25, s[0:1], s20, v7
	v_addc_co_u32_e64 v26, s[0:1], v8, v21, s[0:1]
	v_cmp_gt_u64_e64 s[2:3], s[18:19], v[25:26]
	s_and_saveexec_b64 s[8:9], s[2:3]
	s_cbranch_execz .LBB7_10
; %bb.9:                                ;   in Loop: Header=BB7_4 Depth=1
	v_add_co_u32_e64 v21, s[0:1], s24, v1
	v_addc_co_u32_e64 v22, s[0:1], 0, v2, s[0:1]
	global_load_ushort v21, v[21:22], off
	s_waitcnt vmcnt(0)
	v_lshlrev_b32_e32 v22, 16, v21
.LBB7_10:                               ;   in Loop: Header=BB7_4 Depth=1
	s_or_b64 exec, exec, s[8:9]
	v_mov_b32_e32 v21, s21
	v_add_co_u32_e64 v25, s[0:1], s20, v5
	v_addc_co_u32_e64 v26, s[0:1], v6, v21, s[0:1]
	v_cmp_gt_u64_e64 s[0:1], s[18:19], v[25:26]
	v_mov_b32_e32 v21, 0
	s_and_saveexec_b64 s[22:23], s[0:1]
	s_cbranch_execnz .LBB7_15
; %bb.11:                               ;   in Loop: Header=BB7_4 Depth=1
	s_or_b64 exec, exec, s[22:23]
	s_and_saveexec_b64 s[8:9], vcc
	s_cbranch_execnz .LBB7_16
.LBB7_12:                               ;   in Loop: Header=BB7_4 Depth=1
	s_or_b64 exec, exec, s[8:9]
	s_and_saveexec_b64 s[8:9], s[6:7]
	s_cbranch_execnz .LBB7_17
.LBB7_13:                               ;   in Loop: Header=BB7_4 Depth=1
	s_or_b64 exec, exec, s[8:9]
	s_and_saveexec_b64 s[6:7], s[2:3]
	s_cbranch_execnz .LBB7_18
.LBB7_14:                               ;   in Loop: Header=BB7_4 Depth=1
	s_or_b64 exec, exec, s[6:7]
	s_and_saveexec_b64 s[2:3], s[0:1]
	s_cbranch_execz .LBB7_3
	s_branch .LBB7_19
.LBB7_15:                               ;   in Loop: Header=BB7_4 Depth=1
	v_add_co_u32_e64 v25, s[8:9], s26, v1
	v_addc_co_u32_e64 v26, s[8:9], 0, v2, s[8:9]
	global_load_ushort v21, v[25:26], off
	s_waitcnt vmcnt(0)
	v_lshlrev_b32_e32 v21, 16, v21
	s_or_b64 exec, exec, s[22:23]
	s_and_saveexec_b64 s[8:9], vcc
	s_cbranch_execz .LBB7_12
.LBB7_16:                               ;   in Loop: Header=BB7_4 Depth=1
	v_mul_f32_e64 v25, v24, -v24
	v_mul_f32_e32 v26, 0x3fb8aa3b, v25
	v_rndne_f32_e32 v27, v26
	v_sub_f32_e32 v28, v26, v27
	v_fma_f32 v26, v25, s27, -v26
	v_fmac_f32_e32 v26, 0x32a5705f, v25
	v_add_f32_e32 v26, v28, v26
	v_cvt_i32_f32_e32 v27, v27
	v_exp_f32_e32 v26, v26
	v_cmp_ngt_f32_e32 vcc, s28, v25
	v_ldexp_f32 v26, v26, v27
	v_add_f32_e64 v27, |v24|, 2.0
	v_rcp_f32_e32 v27, v27
	v_cndmask_b32_e32 v26, 0, v26, vcc
	v_cmp_nlt_f32_e32 vcc, s29, v25
	v_cndmask_b32_e32 v26, v19, v26, vcc
	v_fma_f32 v25, -v24, v24, -v25
	v_fmac_f32_e32 v26, v26, v25
	v_add_f32_e64 v25, |v24|, -2.0
	v_mul_f32_e32 v25, v25, v27
	v_add_f32_e32 v28, 1.0, v25
	v_fma_f32 v28, v28, -2.0, |v24|
	v_fma_f32 v28, -v25, |v24|, v28
	v_fmac_f32_e32 v25, v27, v28
	v_mov_b32_e32 v28, 0xbaa2d753
	v_fmac_f32_e32 v28, 0xb9d6f8c4, v25
	v_fma_f32 v28, v25, v28, v11
	v_fma_f32 v28, v25, v28, v12
	v_add_f32_e64 v27, |v24|, |v24|
	v_fma_f32 v28, v25, v28, v13
	v_fma_f32 v28, v25, v28, v14
	v_add_f32_e32 v29, 1.0, v27
	v_fma_f32 v28, v25, v28, v15
	v_rcp_f32_e32 v29, v29
	v_fma_f32 v28, v25, v28, v16
	v_fma_f32 v28, v25, v28, v17
	;; [unrolled: 1-line block ×4, first 2 shown]
	v_fma_f32 v27, -v28, v27, 1.0
	v_sub_f32_e32 v25, v25, v28
	v_add_f32_e32 v25, v27, v25
	v_fmac_f32_e32 v28, v29, v25
	v_mul_f32_e32 v25, v26, v28
	v_cmp_ngt_f32_e64 vcc, |v24|, s30
	v_cndmask_b32_e32 v25, 0, v25, vcc
	v_sub_f32_e32 v26, 2.0, v25
	v_cmp_gt_f32_e32 vcc, 0, v24
	v_cndmask_b32_e32 v24, v25, v26, vcc
	v_bfe_u32 v25, v24, 16, 1
	v_add3_u32 v25, v24, v25, s31
	v_cmp_o_f32_e32 vcc, v24, v24
	v_cndmask_b32_sdwa v24, v20, v25, vcc dst_sel:DWORD dst_unused:UNUSED_PAD src0_sel:DWORD src1_sel:WORD_1
	global_store_short v[1:2], v24, off
	s_or_b64 exec, exec, s[8:9]
	s_and_saveexec_b64 s[8:9], s[6:7]
	s_cbranch_execz .LBB7_13
.LBB7_17:                               ;   in Loop: Header=BB7_4 Depth=1
	v_mul_f32_e64 v24, v23, -v23
	v_mul_f32_e32 v25, 0x3fb8aa3b, v24
	v_rndne_f32_e32 v26, v25
	v_sub_f32_e32 v27, v25, v26
	v_fma_f32 v25, v24, s27, -v25
	v_fmac_f32_e32 v25, 0x32a5705f, v24
	v_add_f32_e32 v25, v27, v25
	v_exp_f32_e32 v25, v25
	v_cvt_i32_f32_e32 v26, v26
	v_cmp_ngt_f32_e32 vcc, s28, v24
	v_fma_f32 v27, -v23, v23, -v24
	v_ldexp_f32 v25, v25, v26
	v_add_f32_e64 v26, |v23|, 2.0
	v_rcp_f32_e32 v26, v26
	v_cndmask_b32_e32 v25, 0, v25, vcc
	v_cmp_nlt_f32_e32 vcc, s29, v24
	v_cndmask_b32_e32 v24, v19, v25, vcc
	v_add_f32_e64 v25, |v23|, -2.0
	v_mul_f32_e32 v25, v25, v26
	v_fmac_f32_e32 v24, v24, v27
	v_add_f32_e32 v27, 1.0, v25
	v_fma_f32 v27, v27, -2.0, |v23|
	v_fma_f32 v27, -v25, |v23|, v27
	v_fmac_f32_e32 v25, v26, v27
	v_mov_b32_e32 v26, 0xbaa2d753
	v_fmac_f32_e32 v26, 0xb9d6f8c4, v25
	v_fma_f32 v26, v25, v26, v11
	v_fma_f32 v26, v25, v26, v12
	;; [unrolled: 1-line block ×3, first 2 shown]
	v_add_f32_e64 v27, |v23|, |v23|
	v_fma_f32 v26, v25, v26, v14
	v_add_f32_e32 v28, 1.0, v27
	v_fma_f32 v26, v25, v26, v15
	v_rcp_f32_e32 v28, v28
	v_fma_f32 v26, v25, v26, v16
	v_fma_f32 v26, v25, v26, v17
	;; [unrolled: 1-line block ×4, first 2 shown]
	v_fma_f32 v27, -v26, v27, 1.0
	v_sub_f32_e32 v25, v25, v26
	v_add_f32_e32 v25, v27, v25
	v_fmac_f32_e32 v26, v28, v25
	v_mul_f32_e32 v24, v24, v26
	v_cmp_ngt_f32_e64 vcc, |v23|, s30
	v_cndmask_b32_e32 v24, 0, v24, vcc
	v_sub_f32_e32 v25, 2.0, v24
	v_cmp_gt_f32_e32 vcc, 0, v23
	v_cndmask_b32_e32 v23, v24, v25, vcc
	v_bfe_u32 v24, v23, 16, 1
	v_add3_u32 v24, v23, v24, s31
	v_cmp_o_f32_e32 vcc, v23, v23
	v_cndmask_b32_sdwa v23, v20, v24, vcc dst_sel:DWORD dst_unused:UNUSED_PAD src0_sel:DWORD src1_sel:WORD_1
	global_store_short v[3:4], v23, off
	s_or_b64 exec, exec, s[8:9]
	s_and_saveexec_b64 s[6:7], s[2:3]
	s_cbranch_execz .LBB7_14
.LBB7_18:                               ;   in Loop: Header=BB7_4 Depth=1
	v_mul_f32_e64 v23, v22, -v22
	v_mul_f32_e32 v24, 0x3fb8aa3b, v23
	v_rndne_f32_e32 v25, v24
	v_sub_f32_e32 v26, v24, v25
	v_fma_f32 v24, v23, s27, -v24
	v_fmac_f32_e32 v24, 0x32a5705f, v23
	v_add_f32_e32 v24, v26, v24
	v_exp_f32_e32 v24, v24
	v_cvt_i32_f32_e32 v25, v25
	v_cmp_ngt_f32_e32 vcc, s28, v23
	v_fma_f32 v26, -v22, v22, -v23
	v_ldexp_f32 v24, v24, v25
	v_add_f32_e64 v25, |v22|, 2.0
	v_rcp_f32_e32 v25, v25
	v_cndmask_b32_e32 v24, 0, v24, vcc
	v_cmp_nlt_f32_e32 vcc, s29, v23
	v_cndmask_b32_e32 v23, v19, v24, vcc
	v_add_f32_e64 v24, |v22|, -2.0
	v_mul_f32_e32 v24, v24, v25
	v_fmac_f32_e32 v23, v23, v26
	v_add_f32_e32 v26, 1.0, v24
	v_fma_f32 v26, v26, -2.0, |v22|
	v_fma_f32 v26, -v24, |v22|, v26
	v_fmac_f32_e32 v24, v25, v26
	v_mov_b32_e32 v25, 0xbaa2d753
	v_fmac_f32_e32 v25, 0xb9d6f8c4, v24
	v_fma_f32 v25, v24, v25, v11
	v_fma_f32 v25, v24, v25, v12
	;; [unrolled: 1-line block ×3, first 2 shown]
	v_add_f32_e64 v26, |v22|, |v22|
	v_fma_f32 v25, v24, v25, v14
	v_add_f32_e32 v27, 1.0, v26
	v_fma_f32 v25, v24, v25, v15
	v_rcp_f32_e32 v27, v27
	v_fma_f32 v25, v24, v25, v16
	v_fma_f32 v25, v24, v25, v17
	;; [unrolled: 1-line block ×4, first 2 shown]
	v_fma_f32 v26, -v25, v26, 1.0
	v_sub_f32_e32 v24, v24, v25
	v_add_f32_e32 v24, v26, v24
	v_fmac_f32_e32 v25, v27, v24
	v_mul_f32_e32 v23, v23, v25
	v_cmp_ngt_f32_e64 vcc, |v22|, s30
	v_cndmask_b32_e32 v23, 0, v23, vcc
	v_sub_f32_e32 v24, 2.0, v23
	v_cmp_gt_f32_e32 vcc, 0, v22
	v_cndmask_b32_e32 v22, v23, v24, vcc
	v_bfe_u32 v23, v22, 16, 1
	v_add3_u32 v23, v22, v23, s31
	v_cmp_o_f32_e32 vcc, v22, v22
	v_cndmask_b32_sdwa v24, v20, v23, vcc dst_sel:DWORD dst_unused:UNUSED_PAD src0_sel:DWORD src1_sel:WORD_1
	v_add_co_u32_e32 v22, vcc, s24, v1
	v_addc_co_u32_e32 v23, vcc, 0, v2, vcc
	global_store_short v[22:23], v24, off
	s_or_b64 exec, exec, s[6:7]
	s_and_saveexec_b64 s[2:3], s[0:1]
	s_cbranch_execz .LBB7_3
.LBB7_19:                               ;   in Loop: Header=BB7_4 Depth=1
	v_mul_f32_e64 v22, v21, -v21
	v_mul_f32_e32 v23, 0x3fb8aa3b, v22
	v_rndne_f32_e32 v24, v23
	v_sub_f32_e32 v25, v23, v24
	v_fma_f32 v23, v22, s27, -v23
	v_fmac_f32_e32 v23, 0x32a5705f, v22
	v_add_f32_e32 v23, v25, v23
	v_exp_f32_e32 v23, v23
	v_cvt_i32_f32_e32 v24, v24
	v_cmp_ngt_f32_e32 vcc, s28, v22
	v_fma_f32 v25, -v21, v21, -v22
	v_ldexp_f32 v23, v23, v24
	v_add_f32_e64 v24, |v21|, 2.0
	v_rcp_f32_e32 v24, v24
	v_cndmask_b32_e32 v23, 0, v23, vcc
	v_cmp_nlt_f32_e32 vcc, s29, v22
	v_cndmask_b32_e32 v22, v19, v23, vcc
	v_add_f32_e64 v23, |v21|, -2.0
	v_mul_f32_e32 v23, v23, v24
	v_fmac_f32_e32 v22, v22, v25
	v_add_f32_e32 v25, 1.0, v23
	v_fma_f32 v25, v25, -2.0, |v21|
	v_fma_f32 v25, -v23, |v21|, v25
	v_fmac_f32_e32 v23, v24, v25
	v_mov_b32_e32 v24, 0xbaa2d753
	v_fmac_f32_e32 v24, 0xb9d6f8c4, v23
	v_fma_f32 v24, v23, v24, v11
	v_fma_f32 v24, v23, v24, v12
	;; [unrolled: 1-line block ×3, first 2 shown]
	v_add_f32_e64 v25, |v21|, |v21|
	v_fma_f32 v24, v23, v24, v14
	v_add_f32_e32 v26, 1.0, v25
	v_fma_f32 v24, v23, v24, v15
	v_rcp_f32_e32 v26, v26
	v_fma_f32 v24, v23, v24, v16
	v_fma_f32 v24, v23, v24, v17
	;; [unrolled: 1-line block ×4, first 2 shown]
	v_fma_f32 v25, -v24, v25, 1.0
	v_sub_f32_e32 v23, v23, v24
	v_add_f32_e32 v23, v25, v23
	v_fmac_f32_e32 v24, v26, v23
	v_mul_f32_e32 v22, v22, v24
	v_cmp_ngt_f32_e64 vcc, |v21|, s30
	v_cndmask_b32_e32 v22, 0, v22, vcc
	v_sub_f32_e32 v23, 2.0, v22
	v_cmp_gt_f32_e32 vcc, 0, v21
	v_cndmask_b32_e32 v21, v22, v23, vcc
	v_bfe_u32 v22, v21, 16, 1
	v_add3_u32 v22, v21, v22, s31
	v_cmp_o_f32_e32 vcc, v21, v21
	v_cndmask_b32_sdwa v23, v20, v22, vcc dst_sel:DWORD dst_unused:UNUSED_PAD src0_sel:DWORD src1_sel:WORD_1
	v_add_co_u32_e32 v21, vcc, s26, v1
	v_addc_co_u32_e32 v22, vcc, 0, v2, vcc
	global_store_short v[21:22], v23, off
	s_branch .LBB7_3
.LBB7_20:
	s_cbranch_execz .LBB7_22
	s_branch .LBB7_25
.LBB7_21:
.LBB7_22:
	v_mov_b32_e32 v1, 0x10000
	v_mov_b32_e32 v2, 0
	v_cmp_lt_i64_e32 vcc, s[14:15], v[1:2]
	v_mov_b32_e32 v2, 0
	s_and_b64 s[0:1], vcc, exec
	s_cselect_b32 s1, s15, 0
	s_cselect_b32 s0, s14, 0x10000
	v_lshlrev_b32_e32 v1, 2, v0
	v_cmp_gt_i64_e32 vcc, s[0:1], v[1:2]
	s_and_saveexec_b64 s[2:3], vcc
	s_cbranch_execz .LBB7_25
; %bb.23:
	s_load_dword s2, s[4:5], 0xd3c
	v_mov_b32_e32 v1, v2
	v_lshlrev_b32_e32 v2, 3, v0
	s_mov_b32 s6, 0x3fb8aa3b
	s_mov_b32 s7, 0xc2ce8ed0
	s_waitcnt lgkmcnt(0)
	s_and_b32 s4, s2, 0xffff
	s_add_u32 s2, s10, s12
	s_addc_u32 s3, s11, s13
	v_mov_b32_e32 v3, s3
	v_add_co_u32_e32 v2, vcc, s2, v2
	v_addc_co_u32_e32 v3, vcc, 0, v3, vcc
	s_lshl_b32 s5, s4, 3
	s_mov_b64 s[2:3], 0
	s_mov_b32 s8, 0x42b17218
	v_mov_b32_e32 v4, 0x7f800000
	v_mov_b32_e32 v5, 0x3aad2fb4
	;; [unrolled: 1-line block ×9, first 2 shown]
	s_mov_b32 s9, 0x4120ddfc
	s_movk_i32 s10, 0x7fff
	v_mov_b32_e32 v13, 0x7fc00000
	v_mov_b32_e32 v14, 0x7fc0
.LBB7_24:                               ; =>This Inner Loop Header: Depth=1
	global_load_dwordx2 v[15:16], v[2:3], off
	v_mov_b32_e32 v17, 0xbaa2d753
	v_mov_b32_e32 v18, 0xbaa2d753
	v_mov_b32_e32 v19, 0xbaa2d753
	s_waitcnt vmcnt(0)
	v_lshlrev_b32_e32 v20, 16, v15
	v_and_b32_e32 v21, 0xffff0000, v15
	v_and_b32_e32 v22, 0xffff0000, v16
	v_alignbit_b32 v15, v16, v15, 16
	v_add_f32_e64 v16, |v20|, 2.0
	v_rcp_f32_e32 v16, v16
	v_add_f32_e64 v24, |v21|, 2.0
	v_add_f32_e64 v23, |v20|, -2.0
	v_rcp_f32_e32 v24, v24
	v_mul_f32_e32 v23, v23, v16
	v_add_f32_e32 v27, 1.0, v23
	v_add_f32_e64 v25, |v21|, -2.0
	v_add_f32_e64 v26, |v22|, 2.0
	v_fma_f32 v27, v27, -2.0, |v20|
	v_fma_f32 v27, -v23, |v20|, v27
	v_rcp_f32_e32 v26, v26
	v_mul_f32_e32 v25, v25, v24
	v_fmac_f32_e32 v23, v16, v27
	v_add_f32_e32 v27, 1.0, v25
	v_fma_f32 v27, v27, -2.0, |v21|
	v_add_f32_e64 v16, |v22|, -2.0
	v_and_b32_e32 v15, 0xffff0000, v15
	v_fma_f32 v27, -v25, |v21|, v27
	v_fmac_f32_e32 v25, v24, v27
	v_add_f32_e64 v24, |v15|, 2.0
	v_mul_f32_e32 v16, v16, v26
	v_rcp_f32_e32 v24, v24
	v_add_f32_e32 v27, 1.0, v16
	v_fma_f32 v27, v27, -2.0, |v22|
	v_fma_f32 v27, -v16, |v22|, v27
	v_fmac_f32_e32 v16, v26, v27
	v_add_f32_e64 v26, |v15|, -2.0
	v_mul_f32_e32 v26, v26, v24
	v_add_f32_e32 v27, 1.0, v26
	v_fmac_f32_e32 v17, 0xb9d6f8c4, v23
	v_fma_f32 v27, v27, -2.0, |v15|
	v_fma_f32 v17, v23, v17, v5
	v_fma_f32 v27, -v26, |v15|, v27
	v_fma_f32 v17, v23, v17, v6
	v_fmac_f32_e32 v26, v24, v27
	v_add_f32_e64 v24, |v20|, |v20|
	v_fma_f32 v17, v23, v17, v7
	v_add_f32_e32 v27, 1.0, v24
	v_fma_f32 v17, v23, v17, v8
	v_rcp_f32_e32 v27, v27
	v_fma_f32 v17, v23, v17, v9
	v_fma_f32 v17, v23, v17, v10
	;; [unrolled: 1-line block ×5, first 2 shown]
	v_fmac_f32_e32 v18, 0xb9d6f8c4, v25
	v_fma_f32 v24, -v23, v24, 1.0
	v_sub_f32_e32 v17, v17, v23
	v_fma_f32 v18, v25, v18, v5
	v_add_f32_e32 v17, v24, v17
	v_fma_f32 v18, v25, v18, v6
	v_fmac_f32_e32 v23, v27, v17
	v_add_f32_e64 v17, |v21|, |v21|
	v_fma_f32 v18, v25, v18, v7
	v_mov_b32_e32 v24, 0xbaa2d753
	v_add_f32_e32 v27, 1.0, v17
	v_fma_f32 v18, v25, v18, v8
	v_rcp_f32_e32 v27, v27
	v_fma_f32 v18, v25, v18, v9
	v_fmac_f32_e32 v24, 0xb9d6f8c4, v16
	v_fma_f32 v18, v25, v18, v10
	v_fma_f32 v24, v16, v24, v5
	;; [unrolled: 1-line block ×8, first 2 shown]
	v_fmac_f32_e32 v19, 0xb9d6f8c4, v26
	v_fma_f32 v17, -v25, v17, 1.0
	v_sub_f32_e32 v18, v18, v25
	v_fma_f32 v24, v16, v24, v9
	v_fma_f32 v19, v26, v19, v5
	v_add_f32_e32 v17, v17, v18
	v_fma_f32 v24, v16, v24, v10
	v_fma_f32 v19, v26, v19, v6
	v_fmac_f32_e32 v25, v27, v17
	v_add_f32_e64 v17, |v15|, |v15|
	v_fma_f32 v24, v16, v24, v11
	v_fma_f32 v19, v26, v19, v7
	;; [unrolled: 1-line block ×3, first 2 shown]
	v_add_f32_e32 v24, 1.0, v17
	v_fma_f32 v19, v26, v19, v8
	v_rcp_f32_e32 v24, v24
	v_fma_f32 v19, v26, v19, v9
	v_add_f32_e64 v18, |v22|, |v22|
	v_fma_f32 v19, v26, v19, v10
	v_add_f32_e32 v27, 1.0, v18
	v_fma_f32 v19, v26, v19, v11
	v_rcp_f32_e32 v27, v27
	v_fma_f32 v19, v26, v19, v12
	v_fma_f32 v26, v19, v24, v24
	v_fma_f32 v17, -v26, v17, 1.0
	v_sub_f32_e32 v19, v19, v26
	v_add_f32_e32 v17, v17, v19
	v_fmac_f32_e32 v26, v24, v17
	v_fma_f32 v17, v16, v27, v27
	v_fma_f32 v18, -v17, v18, 1.0
	v_sub_f32_e32 v16, v16, v17
	v_add_f32_e32 v16, v18, v16
	v_mul_f32_e64 v18, v20, -v20
	v_mul_f32_e32 v19, 0x3fb8aa3b, v18
	v_fma_f32 v24, v18, s6, -v19
	v_rndne_f32_e32 v28, v19
	v_fmac_f32_e32 v24, 0x32a5705f, v18
	v_sub_f32_e32 v19, v19, v28
	v_add_f32_e32 v19, v19, v24
	v_exp_f32_e32 v19, v19
	v_cvt_i32_f32_e32 v24, v28
	v_fmac_f32_e32 v17, v27, v16
	v_cmp_ngt_f32_e32 vcc, s7, v18
	v_ldexp_f32 v16, v19, v24
	v_cndmask_b32_e32 v16, 0, v16, vcc
	v_cmp_nlt_f32_e32 vcc, s8, v18
	v_fma_f32 v19, -v20, v20, -v18
	v_cndmask_b32_e32 v16, v4, v16, vcc
	v_mul_f32_e64 v18, v21, -v21
	v_fmac_f32_e32 v16, v16, v19
	v_mul_f32_e32 v19, 0x3fb8aa3b, v18
	v_mul_f32_e32 v16, v16, v23
	v_fma_f32 v23, v18, s6, -v19
	v_rndne_f32_e32 v24, v19
	v_fmac_f32_e32 v23, 0x32a5705f, v18
	v_sub_f32_e32 v19, v19, v24
	v_add_f32_e32 v19, v19, v23
	v_exp_f32_e32 v19, v19
	v_cvt_i32_f32_e32 v23, v24
	v_cmp_ngt_f32_e64 vcc, |v20|, s9
	v_cndmask_b32_e32 v16, 0, v16, vcc
	v_sub_f32_e32 v24, 2.0, v16
	v_cmp_gt_f32_e32 vcc, 0, v20
	v_cndmask_b32_e32 v16, v16, v24, vcc
	v_ldexp_f32 v19, v19, v23
	v_cmp_ngt_f32_e32 vcc, s7, v18
	v_cndmask_b32_e32 v19, 0, v19, vcc
	v_cmp_nlt_f32_e32 vcc, s8, v18
	v_fma_f32 v20, -v21, v21, -v18
	v_cndmask_b32_e32 v18, v4, v19, vcc
	v_mul_f32_e64 v19, v15, -v15
	v_fmac_f32_e32 v18, v18, v20
	v_mul_f32_e32 v20, 0x3fb8aa3b, v19
	v_fma_f32 v23, v19, s6, -v20
	v_rndne_f32_e32 v24, v20
	v_fmac_f32_e32 v23, 0x32a5705f, v19
	v_sub_f32_e32 v20, v20, v24
	v_add_f32_e32 v20, v20, v23
	v_exp_f32_e32 v20, v20
	v_cvt_i32_f32_e32 v23, v24
	v_mul_f32_e32 v18, v18, v25
	v_cmp_ngt_f32_e64 vcc, |v21|, s9
	v_cndmask_b32_e32 v18, 0, v18, vcc
	v_sub_f32_e32 v24, 2.0, v18
	v_cmp_gt_f32_e32 vcc, 0, v21
	v_cndmask_b32_e32 v18, v18, v24, vcc
	v_ldexp_f32 v20, v20, v23
	v_cmp_ngt_f32_e32 vcc, s7, v19
	v_cndmask_b32_e32 v20, 0, v20, vcc
	v_cmp_nlt_f32_e32 vcc, s8, v19
	v_fma_f32 v21, -v15, v15, -v19
	v_cndmask_b32_e32 v19, v4, v20, vcc
	v_mul_f32_e64 v20, v22, -v22
	v_fmac_f32_e32 v19, v19, v21
	v_mul_f32_e32 v21, 0x3fb8aa3b, v20
	v_fma_f32 v23, v20, s6, -v21
	v_rndne_f32_e32 v24, v21
	v_fmac_f32_e32 v23, 0x32a5705f, v20
	v_sub_f32_e32 v21, v21, v24
	v_add_f32_e32 v21, v21, v23
	v_exp_f32_e32 v21, v21
	v_cvt_i32_f32_e32 v23, v24
	v_mul_f32_e32 v19, v19, v26
	v_cmp_ngt_f32_e64 vcc, |v15|, s9
	v_cndmask_b32_e32 v19, 0, v19, vcc
	v_sub_f32_e32 v24, 2.0, v19
	v_cmp_gt_f32_e32 vcc, 0, v15
	v_cndmask_b32_e32 v15, v19, v24, vcc
	v_ldexp_f32 v19, v21, v23
	v_cmp_ngt_f32_e32 vcc, s7, v20
	v_cndmask_b32_e32 v19, 0, v19, vcc
	v_cmp_nlt_f32_e32 vcc, s8, v20
	v_fma_f32 v21, -v22, v22, -v20
	v_cndmask_b32_e32 v19, v4, v19, vcc
	v_fmac_f32_e32 v19, v19, v21
	v_mul_f32_e32 v17, v19, v17
	v_cmp_ngt_f32_e64 vcc, |v22|, s9
	v_cndmask_b32_e32 v17, 0, v17, vcc
	v_sub_f32_e32 v19, 2.0, v17
	v_cmp_gt_f32_e32 vcc, 0, v22
	v_cndmask_b32_e32 v17, v17, v19, vcc
	v_bfe_u32 v19, v17, 16, 1
	v_add3_u32 v19, v17, v19, s10
	v_bfe_u32 v20, v15, 16, 1
	v_and_b32_e32 v19, 0xffff0000, v19
	v_add3_u32 v20, v15, v20, s10
	v_bfe_u32 v21, v18, 16, 1
	v_cmp_o_f32_e32 vcc, v17, v17
	v_lshrrev_b32_e32 v20, 16, v20
	v_add3_u32 v21, v18, v21, s10
	v_bfe_u32 v22, v16, 16, 1
	v_cndmask_b32_e32 v17, v13, v19, vcc
	v_cmp_o_f32_e32 vcc, v15, v15
	v_and_b32_e32 v21, 0xffff0000, v21
	v_add3_u32 v22, v16, v22, s10
	v_cndmask_b32_e32 v15, v14, v20, vcc
	v_cmp_o_f32_e32 vcc, v18, v18
	v_lshrrev_b32_e32 v22, 16, v22
	v_cndmask_b32_e32 v18, v13, v21, vcc
	v_cmp_o_f32_e32 vcc, v16, v16
	v_cndmask_b32_e32 v16, v14, v22, vcc
	v_add_co_u32_e32 v0, vcc, s4, v0
	v_addc_co_u32_e32 v1, vcc, 0, v1, vcc
	v_or_b32_e32 v19, v16, v18
	v_or3_b32 v16, 0, v15, v17
	v_lshlrev_b64 v[17:18], 2, v[0:1]
	v_or3_b32 v15, v19, 0, 0
	v_cmp_le_i64_e32 vcc, s[0:1], v[17:18]
	global_store_dwordx2 v[2:3], v[15:16], off
	s_or_b64 s[2:3], vcc, s[2:3]
	v_add_co_u32_e32 v2, vcc, s5, v2
	v_addc_co_u32_e32 v3, vcc, 0, v3, vcc
	s_andn2_b64 exec, exec, s[2:3]
	s_cbranch_execnz .LBB7_24
.LBB7_25:
	s_endpgm
	.section	.rodata,"a",@progbits
	.p2align	6, 0x0
	.amdhsa_kernel _ZN2at6native12_GLOBAL__N_125multi_tensor_apply_kernelINS1_18TensorListMetadataILi1EEENS1_14UnaryOpFunctorIN3c108BFloat16ELi1ELi1ELi0EEEJNS0_4ErfcIfEEEEEvT_T0_DpT1_
		.amdhsa_group_segment_fixed_size 0
		.amdhsa_private_segment_fixed_size 0
		.amdhsa_kernarg_size 3632
		.amdhsa_user_sgpr_count 6
		.amdhsa_user_sgpr_private_segment_buffer 1
		.amdhsa_user_sgpr_dispatch_ptr 0
		.amdhsa_user_sgpr_queue_ptr 0
		.amdhsa_user_sgpr_kernarg_segment_ptr 1
		.amdhsa_user_sgpr_dispatch_id 0
		.amdhsa_user_sgpr_flat_scratch_init 0
		.amdhsa_user_sgpr_private_segment_size 0
		.amdhsa_uses_dynamic_stack 0
		.amdhsa_system_sgpr_private_segment_wavefront_offset 0
		.amdhsa_system_sgpr_workgroup_id_x 1
		.amdhsa_system_sgpr_workgroup_id_y 0
		.amdhsa_system_sgpr_workgroup_id_z 0
		.amdhsa_system_sgpr_workgroup_info 0
		.amdhsa_system_vgpr_workitem_id 0
		.amdhsa_next_free_vgpr 30
		.amdhsa_next_free_sgpr 32
		.amdhsa_reserve_vcc 1
		.amdhsa_reserve_flat_scratch 0
		.amdhsa_float_round_mode_32 0
		.amdhsa_float_round_mode_16_64 0
		.amdhsa_float_denorm_mode_32 3
		.amdhsa_float_denorm_mode_16_64 3
		.amdhsa_dx10_clamp 1
		.amdhsa_ieee_mode 1
		.amdhsa_fp16_overflow 0
		.amdhsa_exception_fp_ieee_invalid_op 0
		.amdhsa_exception_fp_denorm_src 0
		.amdhsa_exception_fp_ieee_div_zero 0
		.amdhsa_exception_fp_ieee_overflow 0
		.amdhsa_exception_fp_ieee_underflow 0
		.amdhsa_exception_fp_ieee_inexact 0
		.amdhsa_exception_int_div_zero 0
	.end_amdhsa_kernel
	.section	.text._ZN2at6native12_GLOBAL__N_125multi_tensor_apply_kernelINS1_18TensorListMetadataILi1EEENS1_14UnaryOpFunctorIN3c108BFloat16ELi1ELi1ELi0EEEJNS0_4ErfcIfEEEEEvT_T0_DpT1_,"axG",@progbits,_ZN2at6native12_GLOBAL__N_125multi_tensor_apply_kernelINS1_18TensorListMetadataILi1EEENS1_14UnaryOpFunctorIN3c108BFloat16ELi1ELi1ELi0EEEJNS0_4ErfcIfEEEEEvT_T0_DpT1_,comdat
.Lfunc_end7:
	.size	_ZN2at6native12_GLOBAL__N_125multi_tensor_apply_kernelINS1_18TensorListMetadataILi1EEENS1_14UnaryOpFunctorIN3c108BFloat16ELi1ELi1ELi0EEEJNS0_4ErfcIfEEEEEvT_T0_DpT1_, .Lfunc_end7-_ZN2at6native12_GLOBAL__N_125multi_tensor_apply_kernelINS1_18TensorListMetadataILi1EEENS1_14UnaryOpFunctorIN3c108BFloat16ELi1ELi1ELi0EEEJNS0_4ErfcIfEEEEEvT_T0_DpT1_
                                        ; -- End function
	.set _ZN2at6native12_GLOBAL__N_125multi_tensor_apply_kernelINS1_18TensorListMetadataILi1EEENS1_14UnaryOpFunctorIN3c108BFloat16ELi1ELi1ELi0EEEJNS0_4ErfcIfEEEEEvT_T0_DpT1_.num_vgpr, 30
	.set _ZN2at6native12_GLOBAL__N_125multi_tensor_apply_kernelINS1_18TensorListMetadataILi1EEENS1_14UnaryOpFunctorIN3c108BFloat16ELi1ELi1ELi0EEEJNS0_4ErfcIfEEEEEvT_T0_DpT1_.num_agpr, 0
	.set _ZN2at6native12_GLOBAL__N_125multi_tensor_apply_kernelINS1_18TensorListMetadataILi1EEENS1_14UnaryOpFunctorIN3c108BFloat16ELi1ELi1ELi0EEEJNS0_4ErfcIfEEEEEvT_T0_DpT1_.numbered_sgpr, 32
	.set _ZN2at6native12_GLOBAL__N_125multi_tensor_apply_kernelINS1_18TensorListMetadataILi1EEENS1_14UnaryOpFunctorIN3c108BFloat16ELi1ELi1ELi0EEEJNS0_4ErfcIfEEEEEvT_T0_DpT1_.num_named_barrier, 0
	.set _ZN2at6native12_GLOBAL__N_125multi_tensor_apply_kernelINS1_18TensorListMetadataILi1EEENS1_14UnaryOpFunctorIN3c108BFloat16ELi1ELi1ELi0EEEJNS0_4ErfcIfEEEEEvT_T0_DpT1_.private_seg_size, 0
	.set _ZN2at6native12_GLOBAL__N_125multi_tensor_apply_kernelINS1_18TensorListMetadataILi1EEENS1_14UnaryOpFunctorIN3c108BFloat16ELi1ELi1ELi0EEEJNS0_4ErfcIfEEEEEvT_T0_DpT1_.uses_vcc, 1
	.set _ZN2at6native12_GLOBAL__N_125multi_tensor_apply_kernelINS1_18TensorListMetadataILi1EEENS1_14UnaryOpFunctorIN3c108BFloat16ELi1ELi1ELi0EEEJNS0_4ErfcIfEEEEEvT_T0_DpT1_.uses_flat_scratch, 0
	.set _ZN2at6native12_GLOBAL__N_125multi_tensor_apply_kernelINS1_18TensorListMetadataILi1EEENS1_14UnaryOpFunctorIN3c108BFloat16ELi1ELi1ELi0EEEJNS0_4ErfcIfEEEEEvT_T0_DpT1_.has_dyn_sized_stack, 0
	.set _ZN2at6native12_GLOBAL__N_125multi_tensor_apply_kernelINS1_18TensorListMetadataILi1EEENS1_14UnaryOpFunctorIN3c108BFloat16ELi1ELi1ELi0EEEJNS0_4ErfcIfEEEEEvT_T0_DpT1_.has_recursion, 0
	.set _ZN2at6native12_GLOBAL__N_125multi_tensor_apply_kernelINS1_18TensorListMetadataILi1EEENS1_14UnaryOpFunctorIN3c108BFloat16ELi1ELi1ELi0EEEJNS0_4ErfcIfEEEEEvT_T0_DpT1_.has_indirect_call, 0
	.section	.AMDGPU.csdata,"",@progbits
; Kernel info:
; codeLenInByte = 3788
; TotalNumSgprs: 36
; NumVgprs: 30
; ScratchSize: 0
; MemoryBound: 0
; FloatMode: 240
; IeeeMode: 1
; LDSByteSize: 0 bytes/workgroup (compile time only)
; SGPRBlocks: 4
; VGPRBlocks: 7
; NumSGPRsForWavesPerEU: 36
; NumVGPRsForWavesPerEU: 30
; Occupancy: 8
; WaveLimiterHint : 0
; COMPUTE_PGM_RSRC2:SCRATCH_EN: 0
; COMPUTE_PGM_RSRC2:USER_SGPR: 6
; COMPUTE_PGM_RSRC2:TRAP_HANDLER: 0
; COMPUTE_PGM_RSRC2:TGID_X_EN: 1
; COMPUTE_PGM_RSRC2:TGID_Y_EN: 0
; COMPUTE_PGM_RSRC2:TGID_Z_EN: 0
; COMPUTE_PGM_RSRC2:TIDIG_COMP_CNT: 0
	.section	.text._ZN2at6native12_GLOBAL__N_125multi_tensor_apply_kernelINS1_18TensorListMetadataILi2EEENS1_14UnaryOpFunctorIdLi2ELi1ELi1EEEJNS0_6LgammaIdEEEEEvT_T0_DpT1_,"axG",@progbits,_ZN2at6native12_GLOBAL__N_125multi_tensor_apply_kernelINS1_18TensorListMetadataILi2EEENS1_14UnaryOpFunctorIdLi2ELi1ELi1EEEJNS0_6LgammaIdEEEEEvT_T0_DpT1_,comdat
	.globl	_ZN2at6native12_GLOBAL__N_125multi_tensor_apply_kernelINS1_18TensorListMetadataILi2EEENS1_14UnaryOpFunctorIdLi2ELi1ELi1EEEJNS0_6LgammaIdEEEEEvT_T0_DpT1_ ; -- Begin function _ZN2at6native12_GLOBAL__N_125multi_tensor_apply_kernelINS1_18TensorListMetadataILi2EEENS1_14UnaryOpFunctorIdLi2ELi1ELi1EEEJNS0_6LgammaIdEEEEEvT_T0_DpT1_
	.p2align	8
	.type	_ZN2at6native12_GLOBAL__N_125multi_tensor_apply_kernelINS1_18TensorListMetadataILi2EEENS1_14UnaryOpFunctorIdLi2ELi1ELi1EEEJNS0_6LgammaIdEEEEEvT_T0_DpT1_,@function
_ZN2at6native12_GLOBAL__N_125multi_tensor_apply_kernelINS1_18TensorListMetadataILi2EEENS1_14UnaryOpFunctorIdLi2ELi1ELi1EEEJNS0_6LgammaIdEEEEEvT_T0_DpT1_: ; @_ZN2at6native12_GLOBAL__N_125multi_tensor_apply_kernelINS1_18TensorListMetadataILi2EEENS1_14UnaryOpFunctorIdLi2ELi1ELi1EEEJNS0_6LgammaIdEEEEEvT_T0_DpT1_
; %bb.0:
	v_mov_b32_e32 v1, s6
	global_load_ubyte v1, v1, s[4:5] offset:1536
	s_add_u32 s0, s4, s6
	s_mul_hi_u32 s3, s6, 3
	s_mul_i32 s6, s6, 3
	s_addc_u32 s8, s5, 0
	s_add_u32 s2, s0, s6
	s_addc_u32 s3, s8, s3
	s_load_dword s8, s[2:3], 0x740
	s_mov_b32 s1, 0
	s_mov_b32 s7, s1
	s_waitcnt lgkmcnt(0)
	s_ashr_i32 s9, s8, 31
	s_lshl_b64 s[14:15], s[8:9], 19
	s_waitcnt vmcnt(0)
	v_readfirstlane_b32 s0, v1
	s_lshl_b32 s0, s0, 3
	s_load_dwordx2 s[18:19], s[4:5], s0 offset:0x0
	s_load_dwordx2 s[10:11], s[4:5], s0 offset:0x400
	;; [unrolled: 1-line block ×3, first 2 shown]
	s_waitcnt lgkmcnt(0)
	s_add_u32 s33, s18, s14
	s_addc_u32 s2, s19, s15
	s_and_b32 s0, s33, 31
	s_add_u32 s46, s16, s14
	s_addc_u32 s47, s17, s15
	s_and_b32 s6, s46, 31
	s_lshl_b64 s[8:9], s[8:9], 16
	s_sub_u32 s20, s10, s8
	s_subb_u32 s21, s11, s9
	s_and_b32 s8, s10, 3
	s_mov_b32 s9, s1
	s_or_b64 s[6:7], s[6:7], s[8:9]
	s_or_b64 s[0:1], s[6:7], s[0:1]
	s_cmp_eq_u64 s[0:1], 0
	s_mov_b64 s[0:1], -1
	s_cbranch_scc0 .LBB8_141
; %bb.1:
	v_mov_b32_e32 v1, 0x10000
	v_mov_b32_e32 v2, 0
	v_cmp_lt_i64_e32 vcc, s[20:21], v[1:2]
	v_mov_b32_e32 v2, 0
	s_and_b64 s[0:1], vcc, exec
	s_cselect_b32 s23, s21, 0
	s_cselect_b32 s22, s20, 0x10000
	v_lshlrev_b32_e32 v1, 2, v0
	v_cmp_gt_i64_e32 vcc, s[22:23], v[1:2]
	s_mov_b64 s[0:1], exec
                                        ; implicit-def: $vgpr96 : SGPR spill to VGPR lane
	v_writelane_b32 v96, s0, 0
	v_writelane_b32 v96, s1, 1
	s_and_b64 s[0:1], s[0:1], vcc
	s_mov_b64 exec, s[0:1]
	s_cbranch_execz .LBB8_140
; %bb.2:
	v_mov_b32_e32 v1, v2
	s_add_u32 s26, s4, 0xc50
	s_mov_b32 s84, 0x55555555
	s_mov_b32 s30, 0xbf559e2b
	;; [unrolled: 1-line block ×25, first 2 shown]
	v_mov_b32_e32 v38, v1
	s_mov_b32 s86, 0
	s_addc_u32 s27, s5, 0
	v_mov_b32_e32 v63, s2
	s_mov_b32 s85, 0x3fe55555
	s_mov_b32 s31, 0x3fc3ab76
	;; [unrolled: 1-line block ×25, first 2 shown]
	v_mov_b32_e32 v64, 0x264
	v_mov_b32_e32 v9, 0x6b47b09a
	;; [unrolled: 1-line block ×34, first 2 shown]
	s_mov_b32 s48, 0x3f6fffff
	s_brev_b32 s49, -4
	s_mov_b32 s88, 0x401fffff
	s_movk_i32 s89, 0x204
	s_mov_b32 s90, 0x3feccccc
	s_mov_b32 s91, 0x65fffff
	s_movk_i32 s92, 0x1f8
	s_mov_b32 s93, 0x432fffff
	s_mov_b64 s[82:83], 0
	s_mov_b32 s28, 0x55555780
	s_mov_b32 s87, 0x7ff00000
	;; [unrolled: 1-line block ×3, first 2 shown]
	s_branch .LBB8_5
.LBB8_3:                                ;   in Loop: Header=BB8_5 Depth=1
	s_or_b64 exec, exec, s[6:7]
.LBB8_4:                                ;   in Loop: Header=BB8_5 Depth=1
	s_or_b64 exec, exec, s[2:3]
	v_cmp_gt_f64_e32 vcc, 0, v[1:2]
	v_cmp_class_f64_e64 s[0:1], v[1:2], v64
	v_cmp_gt_f64_e64 s[6:7], 0, v[7:8]
	v_cmp_lt_u32_e64 s[2:3], s93, v50
	v_cmp_class_f64_e64 s[8:9], v[7:8], v64
	v_cmp_lt_u32_e64 s[10:11], s93, v46
	v_cmp_class_f64_e64 s[12:13], v[3:4], v64
	s_and_b64 s[2:3], vcc, s[2:3]
	s_or_b64 vcc, s[0:1], s[2:3]
	v_cmp_gt_f64_e64 s[2:3], 0, v[5:6]
	v_cmp_class_f64_e64 s[0:1], v[5:6], v64
	s_and_b64 s[6:7], s[6:7], s[10:11]
	v_cmp_gt_f64_e64 s[10:11], 0, v[3:4]
	s_or_b64 s[6:7], s[8:9], s[6:7]
	v_cmp_lt_u32_e64 s[8:9], s93, v42
	v_cndmask_b32_e64 v41, v51, 0, vcc
	v_cndmask_b32_e32 v45, v52, v65, vcc
	s_and_b64 s[2:3], s[2:3], s[8:9]
	s_or_b64 s[0:1], s[0:1], s[2:3]
	v_cmp_lt_u32_e64 s[2:3], s93, v54
	v_cmp_u_f64_e32 vcc, v[1:2], v[1:2]
	s_and_b64 s[2:3], s[10:11], s[2:3]
	v_cndmask_b32_e64 v46, v47, 0, s[6:7]
	v_cndmask_b32_e64 v47, v48, v65, s[6:7]
	v_cmp_u_f64_e64 s[6:7], v[7:8], v[7:8]
	v_cndmask_b32_e64 v42, v43, 0, s[0:1]
	v_cndmask_b32_e64 v43, v44, v65, s[0:1]
	v_cmp_u_f64_e64 s[0:1], v[5:6], v[5:6]
	s_or_b64 s[2:3], s[12:13], s[2:3]
	v_cndmask_b32_e64 v44, v55, 0, s[2:3]
	v_cndmask_b32_e64 v48, v56, v65, s[2:3]
	v_cmp_u_f64_e64 s[2:3], v[3:4], v[3:4]
	v_cndmask_b32_e32 v2, v45, v2, vcc
	v_cndmask_b32_e32 v1, v41, v1, vcc
	v_mov_b32_e32 v41, s47
	v_add_co_u32_e32 v39, vcc, s46, v39
	v_cndmask_b32_e64 v8, v47, v8, s[6:7]
	v_cndmask_b32_e64 v7, v46, v7, s[6:7]
	;; [unrolled: 1-line block ×4, first 2 shown]
	v_addc_co_u32_e32 v40, vcc, v41, v40, vcc
	v_cndmask_b32_e64 v4, v48, v4, s[2:3]
	v_cndmask_b32_e64 v3, v44, v3, s[2:3]
	global_store_dwordx4 v[39:40], v[5:8], off
	global_store_dwordx4 v[39:40], v[1:4], off offset:16
	s_load_dword s0, s[26:27], 0xc
	s_waitcnt lgkmcnt(0)
	s_and_b32 s0, s0, 0xffff
	v_add_co_u32_e32 v37, vcc, s0, v37
	v_addc_co_u32_e32 v38, vcc, 0, v38, vcc
	v_lshlrev_b64 v[1:2], 2, v[37:38]
	v_cmp_le_i64_e32 vcc, s[22:23], v[1:2]
	s_or_b64 s[82:83], vcc, s[82:83]
	s_andn2_b64 exec, exec, s[82:83]
	s_cbranch_execz .LBB8_140
.LBB8_5:                                ; =>This Inner Loop Header: Depth=1
	v_lshlrev_b64 v[39:40], 5, v[37:38]
                                        ; implicit-def: $vgpr43_vgpr44
	v_add_co_u32_e32 v1, vcc, s33, v39
	v_addc_co_u32_e32 v2, vcc, v63, v40, vcc
	global_load_dwordx4 v[5:8], v[1:2], off
	s_nop 0
	global_load_dwordx4 v[1:4], v[1:2], off offset:16
	s_waitcnt vmcnt(1)
	v_and_b32_e32 v42, 0x7fffffff, v6
	v_mov_b32_e32 v41, v5
	v_cmp_lt_u32_e32 vcc, s48, v42
	s_and_saveexec_b64 s[0:1], vcc
	s_xor_b64 s[6:7], exec, s[0:1]
	s_cbranch_execz .LBB8_31
; %bb.6:                                ;   in Loop: Header=BB8_5 Depth=1
	v_cmp_lt_u32_e32 vcc, s49, v42
                                        ; implicit-def: $vgpr43_vgpr44
	s_and_saveexec_b64 s[0:1], vcc
	s_xor_b64 s[8:9], exec, s[0:1]
	s_cbranch_execz .LBB8_16
; %bb.7:                                ;   in Loop: Header=BB8_5 Depth=1
	v_cmp_lt_u32_e32 vcc, s88, v42
                                        ; implicit-def: $vgpr43_vgpr44
	s_and_saveexec_b64 s[0:1], vcc
	s_xor_b64 s[10:11], exec, s[0:1]
	s_cbranch_execz .LBB8_13
; %bb.8:                                ;   in Loop: Header=BB8_5 Depth=1
	s_mov_b32 s0, 0x438fffff
	v_cmp_lt_u32_e32 vcc, s0, v42
                                        ; implicit-def: $vgpr43_vgpr44
	s_and_saveexec_b64 s[0:1], vcc
	s_xor_b64 s[2:3], exec, s[0:1]
	s_cbranch_execz .LBB8_10
; %bb.9:                                ;   in Loop: Header=BB8_5 Depth=1
	v_frexp_mant_f64_e64 v[43:44], |v[5:6]|
	s_mov_b32 s29, s85
	v_cmp_neq_f64_e64 s[0:1], 0, v[5:6]
	v_cmp_gt_f64_e32 vcc, s[84:85], v[43:44]
	v_cndmask_b32_e64 v41, 0, 1, vcc
	v_ldexp_f64 v[43:44], v[43:44], v41
	v_frexp_exp_i32_f64_e32 v41, v[5:6]
	v_add_f64 v[45:46], v[43:44], 1.0
	v_add_f64 v[51:52], v[43:44], -1.0
	v_subbrev_co_u32_e32 v41, vcc, 0, v41, vcc
	v_cmp_neq_f64_e64 vcc, |v[5:6]|, s[86:87]
	v_rcp_f64_e32 v[47:48], v[45:46]
	v_add_f64 v[53:54], v[45:46], -1.0
	v_add_f64 v[43:44], v[43:44], -v[53:54]
	v_fma_f64 v[49:50], -v[45:46], v[47:48], 1.0
	v_fma_f64 v[47:48], v[49:50], v[47:48], v[47:48]
	v_fma_f64 v[49:50], -v[45:46], v[47:48], 1.0
	v_fma_f64 v[47:48], v[49:50], v[47:48], v[47:48]
	v_mul_f64 v[49:50], v[51:52], v[47:48]
	v_mul_f64 v[55:56], v[45:46], v[49:50]
	v_fma_f64 v[45:46], v[49:50], v[45:46], -v[55:56]
	v_fma_f64 v[43:44], v[49:50], v[43:44], v[45:46]
	v_add_f64 v[45:46], v[55:56], v[43:44]
	v_add_f64 v[53:54], v[51:52], -v[45:46]
	v_add_f64 v[55:56], v[45:46], -v[55:56]
	;; [unrolled: 1-line block ×5, first 2 shown]
	v_add_f64 v[43:44], v[43:44], v[45:46]
	v_add_f64 v[43:44], v[53:54], v[43:44]
	v_mul_f64 v[43:44], v[47:48], v[43:44]
	v_add_f64 v[45:46], v[49:50], v[43:44]
	v_mul_f64 v[47:48], v[45:46], v[45:46]
	v_fma_f64 v[51:52], v[47:48], s[30:31], v[9:10]
	v_mul_f64 v[53:54], v[45:46], v[47:48]
	v_fma_f64 v[51:52], v[47:48], v[51:52], s[34:35]
	v_fma_f64 v[51:52], v[47:48], v[51:52], s[36:37]
	;; [unrolled: 1-line block ×5, first 2 shown]
	v_ldexp_f64 v[51:52], v[45:46], 1
	v_add_f64 v[45:46], v[45:46], -v[49:50]
	v_mul_f64 v[47:48], v[53:54], v[47:48]
	v_cvt_f64_i32_e32 v[53:54], v41
	v_add_f64 v[43:44], v[43:44], -v[45:46]
	v_mul_f64 v[55:56], v[53:54], s[42:43]
	v_add_f64 v[49:50], v[51:52], v[47:48]
	v_ldexp_f64 v[43:44], v[43:44], 1
	v_add_f64 v[45:46], v[49:50], -v[51:52]
	v_fma_f64 v[51:52], v[53:54], s[42:43], -v[55:56]
	v_add_f64 v[45:46], v[47:48], -v[45:46]
	v_fma_f64 v[47:48], v[53:54], s[44:45], v[51:52]
	v_add_f64 v[43:44], v[43:44], v[45:46]
	v_add_f64 v[45:46], v[55:56], v[47:48]
	;; [unrolled: 1-line block ×3, first 2 shown]
	v_add_f64 v[55:56], v[45:46], -v[55:56]
	v_add_f64 v[53:54], v[45:46], v[51:52]
	v_add_f64 v[49:50], v[51:52], -v[49:50]
	v_add_f64 v[47:48], v[47:48], -v[55:56]
	;; [unrolled: 1-line block ×6, first 2 shown]
	v_add_f64 v[51:52], v[47:48], v[43:44]
	v_add_f64 v[45:46], v[45:46], -v[59:60]
	v_add_f64 v[45:46], v[49:50], v[45:46]
	v_add_f64 v[49:50], v[51:52], -v[47:48]
	;; [unrolled: 2-line block ×3, first 2 shown]
	v_add_f64 v[43:44], v[43:44], -v[49:50]
	v_add_f64 v[55:56], v[53:54], v[45:46]
	v_add_f64 v[47:48], v[47:48], -v[51:52]
	v_add_f64 v[49:50], v[55:56], -v[53:54]
	v_add_f64 v[43:44], v[43:44], v[47:48]
	v_add_f64 v[45:46], v[45:46], -v[49:50]
	v_add_f64 v[43:44], v[43:44], v[45:46]
	v_add_f64 v[43:44], v[55:56], v[43:44]
	v_cndmask_b32_e32 v41, v65, v44, vcc
	s_and_b64 vcc, s[0:1], vcc
	v_cndmask_b32_e64 v44, v66, v41, s[0:1]
	v_cndmask_b32_e32 v43, 0, v43, vcc
	v_fma_f64 v[43:44], |v[5:6]|, v[43:44], -|v[5:6]|
.LBB8_10:                               ;   in Loop: Header=BB8_5 Depth=1
	s_andn2_saveexec_b64 s[12:13], s[2:3]
	s_cbranch_execz .LBB8_12
; %bb.11:                               ;   in Loop: Header=BB8_5 Depth=1
	v_frexp_mant_f64_e64 v[43:44], |v[5:6]|
	s_mov_b32 s29, s85
	s_mov_b32 s2, 0x90c97d69
	;; [unrolled: 1-line block ×3, first 2 shown]
	v_cmp_gt_f64_e32 vcc, s[84:85], v[43:44]
	v_cndmask_b32_e64 v41, 0, 1, vcc
	v_ldexp_f64 v[43:44], v[43:44], v41
	v_frexp_exp_i32_f64_e32 v41, v[5:6]
	v_add_f64 v[45:46], v[43:44], 1.0
	v_add_f64 v[51:52], v[43:44], -1.0
	v_subbrev_co_u32_e32 v41, vcc, 0, v41, vcc
	v_cvt_f64_i32_e32 v[59:60], v41
	v_mul_f64 v[61:62], v[59:60], s[42:43]
	v_rcp_f64_e32 v[47:48], v[45:46]
	v_add_f64 v[53:54], v[45:46], -1.0
	v_fma_f64 v[69:70], v[59:60], s[42:43], -v[61:62]
	v_add_f64 v[43:44], v[43:44], -v[53:54]
	v_fma_f64 v[49:50], -v[45:46], v[47:48], 1.0
	v_fma_f64 v[47:48], v[49:50], v[47:48], v[47:48]
	v_fma_f64 v[49:50], -v[45:46], v[47:48], 1.0
	v_fma_f64 v[47:48], v[49:50], v[47:48], v[47:48]
	v_mul_f64 v[49:50], v[51:52], v[47:48]
	v_mul_f64 v[55:56], v[45:46], v[49:50]
	v_fma_f64 v[45:46], v[49:50], v[45:46], -v[55:56]
	v_fma_f64 v[43:44], v[49:50], v[43:44], v[45:46]
	v_add_f64 v[45:46], v[55:56], v[43:44]
	v_add_f64 v[53:54], v[51:52], -v[45:46]
	v_add_f64 v[55:56], v[45:46], -v[55:56]
	;; [unrolled: 1-line block ×5, first 2 shown]
	v_add_f64 v[43:44], v[43:44], v[45:46]
	v_add_f64 v[43:44], v[53:54], v[43:44]
	v_and_b32_e32 v54, 0x7fffffff, v6
	v_mov_b32_e32 v53, v5
	v_div_scale_f64 v[55:56], s[0:1], v[53:54], v[53:54], 1.0
	s_mov_b32 s0, 0xb9e43e4
	s_mov_b32 s1, 0xbf5ab89d
	v_mul_f64 v[43:44], v[47:48], v[43:44]
	v_add_f64 v[45:46], v[49:50], v[43:44]
	v_mul_f64 v[47:48], v[45:46], v[45:46]
	v_fma_f64 v[51:52], v[47:48], s[30:31], v[9:10]
	v_mul_f64 v[57:58], v[45:46], v[47:48]
	v_fma_f64 v[51:52], v[47:48], v[51:52], s[34:35]
	v_fma_f64 v[51:52], v[47:48], v[51:52], s[36:37]
	;; [unrolled: 1-line block ×5, first 2 shown]
	v_ldexp_f64 v[51:52], v[45:46], 1
	v_add_f64 v[45:46], v[45:46], -v[49:50]
	v_mul_f64 v[47:48], v[57:58], v[47:48]
	v_rcp_f64_e32 v[57:58], v[55:56]
	v_add_f64 v[43:44], v[43:44], -v[45:46]
	v_add_f64 v[49:50], v[51:52], v[47:48]
	v_ldexp_f64 v[43:44], v[43:44], 1
	v_add_f64 v[45:46], v[49:50], -v[51:52]
	v_fma_f64 v[51:52], -v[55:56], v[57:58], 1.0
	v_add_f64 v[45:46], v[47:48], -v[45:46]
	v_fma_f64 v[47:48], v[57:58], v[51:52], v[57:58]
	v_fma_f64 v[51:52], v[59:60], s[44:45], v[69:70]
	v_add_f64 v[43:44], v[43:44], v[45:46]
	v_div_scale_f64 v[45:46], vcc, 1.0, v[53:54], 1.0
	v_fma_f64 v[53:54], -v[55:56], v[47:48], 1.0
	v_add_f64 v[57:58], v[61:62], v[51:52]
	v_add_f64 v[59:60], v[49:50], v[43:44]
	v_fma_f64 v[47:48], v[47:48], v[53:54], v[47:48]
	v_add_f64 v[53:54], v[57:58], v[59:60]
	v_add_f64 v[49:50], v[59:60], -v[49:50]
	v_mul_f64 v[69:70], v[45:46], v[47:48]
	v_add_f64 v[71:72], v[53:54], -v[57:58]
	v_add_f64 v[43:44], v[43:44], -v[49:50]
	v_fma_f64 v[45:46], -v[55:56], v[69:70], v[45:46]
	v_add_f64 v[55:56], v[57:58], -v[61:62]
	v_add_f64 v[61:62], v[53:54], -v[71:72]
	v_add_f64 v[49:50], v[59:60], -v[71:72]
	v_div_fmas_f64 v[45:46], v[45:46], v[47:48], v[69:70]
	v_add_f64 v[47:48], v[51:52], -v[55:56]
	v_cmp_neq_f64_e64 vcc, |v[5:6]|, s[86:87]
	v_add_f64 v[51:52], v[57:58], -v[61:62]
	v_add_f64 v[55:56], v[47:48], v[43:44]
	v_add_f64 v[49:50], v[49:50], v[51:52]
	v_div_fixup_f64 v[45:46], v[45:46], |v[5:6]|, 1.0
	v_add_f64 v[51:52], v[55:56], -v[47:48]
	v_add_f64 v[49:50], v[55:56], v[49:50]
	v_mul_f64 v[57:58], v[45:46], v[45:46]
	v_add_f64 v[55:56], v[55:56], -v[51:52]
	v_add_f64 v[43:44], v[43:44], -v[51:52]
	v_add_f64 v[59:60], v[53:54], v[49:50]
	v_fma_f64 v[61:62], v[57:58], s[0:1], v[11:12]
	v_add_f64 v[47:48], v[47:48], -v[55:56]
	s_mov_b32 s0, 0x8c0fe741
	s_mov_b32 s1, 0xbf4380cb
	v_add_f64 v[51:52], v[59:60], -v[53:54]
	v_fma_f64 v[53:54], v[57:58], v[61:62], s[0:1]
	v_add_f64 v[43:44], v[43:44], v[47:48]
	s_mov_b32 s0, 0x98cf38b6
	s_mov_b32 s1, 0x3f4a019f
	v_add_f64 v[47:48], v[49:50], -v[51:52]
	v_fma_f64 v[49:50], v[57:58], v[53:54], s[0:1]
	s_mov_b32 s0, 0x16b02e5c
	s_mov_b32 s1, 0xbf66c16c
	v_add_f64 v[43:44], v[43:44], v[47:48]
	v_fma_f64 v[47:48], v[57:58], v[49:50], s[0:1]
	s_mov_b32 s0, 0x5555553b
	s_mov_b32 s1, 0x3fb55555
	v_add_f64 v[49:50], |v[5:6]|, -0.5
	v_add_f64 v[43:44], v[59:60], v[43:44]
	v_fma_f64 v[47:48], v[57:58], v[47:48], s[0:1]
	v_cmp_neq_f64_e64 s[0:1], 0, v[5:6]
	v_add_f64 v[43:44], v[43:44], -1.0
	v_fma_f64 v[45:46], v[45:46], v[47:48], s[2:3]
	s_and_b64 s[2:3], s[0:1], vcc
	v_cndmask_b32_e32 v41, v65, v44, vcc
	v_cndmask_b32_e64 v44, v66, v41, s[0:1]
	v_cndmask_b32_e64 v43, 0, v43, s[2:3]
	v_fma_f64 v[43:44], v[49:50], v[43:44], v[45:46]
.LBB8_12:                               ;   in Loop: Header=BB8_5 Depth=1
	s_or_b64 exec, exec, s[12:13]
.LBB8_13:                               ;   in Loop: Header=BB8_5 Depth=1
	s_andn2_saveexec_b64 s[0:1], s[10:11]
	s_cbranch_execz .LBB8_15
; %bb.14:                               ;   in Loop: Header=BB8_5 Depth=1
	v_cvt_i32_f64_e32 v41, v[41:42]
	s_mov_b32 s2, 0
	s_mov_b32 s3, 0x40080000
	;; [unrolled: 1-line block ×3, first 2 shown]
	v_cvt_f64_i32_e32 v[43:44], v41
	v_cmp_lt_i32_e32 vcc, 2, v41
	s_mov_b32 s68, s94
	v_add_f64 v[43:44], |v[5:6]|, -v[43:44]
	v_add_f64 v[45:46], v[43:44], 2.0
	v_add_f64 v[47:48], v[43:44], s[2:3]
	v_add_f64 v[49:50], v[43:44], 4.0
	s_mov_b32 s2, 0
	s_mov_b32 s3, 0x40140000
	v_cndmask_b32_e32 v46, v67, v46, vcc
	v_cndmask_b32_e32 v45, 0, v45, vcc
	v_cmp_lt_i32_e32 vcc, 3, v41
	v_cndmask_b32_e32 v48, v67, v48, vcc
	v_cndmask_b32_e32 v47, 0, v47, vcc
	v_mul_f64 v[45:46], v[45:46], v[47:48]
	v_cmp_lt_i32_e32 vcc, 4, v41
	v_add_f64 v[47:48], v[43:44], s[2:3]
	v_cndmask_b32_e32 v50, v67, v50, vcc
	v_cndmask_b32_e32 v49, 0, v49, vcc
	s_mov_b32 s2, 0
	s_mov_b32 s3, 0x40180000
	v_cmp_lt_i32_e32 vcc, 5, v41
	v_mul_f64 v[45:46], v[49:50], v[45:46]
	v_add_f64 v[49:50], v[43:44], s[2:3]
	v_cndmask_b32_e32 v48, v67, v48, vcc
	v_cndmask_b32_e32 v47, 0, v47, vcc
	v_cmp_lt_i32_e32 vcc, 6, v41
	s_mov_b32 s2, 0xdd17e945
	s_mov_b32 s3, 0x3f00bfec
	v_mul_f64 v[45:46], v[47:48], v[45:46]
	v_cndmask_b32_e32 v48, v67, v50, vcc
	v_cndmask_b32_e32 v47, 0, v49, vcc
	v_mul_f64 v[45:46], v[47:48], v[45:46]
	v_frexp_mant_f64_e32 v[47:48], v[45:46]
	v_cmp_gt_f64_e32 vcc, s[84:85], v[47:48]
	v_cndmask_b32_e64 v41, 0, 1, vcc
	v_ldexp_f64 v[47:48], v[47:48], v41
	v_frexp_exp_i32_f64_e32 v41, v[45:46]
	v_add_f64 v[49:50], v[47:48], 1.0
	v_add_f64 v[55:56], v[47:48], -1.0
	v_subbrev_co_u32_e32 v41, vcc, 0, v41, vcc
	v_rcp_f64_e32 v[51:52], v[49:50]
	v_add_f64 v[57:58], v[49:50], -1.0
	v_add_f64 v[47:48], v[47:48], -v[57:58]
	v_fma_f64 v[53:54], -v[49:50], v[51:52], 1.0
	v_fma_f64 v[51:52], v[53:54], v[51:52], v[51:52]
	v_fma_f64 v[53:54], -v[49:50], v[51:52], 1.0
	v_fma_f64 v[51:52], v[53:54], v[51:52], v[51:52]
	v_mul_f64 v[53:54], v[55:56], v[51:52]
	v_mul_f64 v[59:60], v[49:50], v[53:54]
	v_fma_f64 v[49:50], v[53:54], v[49:50], -v[59:60]
	v_fma_f64 v[47:48], v[53:54], v[47:48], v[49:50]
	v_add_f64 v[49:50], v[59:60], v[47:48]
	v_add_f64 v[57:58], v[55:56], -v[49:50]
	v_add_f64 v[59:60], v[49:50], -v[59:60]
	;; [unrolled: 1-line block ×5, first 2 shown]
	v_add_f64 v[47:48], v[47:48], v[49:50]
	v_add_f64 v[47:48], v[57:58], v[47:48]
	v_fma_f64 v[57:58], v[43:44], s[2:3], v[13:14]
	s_mov_b32 s2, 0xa5b38140
	s_mov_b32 s3, 0x3edebaf7
	v_fma_f64 v[59:60], v[43:44], s[2:3], v[15:16]
	s_mov_b32 s2, 0x7e939961
	s_mov_b32 s3, 0x3f9b481c
	v_mul_f64 v[47:48], v[51:52], v[47:48]
	v_fma_f64 v[57:58], v[43:44], v[57:58], s[2:3]
	s_mov_b32 s2, 0x742ed475
	s_mov_b32 s3, 0x3f9317ea
	v_fma_f64 v[59:60], v[43:44], v[59:60], s[2:3]
	s_mov_b32 s2, 0xbee5f2f7
	s_mov_b32 s3, 0x3fc2bb9c
	v_add_f64 v[49:50], v[53:54], v[47:48]
	v_fma_f64 v[57:58], v[43:44], v[57:58], s[2:3]
	s_mov_b32 s2, 0xccfbdf27
	s_mov_b32 s3, 0x3fc601ed
	v_mul_f64 v[51:52], v[49:50], v[49:50]
	v_fma_f64 v[55:56], v[51:52], s[30:31], v[9:10]
	v_mul_f64 v[61:62], v[49:50], v[51:52]
	v_fma_f64 v[55:56], v[51:52], v[55:56], s[34:35]
	v_fma_f64 v[55:56], v[51:52], v[55:56], s[36:37]
	;; [unrolled: 1-line block ×6, first 2 shown]
	s_mov_b32 s2, 0x4f139f59
	s_mov_b32 s3, 0x3fd4d98f
	v_fma_f64 v[57:58], v[43:44], v[57:58], s[2:3]
	v_ldexp_f64 v[59:60], v[49:50], 1
	s_mov_b32 s2, 0x93d3dcdc
	s_mov_b32 s3, 0x3fe71a18
	v_mul_f64 v[51:52], v[61:62], v[51:52]
	v_fma_f64 v[55:56], v[43:44], v[55:56], s[2:3]
	s_mov_b32 s2, 0x36e20878
	s_mov_b32 s3, 0x3fcb848b
	v_fma_f64 v[57:58], v[43:44], v[57:58], s[2:3]
	v_add_f64 v[49:50], v[49:50], -v[53:54]
	v_cvt_f64_i32_e32 v[61:62], v41
	s_mov_b32 s2, 0x62c4ab74
	v_add_f64 v[53:54], v[59:60], v[51:52]
	s_mov_b32 s3, 0x3ff645a7
	v_fma_f64 v[55:56], v[43:44], v[55:56], s[2:3]
	v_mul_f64 v[69:70], v[61:62], s[42:43]
	v_fma_f64 v[57:58], v[43:44], v[57:58], s[68:69]
	v_add_f64 v[47:48], v[47:48], -v[49:50]
	v_add_f64 v[49:50], v[53:54], -v[59:60]
	v_fma_f64 v[55:56], v[43:44], v[55:56], 1.0
	v_fma_f64 v[59:60], v[61:62], s[42:43], -v[69:70]
	v_mul_f64 v[57:58], v[43:44], v[57:58]
	v_ldexp_f64 v[47:48], v[47:48], 1
	v_add_f64 v[49:50], v[51:52], -v[49:50]
	v_fma_f64 v[59:60], v[61:62], s[44:45], v[59:60]
	v_div_scale_f64 v[51:52], s[2:3], v[55:56], v[55:56], v[57:58]
	v_add_f64 v[47:48], v[47:48], v[49:50]
	v_add_f64 v[49:50], v[69:70], v[59:60]
	;; [unrolled: 1-line block ×3, first 2 shown]
	v_add_f64 v[69:70], v[49:50], -v[69:70]
	v_rcp_f64_e32 v[71:72], v[51:52]
	v_add_f64 v[73:74], v[49:50], v[61:62]
	v_add_f64 v[53:54], v[61:62], -v[53:54]
	v_add_f64 v[59:60], v[59:60], -v[69:70]
	;; [unrolled: 1-line block ×4, first 2 shown]
	v_fma_f64 v[77:78], -v[51:52], v[71:72], 1.0
	v_add_f64 v[79:80], v[73:74], -v[75:76]
	v_add_f64 v[53:54], v[61:62], -v[75:76]
	v_div_scale_f64 v[61:62], vcc, v[57:58], v[55:56], v[57:58]
	v_fma_f64 v[71:72], v[71:72], v[77:78], v[71:72]
	v_add_f64 v[75:76], v[59:60], v[47:48]
	v_add_f64 v[49:50], v[49:50], -v[79:80]
	v_fma_f64 v[69:70], -v[51:52], v[71:72], 1.0
	v_add_f64 v[49:50], v[53:54], v[49:50]
	v_fma_f64 v[53:54], v[71:72], v[69:70], v[71:72]
	v_add_f64 v[69:70], v[75:76], -v[59:60]
	v_add_f64 v[49:50], v[75:76], v[49:50]
	v_mul_f64 v[71:72], v[61:62], v[53:54]
	v_add_f64 v[75:76], v[75:76], -v[69:70]
	v_add_f64 v[47:48], v[47:48], -v[69:70]
	v_add_f64 v[77:78], v[73:74], v[49:50]
	v_fma_f64 v[51:52], -v[51:52], v[71:72], v[61:62]
	v_add_f64 v[59:60], v[59:60], -v[75:76]
	v_add_f64 v[61:62], v[77:78], -v[73:74]
	v_div_fmas_f64 v[51:52], v[51:52], v[53:54], v[71:72]
	v_add_f64 v[47:48], v[47:48], v[59:60]
	v_cmp_class_f64_e64 vcc, v[45:46], s89
	v_add_f64 v[49:50], v[49:50], -v[61:62]
	v_add_f64 v[47:48], v[47:48], v[49:50]
	v_div_fixup_f64 v[49:50], v[51:52], v[55:56], v[57:58]
	v_add_f64 v[47:48], v[77:78], v[47:48]
	v_fma_f64 v[43:44], v[43:44], 0.5, v[49:50]
	v_cndmask_b32_e32 v41, v47, v45, vcc
	v_cndmask_b32_e32 v47, v48, v46, vcc
	v_cmp_ngt_f64_e32 vcc, 0, v[45:46]
	v_cndmask_b32_e32 v48, v68, v47, vcc
	v_cmp_nge_f64_e32 vcc, 0, v[45:46]
	v_cndmask_b32_e32 v47, 0, v41, vcc
	v_cmp_neq_f64_e32 vcc, 0, v[45:46]
	v_cndmask_b32_e32 v48, v66, v48, vcc
	v_add_f64 v[43:44], v[43:44], v[47:48]
.LBB8_15:                               ;   in Loop: Header=BB8_5 Depth=1
	s_or_b64 exec, exec, s[0:1]
.LBB8_16:                               ;   in Loop: Header=BB8_5 Depth=1
	s_andn2_saveexec_b64 s[8:9], s[8:9]
	s_cbranch_execz .LBB8_30
; %bb.17:                               ;   in Loop: Header=BB8_5 Depth=1
	v_cmp_lt_u32_e32 vcc, s90, v42
                                        ; implicit-def: $vgpr41
                                        ; implicit-def: $vgpr45_vgpr46
	s_and_saveexec_b64 s[0:1], vcc
	s_xor_b64 s[0:1], exec, s[0:1]
	s_cbranch_execz .LBB8_19
; %bb.18:                               ;   in Loop: Header=BB8_5 Depth=1
	s_mov_b32 s2, 0x6356be3f
	s_mov_b32 s3, 0xbff762d8
	v_add_f64 v[43:44], -|v[5:6]|, 2.0
	v_add_f64 v[45:46], |v[5:6]|, s[2:3]
	v_add_f64 v[47:48], |v[5:6]|, -1.0
	s_mov_b32 s2, 0x3ffbb4c3
	v_cmp_gt_u32_e32 vcc, s2, v42
	s_mov_b32 s2, 0x3ff3b4c4
	v_cndmask_b32_e64 v41, 0, 1, vcc
	v_cndmask_b32_e32 v43, v43, v45, vcc
	v_cndmask_b32_e32 v44, v44, v46, vcc
	v_cmp_gt_u32_e32 vcc, s2, v42
	v_cndmask_b32_e32 v46, v44, v48, vcc
	v_cndmask_b32_e32 v45, v43, v47, vcc
	v_cndmask_b32_e64 v41, v41, 2, vcc
.LBB8_19:                               ;   in Loop: Header=BB8_5 Depth=1
	s_or_saveexec_b64 s[10:11], s[0:1]
	v_mov_b32_e32 v43, 0
	v_mov_b32_e32 v44, 0
	s_xor_b64 exec, exec, s[10:11]
	s_cbranch_execz .LBB8_21
; %bb.20:                               ;   in Loop: Header=BB8_5 Depth=1
	v_frexp_mant_f64_e64 v[43:44], |v[5:6]|
	s_mov_b32 s29, s85
	s_mov_b32 s0, 0x8d5af8fc
	;; [unrolled: 1-line block ×4, first 2 shown]
	v_cmp_gt_u32_e64 s[2:3], s2, v42
	v_cmp_gt_f64_e32 vcc, s[84:85], v[43:44]
	v_cndmask_b32_e64 v41, 0, 1, vcc
	v_ldexp_f64 v[43:44], v[43:44], v41
	v_frexp_exp_i32_f64_e32 v41, v[5:6]
	v_add_f64 v[45:46], v[43:44], 1.0
	v_add_f64 v[51:52], v[43:44], -1.0
	v_subbrev_co_u32_e32 v41, vcc, 0, v41, vcc
	v_cmp_neq_f64_e64 vcc, |v[5:6]|, s[86:87]
	v_rcp_f64_e32 v[47:48], v[45:46]
	v_add_f64 v[53:54], v[45:46], -1.0
	v_add_f64 v[43:44], v[43:44], -v[53:54]
	v_fma_f64 v[49:50], -v[45:46], v[47:48], 1.0
	v_fma_f64 v[47:48], v[49:50], v[47:48], v[47:48]
	v_fma_f64 v[49:50], -v[45:46], v[47:48], 1.0
	v_fma_f64 v[47:48], v[49:50], v[47:48], v[47:48]
	v_mul_f64 v[49:50], v[51:52], v[47:48]
	v_mul_f64 v[55:56], v[45:46], v[49:50]
	v_fma_f64 v[45:46], v[49:50], v[45:46], -v[55:56]
	v_fma_f64 v[43:44], v[49:50], v[43:44], v[45:46]
	v_add_f64 v[45:46], v[55:56], v[43:44]
	v_add_f64 v[53:54], v[51:52], -v[45:46]
	v_add_f64 v[55:56], v[45:46], -v[55:56]
	;; [unrolled: 1-line block ×5, first 2 shown]
	v_add_f64 v[43:44], v[43:44], v[45:46]
	v_add_f64 v[43:44], v[53:54], v[43:44]
	v_mul_f64 v[43:44], v[47:48], v[43:44]
	v_add_f64 v[45:46], v[49:50], v[43:44]
	v_mul_f64 v[47:48], v[45:46], v[45:46]
	v_fma_f64 v[51:52], v[47:48], s[30:31], v[9:10]
	v_mul_f64 v[53:54], v[45:46], v[47:48]
	v_fma_f64 v[51:52], v[47:48], v[51:52], s[34:35]
	v_fma_f64 v[51:52], v[47:48], v[51:52], s[36:37]
	v_fma_f64 v[51:52], v[47:48], v[51:52], s[38:39]
	v_fma_f64 v[51:52], v[47:48], v[51:52], s[40:41]
	v_fma_f64 v[47:48], v[47:48], v[51:52], s[28:29]
	v_ldexp_f64 v[51:52], v[45:46], 1
	v_add_f64 v[45:46], v[45:46], -v[49:50]
	v_mul_f64 v[47:48], v[53:54], v[47:48]
	v_cvt_f64_i32_e32 v[53:54], v41
	v_add_f64 v[43:44], v[43:44], -v[45:46]
	v_and_b32_e32 v41, 0x7fffffff, v6
	v_mul_f64 v[55:56], v[53:54], s[42:43]
	v_add_f64 v[49:50], v[51:52], v[47:48]
	v_ldexp_f64 v[43:44], v[43:44], 1
	v_add_f64 v[45:46], v[49:50], -v[51:52]
	v_fma_f64 v[51:52], v[53:54], s[42:43], -v[55:56]
	v_add_f64 v[45:46], v[47:48], -v[45:46]
	v_fma_f64 v[47:48], v[53:54], s[44:45], v[51:52]
	v_add_f64 v[43:44], v[43:44], v[45:46]
	v_add_f64 v[45:46], v[55:56], v[47:48]
	;; [unrolled: 1-line block ×3, first 2 shown]
	v_add_f64 v[55:56], v[45:46], -v[55:56]
	v_add_f64 v[53:54], v[45:46], v[51:52]
	v_add_f64 v[49:50], v[51:52], -v[49:50]
	v_add_f64 v[47:48], v[47:48], -v[55:56]
	;; [unrolled: 1-line block ×6, first 2 shown]
	v_add_f64 v[51:52], v[47:48], v[43:44]
	v_add_f64 v[45:46], v[45:46], -v[59:60]
	v_add_f64 v[45:46], v[49:50], v[45:46]
	v_add_f64 v[49:50], v[51:52], -v[47:48]
	;; [unrolled: 2-line block ×3, first 2 shown]
	v_add_f64 v[43:44], v[43:44], -v[49:50]
	v_add_f64 v[55:56], v[53:54], v[45:46]
	v_add_f64 v[47:48], v[47:48], -v[51:52]
	v_add_f64 v[49:50], v[55:56], -v[53:54]
	v_add_f64 v[43:44], v[43:44], v[47:48]
	v_add_f64 v[47:48], |v[5:6]|, s[0:1]
	v_cmp_neq_f64_e64 s[0:1], 0, v[5:6]
	v_add_f64 v[45:46], v[45:46], -v[49:50]
	v_cndmask_b32_e64 v49, 0, 1, s[2:3]
	v_add_f64 v[43:44], v[43:44], v[45:46]
	v_add_f64 v[45:46], -|v[5:6]|, 1.0
	v_add_f64 v[43:44], v[55:56], v[43:44]
	v_cndmask_b32_e64 v45, v45, v47, s[2:3]
	v_cndmask_b32_e64 v46, v46, v48, s[2:3]
	s_mov_b32 s2, 0x3fcda661
	v_cmp_gt_u32_e64 s[2:3], s2, v42
	v_cndmask_b32_e64 v46, v46, v41, s[2:3]
	v_cndmask_b32_e64 v45, v45, v5, s[2:3]
	;; [unrolled: 1-line block ×3, first 2 shown]
	v_xor_b32_e32 v44, 0x80000000, v44
	v_cndmask_b32_e32 v44, v66, v44, vcc
	s_and_b64 vcc, s[0:1], vcc
	v_cndmask_b32_e64 v44, v65, v44, s[0:1]
	v_cndmask_b32_e32 v43, 0, v43, vcc
.LBB8_21:                               ;   in Loop: Header=BB8_5 Depth=1
	s_or_b64 exec, exec, s[10:11]
	v_cmp_lt_i32_e32 vcc, 1, v41
                                        ; implicit-def: $vgpr49_vgpr50
	s_and_saveexec_b64 s[0:1], vcc
	s_xor_b64 s[0:1], exec, s[0:1]
	s_cbranch_execz .LBB8_23
; %bb.22:                               ;   in Loop: Header=BB8_5 Depth=1
	s_mov_b32 s2, 0xbf2bab09
	s_mov_b32 s3, 0x3f8b678b
	v_fma_f64 v[47:48], v[45:46], s[2:3], v[17:18]
	s_mov_b32 s2, 0x57d0cf61
	s_mov_b32 s3, 0x3f6a5abb
	v_fma_f64 v[49:50], v[45:46], s[2:3], v[19:20]
	s_mov_b32 s2, 0x44ea8450
	s_mov_b32 s3, 0x3fef4976
	;; [unrolled: 1-line block ×3, first 2 shown]
                                        ; implicit-def: $vgpr41
	v_fma_f64 v[47:48], v[45:46], v[47:48], s[2:3]
	s_mov_b32 s2, 0xe45050af
	s_mov_b32 s3, 0x3fe89dfb
	v_fma_f64 v[49:50], v[45:46], v[49:50], s[2:3]
	s_mov_b32 s2, 0xd119bd6f
	s_mov_b32 s3, 0x3ff7475c
	;; [unrolled: 3-line block ×5, first 2 shown]
	v_fma_f64 v[49:50], v[45:46], v[49:50], s[2:3]
	v_fma_f64 v[47:48], v[45:46], v[47:48], s[68:69]
	v_fma_f64 v[49:50], v[45:46], v[49:50], 1.0
	v_mul_f64 v[47:48], v[45:46], v[47:48]
	v_div_scale_f64 v[51:52], s[2:3], v[49:50], v[49:50], v[47:48]
	v_div_scale_f64 v[57:58], vcc, v[47:48], v[49:50], v[47:48]
	v_rcp_f64_e32 v[53:54], v[51:52]
	v_fma_f64 v[55:56], -v[51:52], v[53:54], 1.0
	v_fma_f64 v[53:54], v[53:54], v[55:56], v[53:54]
	v_fma_f64 v[55:56], -v[51:52], v[53:54], 1.0
	v_fma_f64 v[53:54], v[53:54], v[55:56], v[53:54]
	v_mul_f64 v[55:56], v[57:58], v[53:54]
	v_fma_f64 v[51:52], -v[51:52], v[55:56], v[57:58]
	v_div_fmas_f64 v[51:52], v[51:52], v[53:54], v[55:56]
	v_div_fixup_f64 v[47:48], v[51:52], v[49:50], v[47:48]
	v_fma_f64 v[49:50], v[45:46], -0.5, v[47:48]
                                        ; implicit-def: $vgpr45_vgpr46
.LBB8_23:                               ;   in Loop: Header=BB8_5 Depth=1
	s_andn2_saveexec_b64 s[0:1], s[0:1]
	s_cbranch_execz .LBB8_29
; %bb.24:                               ;   in Loop: Header=BB8_5 Depth=1
	v_mul_f64 v[47:48], v[45:46], v[45:46]
	v_cmp_ne_u32_e32 vcc, 1, v41
                                        ; implicit-def: $vgpr49_vgpr50
	s_and_saveexec_b64 s[2:3], vcc
	s_xor_b64 s[2:3], exec, s[2:3]
	s_cbranch_execz .LBB8_26
; %bb.25:                               ;   in Loop: Header=BB8_5 Depth=1
	s_mov_b32 s10, 0x90a45837
	s_mov_b32 s11, 0x3f07858e
	v_fma_f64 v[49:50], v[47:48], s[10:11], v[23:24]
	s_mov_b32 s10, 0x428cfa52
	s_mov_b32 s11, 0x3efa7074
	v_fma_f64 v[51:52], v[47:48], s[10:11], v[21:22]
	;; [unrolled: 3-line block ×9, first 2 shown]
	v_fma_f64 v[51:52], v[47:48], v[51:52], s[94:95]
	v_mul_f64 v[47:48], v[47:48], v[49:50]
	v_fma_f64 v[47:48], v[45:46], v[51:52], v[47:48]
	v_fma_f64 v[49:50], v[45:46], -0.5, v[47:48]
                                        ; implicit-def: $vgpr45_vgpr46
                                        ; implicit-def: $vgpr47_vgpr48
.LBB8_26:                               ;   in Loop: Header=BB8_5 Depth=1
	s_andn2_saveexec_b64 s[2:3], s[2:3]
	s_cbranch_execz .LBB8_28
; %bb.27:                               ;   in Loop: Header=BB8_5 Depth=1
	v_mul_f64 v[49:50], v[45:46], v[47:48]
	s_mov_b32 s10, 0xecc38c38
	s_mov_b32 s11, 0xbf347f24
	v_fma_f64 v[51:52], v[49:50], s[10:11], v[27:28]
	s_mov_b32 s10, 0xe8c2d3f4
	s_mov_b32 s11, 0x3f35fd3e
	v_fma_f64 v[53:54], v[49:50], s[10:11], v[29:30]
	;; [unrolled: 3-line block ×12, first 2 shown]
	v_fma_f64 v[51:52], v[49:50], v[55:56], s[10:11]
	s_mov_b32 s10, 0xa48a971f
	s_mov_b32 s11, 0xbc50c7ca
	v_fma_f64 v[45:46], v[49:50], -v[45:46], s[10:11]
	s_mov_b32 s10, 0xbcc38a42
	s_mov_b32 s11, 0xbfbf19b9
	v_fma_f64 v[45:46], v[47:48], v[51:52], -v[45:46]
	v_add_f64 v[49:50], v[45:46], s[10:11]
.LBB8_28:                               ;   in Loop: Header=BB8_5 Depth=1
	s_or_b64 exec, exec, s[2:3]
.LBB8_29:                               ;   in Loop: Header=BB8_5 Depth=1
	s_or_b64 exec, exec, s[0:1]
	v_add_f64 v[43:44], v[43:44], v[49:50]
.LBB8_30:                               ;   in Loop: Header=BB8_5 Depth=1
	s_or_b64 exec, exec, s[8:9]
.LBB8_31:                               ;   in Loop: Header=BB8_5 Depth=1
	s_andn2_saveexec_b64 s[2:3], s[6:7]
	s_cbranch_execz .LBB8_33
; %bb.32:                               ;   in Loop: Header=BB8_5 Depth=1
	v_frexp_mant_f64_e64 v[43:44], |v[5:6]|
	s_mov_b32 s29, s85
	v_cmp_neq_f64_e64 s[0:1], 0, v[5:6]
	v_cmp_gt_f64_e32 vcc, s[84:85], v[43:44]
	v_cndmask_b32_e64 v41, 0, 1, vcc
	v_ldexp_f64 v[43:44], v[43:44], v41
	v_frexp_exp_i32_f64_e32 v41, v[5:6]
	v_add_f64 v[45:46], v[43:44], 1.0
	v_add_f64 v[51:52], v[43:44], -1.0
	v_subbrev_co_u32_e32 v41, vcc, 0, v41, vcc
	v_cmp_neq_f64_e64 vcc, |v[5:6]|, s[86:87]
	v_rcp_f64_e32 v[47:48], v[45:46]
	v_add_f64 v[53:54], v[45:46], -1.0
	v_add_f64 v[43:44], v[43:44], -v[53:54]
	v_fma_f64 v[49:50], -v[45:46], v[47:48], 1.0
	v_fma_f64 v[47:48], v[49:50], v[47:48], v[47:48]
	v_fma_f64 v[49:50], -v[45:46], v[47:48], 1.0
	v_fma_f64 v[47:48], v[49:50], v[47:48], v[47:48]
	v_mul_f64 v[49:50], v[51:52], v[47:48]
	v_mul_f64 v[55:56], v[45:46], v[49:50]
	v_fma_f64 v[45:46], v[49:50], v[45:46], -v[55:56]
	v_fma_f64 v[43:44], v[49:50], v[43:44], v[45:46]
	v_add_f64 v[45:46], v[55:56], v[43:44]
	v_add_f64 v[53:54], v[51:52], -v[45:46]
	v_add_f64 v[55:56], v[45:46], -v[55:56]
	;; [unrolled: 1-line block ×5, first 2 shown]
	v_add_f64 v[43:44], v[43:44], v[45:46]
	v_add_f64 v[43:44], v[53:54], v[43:44]
	v_mul_f64 v[43:44], v[47:48], v[43:44]
	v_add_f64 v[45:46], v[49:50], v[43:44]
	v_mul_f64 v[47:48], v[45:46], v[45:46]
	v_fma_f64 v[51:52], v[47:48], s[30:31], v[9:10]
	v_mul_f64 v[53:54], v[45:46], v[47:48]
	v_fma_f64 v[51:52], v[47:48], v[51:52], s[34:35]
	v_fma_f64 v[51:52], v[47:48], v[51:52], s[36:37]
	;; [unrolled: 1-line block ×5, first 2 shown]
	v_ldexp_f64 v[51:52], v[45:46], 1
	v_add_f64 v[45:46], v[45:46], -v[49:50]
	v_mul_f64 v[47:48], v[53:54], v[47:48]
	v_cvt_f64_i32_e32 v[53:54], v41
	v_add_f64 v[43:44], v[43:44], -v[45:46]
	v_mul_f64 v[55:56], v[53:54], s[42:43]
	v_add_f64 v[49:50], v[51:52], v[47:48]
	v_ldexp_f64 v[43:44], v[43:44], 1
	v_add_f64 v[45:46], v[49:50], -v[51:52]
	v_fma_f64 v[51:52], v[53:54], s[42:43], -v[55:56]
	v_add_f64 v[45:46], v[47:48], -v[45:46]
	v_fma_f64 v[47:48], v[53:54], s[44:45], v[51:52]
	v_add_f64 v[43:44], v[43:44], v[45:46]
	v_add_f64 v[45:46], v[55:56], v[47:48]
	;; [unrolled: 1-line block ×3, first 2 shown]
	v_add_f64 v[55:56], v[45:46], -v[55:56]
	v_add_f64 v[53:54], v[45:46], v[51:52]
	v_add_f64 v[49:50], v[51:52], -v[49:50]
	v_add_f64 v[47:48], v[47:48], -v[55:56]
	;; [unrolled: 1-line block ×6, first 2 shown]
	v_add_f64 v[51:52], v[47:48], v[43:44]
	v_add_f64 v[45:46], v[45:46], -v[59:60]
	v_add_f64 v[45:46], v[49:50], v[45:46]
	v_add_f64 v[49:50], v[51:52], -v[47:48]
	;; [unrolled: 2-line block ×3, first 2 shown]
	v_add_f64 v[43:44], v[43:44], -v[49:50]
	v_add_f64 v[55:56], v[53:54], v[45:46]
	v_add_f64 v[47:48], v[47:48], -v[51:52]
	v_add_f64 v[49:50], v[55:56], -v[53:54]
	v_add_f64 v[43:44], v[43:44], v[47:48]
	v_fma_f64 v[47:48], |v[5:6]|, s[56:57], v[31:32]
	v_add_f64 v[45:46], v[45:46], -v[49:50]
	v_add_f64 v[43:44], v[43:44], v[45:46]
	v_fma_f64 v[45:46], |v[5:6]|, v[47:48], s[50:51]
	v_add_f64 v[43:44], v[55:56], v[43:44]
	v_fma_f64 v[45:46], |v[5:6]|, v[45:46], s[52:53]
	v_xor_b32_e32 v41, 0x80000000, v44
	v_fma_f64 v[44:45], |v[5:6]|, v[45:46], s[54:55]
	v_cndmask_b32_e32 v41, v66, v41, vcc
	s_and_b64 vcc, s[0:1], vcc
	v_cndmask_b32_e64 v47, v65, v41, s[0:1]
	v_cndmask_b32_e32 v46, 0, v43, vcc
	v_fma_f64 v[43:44], |v[5:6]|, v[44:45], v[46:47]
.LBB8_33:                               ;   in Loop: Header=BB8_5 Depth=1
	s_or_b64 exec, exec, s[2:3]
	v_cmp_le_f64_e32 vcc, 0, v[5:6]
	s_and_saveexec_b64 s[0:1], vcc
	s_xor_b64 s[2:3], exec, s[0:1]
	s_cbranch_execz .LBB8_35
; %bb.34:                               ;   in Loop: Header=BB8_5 Depth=1
	v_cmp_eq_f64_e32 vcc, 1.0, v[5:6]
	v_cmp_eq_f64_e64 s[0:1], 2.0, v[5:6]
	s_or_b64 s[0:1], vcc, s[0:1]
	v_cndmask_b32_e64 v44, v44, 0, s[0:1]
	v_cndmask_b32_e64 v43, v43, 0, s[0:1]
.LBB8_35:                               ;   in Loop: Header=BB8_5 Depth=1
	s_andn2_saveexec_b64 s[2:3], s[2:3]
	s_cbranch_execz .LBB8_39
; %bb.36:                               ;   in Loop: Header=BB8_5 Depth=1
	v_add_u32_e32 v41, 0xc32fffff, v42
	v_cmp_gt_u32_e32 vcc, s91, v41
	s_and_saveexec_b64 s[6:7], vcc
	s_cbranch_execz .LBB8_38
; %bb.37:                               ;   in Loop: Header=BB8_5 Depth=1
	v_mul_f64 v[45:46], |v[5:6]|, 0.5
	v_and_b32_e32 v41, 0x7fffffff, v6
	v_cmp_class_f64_e64 s[0:1], v[5:6], s92
	s_mov_b32 s29, s85
	v_cmp_class_f64_e64 s[8:9], v[5:6], s89
	v_fract_f64_e32 v[47:48], v[45:46]
	v_cmp_neq_f64_e64 vcc, |v[45:46]|, s[86:87]
	v_add_f64 v[47:48], v[47:48], v[47:48]
	v_cndmask_b32_e32 v45, 0, v47, vcc
	v_cndmask_b32_e32 v46, 0, v48, vcc
	v_cmp_gt_f64_e64 vcc, |v[5:6]|, 1.0
	v_cndmask_b32_e32 v46, v41, v46, vcc
	v_cndmask_b32_e32 v45, v5, v45, vcc
	v_add_f64 v[47:48], v[45:46], v[45:46]
	v_rndne_f64_e32 v[47:48], v[47:48]
	v_fma_f64 v[45:46], v[47:48], -0.5, v[45:46]
	v_cvt_i32_f64_e32 v41, v[47:48]
	v_and_b32_e32 v47, 1, v41
	v_lshlrev_b32_e32 v41, 30, v41
	v_cmp_eq_u32_e32 vcc, 0, v47
	v_mul_f64 v[49:50], v[45:46], v[45:46]
	v_xor_b32_e32 v41, v41, v6
	v_and_b32_e32 v41, 0x80000000, v41
	v_fma_f64 v[51:52], v[49:50], s[24:25], v[33:34]
	v_fma_f64 v[53:54], v[49:50], s[70:71], v[35:36]
	v_mul_f64 v[55:56], v[45:46], v[49:50]
	v_fma_f64 v[51:52], v[49:50], v[51:52], s[58:59]
	v_fma_f64 v[53:54], v[49:50], v[53:54], s[72:73]
	;; [unrolled: 1-line block ×8, first 2 shown]
	v_mul_f64 v[51:52], v[55:56], v[51:52]
	v_fma_f64 v[53:54], v[49:50], v[53:54], s[80:81]
	v_fma_f64 v[45:46], v[45:46], s[66:67], v[51:52]
	v_fma_f64 v[49:50], v[49:50], v[53:54], 1.0
	v_cndmask_b32_e32 v46, v50, v46, vcc
	v_cndmask_b32_e32 v45, v49, v45, vcc
	v_xor_b32_e32 v41, v46, v41
	v_cndmask_b32_e64 v45, 0, v45, s[0:1]
	v_cndmask_b32_e64 v46, v68, v41, s[0:1]
	v_mul_f64 v[45:46], v[5:6], v[45:46]
	v_and_b32_e32 v48, 0x7fffffff, v46
	v_mov_b32_e32 v47, v45
	v_div_scale_f64 v[49:50], s[0:1], v[47:48], v[47:48], s[66:67]
	v_div_scale_f64 v[47:48], vcc, s[66:67], v[47:48], s[66:67]
	v_rcp_f64_e32 v[51:52], v[49:50]
	v_fma_f64 v[53:54], -v[49:50], v[51:52], 1.0
	v_fma_f64 v[51:52], v[51:52], v[53:54], v[51:52]
	v_fma_f64 v[53:54], -v[49:50], v[51:52], 1.0
	v_fma_f64 v[51:52], v[51:52], v[53:54], v[51:52]
	v_mul_f64 v[53:54], v[47:48], v[51:52]
	v_fma_f64 v[47:48], -v[49:50], v[53:54], v[47:48]
	v_div_fmas_f64 v[47:48], v[47:48], v[51:52], v[53:54]
	v_div_fixup_f64 v[45:46], v[47:48], |v[45:46]|, s[66:67]
	v_frexp_mant_f64_e32 v[47:48], v[45:46]
	v_cmp_gt_f64_e32 vcc, s[84:85], v[47:48]
	v_cndmask_b32_e64 v41, 0, 1, vcc
	v_ldexp_f64 v[47:48], v[47:48], v41
	v_frexp_exp_i32_f64_e32 v41, v[45:46]
	v_add_f64 v[49:50], v[47:48], 1.0
	v_add_f64 v[55:56], v[47:48], -1.0
	v_subbrev_co_u32_e32 v41, vcc, 0, v41, vcc
	v_cmp_class_f64_e64 vcc, v[45:46], s89
	v_rcp_f64_e32 v[51:52], v[49:50]
	v_add_f64 v[57:58], v[49:50], -1.0
	v_add_f64 v[47:48], v[47:48], -v[57:58]
	v_fma_f64 v[53:54], -v[49:50], v[51:52], 1.0
	v_fma_f64 v[51:52], v[53:54], v[51:52], v[51:52]
	v_fma_f64 v[53:54], -v[49:50], v[51:52], 1.0
	v_fma_f64 v[51:52], v[53:54], v[51:52], v[51:52]
	v_mul_f64 v[53:54], v[55:56], v[51:52]
	v_mul_f64 v[59:60], v[49:50], v[53:54]
	v_fma_f64 v[49:50], v[53:54], v[49:50], -v[59:60]
	v_fma_f64 v[47:48], v[53:54], v[47:48], v[49:50]
	v_add_f64 v[49:50], v[59:60], v[47:48]
	v_add_f64 v[57:58], v[55:56], -v[49:50]
	v_add_f64 v[59:60], v[49:50], -v[59:60]
	;; [unrolled: 1-line block ×5, first 2 shown]
	v_add_f64 v[47:48], v[47:48], v[49:50]
	v_add_f64 v[47:48], v[57:58], v[47:48]
	v_mul_f64 v[47:48], v[51:52], v[47:48]
	v_add_f64 v[49:50], v[53:54], v[47:48]
	v_mul_f64 v[51:52], v[49:50], v[49:50]
	v_fma_f64 v[55:56], v[51:52], s[30:31], v[9:10]
	v_mul_f64 v[57:58], v[49:50], v[51:52]
	v_fma_f64 v[55:56], v[51:52], v[55:56], s[34:35]
	v_fma_f64 v[55:56], v[51:52], v[55:56], s[36:37]
	;; [unrolled: 1-line block ×5, first 2 shown]
	v_ldexp_f64 v[55:56], v[49:50], 1
	v_add_f64 v[49:50], v[49:50], -v[53:54]
	v_mul_f64 v[51:52], v[57:58], v[51:52]
	v_cvt_f64_i32_e32 v[57:58], v41
	v_add_f64 v[47:48], v[47:48], -v[49:50]
	v_mul_f64 v[59:60], v[57:58], s[42:43]
	v_add_f64 v[53:54], v[55:56], v[51:52]
	v_ldexp_f64 v[47:48], v[47:48], 1
	v_add_f64 v[49:50], v[53:54], -v[55:56]
	v_fma_f64 v[55:56], v[57:58], s[42:43], -v[59:60]
	v_add_f64 v[49:50], v[51:52], -v[49:50]
	v_fma_f64 v[51:52], v[57:58], s[44:45], v[55:56]
	v_add_f64 v[47:48], v[47:48], v[49:50]
	v_add_f64 v[49:50], v[59:60], v[51:52]
	;; [unrolled: 1-line block ×3, first 2 shown]
	v_add_f64 v[59:60], v[49:50], -v[59:60]
	v_add_f64 v[57:58], v[49:50], v[55:56]
	v_add_f64 v[53:54], v[55:56], -v[53:54]
	v_add_f64 v[51:52], v[51:52], -v[59:60]
	;; [unrolled: 1-line block ×6, first 2 shown]
	v_add_f64 v[55:56], v[51:52], v[47:48]
	v_add_f64 v[49:50], v[49:50], -v[69:70]
	v_add_f64 v[49:50], v[53:54], v[49:50]
	v_add_f64 v[53:54], v[55:56], -v[51:52]
	;; [unrolled: 2-line block ×3, first 2 shown]
	v_add_f64 v[47:48], v[47:48], -v[53:54]
	v_add_f64 v[59:60], v[57:58], v[49:50]
	v_add_f64 v[51:52], v[51:52], -v[55:56]
	v_add_f64 v[53:54], v[59:60], -v[57:58]
	v_add_f64 v[47:48], v[47:48], v[51:52]
	v_add_f64 v[49:50], v[49:50], -v[53:54]
	v_add_f64 v[47:48], v[47:48], v[49:50]
	v_fract_f64_e32 v[49:50], v[5:6]
	v_add_f64 v[47:48], v[59:60], v[47:48]
	v_cmp_eq_f64_e64 s[0:1], 0, v[49:50]
	v_cndmask_b32_e32 v41, v47, v45, vcc
	v_cndmask_b32_e32 v47, v48, v46, vcc
	v_cmp_neq_f64_e32 vcc, 0, v[45:46]
	v_cndmask_b32_e32 v46, v66, v47, vcc
	v_cndmask_b32_e32 v45, 0, v41, vcc
	v_add_f64 v[43:44], v[45:46], -v[43:44]
	s_or_b64 vcc, s[8:9], s[0:1]
	v_cndmask_b32_e32 v44, v44, v65, vcc
	v_cndmask_b32_e64 v43, v43, 0, vcc
.LBB8_38:                               ;   in Loop: Header=BB8_5 Depth=1
	s_or_b64 exec, exec, s[6:7]
.LBB8_39:                               ;   in Loop: Header=BB8_5 Depth=1
	s_or_b64 exec, exec, s[2:3]
	v_and_b32_e32 v46, 0x7fffffff, v8
	v_mov_b32_e32 v45, v7
	v_cmp_lt_u32_e32 vcc, s48, v46
                                        ; implicit-def: $vgpr47_vgpr48
	s_and_saveexec_b64 s[0:1], vcc
	s_xor_b64 s[6:7], exec, s[0:1]
	s_cbranch_execz .LBB8_65
; %bb.40:                               ;   in Loop: Header=BB8_5 Depth=1
	v_cmp_lt_u32_e32 vcc, s49, v46
                                        ; implicit-def: $vgpr47_vgpr48
	s_and_saveexec_b64 s[0:1], vcc
	s_xor_b64 s[8:9], exec, s[0:1]
	s_cbranch_execz .LBB8_50
; %bb.41:                               ;   in Loop: Header=BB8_5 Depth=1
	;; [unrolled: 6-line block ×3, first 2 shown]
	s_mov_b32 s0, 0x438fffff
	v_cmp_lt_u32_e32 vcc, s0, v46
                                        ; implicit-def: $vgpr47_vgpr48
	s_and_saveexec_b64 s[0:1], vcc
	s_xor_b64 s[2:3], exec, s[0:1]
	s_cbranch_execz .LBB8_44
; %bb.43:                               ;   in Loop: Header=BB8_5 Depth=1
	v_frexp_mant_f64_e64 v[47:48], |v[7:8]|
	s_mov_b32 s29, s85
	v_cmp_neq_f64_e64 s[0:1], 0, v[7:8]
	v_cmp_gt_f64_e32 vcc, s[84:85], v[47:48]
	v_cndmask_b32_e64 v41, 0, 1, vcc
	v_ldexp_f64 v[47:48], v[47:48], v41
	v_frexp_exp_i32_f64_e32 v41, v[7:8]
	v_add_f64 v[49:50], v[47:48], 1.0
	v_add_f64 v[55:56], v[47:48], -1.0
	v_subbrev_co_u32_e32 v41, vcc, 0, v41, vcc
	v_cmp_neq_f64_e64 vcc, |v[7:8]|, s[86:87]
	v_rcp_f64_e32 v[51:52], v[49:50]
	v_add_f64 v[57:58], v[49:50], -1.0
	v_add_f64 v[47:48], v[47:48], -v[57:58]
	v_fma_f64 v[53:54], -v[49:50], v[51:52], 1.0
	v_fma_f64 v[51:52], v[53:54], v[51:52], v[51:52]
	v_fma_f64 v[53:54], -v[49:50], v[51:52], 1.0
	v_fma_f64 v[51:52], v[53:54], v[51:52], v[51:52]
	v_mul_f64 v[53:54], v[55:56], v[51:52]
	v_mul_f64 v[59:60], v[49:50], v[53:54]
	v_fma_f64 v[49:50], v[53:54], v[49:50], -v[59:60]
	v_fma_f64 v[47:48], v[53:54], v[47:48], v[49:50]
	v_add_f64 v[49:50], v[59:60], v[47:48]
	v_add_f64 v[57:58], v[55:56], -v[49:50]
	v_add_f64 v[59:60], v[49:50], -v[59:60]
	;; [unrolled: 1-line block ×5, first 2 shown]
	v_add_f64 v[47:48], v[47:48], v[49:50]
	v_add_f64 v[47:48], v[57:58], v[47:48]
	v_mul_f64 v[47:48], v[51:52], v[47:48]
	v_add_f64 v[49:50], v[53:54], v[47:48]
	v_mul_f64 v[51:52], v[49:50], v[49:50]
	v_fma_f64 v[55:56], v[51:52], s[30:31], v[9:10]
	v_mul_f64 v[57:58], v[49:50], v[51:52]
	v_fma_f64 v[55:56], v[51:52], v[55:56], s[34:35]
	v_fma_f64 v[55:56], v[51:52], v[55:56], s[36:37]
	;; [unrolled: 1-line block ×5, first 2 shown]
	v_ldexp_f64 v[55:56], v[49:50], 1
	v_add_f64 v[49:50], v[49:50], -v[53:54]
	v_mul_f64 v[51:52], v[57:58], v[51:52]
	v_cvt_f64_i32_e32 v[57:58], v41
	v_add_f64 v[47:48], v[47:48], -v[49:50]
	v_mul_f64 v[59:60], v[57:58], s[42:43]
	v_add_f64 v[53:54], v[55:56], v[51:52]
	v_ldexp_f64 v[47:48], v[47:48], 1
	v_add_f64 v[49:50], v[53:54], -v[55:56]
	v_fma_f64 v[55:56], v[57:58], s[42:43], -v[59:60]
	v_add_f64 v[49:50], v[51:52], -v[49:50]
	v_fma_f64 v[51:52], v[57:58], s[44:45], v[55:56]
	v_add_f64 v[47:48], v[47:48], v[49:50]
	v_add_f64 v[49:50], v[59:60], v[51:52]
	;; [unrolled: 1-line block ×3, first 2 shown]
	v_add_f64 v[59:60], v[49:50], -v[59:60]
	v_add_f64 v[57:58], v[49:50], v[55:56]
	v_add_f64 v[53:54], v[55:56], -v[53:54]
	v_add_f64 v[51:52], v[51:52], -v[59:60]
	v_add_f64 v[61:62], v[57:58], -v[49:50]
	v_add_f64 v[47:48], v[47:48], -v[53:54]
	v_add_f64 v[69:70], v[57:58], -v[61:62]
	v_add_f64 v[53:54], v[55:56], -v[61:62]
	v_add_f64 v[55:56], v[51:52], v[47:48]
	v_add_f64 v[49:50], v[49:50], -v[69:70]
	v_add_f64 v[49:50], v[53:54], v[49:50]
	v_add_f64 v[53:54], v[55:56], -v[51:52]
	;; [unrolled: 2-line block ×3, first 2 shown]
	v_add_f64 v[47:48], v[47:48], -v[53:54]
	v_add_f64 v[59:60], v[57:58], v[49:50]
	v_add_f64 v[51:52], v[51:52], -v[55:56]
	v_add_f64 v[53:54], v[59:60], -v[57:58]
	v_add_f64 v[47:48], v[47:48], v[51:52]
	v_add_f64 v[49:50], v[49:50], -v[53:54]
	v_add_f64 v[47:48], v[47:48], v[49:50]
	v_add_f64 v[47:48], v[59:60], v[47:48]
	v_cndmask_b32_e32 v41, v65, v48, vcc
	s_and_b64 vcc, s[0:1], vcc
	v_cndmask_b32_e64 v48, v66, v41, s[0:1]
	v_cndmask_b32_e32 v47, 0, v47, vcc
	v_fma_f64 v[47:48], |v[7:8]|, v[47:48], -|v[7:8]|
.LBB8_44:                               ;   in Loop: Header=BB8_5 Depth=1
	s_andn2_saveexec_b64 s[12:13], s[2:3]
	s_cbranch_execz .LBB8_46
; %bb.45:                               ;   in Loop: Header=BB8_5 Depth=1
	v_frexp_mant_f64_e64 v[47:48], |v[7:8]|
	s_mov_b32 s29, s85
	s_mov_b32 s2, 0x90c97d69
	;; [unrolled: 1-line block ×3, first 2 shown]
	v_cmp_gt_f64_e32 vcc, s[84:85], v[47:48]
	v_cndmask_b32_e64 v41, 0, 1, vcc
	v_ldexp_f64 v[47:48], v[47:48], v41
	v_frexp_exp_i32_f64_e32 v41, v[7:8]
	v_add_f64 v[49:50], v[47:48], 1.0
	v_add_f64 v[55:56], v[47:48], -1.0
	v_subbrev_co_u32_e32 v41, vcc, 0, v41, vcc
	v_cvt_f64_i32_e32 v[69:70], v41
	v_mul_f64 v[71:72], v[69:70], s[42:43]
	v_rcp_f64_e32 v[51:52], v[49:50]
	v_add_f64 v[57:58], v[49:50], -1.0
	v_fma_f64 v[73:74], v[69:70], s[42:43], -v[71:72]
	v_add_f64 v[47:48], v[47:48], -v[57:58]
	v_fma_f64 v[53:54], -v[49:50], v[51:52], 1.0
	v_fma_f64 v[51:52], v[53:54], v[51:52], v[51:52]
	v_fma_f64 v[53:54], -v[49:50], v[51:52], 1.0
	v_fma_f64 v[51:52], v[53:54], v[51:52], v[51:52]
	v_mul_f64 v[53:54], v[55:56], v[51:52]
	v_mul_f64 v[59:60], v[49:50], v[53:54]
	v_fma_f64 v[49:50], v[53:54], v[49:50], -v[59:60]
	v_fma_f64 v[47:48], v[53:54], v[47:48], v[49:50]
	v_add_f64 v[49:50], v[59:60], v[47:48]
	v_add_f64 v[57:58], v[55:56], -v[49:50]
	v_add_f64 v[59:60], v[49:50], -v[59:60]
	;; [unrolled: 1-line block ×5, first 2 shown]
	v_add_f64 v[47:48], v[47:48], v[49:50]
	v_add_f64 v[47:48], v[57:58], v[47:48]
	v_and_b32_e32 v58, 0x7fffffff, v8
	v_mov_b32_e32 v57, v7
	v_div_scale_f64 v[59:60], s[0:1], v[57:58], v[57:58], 1.0
	s_mov_b32 s0, 0xb9e43e4
	s_mov_b32 s1, 0xbf5ab89d
	v_mul_f64 v[47:48], v[51:52], v[47:48]
	v_add_f64 v[49:50], v[53:54], v[47:48]
	v_mul_f64 v[51:52], v[49:50], v[49:50]
	v_fma_f64 v[55:56], v[51:52], s[30:31], v[9:10]
	v_mul_f64 v[61:62], v[49:50], v[51:52]
	v_fma_f64 v[55:56], v[51:52], v[55:56], s[34:35]
	v_fma_f64 v[55:56], v[51:52], v[55:56], s[36:37]
	;; [unrolled: 1-line block ×5, first 2 shown]
	v_ldexp_f64 v[55:56], v[49:50], 1
	v_add_f64 v[49:50], v[49:50], -v[53:54]
	v_mul_f64 v[51:52], v[61:62], v[51:52]
	v_rcp_f64_e32 v[61:62], v[59:60]
	v_add_f64 v[47:48], v[47:48], -v[49:50]
	v_add_f64 v[53:54], v[55:56], v[51:52]
	v_ldexp_f64 v[47:48], v[47:48], 1
	v_add_f64 v[49:50], v[53:54], -v[55:56]
	v_fma_f64 v[55:56], -v[59:60], v[61:62], 1.0
	v_add_f64 v[49:50], v[51:52], -v[49:50]
	v_fma_f64 v[51:52], v[61:62], v[55:56], v[61:62]
	v_fma_f64 v[55:56], v[69:70], s[44:45], v[73:74]
	v_add_f64 v[47:48], v[47:48], v[49:50]
	v_div_scale_f64 v[49:50], vcc, 1.0, v[57:58], 1.0
	v_fma_f64 v[57:58], -v[59:60], v[51:52], 1.0
	v_add_f64 v[61:62], v[71:72], v[55:56]
	v_add_f64 v[69:70], v[53:54], v[47:48]
	v_fma_f64 v[51:52], v[51:52], v[57:58], v[51:52]
	v_add_f64 v[57:58], v[61:62], v[69:70]
	v_add_f64 v[53:54], v[69:70], -v[53:54]
	v_mul_f64 v[73:74], v[49:50], v[51:52]
	v_add_f64 v[75:76], v[57:58], -v[61:62]
	v_add_f64 v[47:48], v[47:48], -v[53:54]
	v_fma_f64 v[49:50], -v[59:60], v[73:74], v[49:50]
	v_add_f64 v[59:60], v[61:62], -v[71:72]
	v_add_f64 v[71:72], v[57:58], -v[75:76]
	v_add_f64 v[53:54], v[69:70], -v[75:76]
	v_div_fmas_f64 v[49:50], v[49:50], v[51:52], v[73:74]
	v_add_f64 v[51:52], v[55:56], -v[59:60]
	v_cmp_neq_f64_e64 vcc, |v[7:8]|, s[86:87]
	v_add_f64 v[55:56], v[61:62], -v[71:72]
	v_add_f64 v[59:60], v[51:52], v[47:48]
	v_add_f64 v[53:54], v[53:54], v[55:56]
	v_div_fixup_f64 v[49:50], v[49:50], |v[7:8]|, 1.0
	v_add_f64 v[55:56], v[59:60], -v[51:52]
	v_add_f64 v[53:54], v[59:60], v[53:54]
	v_mul_f64 v[61:62], v[49:50], v[49:50]
	v_add_f64 v[59:60], v[59:60], -v[55:56]
	v_add_f64 v[47:48], v[47:48], -v[55:56]
	v_add_f64 v[69:70], v[57:58], v[53:54]
	v_fma_f64 v[71:72], v[61:62], s[0:1], v[11:12]
	v_add_f64 v[51:52], v[51:52], -v[59:60]
	s_mov_b32 s0, 0x8c0fe741
	s_mov_b32 s1, 0xbf4380cb
	v_add_f64 v[55:56], v[69:70], -v[57:58]
	v_fma_f64 v[57:58], v[61:62], v[71:72], s[0:1]
	v_add_f64 v[47:48], v[47:48], v[51:52]
	s_mov_b32 s0, 0x98cf38b6
	s_mov_b32 s1, 0x3f4a019f
	v_add_f64 v[51:52], v[53:54], -v[55:56]
	v_fma_f64 v[53:54], v[61:62], v[57:58], s[0:1]
	s_mov_b32 s0, 0x16b02e5c
	s_mov_b32 s1, 0xbf66c16c
	v_add_f64 v[47:48], v[47:48], v[51:52]
	v_fma_f64 v[51:52], v[61:62], v[53:54], s[0:1]
	s_mov_b32 s0, 0x5555553b
	s_mov_b32 s1, 0x3fb55555
	v_add_f64 v[53:54], |v[7:8]|, -0.5
	v_add_f64 v[47:48], v[69:70], v[47:48]
	v_fma_f64 v[51:52], v[61:62], v[51:52], s[0:1]
	v_cmp_neq_f64_e64 s[0:1], 0, v[7:8]
	v_add_f64 v[47:48], v[47:48], -1.0
	v_fma_f64 v[49:50], v[49:50], v[51:52], s[2:3]
	s_and_b64 s[2:3], s[0:1], vcc
	v_cndmask_b32_e32 v41, v65, v48, vcc
	v_cndmask_b32_e64 v48, v66, v41, s[0:1]
	v_cndmask_b32_e64 v47, 0, v47, s[2:3]
	v_fma_f64 v[47:48], v[53:54], v[47:48], v[49:50]
.LBB8_46:                               ;   in Loop: Header=BB8_5 Depth=1
	s_or_b64 exec, exec, s[12:13]
.LBB8_47:                               ;   in Loop: Header=BB8_5 Depth=1
	s_andn2_saveexec_b64 s[0:1], s[10:11]
	s_cbranch_execz .LBB8_49
; %bb.48:                               ;   in Loop: Header=BB8_5 Depth=1
	v_cvt_i32_f64_e32 v41, v[45:46]
	s_mov_b32 s2, 0xdd17e945
	s_mov_b32 s3, 0x3f00bfec
	;; [unrolled: 1-line block ×3, first 2 shown]
	v_cvt_f64_i32_e32 v[47:48], v41
	s_mov_b32 s29, s85
	v_add_f64 v[49:50], |v[7:8]|, -v[47:48]
	v_fma_f64 v[47:48], v[49:50], s[2:3], v[13:14]
	s_mov_b32 s2, 0x7e939961
	s_mov_b32 s3, 0x3f9b481c
	v_fma_f64 v[47:48], v[49:50], v[47:48], s[2:3]
	s_mov_b32 s2, 0xbee5f2f7
	s_mov_b32 s3, 0x3fc2bb9c
	;; [unrolled: 3-line block ×6, first 2 shown]
	v_fma_f64 v[47:48], v[49:50], v[47:48], s[68:69]
	v_fma_f64 v[51:52], v[49:50], v[51:52], s[2:3]
	s_mov_b32 s2, 0xccfbdf27
	s_mov_b32 s3, 0x3fc601ed
	v_mul_f64 v[47:48], v[49:50], v[47:48]
	v_fma_f64 v[51:52], v[49:50], v[51:52], s[2:3]
	s_mov_b32 s2, 0x93d3dcdc
	s_mov_b32 s3, 0x3fe71a18
	v_fma_f64 v[51:52], v[49:50], v[51:52], s[2:3]
	s_mov_b32 s2, 0x62c4ab74
	s_mov_b32 s3, 0x3ff645a7
	v_fma_f64 v[51:52], v[49:50], v[51:52], s[2:3]
	v_fma_f64 v[51:52], v[49:50], v[51:52], 1.0
	v_div_scale_f64 v[53:54], s[2:3], v[51:52], v[51:52], v[47:48]
	s_mov_b32 s2, 0
	s_mov_b32 s3, 0x40080000
	v_rcp_f64_e32 v[55:56], v[53:54]
	v_fma_f64 v[57:58], -v[53:54], v[55:56], 1.0
	v_fma_f64 v[55:56], v[55:56], v[57:58], v[55:56]
	v_fma_f64 v[57:58], -v[53:54], v[55:56], 1.0
	v_fma_f64 v[55:56], v[55:56], v[57:58], v[55:56]
	v_div_scale_f64 v[57:58], vcc, v[47:48], v[51:52], v[47:48]
	v_mul_f64 v[59:60], v[57:58], v[55:56]
	v_fma_f64 v[53:54], -v[53:54], v[59:60], v[57:58]
	s_nop 1
	v_div_fmas_f64 v[53:54], v[53:54], v[55:56], v[59:60]
	v_cmp_lt_i32_e32 vcc, 2, v41
	v_add_f64 v[55:56], v[49:50], 4.0
	v_div_fixup_f64 v[47:48], v[53:54], v[51:52], v[47:48]
	v_add_f64 v[51:52], v[49:50], 2.0
	v_add_f64 v[53:54], v[49:50], s[2:3]
	s_mov_b32 s2, 0
	s_mov_b32 s3, 0x40140000
	v_add_f64 v[57:58], v[49:50], s[2:3]
	s_mov_b32 s2, 0
	s_mov_b32 s3, 0x40180000
	v_fma_f64 v[47:48], v[49:50], 0.5, v[47:48]
	v_cndmask_b32_e32 v52, v67, v52, vcc
	v_cndmask_b32_e32 v51, 0, v51, vcc
	v_cmp_lt_i32_e32 vcc, 3, v41
	v_cndmask_b32_e32 v54, v67, v54, vcc
	v_cndmask_b32_e32 v53, 0, v53, vcc
	v_mul_f64 v[51:52], v[51:52], v[53:54]
	v_cmp_lt_i32_e32 vcc, 4, v41
	v_cndmask_b32_e32 v54, v67, v56, vcc
	v_cndmask_b32_e32 v53, 0, v55, vcc
	v_cmp_lt_i32_e32 vcc, 5, v41
	v_add_f64 v[49:50], v[49:50], s[2:3]
	v_mul_f64 v[51:52], v[53:54], v[51:52]
	v_cndmask_b32_e32 v54, v67, v58, vcc
	v_cndmask_b32_e32 v53, 0, v57, vcc
	v_cmp_lt_i32_e32 vcc, 6, v41
	v_cndmask_b32_e32 v50, v67, v50, vcc
	v_cndmask_b32_e32 v49, 0, v49, vcc
	v_mul_f64 v[51:52], v[53:54], v[51:52]
	v_mul_f64 v[49:50], v[49:50], v[51:52]
	v_frexp_mant_f64_e32 v[51:52], v[49:50]
	v_frexp_exp_i32_f64_e32 v41, v[49:50]
	v_cmp_gt_f64_e32 vcc, s[84:85], v[51:52]
	v_cndmask_b32_e64 v45, 0, 1, vcc
	v_ldexp_f64 v[51:52], v[51:52], v45
	v_subbrev_co_u32_e32 v41, vcc, 0, v41, vcc
	v_cmp_class_f64_e64 vcc, v[49:50], s89
	v_add_f64 v[55:56], v[51:52], 1.0
	v_add_f64 v[53:54], v[51:52], -1.0
	v_add_f64 v[57:58], v[55:56], -1.0
	v_add_f64 v[51:52], v[51:52], -v[57:58]
	v_rcp_f64_e32 v[57:58], v[55:56]
	v_fma_f64 v[59:60], -v[55:56], v[57:58], 1.0
	v_fma_f64 v[57:58], v[59:60], v[57:58], v[57:58]
	v_fma_f64 v[59:60], -v[55:56], v[57:58], 1.0
	v_fma_f64 v[57:58], v[59:60], v[57:58], v[57:58]
	v_mul_f64 v[59:60], v[53:54], v[57:58]
	v_mul_f64 v[61:62], v[55:56], v[59:60]
	v_fma_f64 v[55:56], v[59:60], v[55:56], -v[61:62]
	v_fma_f64 v[51:52], v[59:60], v[51:52], v[55:56]
	v_add_f64 v[55:56], v[61:62], v[51:52]
	v_add_f64 v[69:70], v[53:54], -v[55:56]
	v_add_f64 v[61:62], v[55:56], -v[61:62]
	;; [unrolled: 1-line block ×5, first 2 shown]
	v_add_f64 v[51:52], v[51:52], v[53:54]
	v_add_f64 v[51:52], v[69:70], v[51:52]
	v_mul_f64 v[51:52], v[57:58], v[51:52]
	v_add_f64 v[53:54], v[59:60], v[51:52]
	v_add_f64 v[55:56], v[53:54], -v[59:60]
	v_ldexp_f64 v[59:60], v[53:54], 1
	v_add_f64 v[51:52], v[51:52], -v[55:56]
	v_mul_f64 v[55:56], v[53:54], v[53:54]
	v_ldexp_f64 v[51:52], v[51:52], 1
	v_fma_f64 v[57:58], v[55:56], s[30:31], v[9:10]
	v_mul_f64 v[53:54], v[53:54], v[55:56]
	v_fma_f64 v[57:58], v[55:56], v[57:58], s[34:35]
	v_fma_f64 v[57:58], v[55:56], v[57:58], s[36:37]
	;; [unrolled: 1-line block ×5, first 2 shown]
	v_mul_f64 v[53:54], v[53:54], v[57:58]
	v_add_f64 v[55:56], v[59:60], v[53:54]
	v_add_f64 v[57:58], v[55:56], -v[59:60]
	v_add_f64 v[53:54], v[53:54], -v[57:58]
	v_add_f64 v[51:52], v[51:52], v[53:54]
	v_add_f64 v[53:54], v[55:56], v[51:52]
	v_add_f64 v[55:56], v[53:54], -v[55:56]
	v_add_f64 v[51:52], v[51:52], -v[55:56]
	v_cvt_f64_i32_e32 v[55:56], v41
	v_mul_f64 v[57:58], v[55:56], s[42:43]
	v_fma_f64 v[59:60], v[55:56], s[42:43], -v[57:58]
	v_fma_f64 v[55:56], v[55:56], s[44:45], v[59:60]
	v_add_f64 v[59:60], v[57:58], v[55:56]
	v_add_f64 v[57:58], v[59:60], -v[57:58]
	v_add_f64 v[55:56], v[55:56], -v[57:58]
	v_add_f64 v[57:58], v[59:60], v[53:54]
	v_add_f64 v[61:62], v[57:58], -v[59:60]
	v_add_f64 v[69:70], v[57:58], -v[61:62]
	v_add_f64 v[53:54], v[53:54], -v[61:62]
	v_add_f64 v[59:60], v[59:60], -v[69:70]
	v_add_f64 v[53:54], v[53:54], v[59:60]
	v_add_f64 v[59:60], v[55:56], v[51:52]
	v_add_f64 v[61:62], v[59:60], -v[55:56]
	v_add_f64 v[53:54], v[59:60], v[53:54]
	v_add_f64 v[69:70], v[59:60], -v[61:62]
	v_add_f64 v[51:52], v[51:52], -v[61:62]
	;; [unrolled: 1-line block ×3, first 2 shown]
	v_add_f64 v[51:52], v[51:52], v[55:56]
	v_add_f64 v[55:56], v[57:58], v[53:54]
	v_add_f64 v[57:58], v[55:56], -v[57:58]
	v_add_f64 v[53:54], v[53:54], -v[57:58]
	v_add_f64 v[51:52], v[51:52], v[53:54]
	v_add_f64 v[51:52], v[55:56], v[51:52]
	v_cndmask_b32_e32 v41, v51, v49, vcc
	v_cndmask_b32_e32 v45, v52, v50, vcc
	v_cmp_ngt_f64_e32 vcc, 0, v[49:50]
	v_cndmask_b32_e32 v45, v68, v45, vcc
	v_cmp_nge_f64_e32 vcc, 0, v[49:50]
	v_cndmask_b32_e32 v51, 0, v41, vcc
	v_cmp_neq_f64_e32 vcc, 0, v[49:50]
	v_cndmask_b32_e32 v52, v66, v45, vcc
	v_add_f64 v[47:48], v[47:48], v[51:52]
.LBB8_49:                               ;   in Loop: Header=BB8_5 Depth=1
	s_or_b64 exec, exec, s[0:1]
.LBB8_50:                               ;   in Loop: Header=BB8_5 Depth=1
	s_andn2_saveexec_b64 s[8:9], s[8:9]
	s_cbranch_execz .LBB8_64
; %bb.51:                               ;   in Loop: Header=BB8_5 Depth=1
	v_cmp_lt_u32_e32 vcc, s90, v46
                                        ; implicit-def: $vgpr41
                                        ; implicit-def: $vgpr49_vgpr50
	s_and_saveexec_b64 s[0:1], vcc
	s_xor_b64 s[0:1], exec, s[0:1]
	s_cbranch_execz .LBB8_53
; %bb.52:                               ;   in Loop: Header=BB8_5 Depth=1
	s_mov_b32 s2, 0x6356be3f
	s_mov_b32 s3, 0xbff762d8
	v_add_f64 v[47:48], -|v[7:8]|, 2.0
	v_add_f64 v[49:50], |v[7:8]|, s[2:3]
	v_add_f64 v[51:52], |v[7:8]|, -1.0
	s_mov_b32 s2, 0x3ffbb4c3
	v_cmp_gt_u32_e32 vcc, s2, v46
	s_mov_b32 s2, 0x3ff3b4c4
	v_cndmask_b32_e64 v41, 0, 1, vcc
	v_cndmask_b32_e32 v45, v47, v49, vcc
	v_cndmask_b32_e32 v47, v48, v50, vcc
	v_cmp_gt_u32_e32 vcc, s2, v46
	v_cndmask_b32_e32 v50, v47, v52, vcc
	v_cndmask_b32_e32 v49, v45, v51, vcc
	v_cndmask_b32_e64 v41, v41, 2, vcc
.LBB8_53:                               ;   in Loop: Header=BB8_5 Depth=1
	s_or_saveexec_b64 s[10:11], s[0:1]
	v_mov_b32_e32 v47, 0
	v_mov_b32_e32 v48, 0
	s_xor_b64 exec, exec, s[10:11]
	s_cbranch_execz .LBB8_55
; %bb.54:                               ;   in Loop: Header=BB8_5 Depth=1
	v_frexp_mant_f64_e64 v[47:48], |v[7:8]|
	s_mov_b32 s29, s85
	s_mov_b32 s0, 0x8d5af8fc
	;; [unrolled: 1-line block ×4, first 2 shown]
	v_cmp_gt_u32_e64 s[2:3], s2, v46
	v_cmp_gt_f64_e32 vcc, s[84:85], v[47:48]
	v_cndmask_b32_e64 v41, 0, 1, vcc
	v_ldexp_f64 v[47:48], v[47:48], v41
	v_frexp_exp_i32_f64_e32 v41, v[7:8]
	v_add_f64 v[49:50], v[47:48], 1.0
	v_add_f64 v[55:56], v[47:48], -1.0
	v_subbrev_co_u32_e32 v41, vcc, 0, v41, vcc
	v_cmp_neq_f64_e64 vcc, |v[7:8]|, s[86:87]
	v_rcp_f64_e32 v[51:52], v[49:50]
	v_add_f64 v[57:58], v[49:50], -1.0
	v_add_f64 v[47:48], v[47:48], -v[57:58]
	v_fma_f64 v[53:54], -v[49:50], v[51:52], 1.0
	v_fma_f64 v[51:52], v[53:54], v[51:52], v[51:52]
	v_fma_f64 v[53:54], -v[49:50], v[51:52], 1.0
	v_fma_f64 v[51:52], v[53:54], v[51:52], v[51:52]
	v_mul_f64 v[53:54], v[55:56], v[51:52]
	v_mul_f64 v[59:60], v[49:50], v[53:54]
	v_fma_f64 v[49:50], v[53:54], v[49:50], -v[59:60]
	v_fma_f64 v[47:48], v[53:54], v[47:48], v[49:50]
	v_add_f64 v[49:50], v[59:60], v[47:48]
	v_add_f64 v[57:58], v[55:56], -v[49:50]
	v_add_f64 v[59:60], v[49:50], -v[59:60]
	;; [unrolled: 1-line block ×5, first 2 shown]
	v_add_f64 v[47:48], v[47:48], v[49:50]
	v_add_f64 v[47:48], v[57:58], v[47:48]
	v_mul_f64 v[47:48], v[51:52], v[47:48]
	v_add_f64 v[49:50], v[53:54], v[47:48]
	v_mul_f64 v[51:52], v[49:50], v[49:50]
	v_fma_f64 v[55:56], v[51:52], s[30:31], v[9:10]
	v_mul_f64 v[57:58], v[49:50], v[51:52]
	v_fma_f64 v[55:56], v[51:52], v[55:56], s[34:35]
	v_fma_f64 v[55:56], v[51:52], v[55:56], s[36:37]
	;; [unrolled: 1-line block ×5, first 2 shown]
	v_ldexp_f64 v[55:56], v[49:50], 1
	v_add_f64 v[49:50], v[49:50], -v[53:54]
	v_mul_f64 v[51:52], v[57:58], v[51:52]
	v_cvt_f64_i32_e32 v[57:58], v41
	v_add_f64 v[47:48], v[47:48], -v[49:50]
	v_and_b32_e32 v41, 0x7fffffff, v8
	v_mul_f64 v[59:60], v[57:58], s[42:43]
	v_add_f64 v[53:54], v[55:56], v[51:52]
	v_ldexp_f64 v[47:48], v[47:48], 1
	v_add_f64 v[49:50], v[53:54], -v[55:56]
	v_fma_f64 v[55:56], v[57:58], s[42:43], -v[59:60]
	v_add_f64 v[49:50], v[51:52], -v[49:50]
	v_fma_f64 v[51:52], v[57:58], s[44:45], v[55:56]
	v_add_f64 v[47:48], v[47:48], v[49:50]
	v_add_f64 v[49:50], v[59:60], v[51:52]
	;; [unrolled: 1-line block ×3, first 2 shown]
	v_add_f64 v[59:60], v[49:50], -v[59:60]
	v_add_f64 v[57:58], v[49:50], v[55:56]
	v_add_f64 v[53:54], v[55:56], -v[53:54]
	v_add_f64 v[51:52], v[51:52], -v[59:60]
	;; [unrolled: 1-line block ×6, first 2 shown]
	v_add_f64 v[55:56], v[51:52], v[47:48]
	v_add_f64 v[49:50], v[49:50], -v[69:70]
	v_add_f64 v[49:50], v[53:54], v[49:50]
	v_add_f64 v[53:54], v[55:56], -v[51:52]
	;; [unrolled: 2-line block ×3, first 2 shown]
	v_add_f64 v[47:48], v[47:48], -v[53:54]
	v_add_f64 v[59:60], v[57:58], v[49:50]
	v_add_f64 v[51:52], v[51:52], -v[55:56]
	v_add_f64 v[53:54], v[59:60], -v[57:58]
	v_add_f64 v[47:48], v[47:48], v[51:52]
	v_add_f64 v[51:52], |v[7:8]|, s[0:1]
	v_cmp_neq_f64_e64 s[0:1], 0, v[7:8]
	v_add_f64 v[49:50], v[49:50], -v[53:54]
	v_cndmask_b32_e64 v53, 0, 1, s[2:3]
	v_add_f64 v[47:48], v[47:48], v[49:50]
	v_add_f64 v[49:50], -|v[7:8]|, 1.0
	v_add_f64 v[47:48], v[59:60], v[47:48]
	v_xor_b32_e32 v45, 0x80000000, v48
	v_cndmask_b32_e64 v48, v49, v51, s[2:3]
	v_cndmask_b32_e64 v49, v50, v52, s[2:3]
	s_mov_b32 s2, 0x3fcda661
	v_cndmask_b32_e32 v45, v66, v45, vcc
	v_cmp_gt_u32_e64 s[2:3], s2, v46
	s_and_b64 vcc, s[0:1], vcc
	v_cndmask_b32_e64 v50, v49, v41, s[2:3]
	v_cndmask_b32_e64 v49, v48, v7, s[2:3]
	;; [unrolled: 1-line block ×3, first 2 shown]
	v_cndmask_b32_e32 v47, 0, v47, vcc
	v_cndmask_b32_e64 v41, v53, 2, s[2:3]
.LBB8_55:                               ;   in Loop: Header=BB8_5 Depth=1
	s_or_b64 exec, exec, s[10:11]
	v_cmp_lt_i32_e32 vcc, 1, v41
                                        ; implicit-def: $vgpr53_vgpr54
	s_and_saveexec_b64 s[0:1], vcc
	s_xor_b64 s[0:1], exec, s[0:1]
	s_cbranch_execz .LBB8_57
; %bb.56:                               ;   in Loop: Header=BB8_5 Depth=1
	s_mov_b32 s2, 0xbf2bab09
	s_mov_b32 s3, 0x3f8b678b
	v_fma_f64 v[51:52], v[49:50], s[2:3], v[17:18]
	s_mov_b32 s2, 0x57d0cf61
	s_mov_b32 s3, 0x3f6a5abb
	v_fma_f64 v[53:54], v[49:50], s[2:3], v[19:20]
	s_mov_b32 s2, 0x44ea8450
	s_mov_b32 s3, 0x3fef4976
	;; [unrolled: 1-line block ×3, first 2 shown]
                                        ; implicit-def: $vgpr41
	v_fma_f64 v[51:52], v[49:50], v[51:52], s[2:3]
	s_mov_b32 s2, 0xe45050af
	s_mov_b32 s3, 0x3fe89dfb
	v_fma_f64 v[53:54], v[49:50], v[53:54], s[2:3]
	s_mov_b32 s2, 0xd119bd6f
	s_mov_b32 s3, 0x3ff7475c
	;; [unrolled: 3-line block ×5, first 2 shown]
	v_fma_f64 v[53:54], v[49:50], v[53:54], s[2:3]
	v_fma_f64 v[51:52], v[49:50], v[51:52], s[68:69]
	v_fma_f64 v[53:54], v[49:50], v[53:54], 1.0
	v_mul_f64 v[51:52], v[49:50], v[51:52]
	v_div_scale_f64 v[55:56], s[2:3], v[53:54], v[53:54], v[51:52]
	v_div_scale_f64 v[61:62], vcc, v[51:52], v[53:54], v[51:52]
	v_rcp_f64_e32 v[57:58], v[55:56]
	v_fma_f64 v[59:60], -v[55:56], v[57:58], 1.0
	v_fma_f64 v[57:58], v[57:58], v[59:60], v[57:58]
	v_fma_f64 v[59:60], -v[55:56], v[57:58], 1.0
	v_fma_f64 v[57:58], v[57:58], v[59:60], v[57:58]
	v_mul_f64 v[59:60], v[61:62], v[57:58]
	v_fma_f64 v[55:56], -v[55:56], v[59:60], v[61:62]
	v_div_fmas_f64 v[55:56], v[55:56], v[57:58], v[59:60]
	v_div_fixup_f64 v[51:52], v[55:56], v[53:54], v[51:52]
	v_fma_f64 v[53:54], v[49:50], -0.5, v[51:52]
                                        ; implicit-def: $vgpr49_vgpr50
.LBB8_57:                               ;   in Loop: Header=BB8_5 Depth=1
	s_andn2_saveexec_b64 s[0:1], s[0:1]
	s_cbranch_execz .LBB8_63
; %bb.58:                               ;   in Loop: Header=BB8_5 Depth=1
	v_mul_f64 v[51:52], v[49:50], v[49:50]
	v_cmp_ne_u32_e32 vcc, 1, v41
                                        ; implicit-def: $vgpr53_vgpr54
	s_and_saveexec_b64 s[2:3], vcc
	s_xor_b64 s[2:3], exec, s[2:3]
	s_cbranch_execz .LBB8_60
; %bb.59:                               ;   in Loop: Header=BB8_5 Depth=1
	s_mov_b32 s10, 0x90a45837
	s_mov_b32 s11, 0x3f07858e
	v_fma_f64 v[53:54], v[51:52], s[10:11], v[23:24]
	s_mov_b32 s10, 0x428cfa52
	s_mov_b32 s11, 0x3efa7074
	v_fma_f64 v[55:56], v[51:52], s[10:11], v[21:22]
	;; [unrolled: 3-line block ×9, first 2 shown]
	v_fma_f64 v[55:56], v[51:52], v[55:56], s[94:95]
	v_mul_f64 v[51:52], v[51:52], v[53:54]
	v_fma_f64 v[51:52], v[49:50], v[55:56], v[51:52]
	v_fma_f64 v[53:54], v[49:50], -0.5, v[51:52]
                                        ; implicit-def: $vgpr49_vgpr50
                                        ; implicit-def: $vgpr51_vgpr52
.LBB8_60:                               ;   in Loop: Header=BB8_5 Depth=1
	s_andn2_saveexec_b64 s[2:3], s[2:3]
	s_cbranch_execz .LBB8_62
; %bb.61:                               ;   in Loop: Header=BB8_5 Depth=1
	v_mul_f64 v[53:54], v[49:50], v[51:52]
	s_mov_b32 s10, 0xecc38c38
	s_mov_b32 s11, 0xbf347f24
	v_fma_f64 v[55:56], v[53:54], s[10:11], v[27:28]
	s_mov_b32 s10, 0xe8c2d3f4
	s_mov_b32 s11, 0x3f35fd3e
	v_fma_f64 v[57:58], v[53:54], s[10:11], v[29:30]
	;; [unrolled: 3-line block ×12, first 2 shown]
	v_fma_f64 v[55:56], v[53:54], v[59:60], s[10:11]
	s_mov_b32 s10, 0xa48a971f
	s_mov_b32 s11, 0xbc50c7ca
	v_fma_f64 v[49:50], v[53:54], -v[49:50], s[10:11]
	s_mov_b32 s10, 0xbcc38a42
	s_mov_b32 s11, 0xbfbf19b9
	v_fma_f64 v[49:50], v[51:52], v[55:56], -v[49:50]
	v_add_f64 v[53:54], v[49:50], s[10:11]
.LBB8_62:                               ;   in Loop: Header=BB8_5 Depth=1
	s_or_b64 exec, exec, s[2:3]
.LBB8_63:                               ;   in Loop: Header=BB8_5 Depth=1
	s_or_b64 exec, exec, s[0:1]
	v_add_f64 v[47:48], v[47:48], v[53:54]
.LBB8_64:                               ;   in Loop: Header=BB8_5 Depth=1
	s_or_b64 exec, exec, s[8:9]
.LBB8_65:                               ;   in Loop: Header=BB8_5 Depth=1
	s_andn2_saveexec_b64 s[2:3], s[6:7]
	s_cbranch_execz .LBB8_67
; %bb.66:                               ;   in Loop: Header=BB8_5 Depth=1
	v_frexp_mant_f64_e64 v[47:48], |v[7:8]|
	s_mov_b32 s29, s85
	v_cmp_neq_f64_e64 s[0:1], 0, v[7:8]
	v_cmp_gt_f64_e32 vcc, s[84:85], v[47:48]
	v_cndmask_b32_e64 v41, 0, 1, vcc
	v_ldexp_f64 v[47:48], v[47:48], v41
	v_frexp_exp_i32_f64_e32 v41, v[7:8]
	v_add_f64 v[49:50], v[47:48], 1.0
	v_add_f64 v[55:56], v[47:48], -1.0
	v_subbrev_co_u32_e32 v41, vcc, 0, v41, vcc
	v_cmp_neq_f64_e64 vcc, |v[7:8]|, s[86:87]
	v_rcp_f64_e32 v[51:52], v[49:50]
	v_add_f64 v[57:58], v[49:50], -1.0
	v_add_f64 v[47:48], v[47:48], -v[57:58]
	v_fma_f64 v[53:54], -v[49:50], v[51:52], 1.0
	v_fma_f64 v[51:52], v[53:54], v[51:52], v[51:52]
	v_fma_f64 v[53:54], -v[49:50], v[51:52], 1.0
	v_fma_f64 v[51:52], v[53:54], v[51:52], v[51:52]
	v_mul_f64 v[53:54], v[55:56], v[51:52]
	v_mul_f64 v[59:60], v[49:50], v[53:54]
	v_fma_f64 v[49:50], v[53:54], v[49:50], -v[59:60]
	v_fma_f64 v[47:48], v[53:54], v[47:48], v[49:50]
	v_add_f64 v[49:50], v[59:60], v[47:48]
	v_add_f64 v[57:58], v[55:56], -v[49:50]
	v_add_f64 v[59:60], v[49:50], -v[59:60]
	;; [unrolled: 1-line block ×5, first 2 shown]
	v_add_f64 v[47:48], v[47:48], v[49:50]
	v_add_f64 v[47:48], v[57:58], v[47:48]
	v_mul_f64 v[47:48], v[51:52], v[47:48]
	v_add_f64 v[49:50], v[53:54], v[47:48]
	v_mul_f64 v[51:52], v[49:50], v[49:50]
	v_fma_f64 v[55:56], v[51:52], s[30:31], v[9:10]
	v_mul_f64 v[57:58], v[49:50], v[51:52]
	v_fma_f64 v[55:56], v[51:52], v[55:56], s[34:35]
	v_fma_f64 v[55:56], v[51:52], v[55:56], s[36:37]
	;; [unrolled: 1-line block ×5, first 2 shown]
	v_ldexp_f64 v[55:56], v[49:50], 1
	v_add_f64 v[49:50], v[49:50], -v[53:54]
	v_mul_f64 v[51:52], v[57:58], v[51:52]
	v_cvt_f64_i32_e32 v[57:58], v41
	v_add_f64 v[47:48], v[47:48], -v[49:50]
	v_mul_f64 v[59:60], v[57:58], s[42:43]
	v_add_f64 v[53:54], v[55:56], v[51:52]
	v_ldexp_f64 v[47:48], v[47:48], 1
	v_add_f64 v[49:50], v[53:54], -v[55:56]
	v_fma_f64 v[55:56], v[57:58], s[42:43], -v[59:60]
	v_add_f64 v[49:50], v[51:52], -v[49:50]
	v_fma_f64 v[51:52], v[57:58], s[44:45], v[55:56]
	v_add_f64 v[47:48], v[47:48], v[49:50]
	v_add_f64 v[49:50], v[59:60], v[51:52]
	;; [unrolled: 1-line block ×3, first 2 shown]
	v_add_f64 v[59:60], v[49:50], -v[59:60]
	v_add_f64 v[57:58], v[49:50], v[55:56]
	v_add_f64 v[53:54], v[55:56], -v[53:54]
	v_add_f64 v[51:52], v[51:52], -v[59:60]
	;; [unrolled: 1-line block ×6, first 2 shown]
	v_add_f64 v[55:56], v[51:52], v[47:48]
	v_add_f64 v[49:50], v[49:50], -v[69:70]
	v_add_f64 v[49:50], v[53:54], v[49:50]
	v_add_f64 v[53:54], v[55:56], -v[51:52]
	;; [unrolled: 2-line block ×3, first 2 shown]
	v_add_f64 v[47:48], v[47:48], -v[53:54]
	v_add_f64 v[59:60], v[57:58], v[49:50]
	v_add_f64 v[51:52], v[51:52], -v[55:56]
	v_add_f64 v[53:54], v[59:60], -v[57:58]
	v_add_f64 v[47:48], v[47:48], v[51:52]
	v_fma_f64 v[51:52], |v[7:8]|, s[56:57], v[31:32]
	v_add_f64 v[49:50], v[49:50], -v[53:54]
	v_add_f64 v[47:48], v[47:48], v[49:50]
	v_fma_f64 v[49:50], |v[7:8]|, v[51:52], s[50:51]
	v_add_f64 v[47:48], v[59:60], v[47:48]
	v_fma_f64 v[49:50], |v[7:8]|, v[49:50], s[52:53]
	v_xor_b32_e32 v41, 0x80000000, v48
	v_fma_f64 v[48:49], |v[7:8]|, v[49:50], s[54:55]
	v_cndmask_b32_e32 v41, v66, v41, vcc
	s_and_b64 vcc, s[0:1], vcc
	v_cndmask_b32_e64 v51, v65, v41, s[0:1]
	v_cndmask_b32_e32 v50, 0, v47, vcc
	v_fma_f64 v[47:48], |v[7:8]|, v[48:49], v[50:51]
.LBB8_67:                               ;   in Loop: Header=BB8_5 Depth=1
	s_or_b64 exec, exec, s[2:3]
	v_cmp_le_f64_e32 vcc, 0, v[7:8]
	s_and_saveexec_b64 s[0:1], vcc
	s_xor_b64 s[2:3], exec, s[0:1]
	s_cbranch_execz .LBB8_69
; %bb.68:                               ;   in Loop: Header=BB8_5 Depth=1
	v_cmp_eq_f64_e32 vcc, 1.0, v[7:8]
	v_cmp_eq_f64_e64 s[0:1], 2.0, v[7:8]
	s_or_b64 s[0:1], vcc, s[0:1]
	v_cndmask_b32_e64 v48, v48, 0, s[0:1]
	v_cndmask_b32_e64 v47, v47, 0, s[0:1]
.LBB8_69:                               ;   in Loop: Header=BB8_5 Depth=1
	s_andn2_saveexec_b64 s[2:3], s[2:3]
	s_cbranch_execz .LBB8_73
; %bb.70:                               ;   in Loop: Header=BB8_5 Depth=1
	v_add_u32_e32 v41, 0xc32fffff, v46
	v_cmp_gt_u32_e32 vcc, s91, v41
	s_and_saveexec_b64 s[6:7], vcc
	s_cbranch_execz .LBB8_72
; %bb.71:                               ;   in Loop: Header=BB8_5 Depth=1
	v_mul_f64 v[49:50], |v[7:8]|, 0.5
	v_and_b32_e32 v41, 0x7fffffff, v8
	v_cmp_class_f64_e64 s[0:1], v[7:8], s92
	s_mov_b32 s29, s85
	v_cmp_class_f64_e64 s[8:9], v[7:8], s89
	v_fract_f64_e32 v[51:52], v[49:50]
	v_cmp_neq_f64_e64 vcc, |v[49:50]|, s[86:87]
	v_add_f64 v[51:52], v[51:52], v[51:52]
	v_cndmask_b32_e32 v45, 0, v51, vcc
	v_cndmask_b32_e32 v49, 0, v52, vcc
	v_cmp_gt_f64_e64 vcc, |v[7:8]|, 1.0
	v_cndmask_b32_e32 v50, v41, v49, vcc
	v_cndmask_b32_e32 v49, v7, v45, vcc
	v_add_f64 v[51:52], v[49:50], v[49:50]
	v_rndne_f64_e32 v[51:52], v[51:52]
	v_fma_f64 v[49:50], v[51:52], -0.5, v[49:50]
	v_cvt_i32_f64_e32 v41, v[51:52]
	v_and_b32_e32 v45, 1, v41
	v_lshlrev_b32_e32 v41, 30, v41
	v_cmp_eq_u32_e32 vcc, 0, v45
	v_mul_f64 v[53:54], v[49:50], v[49:50]
	v_xor_b32_e32 v41, v41, v8
	v_and_b32_e32 v41, 0x80000000, v41
	v_fma_f64 v[55:56], v[53:54], s[24:25], v[33:34]
	v_fma_f64 v[57:58], v[53:54], s[70:71], v[35:36]
	v_mul_f64 v[59:60], v[49:50], v[53:54]
	v_fma_f64 v[55:56], v[53:54], v[55:56], s[58:59]
	v_fma_f64 v[57:58], v[53:54], v[57:58], s[72:73]
	;; [unrolled: 1-line block ×8, first 2 shown]
	v_mul_f64 v[55:56], v[59:60], v[55:56]
	v_fma_f64 v[57:58], v[53:54], v[57:58], s[80:81]
	v_fma_f64 v[49:50], v[49:50], s[66:67], v[55:56]
	v_fma_f64 v[53:54], v[53:54], v[57:58], 1.0
	v_cndmask_b32_e32 v45, v53, v49, vcc
	v_cndmask_b32_e32 v49, v54, v50, vcc
	v_xor_b32_e32 v41, v49, v41
	v_cndmask_b32_e64 v49, 0, v45, s[0:1]
	v_cndmask_b32_e64 v50, v68, v41, s[0:1]
	v_mul_f64 v[49:50], v[7:8], v[49:50]
	v_and_b32_e32 v52, 0x7fffffff, v50
	v_mov_b32_e32 v51, v49
	v_div_scale_f64 v[53:54], s[0:1], v[51:52], v[51:52], s[66:67]
	v_div_scale_f64 v[51:52], vcc, s[66:67], v[51:52], s[66:67]
	v_rcp_f64_e32 v[55:56], v[53:54]
	v_fma_f64 v[57:58], -v[53:54], v[55:56], 1.0
	v_fma_f64 v[55:56], v[55:56], v[57:58], v[55:56]
	v_fma_f64 v[57:58], -v[53:54], v[55:56], 1.0
	v_fma_f64 v[55:56], v[55:56], v[57:58], v[55:56]
	v_mul_f64 v[57:58], v[51:52], v[55:56]
	v_fma_f64 v[51:52], -v[53:54], v[57:58], v[51:52]
	v_div_fmas_f64 v[51:52], v[51:52], v[55:56], v[57:58]
	v_div_fixup_f64 v[49:50], v[51:52], |v[49:50]|, s[66:67]
	v_frexp_mant_f64_e32 v[51:52], v[49:50]
	v_cmp_gt_f64_e32 vcc, s[84:85], v[51:52]
	v_cndmask_b32_e64 v41, 0, 1, vcc
	v_ldexp_f64 v[51:52], v[51:52], v41
	v_frexp_exp_i32_f64_e32 v41, v[49:50]
	v_add_f64 v[53:54], v[51:52], 1.0
	v_add_f64 v[59:60], v[51:52], -1.0
	v_subbrev_co_u32_e32 v41, vcc, 0, v41, vcc
	v_cmp_class_f64_e64 vcc, v[49:50], s89
	v_rcp_f64_e32 v[55:56], v[53:54]
	v_add_f64 v[61:62], v[53:54], -1.0
	v_add_f64 v[51:52], v[51:52], -v[61:62]
	v_fma_f64 v[57:58], -v[53:54], v[55:56], 1.0
	v_fma_f64 v[55:56], v[57:58], v[55:56], v[55:56]
	v_fma_f64 v[57:58], -v[53:54], v[55:56], 1.0
	v_fma_f64 v[55:56], v[57:58], v[55:56], v[55:56]
	v_mul_f64 v[57:58], v[59:60], v[55:56]
	v_mul_f64 v[69:70], v[53:54], v[57:58]
	v_fma_f64 v[53:54], v[57:58], v[53:54], -v[69:70]
	v_fma_f64 v[51:52], v[57:58], v[51:52], v[53:54]
	v_add_f64 v[53:54], v[69:70], v[51:52]
	v_add_f64 v[61:62], v[59:60], -v[53:54]
	v_add_f64 v[69:70], v[53:54], -v[69:70]
	;; [unrolled: 1-line block ×5, first 2 shown]
	v_add_f64 v[51:52], v[51:52], v[53:54]
	v_add_f64 v[51:52], v[61:62], v[51:52]
	v_mul_f64 v[51:52], v[55:56], v[51:52]
	v_add_f64 v[53:54], v[57:58], v[51:52]
	v_mul_f64 v[55:56], v[53:54], v[53:54]
	v_fma_f64 v[59:60], v[55:56], s[30:31], v[9:10]
	v_mul_f64 v[61:62], v[53:54], v[55:56]
	v_fma_f64 v[59:60], v[55:56], v[59:60], s[34:35]
	v_fma_f64 v[59:60], v[55:56], v[59:60], s[36:37]
	;; [unrolled: 1-line block ×5, first 2 shown]
	v_ldexp_f64 v[59:60], v[53:54], 1
	v_add_f64 v[53:54], v[53:54], -v[57:58]
	v_mul_f64 v[55:56], v[61:62], v[55:56]
	v_cvt_f64_i32_e32 v[61:62], v41
	v_add_f64 v[51:52], v[51:52], -v[53:54]
	v_mul_f64 v[69:70], v[61:62], s[42:43]
	v_add_f64 v[57:58], v[59:60], v[55:56]
	v_ldexp_f64 v[51:52], v[51:52], 1
	v_add_f64 v[53:54], v[57:58], -v[59:60]
	v_fma_f64 v[59:60], v[61:62], s[42:43], -v[69:70]
	v_add_f64 v[53:54], v[55:56], -v[53:54]
	v_fma_f64 v[55:56], v[61:62], s[44:45], v[59:60]
	v_add_f64 v[51:52], v[51:52], v[53:54]
	v_add_f64 v[53:54], v[69:70], v[55:56]
	v_add_f64 v[59:60], v[57:58], v[51:52]
	v_add_f64 v[69:70], v[53:54], -v[69:70]
	v_add_f64 v[61:62], v[53:54], v[59:60]
	v_add_f64 v[57:58], v[59:60], -v[57:58]
	v_add_f64 v[55:56], v[55:56], -v[69:70]
	;; [unrolled: 1-line block ×6, first 2 shown]
	v_add_f64 v[59:60], v[55:56], v[51:52]
	v_add_f64 v[53:54], v[53:54], -v[73:74]
	v_add_f64 v[53:54], v[57:58], v[53:54]
	v_add_f64 v[57:58], v[59:60], -v[55:56]
	;; [unrolled: 2-line block ×3, first 2 shown]
	v_add_f64 v[51:52], v[51:52], -v[57:58]
	v_add_f64 v[69:70], v[61:62], v[53:54]
	v_add_f64 v[55:56], v[55:56], -v[59:60]
	v_add_f64 v[57:58], v[69:70], -v[61:62]
	v_add_f64 v[51:52], v[51:52], v[55:56]
	v_add_f64 v[53:54], v[53:54], -v[57:58]
	v_add_f64 v[51:52], v[51:52], v[53:54]
	v_fract_f64_e32 v[53:54], v[7:8]
	v_add_f64 v[51:52], v[69:70], v[51:52]
	v_cmp_eq_f64_e64 s[0:1], 0, v[53:54]
	v_cndmask_b32_e32 v41, v51, v49, vcc
	v_cndmask_b32_e32 v45, v52, v50, vcc
	v_cmp_neq_f64_e32 vcc, 0, v[49:50]
	v_cndmask_b32_e32 v50, v66, v45, vcc
	v_cndmask_b32_e32 v49, 0, v41, vcc
	v_add_f64 v[47:48], v[49:50], -v[47:48]
	s_or_b64 vcc, s[8:9], s[0:1]
	v_cndmask_b32_e32 v48, v48, v65, vcc
	v_cndmask_b32_e64 v47, v47, 0, vcc
.LBB8_72:                               ;   in Loop: Header=BB8_5 Depth=1
	s_or_b64 exec, exec, s[6:7]
.LBB8_73:                               ;   in Loop: Header=BB8_5 Depth=1
	s_or_b64 exec, exec, s[2:3]
	s_waitcnt vmcnt(0)
	v_and_b32_e32 v50, 0x7fffffff, v2
	v_mov_b32_e32 v49, v1
	v_cmp_lt_u32_e32 vcc, s48, v50
                                        ; implicit-def: $vgpr51_vgpr52
	s_and_saveexec_b64 s[0:1], vcc
	s_xor_b64 s[6:7], exec, s[0:1]
	s_cbranch_execz .LBB8_99
; %bb.74:                               ;   in Loop: Header=BB8_5 Depth=1
	v_cmp_lt_u32_e32 vcc, s49, v50
                                        ; implicit-def: $vgpr51_vgpr52
	s_and_saveexec_b64 s[0:1], vcc
	s_xor_b64 s[8:9], exec, s[0:1]
	s_cbranch_execz .LBB8_84
; %bb.75:                               ;   in Loop: Header=BB8_5 Depth=1
	;; [unrolled: 6-line block ×3, first 2 shown]
	s_mov_b32 s0, 0x438fffff
	v_cmp_lt_u32_e32 vcc, s0, v50
                                        ; implicit-def: $vgpr51_vgpr52
	s_and_saveexec_b64 s[0:1], vcc
	s_xor_b64 s[2:3], exec, s[0:1]
	s_cbranch_execz .LBB8_78
; %bb.77:                               ;   in Loop: Header=BB8_5 Depth=1
	v_frexp_mant_f64_e64 v[51:52], |v[1:2]|
	s_mov_b32 s29, s85
	v_cmp_neq_f64_e64 s[0:1], 0, v[1:2]
	v_cmp_gt_f64_e32 vcc, s[84:85], v[51:52]
	v_cndmask_b32_e64 v41, 0, 1, vcc
	v_ldexp_f64 v[51:52], v[51:52], v41
	v_frexp_exp_i32_f64_e32 v41, v[1:2]
	v_add_f64 v[53:54], v[51:52], 1.0
	v_add_f64 v[59:60], v[51:52], -1.0
	v_subbrev_co_u32_e32 v41, vcc, 0, v41, vcc
	v_cmp_neq_f64_e64 vcc, |v[1:2]|, s[86:87]
	v_rcp_f64_e32 v[55:56], v[53:54]
	v_add_f64 v[61:62], v[53:54], -1.0
	v_add_f64 v[51:52], v[51:52], -v[61:62]
	v_fma_f64 v[57:58], -v[53:54], v[55:56], 1.0
	v_fma_f64 v[55:56], v[57:58], v[55:56], v[55:56]
	v_fma_f64 v[57:58], -v[53:54], v[55:56], 1.0
	v_fma_f64 v[55:56], v[57:58], v[55:56], v[55:56]
	v_mul_f64 v[57:58], v[59:60], v[55:56]
	v_mul_f64 v[69:70], v[53:54], v[57:58]
	v_fma_f64 v[53:54], v[57:58], v[53:54], -v[69:70]
	v_fma_f64 v[51:52], v[57:58], v[51:52], v[53:54]
	v_add_f64 v[53:54], v[69:70], v[51:52]
	v_add_f64 v[61:62], v[59:60], -v[53:54]
	v_add_f64 v[69:70], v[53:54], -v[69:70]
	;; [unrolled: 1-line block ×5, first 2 shown]
	v_add_f64 v[51:52], v[51:52], v[53:54]
	v_add_f64 v[51:52], v[61:62], v[51:52]
	v_mul_f64 v[51:52], v[55:56], v[51:52]
	v_add_f64 v[53:54], v[57:58], v[51:52]
	v_mul_f64 v[55:56], v[53:54], v[53:54]
	v_fma_f64 v[59:60], v[55:56], s[30:31], v[9:10]
	v_mul_f64 v[61:62], v[53:54], v[55:56]
	v_fma_f64 v[59:60], v[55:56], v[59:60], s[34:35]
	v_fma_f64 v[59:60], v[55:56], v[59:60], s[36:37]
	;; [unrolled: 1-line block ×5, first 2 shown]
	v_ldexp_f64 v[59:60], v[53:54], 1
	v_add_f64 v[53:54], v[53:54], -v[57:58]
	v_mul_f64 v[55:56], v[61:62], v[55:56]
	v_cvt_f64_i32_e32 v[61:62], v41
	v_add_f64 v[51:52], v[51:52], -v[53:54]
	v_mul_f64 v[69:70], v[61:62], s[42:43]
	v_add_f64 v[57:58], v[59:60], v[55:56]
	v_ldexp_f64 v[51:52], v[51:52], 1
	v_add_f64 v[53:54], v[57:58], -v[59:60]
	v_fma_f64 v[59:60], v[61:62], s[42:43], -v[69:70]
	v_add_f64 v[53:54], v[55:56], -v[53:54]
	v_fma_f64 v[55:56], v[61:62], s[44:45], v[59:60]
	v_add_f64 v[51:52], v[51:52], v[53:54]
	v_add_f64 v[53:54], v[69:70], v[55:56]
	;; [unrolled: 1-line block ×3, first 2 shown]
	v_add_f64 v[69:70], v[53:54], -v[69:70]
	v_add_f64 v[61:62], v[53:54], v[59:60]
	v_add_f64 v[57:58], v[59:60], -v[57:58]
	v_add_f64 v[55:56], v[55:56], -v[69:70]
	;; [unrolled: 1-line block ×6, first 2 shown]
	v_add_f64 v[59:60], v[55:56], v[51:52]
	v_add_f64 v[53:54], v[53:54], -v[73:74]
	v_add_f64 v[53:54], v[57:58], v[53:54]
	v_add_f64 v[57:58], v[59:60], -v[55:56]
	;; [unrolled: 2-line block ×3, first 2 shown]
	v_add_f64 v[51:52], v[51:52], -v[57:58]
	v_add_f64 v[69:70], v[61:62], v[53:54]
	v_add_f64 v[55:56], v[55:56], -v[59:60]
	v_add_f64 v[57:58], v[69:70], -v[61:62]
	v_add_f64 v[51:52], v[51:52], v[55:56]
	v_add_f64 v[53:54], v[53:54], -v[57:58]
	v_add_f64 v[51:52], v[51:52], v[53:54]
	v_add_f64 v[51:52], v[69:70], v[51:52]
	v_cndmask_b32_e32 v41, v65, v52, vcc
	s_and_b64 vcc, s[0:1], vcc
	v_cndmask_b32_e64 v52, v66, v41, s[0:1]
	v_cndmask_b32_e32 v51, 0, v51, vcc
	v_fma_f64 v[51:52], |v[1:2]|, v[51:52], -|v[1:2]|
.LBB8_78:                               ;   in Loop: Header=BB8_5 Depth=1
	s_andn2_saveexec_b64 s[12:13], s[2:3]
	s_cbranch_execz .LBB8_80
; %bb.79:                               ;   in Loop: Header=BB8_5 Depth=1
	v_frexp_mant_f64_e64 v[51:52], |v[1:2]|
	s_mov_b32 s29, s85
	s_mov_b32 s2, 0x90c97d69
	;; [unrolled: 1-line block ×3, first 2 shown]
	v_cmp_gt_f64_e32 vcc, s[84:85], v[51:52]
	v_cndmask_b32_e64 v41, 0, 1, vcc
	v_ldexp_f64 v[51:52], v[51:52], v41
	v_frexp_exp_i32_f64_e32 v41, v[1:2]
	v_add_f64 v[53:54], v[51:52], 1.0
	v_add_f64 v[59:60], v[51:52], -1.0
	v_subbrev_co_u32_e32 v41, vcc, 0, v41, vcc
	v_cvt_f64_i32_e32 v[73:74], v41
	v_mul_f64 v[75:76], v[73:74], s[42:43]
	v_rcp_f64_e32 v[55:56], v[53:54]
	v_add_f64 v[61:62], v[53:54], -1.0
	v_fma_f64 v[77:78], v[73:74], s[42:43], -v[75:76]
	v_add_f64 v[51:52], v[51:52], -v[61:62]
	v_fma_f64 v[57:58], -v[53:54], v[55:56], 1.0
	v_fma_f64 v[55:56], v[57:58], v[55:56], v[55:56]
	v_fma_f64 v[57:58], -v[53:54], v[55:56], 1.0
	v_fma_f64 v[55:56], v[57:58], v[55:56], v[55:56]
	v_mul_f64 v[57:58], v[59:60], v[55:56]
	v_mul_f64 v[69:70], v[53:54], v[57:58]
	v_fma_f64 v[53:54], v[57:58], v[53:54], -v[69:70]
	v_fma_f64 v[51:52], v[57:58], v[51:52], v[53:54]
	v_add_f64 v[53:54], v[69:70], v[51:52]
	v_add_f64 v[61:62], v[59:60], -v[53:54]
	v_add_f64 v[69:70], v[53:54], -v[69:70]
	;; [unrolled: 1-line block ×5, first 2 shown]
	v_add_f64 v[51:52], v[51:52], v[53:54]
	v_add_f64 v[51:52], v[61:62], v[51:52]
	v_and_b32_e32 v62, 0x7fffffff, v2
	v_mov_b32_e32 v61, v1
	v_div_scale_f64 v[69:70], s[0:1], v[61:62], v[61:62], 1.0
	s_mov_b32 s0, 0xb9e43e4
	s_mov_b32 s1, 0xbf5ab89d
	v_mul_f64 v[51:52], v[55:56], v[51:52]
	v_add_f64 v[53:54], v[57:58], v[51:52]
	v_mul_f64 v[55:56], v[53:54], v[53:54]
	v_fma_f64 v[59:60], v[55:56], s[30:31], v[9:10]
	v_mul_f64 v[71:72], v[53:54], v[55:56]
	v_fma_f64 v[59:60], v[55:56], v[59:60], s[34:35]
	v_fma_f64 v[59:60], v[55:56], v[59:60], s[36:37]
	;; [unrolled: 1-line block ×5, first 2 shown]
	v_ldexp_f64 v[59:60], v[53:54], 1
	v_add_f64 v[53:54], v[53:54], -v[57:58]
	v_mul_f64 v[55:56], v[71:72], v[55:56]
	v_rcp_f64_e32 v[71:72], v[69:70]
	v_add_f64 v[51:52], v[51:52], -v[53:54]
	v_add_f64 v[57:58], v[59:60], v[55:56]
	v_ldexp_f64 v[51:52], v[51:52], 1
	v_add_f64 v[53:54], v[57:58], -v[59:60]
	v_fma_f64 v[59:60], -v[69:70], v[71:72], 1.0
	v_add_f64 v[53:54], v[55:56], -v[53:54]
	v_fma_f64 v[55:56], v[71:72], v[59:60], v[71:72]
	v_fma_f64 v[59:60], v[73:74], s[44:45], v[77:78]
	v_add_f64 v[51:52], v[51:52], v[53:54]
	v_div_scale_f64 v[53:54], vcc, 1.0, v[61:62], 1.0
	v_fma_f64 v[61:62], -v[69:70], v[55:56], 1.0
	v_add_f64 v[71:72], v[75:76], v[59:60]
	v_add_f64 v[73:74], v[57:58], v[51:52]
	v_fma_f64 v[55:56], v[55:56], v[61:62], v[55:56]
	v_add_f64 v[61:62], v[71:72], v[73:74]
	v_add_f64 v[57:58], v[73:74], -v[57:58]
	v_mul_f64 v[77:78], v[53:54], v[55:56]
	v_add_f64 v[79:80], v[61:62], -v[71:72]
	v_add_f64 v[51:52], v[51:52], -v[57:58]
	v_fma_f64 v[53:54], -v[69:70], v[77:78], v[53:54]
	v_add_f64 v[69:70], v[71:72], -v[75:76]
	v_add_f64 v[75:76], v[61:62], -v[79:80]
	;; [unrolled: 1-line block ×3, first 2 shown]
	v_div_fmas_f64 v[53:54], v[53:54], v[55:56], v[77:78]
	v_add_f64 v[55:56], v[59:60], -v[69:70]
	v_cmp_neq_f64_e64 vcc, |v[1:2]|, s[86:87]
	v_add_f64 v[59:60], v[71:72], -v[75:76]
	v_add_f64 v[69:70], v[55:56], v[51:52]
	v_add_f64 v[57:58], v[57:58], v[59:60]
	v_div_fixup_f64 v[53:54], v[53:54], |v[1:2]|, 1.0
	v_add_f64 v[59:60], v[69:70], -v[55:56]
	v_add_f64 v[57:58], v[69:70], v[57:58]
	v_mul_f64 v[71:72], v[53:54], v[53:54]
	v_add_f64 v[69:70], v[69:70], -v[59:60]
	v_add_f64 v[51:52], v[51:52], -v[59:60]
	v_add_f64 v[73:74], v[61:62], v[57:58]
	v_fma_f64 v[75:76], v[71:72], s[0:1], v[11:12]
	v_add_f64 v[55:56], v[55:56], -v[69:70]
	s_mov_b32 s0, 0x8c0fe741
	s_mov_b32 s1, 0xbf4380cb
	v_add_f64 v[59:60], v[73:74], -v[61:62]
	v_fma_f64 v[61:62], v[71:72], v[75:76], s[0:1]
	v_add_f64 v[51:52], v[51:52], v[55:56]
	s_mov_b32 s0, 0x98cf38b6
	s_mov_b32 s1, 0x3f4a019f
	v_add_f64 v[55:56], v[57:58], -v[59:60]
	v_fma_f64 v[57:58], v[71:72], v[61:62], s[0:1]
	s_mov_b32 s0, 0x16b02e5c
	s_mov_b32 s1, 0xbf66c16c
	v_add_f64 v[51:52], v[51:52], v[55:56]
	v_fma_f64 v[55:56], v[71:72], v[57:58], s[0:1]
	s_mov_b32 s0, 0x5555553b
	s_mov_b32 s1, 0x3fb55555
	v_add_f64 v[57:58], |v[1:2]|, -0.5
	v_add_f64 v[51:52], v[73:74], v[51:52]
	v_fma_f64 v[55:56], v[71:72], v[55:56], s[0:1]
	v_cmp_neq_f64_e64 s[0:1], 0, v[1:2]
	v_add_f64 v[51:52], v[51:52], -1.0
	v_fma_f64 v[53:54], v[53:54], v[55:56], s[2:3]
	s_and_b64 s[2:3], s[0:1], vcc
	v_cndmask_b32_e32 v41, v65, v52, vcc
	v_cndmask_b32_e64 v52, v66, v41, s[0:1]
	v_cndmask_b32_e64 v51, 0, v51, s[2:3]
	v_fma_f64 v[51:52], v[57:58], v[51:52], v[53:54]
.LBB8_80:                               ;   in Loop: Header=BB8_5 Depth=1
	s_or_b64 exec, exec, s[12:13]
.LBB8_81:                               ;   in Loop: Header=BB8_5 Depth=1
	s_andn2_saveexec_b64 s[0:1], s[10:11]
	s_cbranch_execz .LBB8_83
; %bb.82:                               ;   in Loop: Header=BB8_5 Depth=1
	v_cvt_i32_f64_e32 v41, v[49:50]
	s_mov_b32 s2, 0xdd17e945
	s_mov_b32 s3, 0x3f00bfec
	;; [unrolled: 1-line block ×3, first 2 shown]
	v_cvt_f64_i32_e32 v[51:52], v41
	s_mov_b32 s29, s85
	v_add_f64 v[53:54], |v[1:2]|, -v[51:52]
	v_fma_f64 v[51:52], v[53:54], s[2:3], v[13:14]
	s_mov_b32 s2, 0x7e939961
	s_mov_b32 s3, 0x3f9b481c
	v_fma_f64 v[51:52], v[53:54], v[51:52], s[2:3]
	s_mov_b32 s2, 0xbee5f2f7
	s_mov_b32 s3, 0x3fc2bb9c
	;; [unrolled: 3-line block ×6, first 2 shown]
	v_fma_f64 v[51:52], v[53:54], v[51:52], s[68:69]
	v_fma_f64 v[55:56], v[53:54], v[55:56], s[2:3]
	s_mov_b32 s2, 0xccfbdf27
	s_mov_b32 s3, 0x3fc601ed
	v_mul_f64 v[51:52], v[53:54], v[51:52]
	v_fma_f64 v[55:56], v[53:54], v[55:56], s[2:3]
	s_mov_b32 s2, 0x93d3dcdc
	s_mov_b32 s3, 0x3fe71a18
	v_fma_f64 v[55:56], v[53:54], v[55:56], s[2:3]
	s_mov_b32 s2, 0x62c4ab74
	s_mov_b32 s3, 0x3ff645a7
	v_fma_f64 v[55:56], v[53:54], v[55:56], s[2:3]
	v_fma_f64 v[55:56], v[53:54], v[55:56], 1.0
	v_div_scale_f64 v[57:58], s[2:3], v[55:56], v[55:56], v[51:52]
	s_mov_b32 s2, 0
	s_mov_b32 s3, 0x40080000
	v_rcp_f64_e32 v[59:60], v[57:58]
	v_fma_f64 v[61:62], -v[57:58], v[59:60], 1.0
	v_fma_f64 v[59:60], v[59:60], v[61:62], v[59:60]
	v_fma_f64 v[61:62], -v[57:58], v[59:60], 1.0
	v_fma_f64 v[59:60], v[59:60], v[61:62], v[59:60]
	v_div_scale_f64 v[61:62], vcc, v[51:52], v[55:56], v[51:52]
	v_mul_f64 v[69:70], v[61:62], v[59:60]
	v_fma_f64 v[57:58], -v[57:58], v[69:70], v[61:62]
	s_nop 1
	v_div_fmas_f64 v[57:58], v[57:58], v[59:60], v[69:70]
	v_cmp_lt_i32_e32 vcc, 2, v41
	v_add_f64 v[59:60], v[53:54], 4.0
	v_div_fixup_f64 v[51:52], v[57:58], v[55:56], v[51:52]
	v_add_f64 v[55:56], v[53:54], 2.0
	v_add_f64 v[57:58], v[53:54], s[2:3]
	s_mov_b32 s2, 0
	s_mov_b32 s3, 0x40140000
	v_add_f64 v[61:62], v[53:54], s[2:3]
	s_mov_b32 s2, 0
	s_mov_b32 s3, 0x40180000
	v_fma_f64 v[51:52], v[53:54], 0.5, v[51:52]
	v_cndmask_b32_e32 v56, v67, v56, vcc
	v_cndmask_b32_e32 v55, 0, v55, vcc
	v_cmp_lt_i32_e32 vcc, 3, v41
	v_cndmask_b32_e32 v58, v67, v58, vcc
	v_cndmask_b32_e32 v57, 0, v57, vcc
	v_mul_f64 v[55:56], v[55:56], v[57:58]
	v_cmp_lt_i32_e32 vcc, 4, v41
	v_cndmask_b32_e32 v58, v67, v60, vcc
	v_cndmask_b32_e32 v57, 0, v59, vcc
	v_cmp_lt_i32_e32 vcc, 5, v41
	v_add_f64 v[53:54], v[53:54], s[2:3]
	v_mul_f64 v[55:56], v[57:58], v[55:56]
	v_cndmask_b32_e32 v58, v67, v62, vcc
	v_cndmask_b32_e32 v57, 0, v61, vcc
	v_cmp_lt_i32_e32 vcc, 6, v41
	v_cndmask_b32_e32 v54, v67, v54, vcc
	v_cndmask_b32_e32 v53, 0, v53, vcc
	v_mul_f64 v[55:56], v[57:58], v[55:56]
	v_mul_f64 v[53:54], v[53:54], v[55:56]
	v_frexp_mant_f64_e32 v[55:56], v[53:54]
	v_frexp_exp_i32_f64_e32 v41, v[53:54]
	v_cmp_gt_f64_e32 vcc, s[84:85], v[55:56]
	v_cndmask_b32_e64 v45, 0, 1, vcc
	v_ldexp_f64 v[55:56], v[55:56], v45
	v_subbrev_co_u32_e32 v41, vcc, 0, v41, vcc
	v_cmp_class_f64_e64 vcc, v[53:54], s89
	v_add_f64 v[59:60], v[55:56], 1.0
	v_add_f64 v[57:58], v[55:56], -1.0
	v_add_f64 v[61:62], v[59:60], -1.0
	v_add_f64 v[55:56], v[55:56], -v[61:62]
	v_rcp_f64_e32 v[61:62], v[59:60]
	v_fma_f64 v[69:70], -v[59:60], v[61:62], 1.0
	v_fma_f64 v[61:62], v[69:70], v[61:62], v[61:62]
	v_fma_f64 v[69:70], -v[59:60], v[61:62], 1.0
	v_fma_f64 v[61:62], v[69:70], v[61:62], v[61:62]
	v_mul_f64 v[69:70], v[57:58], v[61:62]
	v_mul_f64 v[71:72], v[59:60], v[69:70]
	v_fma_f64 v[59:60], v[69:70], v[59:60], -v[71:72]
	v_fma_f64 v[55:56], v[69:70], v[55:56], v[59:60]
	v_add_f64 v[59:60], v[71:72], v[55:56]
	v_add_f64 v[73:74], v[57:58], -v[59:60]
	v_add_f64 v[71:72], v[59:60], -v[71:72]
	v_add_f64 v[57:58], v[57:58], -v[73:74]
	v_add_f64 v[55:56], v[71:72], -v[55:56]
	v_add_f64 v[57:58], v[57:58], -v[59:60]
	v_add_f64 v[55:56], v[55:56], v[57:58]
	v_add_f64 v[55:56], v[73:74], v[55:56]
	v_mul_f64 v[55:56], v[61:62], v[55:56]
	v_add_f64 v[57:58], v[69:70], v[55:56]
	v_add_f64 v[59:60], v[57:58], -v[69:70]
	v_ldexp_f64 v[69:70], v[57:58], 1
	v_add_f64 v[55:56], v[55:56], -v[59:60]
	v_mul_f64 v[59:60], v[57:58], v[57:58]
	v_ldexp_f64 v[55:56], v[55:56], 1
	v_fma_f64 v[61:62], v[59:60], s[30:31], v[9:10]
	v_mul_f64 v[57:58], v[57:58], v[59:60]
	v_fma_f64 v[61:62], v[59:60], v[61:62], s[34:35]
	v_fma_f64 v[61:62], v[59:60], v[61:62], s[36:37]
	;; [unrolled: 1-line block ×5, first 2 shown]
	v_mul_f64 v[57:58], v[57:58], v[61:62]
	v_add_f64 v[59:60], v[69:70], v[57:58]
	v_add_f64 v[61:62], v[59:60], -v[69:70]
	v_add_f64 v[57:58], v[57:58], -v[61:62]
	v_add_f64 v[55:56], v[55:56], v[57:58]
	v_add_f64 v[57:58], v[59:60], v[55:56]
	v_add_f64 v[59:60], v[57:58], -v[59:60]
	v_add_f64 v[55:56], v[55:56], -v[59:60]
	v_cvt_f64_i32_e32 v[59:60], v41
	v_mul_f64 v[61:62], v[59:60], s[42:43]
	v_fma_f64 v[69:70], v[59:60], s[42:43], -v[61:62]
	v_fma_f64 v[59:60], v[59:60], s[44:45], v[69:70]
	v_add_f64 v[69:70], v[61:62], v[59:60]
	v_add_f64 v[61:62], v[69:70], -v[61:62]
	v_add_f64 v[59:60], v[59:60], -v[61:62]
	v_add_f64 v[61:62], v[69:70], v[57:58]
	v_add_f64 v[71:72], v[61:62], -v[69:70]
	v_add_f64 v[73:74], v[61:62], -v[71:72]
	;; [unrolled: 1-line block ×4, first 2 shown]
	v_add_f64 v[57:58], v[57:58], v[69:70]
	v_add_f64 v[69:70], v[59:60], v[55:56]
	v_add_f64 v[71:72], v[69:70], -v[59:60]
	v_add_f64 v[57:58], v[69:70], v[57:58]
	v_add_f64 v[73:74], v[69:70], -v[71:72]
	v_add_f64 v[55:56], v[55:56], -v[71:72]
	;; [unrolled: 1-line block ×3, first 2 shown]
	v_add_f64 v[55:56], v[55:56], v[59:60]
	v_add_f64 v[59:60], v[61:62], v[57:58]
	v_add_f64 v[61:62], v[59:60], -v[61:62]
	v_add_f64 v[57:58], v[57:58], -v[61:62]
	v_add_f64 v[55:56], v[55:56], v[57:58]
	v_add_f64 v[55:56], v[59:60], v[55:56]
	v_cndmask_b32_e32 v41, v55, v53, vcc
	v_cndmask_b32_e32 v45, v56, v54, vcc
	v_cmp_ngt_f64_e32 vcc, 0, v[53:54]
	v_cndmask_b32_e32 v45, v68, v45, vcc
	v_cmp_nge_f64_e32 vcc, 0, v[53:54]
	v_cndmask_b32_e32 v55, 0, v41, vcc
	v_cmp_neq_f64_e32 vcc, 0, v[53:54]
	v_cndmask_b32_e32 v56, v66, v45, vcc
	v_add_f64 v[51:52], v[51:52], v[55:56]
.LBB8_83:                               ;   in Loop: Header=BB8_5 Depth=1
	s_or_b64 exec, exec, s[0:1]
.LBB8_84:                               ;   in Loop: Header=BB8_5 Depth=1
	s_andn2_saveexec_b64 s[8:9], s[8:9]
	s_cbranch_execz .LBB8_98
; %bb.85:                               ;   in Loop: Header=BB8_5 Depth=1
	v_cmp_lt_u32_e32 vcc, s90, v50
                                        ; implicit-def: $vgpr41
                                        ; implicit-def: $vgpr53_vgpr54
	s_and_saveexec_b64 s[0:1], vcc
	s_xor_b64 s[0:1], exec, s[0:1]
	s_cbranch_execz .LBB8_87
; %bb.86:                               ;   in Loop: Header=BB8_5 Depth=1
	s_mov_b32 s2, 0x6356be3f
	s_mov_b32 s3, 0xbff762d8
	v_add_f64 v[51:52], -|v[1:2]|, 2.0
	v_add_f64 v[53:54], |v[1:2]|, s[2:3]
	v_add_f64 v[55:56], |v[1:2]|, -1.0
	s_mov_b32 s2, 0x3ffbb4c3
	v_cmp_gt_u32_e32 vcc, s2, v50
	s_mov_b32 s2, 0x3ff3b4c4
	v_cndmask_b32_e64 v41, 0, 1, vcc
	v_cndmask_b32_e32 v45, v51, v53, vcc
	v_cndmask_b32_e32 v49, v52, v54, vcc
	v_cmp_gt_u32_e32 vcc, s2, v50
	v_cndmask_b32_e32 v54, v49, v56, vcc
	v_cndmask_b32_e32 v53, v45, v55, vcc
	v_cndmask_b32_e64 v41, v41, 2, vcc
.LBB8_87:                               ;   in Loop: Header=BB8_5 Depth=1
	s_or_saveexec_b64 s[10:11], s[0:1]
	v_mov_b32_e32 v51, 0
	v_mov_b32_e32 v52, 0
	s_xor_b64 exec, exec, s[10:11]
	s_cbranch_execz .LBB8_89
; %bb.88:                               ;   in Loop: Header=BB8_5 Depth=1
	v_frexp_mant_f64_e64 v[51:52], |v[1:2]|
	s_mov_b32 s29, s85
	s_mov_b32 s0, 0x8d5af8fc
	;; [unrolled: 1-line block ×4, first 2 shown]
	v_cmp_gt_u32_e64 s[2:3], s2, v50
	v_cndmask_b32_e64 v49, 0, 1, s[2:3]
	v_cmp_gt_f64_e32 vcc, s[84:85], v[51:52]
	v_cndmask_b32_e64 v41, 0, 1, vcc
	v_ldexp_f64 v[51:52], v[51:52], v41
	v_frexp_exp_i32_f64_e32 v41, v[1:2]
	v_add_f64 v[53:54], v[51:52], 1.0
	v_add_f64 v[59:60], v[51:52], -1.0
	v_subbrev_co_u32_e32 v41, vcc, 0, v41, vcc
	v_cmp_neq_f64_e64 vcc, |v[1:2]|, s[86:87]
	v_rcp_f64_e32 v[55:56], v[53:54]
	v_add_f64 v[61:62], v[53:54], -1.0
	v_add_f64 v[51:52], v[51:52], -v[61:62]
	v_fma_f64 v[57:58], -v[53:54], v[55:56], 1.0
	v_fma_f64 v[55:56], v[57:58], v[55:56], v[55:56]
	v_fma_f64 v[57:58], -v[53:54], v[55:56], 1.0
	v_fma_f64 v[55:56], v[57:58], v[55:56], v[55:56]
	v_mul_f64 v[57:58], v[59:60], v[55:56]
	v_mul_f64 v[69:70], v[53:54], v[57:58]
	v_fma_f64 v[53:54], v[57:58], v[53:54], -v[69:70]
	v_fma_f64 v[51:52], v[57:58], v[51:52], v[53:54]
	v_add_f64 v[53:54], v[69:70], v[51:52]
	v_add_f64 v[61:62], v[59:60], -v[53:54]
	v_add_f64 v[69:70], v[53:54], -v[69:70]
	v_add_f64 v[59:60], v[59:60], -v[61:62]
	v_add_f64 v[51:52], v[69:70], -v[51:52]
	v_add_f64 v[53:54], v[59:60], -v[53:54]
	v_add_f64 v[51:52], v[51:52], v[53:54]
	v_add_f64 v[51:52], v[61:62], v[51:52]
	v_mul_f64 v[51:52], v[55:56], v[51:52]
	v_add_f64 v[53:54], v[57:58], v[51:52]
	v_mul_f64 v[55:56], v[53:54], v[53:54]
	v_fma_f64 v[59:60], v[55:56], s[30:31], v[9:10]
	v_mul_f64 v[61:62], v[53:54], v[55:56]
	v_fma_f64 v[59:60], v[55:56], v[59:60], s[34:35]
	v_fma_f64 v[59:60], v[55:56], v[59:60], s[36:37]
	;; [unrolled: 1-line block ×5, first 2 shown]
	v_ldexp_f64 v[59:60], v[53:54], 1
	v_add_f64 v[53:54], v[53:54], -v[57:58]
	v_mul_f64 v[55:56], v[61:62], v[55:56]
	v_cvt_f64_i32_e32 v[61:62], v41
	v_add_f64 v[51:52], v[51:52], -v[53:54]
	v_and_b32_e32 v41, 0x7fffffff, v2
	v_mul_f64 v[69:70], v[61:62], s[42:43]
	v_add_f64 v[57:58], v[59:60], v[55:56]
	v_ldexp_f64 v[51:52], v[51:52], 1
	v_add_f64 v[53:54], v[57:58], -v[59:60]
	v_fma_f64 v[59:60], v[61:62], s[42:43], -v[69:70]
	v_add_f64 v[53:54], v[55:56], -v[53:54]
	v_fma_f64 v[55:56], v[61:62], s[44:45], v[59:60]
	v_add_f64 v[51:52], v[51:52], v[53:54]
	v_add_f64 v[53:54], v[69:70], v[55:56]
	v_add_f64 v[59:60], v[57:58], v[51:52]
	v_add_f64 v[69:70], v[53:54], -v[69:70]
	v_add_f64 v[61:62], v[53:54], v[59:60]
	v_add_f64 v[57:58], v[59:60], -v[57:58]
	v_add_f64 v[55:56], v[55:56], -v[69:70]
	;; [unrolled: 1-line block ×6, first 2 shown]
	v_add_f64 v[59:60], v[55:56], v[51:52]
	v_add_f64 v[53:54], v[53:54], -v[73:74]
	v_add_f64 v[53:54], v[57:58], v[53:54]
	v_add_f64 v[57:58], v[59:60], -v[55:56]
	;; [unrolled: 2-line block ×3, first 2 shown]
	v_add_f64 v[51:52], v[51:52], -v[57:58]
	v_add_f64 v[69:70], v[61:62], v[53:54]
	v_add_f64 v[55:56], v[55:56], -v[59:60]
	v_add_f64 v[57:58], v[69:70], -v[61:62]
	v_add_f64 v[51:52], v[51:52], v[55:56]
	v_add_f64 v[55:56], |v[1:2]|, s[0:1]
	v_cmp_neq_f64_e64 s[0:1], 0, v[1:2]
	v_add_f64 v[53:54], v[53:54], -v[57:58]
	v_add_f64 v[51:52], v[51:52], v[53:54]
	v_add_f64 v[53:54], -|v[1:2]|, 1.0
	v_add_f64 v[51:52], v[69:70], v[51:52]
	v_xor_b32_e32 v45, 0x80000000, v52
	v_cndmask_b32_e64 v52, v53, v55, s[2:3]
	v_cndmask_b32_e64 v53, v54, v56, s[2:3]
	s_mov_b32 s2, 0x3fcda661
	v_cndmask_b32_e32 v45, v66, v45, vcc
	v_cmp_gt_u32_e64 s[2:3], s2, v50
	s_and_b64 vcc, s[0:1], vcc
	v_cndmask_b32_e64 v54, v53, v41, s[2:3]
	v_cndmask_b32_e64 v53, v52, v1, s[2:3]
	;; [unrolled: 1-line block ×3, first 2 shown]
	v_cndmask_b32_e32 v51, 0, v51, vcc
	v_cndmask_b32_e64 v41, v49, 2, s[2:3]
.LBB8_89:                               ;   in Loop: Header=BB8_5 Depth=1
	s_or_b64 exec, exec, s[10:11]
	v_cmp_lt_i32_e32 vcc, 1, v41
                                        ; implicit-def: $vgpr57_vgpr58
	s_and_saveexec_b64 s[0:1], vcc
	s_xor_b64 s[0:1], exec, s[0:1]
	s_cbranch_execz .LBB8_91
; %bb.90:                               ;   in Loop: Header=BB8_5 Depth=1
	s_mov_b32 s2, 0xbf2bab09
	s_mov_b32 s3, 0x3f8b678b
	v_fma_f64 v[55:56], v[53:54], s[2:3], v[17:18]
	s_mov_b32 s2, 0x57d0cf61
	s_mov_b32 s3, 0x3f6a5abb
	v_fma_f64 v[57:58], v[53:54], s[2:3], v[19:20]
	s_mov_b32 s2, 0x44ea8450
	s_mov_b32 s3, 0x3fef4976
	s_mov_b32 s68, s94
                                        ; implicit-def: $vgpr41
	v_fma_f64 v[55:56], v[53:54], v[55:56], s[2:3]
	s_mov_b32 s2, 0xe45050af
	s_mov_b32 s3, 0x3fe89dfb
	v_fma_f64 v[57:58], v[53:54], v[57:58], s[2:3]
	s_mov_b32 s2, 0xd119bd6f
	s_mov_b32 s3, 0x3ff7475c
	;; [unrolled: 3-line block ×5, first 2 shown]
	v_fma_f64 v[57:58], v[53:54], v[57:58], s[2:3]
	v_fma_f64 v[55:56], v[53:54], v[55:56], s[68:69]
	v_fma_f64 v[57:58], v[53:54], v[57:58], 1.0
	v_mul_f64 v[55:56], v[53:54], v[55:56]
	v_div_scale_f64 v[59:60], s[2:3], v[57:58], v[57:58], v[55:56]
	v_div_scale_f64 v[71:72], vcc, v[55:56], v[57:58], v[55:56]
	v_rcp_f64_e32 v[61:62], v[59:60]
	v_fma_f64 v[69:70], -v[59:60], v[61:62], 1.0
	v_fma_f64 v[61:62], v[61:62], v[69:70], v[61:62]
	v_fma_f64 v[69:70], -v[59:60], v[61:62], 1.0
	v_fma_f64 v[61:62], v[61:62], v[69:70], v[61:62]
	v_mul_f64 v[69:70], v[71:72], v[61:62]
	v_fma_f64 v[59:60], -v[59:60], v[69:70], v[71:72]
	v_div_fmas_f64 v[59:60], v[59:60], v[61:62], v[69:70]
	v_div_fixup_f64 v[55:56], v[59:60], v[57:58], v[55:56]
	v_fma_f64 v[57:58], v[53:54], -0.5, v[55:56]
                                        ; implicit-def: $vgpr53_vgpr54
.LBB8_91:                               ;   in Loop: Header=BB8_5 Depth=1
	s_andn2_saveexec_b64 s[0:1], s[0:1]
	s_cbranch_execz .LBB8_97
; %bb.92:                               ;   in Loop: Header=BB8_5 Depth=1
	v_mul_f64 v[55:56], v[53:54], v[53:54]
	v_cmp_ne_u32_e32 vcc, 1, v41
                                        ; implicit-def: $vgpr57_vgpr58
	s_and_saveexec_b64 s[2:3], vcc
	s_xor_b64 s[2:3], exec, s[2:3]
	s_cbranch_execz .LBB8_94
; %bb.93:                               ;   in Loop: Header=BB8_5 Depth=1
	s_mov_b32 s10, 0x90a45837
	s_mov_b32 s11, 0x3f07858e
	v_fma_f64 v[57:58], v[55:56], s[10:11], v[23:24]
	s_mov_b32 s10, 0x428cfa52
	s_mov_b32 s11, 0x3efa7074
	v_fma_f64 v[59:60], v[55:56], s[10:11], v[21:22]
	s_mov_b32 s10, 0x89b99c00
	s_mov_b32 s11, 0x3f40b6c6
	v_fma_f64 v[57:58], v[55:56], v[57:58], s[10:11]
	s_mov_b32 s10, 0x116f3f5d
	s_mov_b32 s11, 0x3f538a94
	v_fma_f64 v[59:60], v[55:56], v[59:60], s[10:11]
	s_mov_b32 s10, 0xccb7926b
	s_mov_b32 s11, 0x3f67add8
	v_fma_f64 v[57:58], v[55:56], v[57:58], s[10:11]
	s_mov_b32 s10, 0xb68fefe8
	s_mov_b32 s11, 0x3f7e404f
	v_fma_f64 v[59:60], v[55:56], v[59:60], s[10:11]
	s_mov_b32 s10, 0xac92547b
	s_mov_b32 s11, 0x3f951322
	v_fma_f64 v[57:58], v[55:56], v[57:58], s[10:11]
	s_mov_b32 s10, 0x1a5562a7
	s_mov_b32 s11, 0x3fb13e00
	v_fma_f64 v[59:60], v[55:56], v[59:60], s[10:11]
	s_mov_b32 s10, 0xc4a60fad
	s_mov_b32 s11, 0x3fd4a34c
	v_fma_f64 v[57:58], v[55:56], v[57:58], s[10:11]
	v_fma_f64 v[59:60], v[55:56], v[59:60], s[94:95]
	v_mul_f64 v[55:56], v[55:56], v[57:58]
	v_fma_f64 v[55:56], v[53:54], v[59:60], v[55:56]
	v_fma_f64 v[57:58], v[53:54], -0.5, v[55:56]
                                        ; implicit-def: $vgpr53_vgpr54
                                        ; implicit-def: $vgpr55_vgpr56
.LBB8_94:                               ;   in Loop: Header=BB8_5 Depth=1
	s_andn2_saveexec_b64 s[2:3], s[2:3]
	s_cbranch_execz .LBB8_96
; %bb.95:                               ;   in Loop: Header=BB8_5 Depth=1
	v_mul_f64 v[57:58], v[53:54], v[55:56]
	s_mov_b32 s10, 0xecc38c38
	s_mov_b32 s11, 0xbf347f24
	v_fma_f64 v[59:60], v[57:58], s[10:11], v[27:28]
	s_mov_b32 s10, 0xe8c2d3f4
	s_mov_b32 s11, 0x3f35fd3e
	v_fma_f64 v[61:62], v[57:58], s[10:11], v[29:30]
	;; [unrolled: 3-line block ×12, first 2 shown]
	v_fma_f64 v[59:60], v[57:58], v[69:70], s[10:11]
	s_mov_b32 s10, 0xa48a971f
	s_mov_b32 s11, 0xbc50c7ca
	v_fma_f64 v[53:54], v[57:58], -v[53:54], s[10:11]
	s_mov_b32 s10, 0xbcc38a42
	s_mov_b32 s11, 0xbfbf19b9
	v_fma_f64 v[53:54], v[55:56], v[59:60], -v[53:54]
	v_add_f64 v[57:58], v[53:54], s[10:11]
.LBB8_96:                               ;   in Loop: Header=BB8_5 Depth=1
	s_or_b64 exec, exec, s[2:3]
.LBB8_97:                               ;   in Loop: Header=BB8_5 Depth=1
	s_or_b64 exec, exec, s[0:1]
	v_add_f64 v[51:52], v[51:52], v[57:58]
.LBB8_98:                               ;   in Loop: Header=BB8_5 Depth=1
	s_or_b64 exec, exec, s[8:9]
.LBB8_99:                               ;   in Loop: Header=BB8_5 Depth=1
	s_andn2_saveexec_b64 s[2:3], s[6:7]
	s_cbranch_execz .LBB8_101
; %bb.100:                              ;   in Loop: Header=BB8_5 Depth=1
	v_frexp_mant_f64_e64 v[51:52], |v[1:2]|
	s_mov_b32 s29, s85
	v_cmp_neq_f64_e64 s[0:1], 0, v[1:2]
	v_cmp_gt_f64_e32 vcc, s[84:85], v[51:52]
	v_cndmask_b32_e64 v41, 0, 1, vcc
	v_ldexp_f64 v[51:52], v[51:52], v41
	v_frexp_exp_i32_f64_e32 v41, v[1:2]
	v_add_f64 v[53:54], v[51:52], 1.0
	v_add_f64 v[59:60], v[51:52], -1.0
	v_subbrev_co_u32_e32 v41, vcc, 0, v41, vcc
	v_cmp_neq_f64_e64 vcc, |v[1:2]|, s[86:87]
	v_rcp_f64_e32 v[55:56], v[53:54]
	v_add_f64 v[61:62], v[53:54], -1.0
	v_add_f64 v[51:52], v[51:52], -v[61:62]
	v_fma_f64 v[57:58], -v[53:54], v[55:56], 1.0
	v_fma_f64 v[55:56], v[57:58], v[55:56], v[55:56]
	v_fma_f64 v[57:58], -v[53:54], v[55:56], 1.0
	v_fma_f64 v[55:56], v[57:58], v[55:56], v[55:56]
	v_mul_f64 v[57:58], v[59:60], v[55:56]
	v_mul_f64 v[69:70], v[53:54], v[57:58]
	v_fma_f64 v[53:54], v[57:58], v[53:54], -v[69:70]
	v_fma_f64 v[51:52], v[57:58], v[51:52], v[53:54]
	v_add_f64 v[53:54], v[69:70], v[51:52]
	v_add_f64 v[61:62], v[59:60], -v[53:54]
	v_add_f64 v[69:70], v[53:54], -v[69:70]
	;; [unrolled: 1-line block ×5, first 2 shown]
	v_add_f64 v[51:52], v[51:52], v[53:54]
	v_add_f64 v[51:52], v[61:62], v[51:52]
	v_mul_f64 v[51:52], v[55:56], v[51:52]
	v_add_f64 v[53:54], v[57:58], v[51:52]
	v_mul_f64 v[55:56], v[53:54], v[53:54]
	v_fma_f64 v[59:60], v[55:56], s[30:31], v[9:10]
	v_mul_f64 v[61:62], v[53:54], v[55:56]
	v_fma_f64 v[59:60], v[55:56], v[59:60], s[34:35]
	v_fma_f64 v[59:60], v[55:56], v[59:60], s[36:37]
	;; [unrolled: 1-line block ×5, first 2 shown]
	v_ldexp_f64 v[59:60], v[53:54], 1
	v_add_f64 v[53:54], v[53:54], -v[57:58]
	v_mul_f64 v[55:56], v[61:62], v[55:56]
	v_cvt_f64_i32_e32 v[61:62], v41
	v_add_f64 v[51:52], v[51:52], -v[53:54]
	v_mul_f64 v[69:70], v[61:62], s[42:43]
	v_add_f64 v[57:58], v[59:60], v[55:56]
	v_ldexp_f64 v[51:52], v[51:52], 1
	v_add_f64 v[53:54], v[57:58], -v[59:60]
	v_fma_f64 v[59:60], v[61:62], s[42:43], -v[69:70]
	v_add_f64 v[53:54], v[55:56], -v[53:54]
	v_fma_f64 v[55:56], v[61:62], s[44:45], v[59:60]
	v_add_f64 v[51:52], v[51:52], v[53:54]
	v_add_f64 v[53:54], v[69:70], v[55:56]
	;; [unrolled: 1-line block ×3, first 2 shown]
	v_add_f64 v[69:70], v[53:54], -v[69:70]
	v_add_f64 v[61:62], v[53:54], v[59:60]
	v_add_f64 v[57:58], v[59:60], -v[57:58]
	v_add_f64 v[55:56], v[55:56], -v[69:70]
	;; [unrolled: 1-line block ×6, first 2 shown]
	v_add_f64 v[59:60], v[55:56], v[51:52]
	v_add_f64 v[53:54], v[53:54], -v[73:74]
	v_add_f64 v[53:54], v[57:58], v[53:54]
	v_add_f64 v[57:58], v[59:60], -v[55:56]
	;; [unrolled: 2-line block ×3, first 2 shown]
	v_add_f64 v[51:52], v[51:52], -v[57:58]
	v_add_f64 v[69:70], v[61:62], v[53:54]
	v_add_f64 v[55:56], v[55:56], -v[59:60]
	v_add_f64 v[57:58], v[69:70], -v[61:62]
	v_add_f64 v[51:52], v[51:52], v[55:56]
	v_fma_f64 v[55:56], |v[1:2]|, s[56:57], v[31:32]
	v_add_f64 v[53:54], v[53:54], -v[57:58]
	v_add_f64 v[51:52], v[51:52], v[53:54]
	v_fma_f64 v[53:54], |v[1:2]|, v[55:56], s[50:51]
	v_add_f64 v[51:52], v[69:70], v[51:52]
	v_fma_f64 v[53:54], |v[1:2]|, v[53:54], s[52:53]
	v_xor_b32_e32 v41, 0x80000000, v52
	v_fma_f64 v[52:53], |v[1:2]|, v[53:54], s[54:55]
	v_cndmask_b32_e32 v41, v66, v41, vcc
	s_and_b64 vcc, s[0:1], vcc
	v_cndmask_b32_e64 v55, v65, v41, s[0:1]
	v_cndmask_b32_e32 v54, 0, v51, vcc
	v_fma_f64 v[51:52], |v[1:2]|, v[52:53], v[54:55]
.LBB8_101:                              ;   in Loop: Header=BB8_5 Depth=1
	s_or_b64 exec, exec, s[2:3]
	v_cmp_le_f64_e32 vcc, 0, v[1:2]
	s_and_saveexec_b64 s[0:1], vcc
	s_xor_b64 s[2:3], exec, s[0:1]
	s_cbranch_execz .LBB8_103
; %bb.102:                              ;   in Loop: Header=BB8_5 Depth=1
	v_cmp_eq_f64_e32 vcc, 1.0, v[1:2]
	v_cmp_eq_f64_e64 s[0:1], 2.0, v[1:2]
	s_or_b64 s[0:1], vcc, s[0:1]
	v_cndmask_b32_e64 v52, v52, 0, s[0:1]
	v_cndmask_b32_e64 v51, v51, 0, s[0:1]
.LBB8_103:                              ;   in Loop: Header=BB8_5 Depth=1
	s_andn2_saveexec_b64 s[2:3], s[2:3]
	s_cbranch_execz .LBB8_107
; %bb.104:                              ;   in Loop: Header=BB8_5 Depth=1
	v_add_u32_e32 v41, 0xc32fffff, v50
	v_cmp_gt_u32_e32 vcc, s91, v41
	s_and_saveexec_b64 s[6:7], vcc
	s_cbranch_execz .LBB8_106
; %bb.105:                              ;   in Loop: Header=BB8_5 Depth=1
	v_mul_f64 v[53:54], |v[1:2]|, 0.5
	v_and_b32_e32 v41, 0x7fffffff, v2
	v_cmp_class_f64_e64 s[0:1], v[1:2], s92
	s_mov_b32 s29, s85
	v_cmp_class_f64_e64 s[8:9], v[1:2], s89
	v_fract_f64_e32 v[55:56], v[53:54]
	v_cmp_neq_f64_e64 vcc, |v[53:54]|, s[86:87]
	v_add_f64 v[55:56], v[55:56], v[55:56]
	v_cndmask_b32_e32 v45, 0, v55, vcc
	v_cndmask_b32_e32 v49, 0, v56, vcc
	v_cmp_gt_f64_e64 vcc, |v[1:2]|, 1.0
	v_cndmask_b32_e32 v54, v41, v49, vcc
	v_cndmask_b32_e32 v53, v1, v45, vcc
	v_add_f64 v[55:56], v[53:54], v[53:54]
	v_rndne_f64_e32 v[55:56], v[55:56]
	v_fma_f64 v[53:54], v[55:56], -0.5, v[53:54]
	v_cvt_i32_f64_e32 v41, v[55:56]
	v_and_b32_e32 v45, 1, v41
	v_lshlrev_b32_e32 v41, 30, v41
	v_cmp_eq_u32_e32 vcc, 0, v45
	v_mul_f64 v[57:58], v[53:54], v[53:54]
	v_xor_b32_e32 v41, v41, v2
	v_and_b32_e32 v41, 0x80000000, v41
	v_fma_f64 v[59:60], v[57:58], s[24:25], v[33:34]
	v_fma_f64 v[61:62], v[57:58], s[70:71], v[35:36]
	v_mul_f64 v[69:70], v[53:54], v[57:58]
	v_fma_f64 v[59:60], v[57:58], v[59:60], s[58:59]
	v_fma_f64 v[61:62], v[57:58], v[61:62], s[72:73]
	;; [unrolled: 1-line block ×8, first 2 shown]
	v_mul_f64 v[59:60], v[69:70], v[59:60]
	v_fma_f64 v[61:62], v[57:58], v[61:62], s[80:81]
	v_fma_f64 v[53:54], v[53:54], s[66:67], v[59:60]
	v_fma_f64 v[57:58], v[57:58], v[61:62], 1.0
	v_cndmask_b32_e32 v49, v58, v54, vcc
	v_cndmask_b32_e32 v45, v57, v53, vcc
	v_xor_b32_e32 v41, v49, v41
	v_cndmask_b32_e64 v53, 0, v45, s[0:1]
	v_cndmask_b32_e64 v54, v68, v41, s[0:1]
	v_mul_f64 v[53:54], v[1:2], v[53:54]
	v_and_b32_e32 v56, 0x7fffffff, v54
	v_mov_b32_e32 v55, v53
	v_div_scale_f64 v[57:58], s[0:1], v[55:56], v[55:56], s[66:67]
	v_div_scale_f64 v[55:56], vcc, s[66:67], v[55:56], s[66:67]
	v_rcp_f64_e32 v[59:60], v[57:58]
	v_fma_f64 v[61:62], -v[57:58], v[59:60], 1.0
	v_fma_f64 v[59:60], v[59:60], v[61:62], v[59:60]
	v_fma_f64 v[61:62], -v[57:58], v[59:60], 1.0
	v_fma_f64 v[59:60], v[59:60], v[61:62], v[59:60]
	v_mul_f64 v[61:62], v[55:56], v[59:60]
	v_fma_f64 v[55:56], -v[57:58], v[61:62], v[55:56]
	v_div_fmas_f64 v[55:56], v[55:56], v[59:60], v[61:62]
	v_div_fixup_f64 v[53:54], v[55:56], |v[53:54]|, s[66:67]
	v_frexp_mant_f64_e32 v[55:56], v[53:54]
	v_cmp_gt_f64_e32 vcc, s[84:85], v[55:56]
	v_cndmask_b32_e64 v41, 0, 1, vcc
	v_ldexp_f64 v[55:56], v[55:56], v41
	v_frexp_exp_i32_f64_e32 v41, v[53:54]
	v_add_f64 v[57:58], v[55:56], 1.0
	v_add_f64 v[69:70], v[55:56], -1.0
	v_subbrev_co_u32_e32 v41, vcc, 0, v41, vcc
	v_cmp_class_f64_e64 vcc, v[53:54], s89
	v_rcp_f64_e32 v[59:60], v[57:58]
	v_add_f64 v[71:72], v[57:58], -1.0
	v_add_f64 v[55:56], v[55:56], -v[71:72]
	v_fma_f64 v[61:62], -v[57:58], v[59:60], 1.0
	v_fma_f64 v[59:60], v[61:62], v[59:60], v[59:60]
	v_fma_f64 v[61:62], -v[57:58], v[59:60], 1.0
	v_fma_f64 v[59:60], v[61:62], v[59:60], v[59:60]
	v_mul_f64 v[61:62], v[69:70], v[59:60]
	v_mul_f64 v[73:74], v[57:58], v[61:62]
	v_fma_f64 v[57:58], v[61:62], v[57:58], -v[73:74]
	v_fma_f64 v[55:56], v[61:62], v[55:56], v[57:58]
	v_add_f64 v[57:58], v[73:74], v[55:56]
	v_add_f64 v[71:72], v[69:70], -v[57:58]
	v_add_f64 v[73:74], v[57:58], -v[73:74]
	;; [unrolled: 1-line block ×5, first 2 shown]
	v_add_f64 v[55:56], v[55:56], v[57:58]
	v_add_f64 v[55:56], v[71:72], v[55:56]
	v_mul_f64 v[55:56], v[59:60], v[55:56]
	v_add_f64 v[57:58], v[61:62], v[55:56]
	v_mul_f64 v[59:60], v[57:58], v[57:58]
	v_fma_f64 v[69:70], v[59:60], s[30:31], v[9:10]
	v_mul_f64 v[71:72], v[57:58], v[59:60]
	v_fma_f64 v[69:70], v[59:60], v[69:70], s[34:35]
	v_fma_f64 v[69:70], v[59:60], v[69:70], s[36:37]
	;; [unrolled: 1-line block ×5, first 2 shown]
	v_ldexp_f64 v[69:70], v[57:58], 1
	v_add_f64 v[57:58], v[57:58], -v[61:62]
	v_mul_f64 v[59:60], v[71:72], v[59:60]
	v_cvt_f64_i32_e32 v[71:72], v41
	v_add_f64 v[55:56], v[55:56], -v[57:58]
	v_mul_f64 v[73:74], v[71:72], s[42:43]
	v_add_f64 v[61:62], v[69:70], v[59:60]
	v_ldexp_f64 v[55:56], v[55:56], 1
	v_add_f64 v[57:58], v[61:62], -v[69:70]
	v_fma_f64 v[69:70], v[71:72], s[42:43], -v[73:74]
	v_add_f64 v[57:58], v[59:60], -v[57:58]
	v_fma_f64 v[59:60], v[71:72], s[44:45], v[69:70]
	v_add_f64 v[55:56], v[55:56], v[57:58]
	v_add_f64 v[57:58], v[73:74], v[59:60]
	;; [unrolled: 1-line block ×3, first 2 shown]
	v_add_f64 v[73:74], v[57:58], -v[73:74]
	v_add_f64 v[71:72], v[57:58], v[69:70]
	v_add_f64 v[61:62], v[69:70], -v[61:62]
	v_add_f64 v[59:60], v[59:60], -v[73:74]
	;; [unrolled: 1-line block ×6, first 2 shown]
	v_add_f64 v[69:70], v[59:60], v[55:56]
	v_add_f64 v[57:58], v[57:58], -v[77:78]
	v_add_f64 v[57:58], v[61:62], v[57:58]
	v_add_f64 v[61:62], v[69:70], -v[59:60]
	;; [unrolled: 2-line block ×3, first 2 shown]
	v_add_f64 v[55:56], v[55:56], -v[61:62]
	v_add_f64 v[73:74], v[71:72], v[57:58]
	v_add_f64 v[59:60], v[59:60], -v[69:70]
	v_add_f64 v[61:62], v[73:74], -v[71:72]
	v_add_f64 v[55:56], v[55:56], v[59:60]
	v_add_f64 v[57:58], v[57:58], -v[61:62]
	v_add_f64 v[55:56], v[55:56], v[57:58]
	v_fract_f64_e32 v[57:58], v[1:2]
	v_add_f64 v[55:56], v[73:74], v[55:56]
	v_cmp_eq_f64_e64 s[0:1], 0, v[57:58]
	v_cndmask_b32_e32 v41, v55, v53, vcc
	v_cndmask_b32_e32 v45, v56, v54, vcc
	v_cmp_neq_f64_e32 vcc, 0, v[53:54]
	v_cndmask_b32_e32 v54, v66, v45, vcc
	v_cndmask_b32_e32 v53, 0, v41, vcc
	v_add_f64 v[51:52], v[53:54], -v[51:52]
	s_or_b64 vcc, s[8:9], s[0:1]
	v_cndmask_b32_e32 v52, v52, v65, vcc
	v_cndmask_b32_e64 v51, v51, 0, vcc
.LBB8_106:                              ;   in Loop: Header=BB8_5 Depth=1
	s_or_b64 exec, exec, s[6:7]
.LBB8_107:                              ;   in Loop: Header=BB8_5 Depth=1
	s_or_b64 exec, exec, s[2:3]
	v_and_b32_e32 v54, 0x7fffffff, v4
	v_mov_b32_e32 v53, v3
	v_cmp_lt_u32_e32 vcc, s48, v54
                                        ; implicit-def: $vgpr55_vgpr56
	s_and_saveexec_b64 s[0:1], vcc
	s_xor_b64 s[6:7], exec, s[0:1]
	s_cbranch_execz .LBB8_133
; %bb.108:                              ;   in Loop: Header=BB8_5 Depth=1
	v_cmp_lt_u32_e32 vcc, s49, v54
                                        ; implicit-def: $vgpr55_vgpr56
	s_and_saveexec_b64 s[0:1], vcc
	s_xor_b64 s[8:9], exec, s[0:1]
	s_cbranch_execz .LBB8_118
; %bb.109:                              ;   in Loop: Header=BB8_5 Depth=1
	;; [unrolled: 6-line block ×3, first 2 shown]
	s_mov_b32 s0, 0x438fffff
	v_cmp_lt_u32_e32 vcc, s0, v54
                                        ; implicit-def: $vgpr55_vgpr56
	s_and_saveexec_b64 s[0:1], vcc
	s_xor_b64 s[2:3], exec, s[0:1]
	s_cbranch_execz .LBB8_112
; %bb.111:                              ;   in Loop: Header=BB8_5 Depth=1
	v_frexp_mant_f64_e64 v[55:56], |v[3:4]|
	s_mov_b32 s29, s85
	v_cmp_neq_f64_e64 s[0:1], 0, v[3:4]
	v_cmp_gt_f64_e32 vcc, s[84:85], v[55:56]
	v_cndmask_b32_e64 v41, 0, 1, vcc
	v_ldexp_f64 v[55:56], v[55:56], v41
	v_frexp_exp_i32_f64_e32 v41, v[3:4]
	v_add_f64 v[57:58], v[55:56], 1.0
	v_add_f64 v[69:70], v[55:56], -1.0
	v_subbrev_co_u32_e32 v41, vcc, 0, v41, vcc
	v_cmp_neq_f64_e64 vcc, |v[3:4]|, s[86:87]
	v_rcp_f64_e32 v[59:60], v[57:58]
	v_add_f64 v[71:72], v[57:58], -1.0
	v_add_f64 v[55:56], v[55:56], -v[71:72]
	v_fma_f64 v[61:62], -v[57:58], v[59:60], 1.0
	v_fma_f64 v[59:60], v[61:62], v[59:60], v[59:60]
	v_fma_f64 v[61:62], -v[57:58], v[59:60], 1.0
	v_fma_f64 v[59:60], v[61:62], v[59:60], v[59:60]
	v_mul_f64 v[61:62], v[69:70], v[59:60]
	v_mul_f64 v[73:74], v[57:58], v[61:62]
	v_fma_f64 v[57:58], v[61:62], v[57:58], -v[73:74]
	v_fma_f64 v[55:56], v[61:62], v[55:56], v[57:58]
	v_add_f64 v[57:58], v[73:74], v[55:56]
	v_add_f64 v[71:72], v[69:70], -v[57:58]
	v_add_f64 v[73:74], v[57:58], -v[73:74]
	;; [unrolled: 1-line block ×5, first 2 shown]
	v_add_f64 v[55:56], v[55:56], v[57:58]
	v_add_f64 v[55:56], v[71:72], v[55:56]
	v_mul_f64 v[55:56], v[59:60], v[55:56]
	v_add_f64 v[57:58], v[61:62], v[55:56]
	v_mul_f64 v[59:60], v[57:58], v[57:58]
	v_fma_f64 v[69:70], v[59:60], s[30:31], v[9:10]
	v_mul_f64 v[71:72], v[57:58], v[59:60]
	v_fma_f64 v[69:70], v[59:60], v[69:70], s[34:35]
	v_fma_f64 v[69:70], v[59:60], v[69:70], s[36:37]
	;; [unrolled: 1-line block ×5, first 2 shown]
	v_ldexp_f64 v[69:70], v[57:58], 1
	v_add_f64 v[57:58], v[57:58], -v[61:62]
	v_mul_f64 v[59:60], v[71:72], v[59:60]
	v_cvt_f64_i32_e32 v[71:72], v41
	v_add_f64 v[55:56], v[55:56], -v[57:58]
	v_mul_f64 v[73:74], v[71:72], s[42:43]
	v_add_f64 v[61:62], v[69:70], v[59:60]
	v_ldexp_f64 v[55:56], v[55:56], 1
	v_add_f64 v[57:58], v[61:62], -v[69:70]
	v_fma_f64 v[69:70], v[71:72], s[42:43], -v[73:74]
	v_add_f64 v[57:58], v[59:60], -v[57:58]
	v_fma_f64 v[59:60], v[71:72], s[44:45], v[69:70]
	v_add_f64 v[55:56], v[55:56], v[57:58]
	v_add_f64 v[57:58], v[73:74], v[59:60]
	;; [unrolled: 1-line block ×3, first 2 shown]
	v_add_f64 v[73:74], v[57:58], -v[73:74]
	v_add_f64 v[71:72], v[57:58], v[69:70]
	v_add_f64 v[61:62], v[69:70], -v[61:62]
	v_add_f64 v[59:60], v[59:60], -v[73:74]
	;; [unrolled: 1-line block ×6, first 2 shown]
	v_add_f64 v[69:70], v[59:60], v[55:56]
	v_add_f64 v[57:58], v[57:58], -v[77:78]
	v_add_f64 v[57:58], v[61:62], v[57:58]
	v_add_f64 v[61:62], v[69:70], -v[59:60]
	;; [unrolled: 2-line block ×3, first 2 shown]
	v_add_f64 v[55:56], v[55:56], -v[61:62]
	v_add_f64 v[73:74], v[71:72], v[57:58]
	v_add_f64 v[59:60], v[59:60], -v[69:70]
	v_add_f64 v[61:62], v[73:74], -v[71:72]
	v_add_f64 v[55:56], v[55:56], v[59:60]
	v_add_f64 v[57:58], v[57:58], -v[61:62]
	v_add_f64 v[55:56], v[55:56], v[57:58]
	v_add_f64 v[55:56], v[73:74], v[55:56]
	v_cndmask_b32_e32 v41, v65, v56, vcc
	s_and_b64 vcc, s[0:1], vcc
	v_cndmask_b32_e64 v56, v66, v41, s[0:1]
	v_cndmask_b32_e32 v55, 0, v55, vcc
	v_fma_f64 v[55:56], |v[3:4]|, v[55:56], -|v[3:4]|
.LBB8_112:                              ;   in Loop: Header=BB8_5 Depth=1
	s_andn2_saveexec_b64 s[12:13], s[2:3]
	s_cbranch_execz .LBB8_114
; %bb.113:                              ;   in Loop: Header=BB8_5 Depth=1
	v_frexp_mant_f64_e64 v[55:56], |v[3:4]|
	s_mov_b32 s29, s85
	s_mov_b32 s2, 0x90c97d69
	;; [unrolled: 1-line block ×3, first 2 shown]
	v_cmp_gt_f64_e32 vcc, s[84:85], v[55:56]
	v_cndmask_b32_e64 v41, 0, 1, vcc
	v_ldexp_f64 v[55:56], v[55:56], v41
	v_frexp_exp_i32_f64_e32 v41, v[3:4]
	v_add_f64 v[57:58], v[55:56], 1.0
	v_add_f64 v[69:70], v[55:56], -1.0
	v_subbrev_co_u32_e32 v41, vcc, 0, v41, vcc
	v_cvt_f64_i32_e32 v[77:78], v41
	v_mul_f64 v[79:80], v[77:78], s[42:43]
	v_rcp_f64_e32 v[59:60], v[57:58]
	v_add_f64 v[71:72], v[57:58], -1.0
	v_fma_f64 v[81:82], v[77:78], s[42:43], -v[79:80]
	v_add_f64 v[55:56], v[55:56], -v[71:72]
	v_fma_f64 v[61:62], -v[57:58], v[59:60], 1.0
	v_fma_f64 v[59:60], v[61:62], v[59:60], v[59:60]
	v_fma_f64 v[61:62], -v[57:58], v[59:60], 1.0
	v_fma_f64 v[59:60], v[61:62], v[59:60], v[59:60]
	v_mul_f64 v[61:62], v[69:70], v[59:60]
	v_mul_f64 v[73:74], v[57:58], v[61:62]
	v_fma_f64 v[57:58], v[61:62], v[57:58], -v[73:74]
	v_fma_f64 v[55:56], v[61:62], v[55:56], v[57:58]
	v_add_f64 v[57:58], v[73:74], v[55:56]
	v_add_f64 v[71:72], v[69:70], -v[57:58]
	v_add_f64 v[73:74], v[57:58], -v[73:74]
	;; [unrolled: 1-line block ×5, first 2 shown]
	v_add_f64 v[55:56], v[55:56], v[57:58]
	v_add_f64 v[55:56], v[71:72], v[55:56]
	v_and_b32_e32 v72, 0x7fffffff, v4
	v_mov_b32_e32 v71, v3
	v_div_scale_f64 v[73:74], s[0:1], v[71:72], v[71:72], 1.0
	s_mov_b32 s0, 0xb9e43e4
	s_mov_b32 s1, 0xbf5ab89d
	v_mul_f64 v[55:56], v[59:60], v[55:56]
	v_add_f64 v[57:58], v[61:62], v[55:56]
	v_mul_f64 v[59:60], v[57:58], v[57:58]
	v_fma_f64 v[69:70], v[59:60], s[30:31], v[9:10]
	v_mul_f64 v[75:76], v[57:58], v[59:60]
	v_fma_f64 v[69:70], v[59:60], v[69:70], s[34:35]
	v_fma_f64 v[69:70], v[59:60], v[69:70], s[36:37]
	;; [unrolled: 1-line block ×5, first 2 shown]
	v_ldexp_f64 v[69:70], v[57:58], 1
	v_add_f64 v[57:58], v[57:58], -v[61:62]
	v_mul_f64 v[59:60], v[75:76], v[59:60]
	v_rcp_f64_e32 v[75:76], v[73:74]
	v_add_f64 v[55:56], v[55:56], -v[57:58]
	v_add_f64 v[61:62], v[69:70], v[59:60]
	v_ldexp_f64 v[55:56], v[55:56], 1
	v_add_f64 v[57:58], v[61:62], -v[69:70]
	v_fma_f64 v[69:70], -v[73:74], v[75:76], 1.0
	v_add_f64 v[57:58], v[59:60], -v[57:58]
	v_fma_f64 v[59:60], v[75:76], v[69:70], v[75:76]
	v_fma_f64 v[69:70], v[77:78], s[44:45], v[81:82]
	v_add_f64 v[55:56], v[55:56], v[57:58]
	v_div_scale_f64 v[57:58], vcc, 1.0, v[71:72], 1.0
	v_fma_f64 v[71:72], -v[73:74], v[59:60], 1.0
	v_add_f64 v[75:76], v[79:80], v[69:70]
	v_add_f64 v[77:78], v[61:62], v[55:56]
	v_fma_f64 v[59:60], v[59:60], v[71:72], v[59:60]
	v_add_f64 v[71:72], v[75:76], v[77:78]
	v_add_f64 v[61:62], v[77:78], -v[61:62]
	v_mul_f64 v[81:82], v[57:58], v[59:60]
	v_add_f64 v[83:84], v[71:72], -v[75:76]
	v_add_f64 v[55:56], v[55:56], -v[61:62]
	v_fma_f64 v[57:58], -v[73:74], v[81:82], v[57:58]
	v_add_f64 v[73:74], v[75:76], -v[79:80]
	v_add_f64 v[79:80], v[71:72], -v[83:84]
	;; [unrolled: 1-line block ×3, first 2 shown]
	v_div_fmas_f64 v[57:58], v[57:58], v[59:60], v[81:82]
	v_add_f64 v[59:60], v[69:70], -v[73:74]
	v_cmp_neq_f64_e64 vcc, |v[3:4]|, s[86:87]
	v_add_f64 v[69:70], v[75:76], -v[79:80]
	v_add_f64 v[73:74], v[59:60], v[55:56]
	v_add_f64 v[61:62], v[61:62], v[69:70]
	v_div_fixup_f64 v[57:58], v[57:58], |v[3:4]|, 1.0
	v_add_f64 v[69:70], v[73:74], -v[59:60]
	v_add_f64 v[61:62], v[73:74], v[61:62]
	v_mul_f64 v[75:76], v[57:58], v[57:58]
	v_add_f64 v[73:74], v[73:74], -v[69:70]
	v_add_f64 v[55:56], v[55:56], -v[69:70]
	v_add_f64 v[77:78], v[71:72], v[61:62]
	v_fma_f64 v[79:80], v[75:76], s[0:1], v[11:12]
	v_add_f64 v[59:60], v[59:60], -v[73:74]
	s_mov_b32 s0, 0x8c0fe741
	s_mov_b32 s1, 0xbf4380cb
	v_add_f64 v[69:70], v[77:78], -v[71:72]
	v_fma_f64 v[71:72], v[75:76], v[79:80], s[0:1]
	v_add_f64 v[55:56], v[55:56], v[59:60]
	s_mov_b32 s0, 0x98cf38b6
	s_mov_b32 s1, 0x3f4a019f
	v_add_f64 v[59:60], v[61:62], -v[69:70]
	v_fma_f64 v[61:62], v[75:76], v[71:72], s[0:1]
	s_mov_b32 s0, 0x16b02e5c
	s_mov_b32 s1, 0xbf66c16c
	v_add_f64 v[55:56], v[55:56], v[59:60]
	v_fma_f64 v[59:60], v[75:76], v[61:62], s[0:1]
	s_mov_b32 s0, 0x5555553b
	s_mov_b32 s1, 0x3fb55555
	v_add_f64 v[61:62], |v[3:4]|, -0.5
	v_add_f64 v[55:56], v[77:78], v[55:56]
	v_fma_f64 v[59:60], v[75:76], v[59:60], s[0:1]
	v_cmp_neq_f64_e64 s[0:1], 0, v[3:4]
	v_add_f64 v[55:56], v[55:56], -1.0
	v_fma_f64 v[57:58], v[57:58], v[59:60], s[2:3]
	s_and_b64 s[2:3], s[0:1], vcc
	v_cndmask_b32_e32 v41, v65, v56, vcc
	v_cndmask_b32_e64 v55, 0, v55, s[2:3]
	v_cndmask_b32_e64 v56, v66, v41, s[0:1]
	v_fma_f64 v[55:56], v[61:62], v[55:56], v[57:58]
.LBB8_114:                              ;   in Loop: Header=BB8_5 Depth=1
	s_or_b64 exec, exec, s[12:13]
.LBB8_115:                              ;   in Loop: Header=BB8_5 Depth=1
	s_andn2_saveexec_b64 s[0:1], s[10:11]
	s_cbranch_execz .LBB8_117
; %bb.116:                              ;   in Loop: Header=BB8_5 Depth=1
	v_cvt_i32_f64_e32 v41, v[53:54]
	s_mov_b32 s2, 0xdd17e945
	s_mov_b32 s3, 0x3f00bfec
	;; [unrolled: 1-line block ×3, first 2 shown]
	v_cvt_f64_i32_e32 v[55:56], v41
	s_mov_b32 s29, s85
	v_add_f64 v[57:58], |v[3:4]|, -v[55:56]
	v_fma_f64 v[55:56], v[57:58], s[2:3], v[13:14]
	s_mov_b32 s2, 0x7e939961
	s_mov_b32 s3, 0x3f9b481c
	v_fma_f64 v[55:56], v[57:58], v[55:56], s[2:3]
	s_mov_b32 s2, 0xbee5f2f7
	s_mov_b32 s3, 0x3fc2bb9c
	;; [unrolled: 3-line block ×6, first 2 shown]
	v_fma_f64 v[55:56], v[57:58], v[55:56], s[68:69]
	v_fma_f64 v[59:60], v[57:58], v[59:60], s[2:3]
	s_mov_b32 s2, 0xccfbdf27
	s_mov_b32 s3, 0x3fc601ed
	v_mul_f64 v[55:56], v[57:58], v[55:56]
	v_fma_f64 v[59:60], v[57:58], v[59:60], s[2:3]
	s_mov_b32 s2, 0x93d3dcdc
	s_mov_b32 s3, 0x3fe71a18
	v_fma_f64 v[59:60], v[57:58], v[59:60], s[2:3]
	s_mov_b32 s2, 0x62c4ab74
	s_mov_b32 s3, 0x3ff645a7
	v_fma_f64 v[59:60], v[57:58], v[59:60], s[2:3]
	v_fma_f64 v[59:60], v[57:58], v[59:60], 1.0
	v_div_scale_f64 v[61:62], s[2:3], v[59:60], v[59:60], v[55:56]
	s_mov_b32 s2, 0
	s_mov_b32 s3, 0x40080000
	v_rcp_f64_e32 v[69:70], v[61:62]
	v_fma_f64 v[71:72], -v[61:62], v[69:70], 1.0
	v_fma_f64 v[69:70], v[69:70], v[71:72], v[69:70]
	v_fma_f64 v[71:72], -v[61:62], v[69:70], 1.0
	v_fma_f64 v[69:70], v[69:70], v[71:72], v[69:70]
	v_div_scale_f64 v[71:72], vcc, v[55:56], v[59:60], v[55:56]
	v_mul_f64 v[73:74], v[71:72], v[69:70]
	v_fma_f64 v[61:62], -v[61:62], v[73:74], v[71:72]
	s_nop 1
	v_div_fmas_f64 v[61:62], v[61:62], v[69:70], v[73:74]
	v_cmp_lt_i32_e32 vcc, 2, v41
	v_add_f64 v[69:70], v[57:58], 4.0
	v_div_fixup_f64 v[55:56], v[61:62], v[59:60], v[55:56]
	v_add_f64 v[59:60], v[57:58], 2.0
	v_add_f64 v[61:62], v[57:58], s[2:3]
	s_mov_b32 s2, 0
	s_mov_b32 s3, 0x40140000
	v_add_f64 v[71:72], v[57:58], s[2:3]
	s_mov_b32 s2, 0
	s_mov_b32 s3, 0x40180000
	v_fma_f64 v[55:56], v[57:58], 0.5, v[55:56]
	v_cndmask_b32_e32 v60, v67, v60, vcc
	v_cndmask_b32_e32 v59, 0, v59, vcc
	v_cmp_lt_i32_e32 vcc, 3, v41
	v_cndmask_b32_e32 v62, v67, v62, vcc
	v_cndmask_b32_e32 v61, 0, v61, vcc
	v_mul_f64 v[59:60], v[59:60], v[61:62]
	v_cmp_lt_i32_e32 vcc, 4, v41
	v_cndmask_b32_e32 v62, v67, v70, vcc
	v_cndmask_b32_e32 v61, 0, v69, vcc
	v_cmp_lt_i32_e32 vcc, 5, v41
	v_add_f64 v[57:58], v[57:58], s[2:3]
	v_mul_f64 v[59:60], v[61:62], v[59:60]
	v_cndmask_b32_e32 v62, v67, v72, vcc
	v_cndmask_b32_e32 v61, 0, v71, vcc
	v_cmp_lt_i32_e32 vcc, 6, v41
	v_cndmask_b32_e32 v58, v67, v58, vcc
	v_cndmask_b32_e32 v57, 0, v57, vcc
	v_mul_f64 v[59:60], v[61:62], v[59:60]
	v_mul_f64 v[57:58], v[57:58], v[59:60]
	v_frexp_mant_f64_e32 v[59:60], v[57:58]
	v_frexp_exp_i32_f64_e32 v41, v[57:58]
	v_cmp_gt_f64_e32 vcc, s[84:85], v[59:60]
	v_cndmask_b32_e64 v45, 0, 1, vcc
	v_ldexp_f64 v[59:60], v[59:60], v45
	v_subbrev_co_u32_e32 v41, vcc, 0, v41, vcc
	v_cmp_class_f64_e64 vcc, v[57:58], s89
	v_add_f64 v[69:70], v[59:60], 1.0
	v_add_f64 v[61:62], v[59:60], -1.0
	v_add_f64 v[71:72], v[69:70], -1.0
	v_add_f64 v[59:60], v[59:60], -v[71:72]
	v_rcp_f64_e32 v[71:72], v[69:70]
	v_fma_f64 v[73:74], -v[69:70], v[71:72], 1.0
	v_fma_f64 v[71:72], v[73:74], v[71:72], v[71:72]
	v_fma_f64 v[73:74], -v[69:70], v[71:72], 1.0
	v_fma_f64 v[71:72], v[73:74], v[71:72], v[71:72]
	v_mul_f64 v[73:74], v[61:62], v[71:72]
	v_mul_f64 v[75:76], v[69:70], v[73:74]
	v_fma_f64 v[69:70], v[73:74], v[69:70], -v[75:76]
	v_fma_f64 v[59:60], v[73:74], v[59:60], v[69:70]
	v_add_f64 v[69:70], v[75:76], v[59:60]
	v_add_f64 v[77:78], v[61:62], -v[69:70]
	v_add_f64 v[75:76], v[69:70], -v[75:76]
	;; [unrolled: 1-line block ×5, first 2 shown]
	v_add_f64 v[59:60], v[59:60], v[61:62]
	v_add_f64 v[59:60], v[77:78], v[59:60]
	v_mul_f64 v[59:60], v[71:72], v[59:60]
	v_add_f64 v[61:62], v[73:74], v[59:60]
	v_add_f64 v[69:70], v[61:62], -v[73:74]
	v_ldexp_f64 v[73:74], v[61:62], 1
	v_add_f64 v[59:60], v[59:60], -v[69:70]
	v_mul_f64 v[69:70], v[61:62], v[61:62]
	v_ldexp_f64 v[59:60], v[59:60], 1
	v_fma_f64 v[71:72], v[69:70], s[30:31], v[9:10]
	v_mul_f64 v[61:62], v[61:62], v[69:70]
	v_fma_f64 v[71:72], v[69:70], v[71:72], s[34:35]
	v_fma_f64 v[71:72], v[69:70], v[71:72], s[36:37]
	;; [unrolled: 1-line block ×5, first 2 shown]
	v_mul_f64 v[61:62], v[61:62], v[71:72]
	v_add_f64 v[69:70], v[73:74], v[61:62]
	v_add_f64 v[71:72], v[69:70], -v[73:74]
	v_add_f64 v[61:62], v[61:62], -v[71:72]
	v_add_f64 v[59:60], v[59:60], v[61:62]
	v_add_f64 v[61:62], v[69:70], v[59:60]
	v_add_f64 v[69:70], v[61:62], -v[69:70]
	v_add_f64 v[59:60], v[59:60], -v[69:70]
	v_cvt_f64_i32_e32 v[69:70], v41
	v_mul_f64 v[71:72], v[69:70], s[42:43]
	v_fma_f64 v[73:74], v[69:70], s[42:43], -v[71:72]
	v_fma_f64 v[69:70], v[69:70], s[44:45], v[73:74]
	v_add_f64 v[73:74], v[71:72], v[69:70]
	v_add_f64 v[71:72], v[73:74], -v[71:72]
	v_add_f64 v[69:70], v[69:70], -v[71:72]
	v_add_f64 v[71:72], v[73:74], v[61:62]
	v_add_f64 v[75:76], v[71:72], -v[73:74]
	v_add_f64 v[77:78], v[71:72], -v[75:76]
	;; [unrolled: 1-line block ×4, first 2 shown]
	v_add_f64 v[61:62], v[61:62], v[73:74]
	v_add_f64 v[73:74], v[69:70], v[59:60]
	v_add_f64 v[75:76], v[73:74], -v[69:70]
	v_add_f64 v[61:62], v[73:74], v[61:62]
	v_add_f64 v[77:78], v[73:74], -v[75:76]
	v_add_f64 v[59:60], v[59:60], -v[75:76]
	;; [unrolled: 1-line block ×3, first 2 shown]
	v_add_f64 v[59:60], v[59:60], v[69:70]
	v_add_f64 v[69:70], v[71:72], v[61:62]
	v_add_f64 v[71:72], v[69:70], -v[71:72]
	v_add_f64 v[61:62], v[61:62], -v[71:72]
	v_add_f64 v[59:60], v[59:60], v[61:62]
	v_add_f64 v[59:60], v[69:70], v[59:60]
	v_cndmask_b32_e32 v41, v59, v57, vcc
	v_cndmask_b32_e32 v45, v60, v58, vcc
	v_cmp_ngt_f64_e32 vcc, 0, v[57:58]
	v_cndmask_b32_e32 v45, v68, v45, vcc
	v_cmp_nge_f64_e32 vcc, 0, v[57:58]
	v_cndmask_b32_e32 v59, 0, v41, vcc
	v_cmp_neq_f64_e32 vcc, 0, v[57:58]
	v_cndmask_b32_e32 v60, v66, v45, vcc
	v_add_f64 v[55:56], v[55:56], v[59:60]
.LBB8_117:                              ;   in Loop: Header=BB8_5 Depth=1
	s_or_b64 exec, exec, s[0:1]
.LBB8_118:                              ;   in Loop: Header=BB8_5 Depth=1
	s_andn2_saveexec_b64 s[8:9], s[8:9]
	s_cbranch_execz .LBB8_132
; %bb.119:                              ;   in Loop: Header=BB8_5 Depth=1
	v_cmp_lt_u32_e32 vcc, s90, v54
                                        ; implicit-def: $vgpr41
                                        ; implicit-def: $vgpr57_vgpr58
	s_and_saveexec_b64 s[0:1], vcc
	s_xor_b64 s[0:1], exec, s[0:1]
	s_cbranch_execz .LBB8_121
; %bb.120:                              ;   in Loop: Header=BB8_5 Depth=1
	s_mov_b32 s2, 0x6356be3f
	s_mov_b32 s3, 0xbff762d8
	v_add_f64 v[55:56], -|v[3:4]|, 2.0
	v_add_f64 v[57:58], |v[3:4]|, s[2:3]
	v_add_f64 v[59:60], |v[3:4]|, -1.0
	s_mov_b32 s2, 0x3ffbb4c3
	v_cmp_gt_u32_e32 vcc, s2, v54
	s_mov_b32 s2, 0x3ff3b4c4
	v_cndmask_b32_e64 v41, 0, 1, vcc
	v_cndmask_b32_e32 v45, v55, v57, vcc
	v_cndmask_b32_e32 v49, v56, v58, vcc
	v_cmp_gt_u32_e32 vcc, s2, v54
	v_cndmask_b32_e32 v58, v49, v60, vcc
	v_cndmask_b32_e32 v57, v45, v59, vcc
	v_cndmask_b32_e64 v41, v41, 2, vcc
.LBB8_121:                              ;   in Loop: Header=BB8_5 Depth=1
	s_or_saveexec_b64 s[10:11], s[0:1]
	v_mov_b32_e32 v55, 0
	v_mov_b32_e32 v56, 0
	s_xor_b64 exec, exec, s[10:11]
	s_cbranch_execz .LBB8_123
; %bb.122:                              ;   in Loop: Header=BB8_5 Depth=1
	v_frexp_mant_f64_e64 v[55:56], |v[3:4]|
	s_mov_b32 s29, s85
	s_mov_b32 s0, 0x8d5af8fc
	;; [unrolled: 1-line block ×4, first 2 shown]
	v_cmp_gt_u32_e64 s[2:3], s2, v54
	v_cndmask_b32_e64 v49, 0, 1, s[2:3]
	v_cmp_gt_f64_e32 vcc, s[84:85], v[55:56]
	v_cndmask_b32_e64 v41, 0, 1, vcc
	v_ldexp_f64 v[55:56], v[55:56], v41
	v_frexp_exp_i32_f64_e32 v41, v[3:4]
	v_add_f64 v[57:58], v[55:56], 1.0
	v_add_f64 v[69:70], v[55:56], -1.0
	v_subbrev_co_u32_e32 v41, vcc, 0, v41, vcc
	v_cmp_neq_f64_e64 vcc, |v[3:4]|, s[86:87]
	v_rcp_f64_e32 v[59:60], v[57:58]
	v_add_f64 v[71:72], v[57:58], -1.0
	v_add_f64 v[55:56], v[55:56], -v[71:72]
	v_fma_f64 v[61:62], -v[57:58], v[59:60], 1.0
	v_fma_f64 v[59:60], v[61:62], v[59:60], v[59:60]
	v_fma_f64 v[61:62], -v[57:58], v[59:60], 1.0
	v_fma_f64 v[59:60], v[61:62], v[59:60], v[59:60]
	v_mul_f64 v[61:62], v[69:70], v[59:60]
	v_mul_f64 v[73:74], v[57:58], v[61:62]
	v_fma_f64 v[57:58], v[61:62], v[57:58], -v[73:74]
	v_fma_f64 v[55:56], v[61:62], v[55:56], v[57:58]
	v_add_f64 v[57:58], v[73:74], v[55:56]
	v_add_f64 v[71:72], v[69:70], -v[57:58]
	v_add_f64 v[73:74], v[57:58], -v[73:74]
	;; [unrolled: 1-line block ×5, first 2 shown]
	v_add_f64 v[55:56], v[55:56], v[57:58]
	v_add_f64 v[55:56], v[71:72], v[55:56]
	v_mul_f64 v[55:56], v[59:60], v[55:56]
	v_add_f64 v[57:58], v[61:62], v[55:56]
	v_mul_f64 v[59:60], v[57:58], v[57:58]
	v_fma_f64 v[69:70], v[59:60], s[30:31], v[9:10]
	v_mul_f64 v[71:72], v[57:58], v[59:60]
	v_fma_f64 v[69:70], v[59:60], v[69:70], s[34:35]
	v_fma_f64 v[69:70], v[59:60], v[69:70], s[36:37]
	;; [unrolled: 1-line block ×5, first 2 shown]
	v_ldexp_f64 v[69:70], v[57:58], 1
	v_add_f64 v[57:58], v[57:58], -v[61:62]
	v_mul_f64 v[59:60], v[71:72], v[59:60]
	v_cvt_f64_i32_e32 v[71:72], v41
	v_add_f64 v[55:56], v[55:56], -v[57:58]
	v_and_b32_e32 v41, 0x7fffffff, v4
	v_mul_f64 v[73:74], v[71:72], s[42:43]
	v_add_f64 v[61:62], v[69:70], v[59:60]
	v_ldexp_f64 v[55:56], v[55:56], 1
	v_add_f64 v[57:58], v[61:62], -v[69:70]
	v_fma_f64 v[69:70], v[71:72], s[42:43], -v[73:74]
	v_add_f64 v[57:58], v[59:60], -v[57:58]
	v_fma_f64 v[59:60], v[71:72], s[44:45], v[69:70]
	v_add_f64 v[55:56], v[55:56], v[57:58]
	v_add_f64 v[57:58], v[73:74], v[59:60]
	;; [unrolled: 1-line block ×3, first 2 shown]
	v_add_f64 v[73:74], v[57:58], -v[73:74]
	v_add_f64 v[71:72], v[57:58], v[69:70]
	v_add_f64 v[61:62], v[69:70], -v[61:62]
	v_add_f64 v[59:60], v[59:60], -v[73:74]
	;; [unrolled: 1-line block ×6, first 2 shown]
	v_add_f64 v[69:70], v[59:60], v[55:56]
	v_add_f64 v[57:58], v[57:58], -v[77:78]
	v_add_f64 v[57:58], v[61:62], v[57:58]
	v_add_f64 v[61:62], v[69:70], -v[59:60]
	;; [unrolled: 2-line block ×3, first 2 shown]
	v_add_f64 v[55:56], v[55:56], -v[61:62]
	v_add_f64 v[73:74], v[71:72], v[57:58]
	v_add_f64 v[59:60], v[59:60], -v[69:70]
	v_add_f64 v[61:62], v[73:74], -v[71:72]
	v_add_f64 v[55:56], v[55:56], v[59:60]
	v_add_f64 v[59:60], |v[3:4]|, s[0:1]
	v_cmp_neq_f64_e64 s[0:1], 0, v[3:4]
	v_add_f64 v[57:58], v[57:58], -v[61:62]
	v_add_f64 v[55:56], v[55:56], v[57:58]
	v_add_f64 v[57:58], -|v[3:4]|, 1.0
	v_add_f64 v[55:56], v[73:74], v[55:56]
	v_cndmask_b32_e64 v53, v57, v59, s[2:3]
	v_xor_b32_e32 v45, 0x80000000, v56
	v_cndmask_b32_e64 v56, v58, v60, s[2:3]
	s_mov_b32 s2, 0x3fcda661
	v_cndmask_b32_e32 v45, v66, v45, vcc
	v_cmp_gt_u32_e64 s[2:3], s2, v54
	s_and_b64 vcc, s[0:1], vcc
	v_cndmask_b32_e64 v58, v56, v41, s[2:3]
	v_cndmask_b32_e64 v57, v53, v3, s[2:3]
	;; [unrolled: 1-line block ×3, first 2 shown]
	v_cndmask_b32_e32 v55, 0, v55, vcc
	v_cndmask_b32_e64 v41, v49, 2, s[2:3]
.LBB8_123:                              ;   in Loop: Header=BB8_5 Depth=1
	s_or_b64 exec, exec, s[10:11]
	v_cmp_lt_i32_e32 vcc, 1, v41
                                        ; implicit-def: $vgpr61_vgpr62
	s_and_saveexec_b64 s[0:1], vcc
	s_xor_b64 s[0:1], exec, s[0:1]
	s_cbranch_execz .LBB8_125
; %bb.124:                              ;   in Loop: Header=BB8_5 Depth=1
	s_mov_b32 s2, 0xbf2bab09
	s_mov_b32 s3, 0x3f8b678b
	v_fma_f64 v[59:60], v[57:58], s[2:3], v[17:18]
	s_mov_b32 s2, 0x57d0cf61
	s_mov_b32 s3, 0x3f6a5abb
	v_fma_f64 v[61:62], v[57:58], s[2:3], v[19:20]
	s_mov_b32 s2, 0x44ea8450
	s_mov_b32 s3, 0x3fef4976
	;; [unrolled: 1-line block ×3, first 2 shown]
                                        ; implicit-def: $vgpr41
	v_fma_f64 v[59:60], v[57:58], v[59:60], s[2:3]
	s_mov_b32 s2, 0xe45050af
	s_mov_b32 s3, 0x3fe89dfb
	v_fma_f64 v[61:62], v[57:58], v[61:62], s[2:3]
	s_mov_b32 s2, 0xd119bd6f
	s_mov_b32 s3, 0x3ff7475c
	;; [unrolled: 3-line block ×5, first 2 shown]
	v_fma_f64 v[61:62], v[57:58], v[61:62], s[2:3]
	v_fma_f64 v[59:60], v[57:58], v[59:60], s[68:69]
	v_fma_f64 v[61:62], v[57:58], v[61:62], 1.0
	v_mul_f64 v[59:60], v[57:58], v[59:60]
	v_div_scale_f64 v[69:70], s[2:3], v[61:62], v[61:62], v[59:60]
	v_div_scale_f64 v[75:76], vcc, v[59:60], v[61:62], v[59:60]
	v_rcp_f64_e32 v[71:72], v[69:70]
	v_fma_f64 v[73:74], -v[69:70], v[71:72], 1.0
	v_fma_f64 v[71:72], v[71:72], v[73:74], v[71:72]
	v_fma_f64 v[73:74], -v[69:70], v[71:72], 1.0
	v_fma_f64 v[71:72], v[71:72], v[73:74], v[71:72]
	v_mul_f64 v[73:74], v[75:76], v[71:72]
	v_fma_f64 v[69:70], -v[69:70], v[73:74], v[75:76]
	v_div_fmas_f64 v[69:70], v[69:70], v[71:72], v[73:74]
	v_div_fixup_f64 v[59:60], v[69:70], v[61:62], v[59:60]
	v_fma_f64 v[61:62], v[57:58], -0.5, v[59:60]
                                        ; implicit-def: $vgpr57_vgpr58
.LBB8_125:                              ;   in Loop: Header=BB8_5 Depth=1
	s_andn2_saveexec_b64 s[0:1], s[0:1]
	s_cbranch_execz .LBB8_131
; %bb.126:                              ;   in Loop: Header=BB8_5 Depth=1
	v_mul_f64 v[59:60], v[57:58], v[57:58]
	v_cmp_ne_u32_e32 vcc, 1, v41
                                        ; implicit-def: $vgpr61_vgpr62
	s_and_saveexec_b64 s[2:3], vcc
	s_xor_b64 s[2:3], exec, s[2:3]
	s_cbranch_execz .LBB8_128
; %bb.127:                              ;   in Loop: Header=BB8_5 Depth=1
	s_mov_b32 s10, 0x90a45837
	s_mov_b32 s11, 0x3f07858e
	v_fma_f64 v[61:62], v[59:60], s[10:11], v[23:24]
	s_mov_b32 s10, 0x428cfa52
	s_mov_b32 s11, 0x3efa7074
	v_fma_f64 v[69:70], v[59:60], s[10:11], v[21:22]
	;; [unrolled: 3-line block ×9, first 2 shown]
	v_fma_f64 v[69:70], v[59:60], v[69:70], s[94:95]
	v_mul_f64 v[59:60], v[59:60], v[61:62]
	v_fma_f64 v[59:60], v[57:58], v[69:70], v[59:60]
	v_fma_f64 v[61:62], v[57:58], -0.5, v[59:60]
                                        ; implicit-def: $vgpr57_vgpr58
                                        ; implicit-def: $vgpr59_vgpr60
.LBB8_128:                              ;   in Loop: Header=BB8_5 Depth=1
	s_andn2_saveexec_b64 s[2:3], s[2:3]
	s_cbranch_execz .LBB8_130
; %bb.129:                              ;   in Loop: Header=BB8_5 Depth=1
	v_mul_f64 v[61:62], v[57:58], v[59:60]
	s_mov_b32 s10, 0xecc38c38
	s_mov_b32 s11, 0xbf347f24
	v_fma_f64 v[69:70], v[61:62], s[10:11], v[27:28]
	s_mov_b32 s10, 0xe8c2d3f4
	s_mov_b32 s11, 0x3f35fd3e
	v_fma_f64 v[71:72], v[61:62], s[10:11], v[29:30]
	;; [unrolled: 3-line block ×12, first 2 shown]
	v_fma_f64 v[69:70], v[61:62], v[73:74], s[10:11]
	s_mov_b32 s10, 0xa48a971f
	s_mov_b32 s11, 0xbc50c7ca
	v_fma_f64 v[57:58], v[61:62], -v[57:58], s[10:11]
	s_mov_b32 s10, 0xbcc38a42
	s_mov_b32 s11, 0xbfbf19b9
	v_fma_f64 v[57:58], v[59:60], v[69:70], -v[57:58]
	v_add_f64 v[61:62], v[57:58], s[10:11]
.LBB8_130:                              ;   in Loop: Header=BB8_5 Depth=1
	s_or_b64 exec, exec, s[2:3]
.LBB8_131:                              ;   in Loop: Header=BB8_5 Depth=1
	s_or_b64 exec, exec, s[0:1]
	v_add_f64 v[55:56], v[55:56], v[61:62]
.LBB8_132:                              ;   in Loop: Header=BB8_5 Depth=1
	s_or_b64 exec, exec, s[8:9]
.LBB8_133:                              ;   in Loop: Header=BB8_5 Depth=1
	s_andn2_saveexec_b64 s[2:3], s[6:7]
	s_cbranch_execz .LBB8_135
; %bb.134:                              ;   in Loop: Header=BB8_5 Depth=1
	v_frexp_mant_f64_e64 v[55:56], |v[3:4]|
	s_mov_b32 s29, s85
	v_cmp_neq_f64_e64 s[0:1], 0, v[3:4]
	v_cmp_gt_f64_e32 vcc, s[84:85], v[55:56]
	v_cndmask_b32_e64 v41, 0, 1, vcc
	v_ldexp_f64 v[55:56], v[55:56], v41
	v_frexp_exp_i32_f64_e32 v41, v[3:4]
	v_add_f64 v[57:58], v[55:56], 1.0
	v_add_f64 v[69:70], v[55:56], -1.0
	v_subbrev_co_u32_e32 v41, vcc, 0, v41, vcc
	v_cmp_neq_f64_e64 vcc, |v[3:4]|, s[86:87]
	v_rcp_f64_e32 v[59:60], v[57:58]
	v_add_f64 v[71:72], v[57:58], -1.0
	v_add_f64 v[55:56], v[55:56], -v[71:72]
	v_fma_f64 v[61:62], -v[57:58], v[59:60], 1.0
	v_fma_f64 v[59:60], v[61:62], v[59:60], v[59:60]
	v_fma_f64 v[61:62], -v[57:58], v[59:60], 1.0
	v_fma_f64 v[59:60], v[61:62], v[59:60], v[59:60]
	v_mul_f64 v[61:62], v[69:70], v[59:60]
	v_mul_f64 v[73:74], v[57:58], v[61:62]
	v_fma_f64 v[57:58], v[61:62], v[57:58], -v[73:74]
	v_fma_f64 v[55:56], v[61:62], v[55:56], v[57:58]
	v_add_f64 v[57:58], v[73:74], v[55:56]
	v_add_f64 v[71:72], v[69:70], -v[57:58]
	v_add_f64 v[73:74], v[57:58], -v[73:74]
	;; [unrolled: 1-line block ×5, first 2 shown]
	v_add_f64 v[55:56], v[55:56], v[57:58]
	v_add_f64 v[55:56], v[71:72], v[55:56]
	v_mul_f64 v[55:56], v[59:60], v[55:56]
	v_add_f64 v[57:58], v[61:62], v[55:56]
	v_mul_f64 v[59:60], v[57:58], v[57:58]
	v_fma_f64 v[69:70], v[59:60], s[30:31], v[9:10]
	v_mul_f64 v[71:72], v[57:58], v[59:60]
	v_fma_f64 v[69:70], v[59:60], v[69:70], s[34:35]
	v_fma_f64 v[69:70], v[59:60], v[69:70], s[36:37]
	;; [unrolled: 1-line block ×5, first 2 shown]
	v_ldexp_f64 v[69:70], v[57:58], 1
	v_add_f64 v[57:58], v[57:58], -v[61:62]
	v_mul_f64 v[59:60], v[71:72], v[59:60]
	v_cvt_f64_i32_e32 v[71:72], v41
	v_add_f64 v[55:56], v[55:56], -v[57:58]
	v_mul_f64 v[73:74], v[71:72], s[42:43]
	v_add_f64 v[61:62], v[69:70], v[59:60]
	v_ldexp_f64 v[55:56], v[55:56], 1
	v_add_f64 v[57:58], v[61:62], -v[69:70]
	v_fma_f64 v[69:70], v[71:72], s[42:43], -v[73:74]
	v_add_f64 v[57:58], v[59:60], -v[57:58]
	v_fma_f64 v[59:60], v[71:72], s[44:45], v[69:70]
	v_add_f64 v[55:56], v[55:56], v[57:58]
	v_add_f64 v[57:58], v[73:74], v[59:60]
	;; [unrolled: 1-line block ×3, first 2 shown]
	v_add_f64 v[73:74], v[57:58], -v[73:74]
	v_add_f64 v[71:72], v[57:58], v[69:70]
	v_add_f64 v[61:62], v[69:70], -v[61:62]
	v_add_f64 v[59:60], v[59:60], -v[73:74]
	;; [unrolled: 1-line block ×6, first 2 shown]
	v_add_f64 v[69:70], v[59:60], v[55:56]
	v_add_f64 v[57:58], v[57:58], -v[77:78]
	v_add_f64 v[57:58], v[61:62], v[57:58]
	v_add_f64 v[61:62], v[69:70], -v[59:60]
	;; [unrolled: 2-line block ×3, first 2 shown]
	v_add_f64 v[55:56], v[55:56], -v[61:62]
	v_add_f64 v[73:74], v[71:72], v[57:58]
	v_add_f64 v[59:60], v[59:60], -v[69:70]
	v_add_f64 v[61:62], v[73:74], -v[71:72]
	v_add_f64 v[55:56], v[55:56], v[59:60]
	v_fma_f64 v[59:60], |v[3:4]|, s[56:57], v[31:32]
	v_add_f64 v[57:58], v[57:58], -v[61:62]
	v_add_f64 v[55:56], v[55:56], v[57:58]
	v_fma_f64 v[57:58], |v[3:4]|, v[59:60], s[50:51]
	v_add_f64 v[55:56], v[73:74], v[55:56]
	v_fma_f64 v[57:58], |v[3:4]|, v[57:58], s[52:53]
	v_xor_b32_e32 v41, 0x80000000, v56
	v_fma_f64 v[56:57], |v[3:4]|, v[57:58], s[54:55]
	v_cndmask_b32_e32 v41, v66, v41, vcc
	s_and_b64 vcc, s[0:1], vcc
	v_cndmask_b32_e64 v59, v65, v41, s[0:1]
	v_cndmask_b32_e32 v58, 0, v55, vcc
	v_fma_f64 v[55:56], |v[3:4]|, v[56:57], v[58:59]
.LBB8_135:                              ;   in Loop: Header=BB8_5 Depth=1
	s_or_b64 exec, exec, s[2:3]
	v_cmp_le_f64_e32 vcc, 0, v[3:4]
	s_and_saveexec_b64 s[0:1], vcc
	s_xor_b64 s[2:3], exec, s[0:1]
	s_cbranch_execz .LBB8_137
; %bb.136:                              ;   in Loop: Header=BB8_5 Depth=1
	v_cmp_eq_f64_e32 vcc, 1.0, v[3:4]
	v_cmp_eq_f64_e64 s[0:1], 2.0, v[3:4]
	s_or_b64 s[0:1], vcc, s[0:1]
	v_cndmask_b32_e64 v56, v56, 0, s[0:1]
	v_cndmask_b32_e64 v55, v55, 0, s[0:1]
.LBB8_137:                              ;   in Loop: Header=BB8_5 Depth=1
	s_andn2_saveexec_b64 s[2:3], s[2:3]
	s_cbranch_execz .LBB8_4
; %bb.138:                              ;   in Loop: Header=BB8_5 Depth=1
	v_add_u32_e32 v41, 0xc32fffff, v54
	v_cmp_gt_u32_e32 vcc, s91, v41
	s_and_saveexec_b64 s[6:7], vcc
	s_cbranch_execz .LBB8_3
; %bb.139:                              ;   in Loop: Header=BB8_5 Depth=1
	v_mul_f64 v[57:58], |v[3:4]|, 0.5
	v_and_b32_e32 v41, 0x7fffffff, v4
	v_cmp_class_f64_e64 s[0:1], v[3:4], s92
	s_mov_b32 s29, s85
	v_cmp_class_f64_e64 s[8:9], v[3:4], s89
	v_fract_f64_e32 v[59:60], v[57:58]
	v_cmp_neq_f64_e64 vcc, |v[57:58]|, s[86:87]
	v_add_f64 v[59:60], v[59:60], v[59:60]
	v_cndmask_b32_e32 v45, 0, v59, vcc
	v_cndmask_b32_e32 v49, 0, v60, vcc
	v_cmp_gt_f64_e64 vcc, |v[3:4]|, 1.0
	v_cndmask_b32_e32 v58, v41, v49, vcc
	v_cndmask_b32_e32 v57, v3, v45, vcc
	v_add_f64 v[59:60], v[57:58], v[57:58]
	v_rndne_f64_e32 v[59:60], v[59:60]
	v_fma_f64 v[57:58], v[59:60], -0.5, v[57:58]
	v_cvt_i32_f64_e32 v41, v[59:60]
	v_and_b32_e32 v45, 1, v41
	v_lshlrev_b32_e32 v41, 30, v41
	v_cmp_eq_u32_e32 vcc, 0, v45
	v_mul_f64 v[61:62], v[57:58], v[57:58]
	v_xor_b32_e32 v41, v41, v4
	v_and_b32_e32 v41, 0x80000000, v41
	v_fma_f64 v[69:70], v[61:62], s[24:25], v[33:34]
	v_fma_f64 v[71:72], v[61:62], s[70:71], v[35:36]
	v_mul_f64 v[73:74], v[57:58], v[61:62]
	v_fma_f64 v[69:70], v[61:62], v[69:70], s[58:59]
	v_fma_f64 v[71:72], v[61:62], v[71:72], s[72:73]
	;; [unrolled: 1-line block ×8, first 2 shown]
	v_mul_f64 v[69:70], v[73:74], v[69:70]
	v_fma_f64 v[71:72], v[61:62], v[71:72], s[80:81]
	v_fma_f64 v[57:58], v[57:58], s[66:67], v[69:70]
	v_fma_f64 v[61:62], v[61:62], v[71:72], 1.0
	v_cndmask_b32_e32 v49, v62, v58, vcc
	v_cndmask_b32_e32 v45, v61, v57, vcc
	v_xor_b32_e32 v41, v49, v41
	v_cndmask_b32_e64 v57, 0, v45, s[0:1]
	v_cndmask_b32_e64 v58, v68, v41, s[0:1]
	v_mul_f64 v[57:58], v[3:4], v[57:58]
	v_and_b32_e32 v60, 0x7fffffff, v58
	v_mov_b32_e32 v59, v57
	v_div_scale_f64 v[61:62], s[0:1], v[59:60], v[59:60], s[66:67]
	v_div_scale_f64 v[59:60], vcc, s[66:67], v[59:60], s[66:67]
	v_rcp_f64_e32 v[69:70], v[61:62]
	v_fma_f64 v[71:72], -v[61:62], v[69:70], 1.0
	v_fma_f64 v[69:70], v[69:70], v[71:72], v[69:70]
	v_fma_f64 v[71:72], -v[61:62], v[69:70], 1.0
	v_fma_f64 v[69:70], v[69:70], v[71:72], v[69:70]
	v_mul_f64 v[71:72], v[59:60], v[69:70]
	v_fma_f64 v[59:60], -v[61:62], v[71:72], v[59:60]
	v_div_fmas_f64 v[59:60], v[59:60], v[69:70], v[71:72]
	v_div_fixup_f64 v[57:58], v[59:60], |v[57:58]|, s[66:67]
	v_frexp_mant_f64_e32 v[59:60], v[57:58]
	v_cmp_gt_f64_e32 vcc, s[84:85], v[59:60]
	v_cndmask_b32_e64 v41, 0, 1, vcc
	v_ldexp_f64 v[59:60], v[59:60], v41
	v_frexp_exp_i32_f64_e32 v41, v[57:58]
	v_add_f64 v[61:62], v[59:60], 1.0
	v_add_f64 v[73:74], v[59:60], -1.0
	v_subbrev_co_u32_e32 v41, vcc, 0, v41, vcc
	v_cmp_class_f64_e64 vcc, v[57:58], s89
	v_rcp_f64_e32 v[69:70], v[61:62]
	v_add_f64 v[75:76], v[61:62], -1.0
	v_add_f64 v[59:60], v[59:60], -v[75:76]
	v_fma_f64 v[71:72], -v[61:62], v[69:70], 1.0
	v_fma_f64 v[69:70], v[71:72], v[69:70], v[69:70]
	v_fma_f64 v[71:72], -v[61:62], v[69:70], 1.0
	v_fma_f64 v[69:70], v[71:72], v[69:70], v[69:70]
	v_mul_f64 v[71:72], v[73:74], v[69:70]
	v_mul_f64 v[77:78], v[61:62], v[71:72]
	v_fma_f64 v[61:62], v[71:72], v[61:62], -v[77:78]
	v_fma_f64 v[59:60], v[71:72], v[59:60], v[61:62]
	v_add_f64 v[61:62], v[77:78], v[59:60]
	v_add_f64 v[75:76], v[73:74], -v[61:62]
	v_add_f64 v[77:78], v[61:62], -v[77:78]
	;; [unrolled: 1-line block ×5, first 2 shown]
	v_add_f64 v[59:60], v[59:60], v[61:62]
	v_add_f64 v[59:60], v[75:76], v[59:60]
	v_mul_f64 v[59:60], v[69:70], v[59:60]
	v_add_f64 v[61:62], v[71:72], v[59:60]
	v_mul_f64 v[69:70], v[61:62], v[61:62]
	v_fma_f64 v[73:74], v[69:70], s[30:31], v[9:10]
	v_mul_f64 v[75:76], v[61:62], v[69:70]
	v_fma_f64 v[73:74], v[69:70], v[73:74], s[34:35]
	v_fma_f64 v[73:74], v[69:70], v[73:74], s[36:37]
	v_fma_f64 v[73:74], v[69:70], v[73:74], s[38:39]
	v_fma_f64 v[73:74], v[69:70], v[73:74], s[40:41]
	v_fma_f64 v[69:70], v[69:70], v[73:74], s[28:29]
	v_ldexp_f64 v[73:74], v[61:62], 1
	v_add_f64 v[61:62], v[61:62], -v[71:72]
	v_mul_f64 v[69:70], v[75:76], v[69:70]
	v_cvt_f64_i32_e32 v[75:76], v41
	v_add_f64 v[59:60], v[59:60], -v[61:62]
	v_mul_f64 v[77:78], v[75:76], s[42:43]
	v_add_f64 v[71:72], v[73:74], v[69:70]
	v_ldexp_f64 v[59:60], v[59:60], 1
	v_add_f64 v[61:62], v[71:72], -v[73:74]
	v_fma_f64 v[73:74], v[75:76], s[42:43], -v[77:78]
	v_add_f64 v[61:62], v[69:70], -v[61:62]
	v_fma_f64 v[69:70], v[75:76], s[44:45], v[73:74]
	v_add_f64 v[59:60], v[59:60], v[61:62]
	v_add_f64 v[61:62], v[77:78], v[69:70]
	;; [unrolled: 1-line block ×3, first 2 shown]
	v_add_f64 v[77:78], v[61:62], -v[77:78]
	v_add_f64 v[75:76], v[61:62], v[73:74]
	v_add_f64 v[71:72], v[73:74], -v[71:72]
	v_add_f64 v[69:70], v[69:70], -v[77:78]
	;; [unrolled: 1-line block ×6, first 2 shown]
	v_add_f64 v[73:74], v[69:70], v[59:60]
	v_add_f64 v[61:62], v[61:62], -v[81:82]
	v_add_f64 v[61:62], v[71:72], v[61:62]
	v_add_f64 v[71:72], v[73:74], -v[69:70]
	;; [unrolled: 2-line block ×3, first 2 shown]
	v_add_f64 v[59:60], v[59:60], -v[71:72]
	v_add_f64 v[77:78], v[75:76], v[61:62]
	v_add_f64 v[69:70], v[69:70], -v[73:74]
	v_add_f64 v[71:72], v[77:78], -v[75:76]
	v_add_f64 v[59:60], v[59:60], v[69:70]
	v_add_f64 v[61:62], v[61:62], -v[71:72]
	v_add_f64 v[59:60], v[59:60], v[61:62]
	v_fract_f64_e32 v[61:62], v[3:4]
	v_add_f64 v[59:60], v[77:78], v[59:60]
	v_cmp_eq_f64_e64 s[0:1], 0, v[61:62]
	v_cndmask_b32_e32 v41, v59, v57, vcc
	v_cndmask_b32_e32 v45, v60, v58, vcc
	v_cmp_neq_f64_e32 vcc, 0, v[57:58]
	v_cndmask_b32_e32 v58, v66, v45, vcc
	v_cndmask_b32_e32 v57, 0, v41, vcc
	v_add_f64 v[55:56], v[57:58], -v[55:56]
	s_or_b64 vcc, s[8:9], s[0:1]
	v_cndmask_b32_e32 v56, v56, v65, vcc
	v_cndmask_b32_e64 v55, v55, 0, vcc
	s_branch .LBB8_3
.LBB8_140:
	v_readlane_b32 s0, v96, 0
	v_readlane_b32 s1, v96, 1
	s_or_b64 exec, exec, s[0:1]
	s_mov_b64 s[0:1], 0
.LBB8_141:
	s_andn2_b64 vcc, exec, s[0:1]
	s_cbranch_vccnz .LBB8_297
; %bb.142:
	v_cmp_lt_i64_e64 s[0:1], s[20:21], 1
	s_and_b64 vcc, exec, s[0:1]
	s_cbranch_vccnz .LBB8_297
; %bb.143:
	v_mov_b32_e32 v1, 0x10000
	s_load_dword s2, s[4:5], 0xc5c
	v_mov_b32_e32 v2, 0
	v_cmp_lt_i64_e32 vcc, s[20:21], v[1:2]
	v_mov_b32_e32 v3, 0
	s_and_b64 s[0:1], vcc, exec
	v_cmp_lt_u64_e32 vcc, s[20:21], v[1:2]
	s_cselect_b32 s11, s21, 0
	s_cselect_b32 s10, s20, 0x10000
	s_waitcnt lgkmcnt(0)
	s_and_b32 s2, s2, 0xffff
	v_lshlrev_b32_e32 v2, 3, v0
	s_and_b64 s[0:1], vcc, exec
	v_mov_b32_e32 v1, s19
	v_add_co_u32_e32 v57, vcc, s18, v2
	v_mad_u64_u32 v[3:4], s[0:1], s2, 24, v[2:3]
	v_addc_co_u32_e32 v58, vcc, 0, v1, vcc
	v_mov_b32_e32 v1, s17
	v_add_co_u32_e32 v59, vcc, s16, v2
	v_addc_co_u32_e32 v60, vcc, 0, v1, vcc
	v_mov_b32_e32 v1, s19
	v_add_co_u32_e32 v61, vcc, s18, v3
	;; [unrolled: 3-line block ×3, first 2 shown]
	s_cselect_b32 s13, s21, 0
	s_cselect_b32 s12, s20, 0x10000
	v_addc_co_u32_e32 v64, vcc, v1, v4, vcc
	s_lshl_b32 s0, s2, 4
	v_add_co_u32_e32 v1, vcc, s0, v2
	v_addc_co_u32_e64 v2, s[0:1], 0, 0, vcc
	v_mov_b32_e32 v3, s19
	v_add_co_u32_e32 v65, vcc, s18, v1
	v_addc_co_u32_e32 v66, vcc, v3, v2, vcc
	v_mov_b32_e32 v3, s17
	v_add_co_u32_e32 v67, vcc, s16, v1
	v_addc_co_u32_e32 v68, vcc, v3, v2, vcc
	v_add_co_u32_e32 v69, vcc, s2, v0
	v_lshlrev_b32_e32 v1, 3, v69
	v_addc_co_u32_e64 v70, s[0:1], 0, 0, vcc
	v_mov_b32_e32 v2, s19
	v_add_co_u32_e32 v71, vcc, s18, v1
	v_addc_co_u32_e32 v72, vcc, 0, v2, vcc
	v_mov_b32_e32 v2, s17
	v_add_co_u32_e32 v73, vcc, s16, v1
	s_mul_i32 s4, s2, 3
	v_addc_co_u32_e32 v74, vcc, 0, v2, vcc
	s_lshl_b32 s3, s2, 1
	v_add_co_u32_e32 v75, vcc, s4, v0
	s_mov_b32 s60, 0x55555555
	s_mov_b32 s18, 0xbf559e2b
	;; [unrolled: 1-line block ×8, first 2 shown]
	v_addc_co_u32_e64 v76, s[0:1], 0, 0, vcc
	v_add_co_u32_e32 v77, vcc, s3, v0
	s_mov_b32 s70, 0xe37db0c8
	s_mov_b32 s92, 0x17aa6149
	;; [unrolled: 1-line block ×19, first 2 shown]
	s_lshl_b32 s33, s2, 2
	s_lshl_b32 s80, s2, 5
	s_mov_b32 s61, 0x3fe55555
	s_mov_b32 s19, 0x3fc3ab76
	s_mov_b32 s21, 0x3fc7474d
	s_mov_b32 s23, 0x3fcc71c0
	s_mov_b32 s25, 0x3fd24924
	s_mov_b32 s27, 0x3fd99999
	s_mov_b32 s29, 0x3fe62e42
	s_mov_b32 s31, 0x3c7abc9e
	v_addc_co_u32_e64 v78, s[0:1], 0, 0, vcc
	s_mov_b32 s71, 0x3fb3c467
	s_mov_b32 s93, 0xbfca8b9c
	;; [unrolled: 1-line block ×17, first 2 shown]
	v_mov_b32_e32 v79, 0x264
	v_mov_b32_e32 v1, 0x6b47b09a
	;; [unrolled: 1-line block ×33, first 2 shown]
	s_mov_b32 s81, 0x3f6fffff
	s_brev_b32 s82, -4
	s_mov_b32 s83, 0x401fffff
	s_mov_b32 s67, 0x438fffff
	s_movk_i32 s85, 0x204
	s_mov_b32 s84, 0x3feccccc
	s_mov_b32 s64, 0x65fffff
	s_movk_i32 s65, 0x1f8
	s_mov_b32 s66, 0x432fffff
	s_mov_b64 s[58:59], 0
	s_mov_b32 s16, 0x55555780
	s_mov_b32 s63, 0x7ff00000
	;; [unrolled: 1-line block ×4, first 2 shown]
	s_branch .LBB8_145
.LBB8_144:                              ;   in Loop: Header=BB8_145 Depth=1
	s_or_b64 exec, exec, s[4:5]
	v_add_co_u32_e32 v57, vcc, s80, v57
	v_addc_co_u32_e32 v58, vcc, 0, v58, vcc
	v_add_co_u32_e32 v59, vcc, s80, v59
	v_addc_co_u32_e32 v60, vcc, 0, v60, vcc
	;; [unrolled: 2-line block ×6, first 2 shown]
	s_add_u32 s58, s58, s33
	v_add_co_u32_e32 v71, vcc, s80, v71
	v_mov_b32_e32 v30, s11
	s_addc_u32 s59, s59, 0
	v_addc_co_u32_e32 v72, vcc, 0, v72, vcc
	v_mov_b32_e32 v29, s10
	v_cmp_ge_i64_e32 vcc, s[58:59], v[29:30]
	v_add_co_u32_e64 v73, s[0:1], s80, v73
	v_addc_co_u32_e64 v74, s[0:1], 0, v74, s[0:1]
	s_cbranch_vccnz .LBB8_297
.LBB8_145:                              ; =>This Inner Loop Header: Depth=1
	v_mov_b32_e32 v30, s59
	v_add_co_u32_e32 v29, vcc, s58, v0
	v_addc_co_u32_e32 v30, vcc, 0, v30, vcc
	v_cmp_gt_u64_e64 s[6:7], s[12:13], v[29:30]
	v_mov_b32_e32 v31, 0
	v_mov_b32_e32 v35, 0
	;; [unrolled: 1-line block ×4, first 2 shown]
	s_and_saveexec_b64 s[0:1], s[6:7]
	s_cbranch_execz .LBB8_147
; %bb.146:                              ;   in Loop: Header=BB8_145 Depth=1
	v_mov_b32_e32 v30, s15
	v_add_co_u32_e32 v29, vcc, s14, v57
	v_addc_co_u32_e32 v30, vcc, v58, v30, vcc
	global_load_dwordx2 v[35:36], v[29:30], off
.LBB8_147:                              ;   in Loop: Header=BB8_145 Depth=1
	s_or_b64 exec, exec, s[0:1]
	v_mov_b32_e32 v30, s59
	v_add_co_u32_e32 v29, vcc, s58, v69
	v_addc_co_u32_e32 v30, vcc, v70, v30, vcc
	v_cmp_gt_u64_e64 s[4:5], s[12:13], v[29:30]
	s_and_saveexec_b64 s[0:1], s[4:5]
	s_cbranch_execz .LBB8_149
; %bb.148:                              ;   in Loop: Header=BB8_145 Depth=1
	v_mov_b32_e32 v30, s15
	v_add_co_u32_e32 v29, vcc, s14, v71
	v_addc_co_u32_e32 v30, vcc, v72, v30, vcc
	global_load_dwordx2 v[31:32], v[29:30], off
.LBB8_149:                              ;   in Loop: Header=BB8_145 Depth=1
	s_or_b64 exec, exec, s[0:1]
	v_mov_b32_e32 v30, s59
	v_add_co_u32_e32 v29, vcc, s58, v77
	v_addc_co_u32_e32 v30, vcc, v78, v30, vcc
	v_cmp_gt_u64_e64 s[2:3], s[12:13], v[29:30]
	v_mov_b32_e32 v29, 0
	v_mov_b32_e32 v33, 0
	;; [unrolled: 1-line block ×4, first 2 shown]
	s_and_saveexec_b64 s[0:1], s[2:3]
	s_cbranch_execz .LBB8_151
; %bb.150:                              ;   in Loop: Header=BB8_145 Depth=1
	v_mov_b32_e32 v34, s15
	v_add_co_u32_e32 v33, vcc, s14, v65
	v_addc_co_u32_e32 v34, vcc, v66, v34, vcc
	global_load_dwordx2 v[33:34], v[33:34], off
.LBB8_151:                              ;   in Loop: Header=BB8_145 Depth=1
	s_or_b64 exec, exec, s[0:1]
	v_mov_b32_e32 v38, s59
	v_add_co_u32_e32 v37, vcc, s58, v75
	v_addc_co_u32_e32 v38, vcc, v76, v38, vcc
	v_cmp_gt_u64_e64 s[0:1], s[12:13], v[37:38]
	s_and_saveexec_b64 s[8:9], s[0:1]
	s_cbranch_execz .LBB8_153
; %bb.152:                              ;   in Loop: Header=BB8_145 Depth=1
	v_mov_b32_e32 v30, s15
	v_add_co_u32_e32 v29, vcc, s14, v61
	v_addc_co_u32_e32 v30, vcc, v62, v30, vcc
	global_load_dwordx2 v[29:30], v[29:30], off
.LBB8_153:                              ;   in Loop: Header=BB8_145 Depth=1
	s_or_b64 exec, exec, s[8:9]
	s_waitcnt vmcnt(0)
	v_and_b32_e32 v38, 0x7fffffff, v36
	v_mov_b32_e32 v37, v35
	v_cmp_lt_u32_e32 vcc, s81, v38
                                        ; implicit-def: $vgpr39_vgpr40
	s_and_saveexec_b64 s[8:9], vcc
	s_xor_b64 s[72:73], exec, s[8:9]
	s_cbranch_execz .LBB8_179
; %bb.154:                              ;   in Loop: Header=BB8_145 Depth=1
	v_cmp_lt_u32_e32 vcc, s82, v38
                                        ; implicit-def: $vgpr39_vgpr40
	s_and_saveexec_b64 s[8:9], vcc
	s_xor_b64 s[74:75], exec, s[8:9]
	s_cbranch_execz .LBB8_164
; %bb.155:                              ;   in Loop: Header=BB8_145 Depth=1
	;; [unrolled: 6-line block ×4, first 2 shown]
	v_frexp_mant_f64_e64 v[39:40], |v[35:36]|
	s_mov_b32 s17, s61
	v_frexp_exp_i32_f64_e32 v37, v[35:36]
	v_cmp_neq_f64_e64 s[8:9], 0, v[35:36]
	v_cmp_gt_f64_e32 vcc, s[60:61], v[39:40]
	v_cndmask_b32_e64 v41, 0, 1, vcc
	v_ldexp_f64 v[39:40], v[39:40], v41
	v_subbrev_co_u32_e32 v37, vcc, 0, v37, vcc
	v_cmp_neq_f64_e64 vcc, |v[35:36]|, s[62:63]
	v_add_f64 v[43:44], v[39:40], 1.0
	v_add_f64 v[41:42], v[39:40], -1.0
	v_add_f64 v[45:46], v[43:44], -1.0
	v_add_f64 v[39:40], v[39:40], -v[45:46]
	v_rcp_f64_e32 v[45:46], v[43:44]
	v_fma_f64 v[47:48], -v[43:44], v[45:46], 1.0
	v_fma_f64 v[45:46], v[47:48], v[45:46], v[45:46]
	v_fma_f64 v[47:48], -v[43:44], v[45:46], 1.0
	v_fma_f64 v[45:46], v[47:48], v[45:46], v[45:46]
	v_mul_f64 v[47:48], v[41:42], v[45:46]
	v_mul_f64 v[49:50], v[43:44], v[47:48]
	v_fma_f64 v[43:44], v[47:48], v[43:44], -v[49:50]
	v_fma_f64 v[39:40], v[47:48], v[39:40], v[43:44]
	v_add_f64 v[43:44], v[49:50], v[39:40]
	v_add_f64 v[51:52], v[41:42], -v[43:44]
	v_add_f64 v[49:50], v[43:44], -v[49:50]
	;; [unrolled: 1-line block ×5, first 2 shown]
	v_add_f64 v[39:40], v[39:40], v[41:42]
	v_add_f64 v[39:40], v[51:52], v[39:40]
	v_mul_f64 v[39:40], v[45:46], v[39:40]
	v_add_f64 v[41:42], v[47:48], v[39:40]
	v_add_f64 v[43:44], v[41:42], -v[47:48]
	v_ldexp_f64 v[47:48], v[41:42], 1
	v_add_f64 v[39:40], v[39:40], -v[43:44]
	v_mul_f64 v[43:44], v[41:42], v[41:42]
	v_ldexp_f64 v[39:40], v[39:40], 1
	v_fma_f64 v[45:46], v[43:44], s[18:19], v[1:2]
	v_mul_f64 v[41:42], v[41:42], v[43:44]
	v_fma_f64 v[45:46], v[43:44], v[45:46], s[20:21]
	v_fma_f64 v[45:46], v[43:44], v[45:46], s[22:23]
	;; [unrolled: 1-line block ×5, first 2 shown]
	v_mul_f64 v[41:42], v[41:42], v[45:46]
	v_add_f64 v[43:44], v[47:48], v[41:42]
	v_add_f64 v[45:46], v[43:44], -v[47:48]
	v_add_f64 v[41:42], v[41:42], -v[45:46]
	v_add_f64 v[39:40], v[39:40], v[41:42]
	v_add_f64 v[41:42], v[43:44], v[39:40]
	v_add_f64 v[43:44], v[41:42], -v[43:44]
	v_add_f64 v[39:40], v[39:40], -v[43:44]
	v_cvt_f64_i32_e32 v[43:44], v37
	v_mul_f64 v[45:46], v[43:44], s[28:29]
	v_fma_f64 v[47:48], v[43:44], s[28:29], -v[45:46]
	v_fma_f64 v[43:44], v[43:44], s[30:31], v[47:48]
	v_add_f64 v[47:48], v[45:46], v[43:44]
	v_add_f64 v[45:46], v[47:48], -v[45:46]
	v_add_f64 v[43:44], v[43:44], -v[45:46]
	v_add_f64 v[45:46], v[47:48], v[41:42]
	v_add_f64 v[49:50], v[45:46], -v[47:48]
	v_add_f64 v[51:52], v[45:46], -v[49:50]
	;; [unrolled: 1-line block ×4, first 2 shown]
	v_add_f64 v[41:42], v[41:42], v[47:48]
	v_add_f64 v[47:48], v[43:44], v[39:40]
	v_add_f64 v[49:50], v[47:48], -v[43:44]
	v_add_f64 v[41:42], v[47:48], v[41:42]
	v_add_f64 v[51:52], v[47:48], -v[49:50]
	v_add_f64 v[39:40], v[39:40], -v[49:50]
	;; [unrolled: 1-line block ×3, first 2 shown]
	v_add_f64 v[39:40], v[39:40], v[43:44]
	v_add_f64 v[43:44], v[45:46], v[41:42]
	v_add_f64 v[45:46], v[43:44], -v[45:46]
	v_add_f64 v[41:42], v[41:42], -v[45:46]
	v_add_f64 v[39:40], v[39:40], v[41:42]
	v_add_f64 v[39:40], v[43:44], v[39:40]
	v_cndmask_b32_e32 v37, v80, v40, vcc
	s_and_b64 vcc, s[8:9], vcc
	v_cndmask_b32_e32 v39, 0, v39, vcc
	v_cndmask_b32_e64 v40, v81, v37, s[8:9]
	v_fma_f64 v[39:40], |v[35:36]|, v[39:40], -|v[35:36]|
.LBB8_158:                              ;   in Loop: Header=BB8_145 Depth=1
	s_andn2_saveexec_b64 s[78:79], s[78:79]
	s_cbranch_execz .LBB8_160
; %bb.159:                              ;   in Loop: Header=BB8_145 Depth=1
	v_mov_b32_e32 v37, v35
	v_div_scale_f64 v[39:40], s[8:9], v[37:38], v[37:38], 1.0
	s_mov_b32 s8, 0xb9e43e4
	s_mov_b32 s9, 0xbf5ab89d
	;; [unrolled: 1-line block ×3, first 2 shown]
	v_rcp_f64_e32 v[41:42], v[39:40]
	v_fma_f64 v[43:44], -v[39:40], v[41:42], 1.0
	v_fma_f64 v[41:42], v[41:42], v[43:44], v[41:42]
	v_fma_f64 v[43:44], -v[39:40], v[41:42], 1.0
	v_fma_f64 v[41:42], v[41:42], v[43:44], v[41:42]
	v_div_scale_f64 v[43:44], vcc, 1.0, v[37:38], 1.0
	v_frexp_exp_i32_f64_e32 v37, v[35:36]
	v_mul_f64 v[45:46], v[43:44], v[41:42]
	v_fma_f64 v[39:40], -v[39:40], v[45:46], v[43:44]
	s_nop 0
	v_div_fmas_f64 v[39:40], v[39:40], v[41:42], v[45:46]
	v_div_fixup_f64 v[39:40], v[39:40], |v[35:36]|, 1.0
	v_mul_f64 v[41:42], v[39:40], v[39:40]
	v_fma_f64 v[43:44], v[41:42], s[8:9], v[3:4]
	s_mov_b32 s8, 0x8c0fe741
	s_mov_b32 s9, 0xbf4380cb
	v_fma_f64 v[43:44], v[41:42], v[43:44], s[8:9]
	s_mov_b32 s8, 0x98cf38b6
	s_mov_b32 s9, 0x3f4a019f
	;; [unrolled: 3-line block ×4, first 2 shown]
	v_fma_f64 v[41:42], v[41:42], v[43:44], s[8:9]
	v_frexp_mant_f64_e64 v[43:44], |v[35:36]|
	s_mov_b32 s8, 0x90c97d69
	s_mov_b32 s9, 0x3fdacfe3
	v_fma_f64 v[39:40], v[39:40], v[41:42], s[8:9]
	v_cmp_gt_f64_e32 vcc, s[60:61], v[43:44]
	v_cmp_neq_f64_e64 s[8:9], 0, v[35:36]
	v_add_f64 v[41:42], |v[35:36]|, -0.5
	v_cndmask_b32_e64 v45, 0, 1, vcc
	v_ldexp_f64 v[43:44], v[43:44], v45
	v_subbrev_co_u32_e32 v37, vcc, 0, v37, vcc
	v_cmp_neq_f64_e64 vcc, |v[35:36]|, s[62:63]
	v_add_f64 v[47:48], v[43:44], 1.0
	v_add_f64 v[45:46], v[43:44], -1.0
	v_add_f64 v[49:50], v[47:48], -1.0
	v_add_f64 v[43:44], v[43:44], -v[49:50]
	v_rcp_f64_e32 v[49:50], v[47:48]
	v_fma_f64 v[51:52], -v[47:48], v[49:50], 1.0
	v_fma_f64 v[49:50], v[51:52], v[49:50], v[49:50]
	v_fma_f64 v[51:52], -v[47:48], v[49:50], 1.0
	v_fma_f64 v[49:50], v[51:52], v[49:50], v[49:50]
	v_mul_f64 v[51:52], v[45:46], v[49:50]
	v_mul_f64 v[53:54], v[47:48], v[51:52]
	v_fma_f64 v[47:48], v[51:52], v[47:48], -v[53:54]
	v_fma_f64 v[43:44], v[51:52], v[43:44], v[47:48]
	v_add_f64 v[47:48], v[53:54], v[43:44]
	v_add_f64 v[55:56], v[45:46], -v[47:48]
	v_add_f64 v[53:54], v[47:48], -v[53:54]
	;; [unrolled: 1-line block ×5, first 2 shown]
	v_add_f64 v[43:44], v[43:44], v[45:46]
	v_add_f64 v[43:44], v[55:56], v[43:44]
	v_mul_f64 v[43:44], v[49:50], v[43:44]
	v_add_f64 v[45:46], v[51:52], v[43:44]
	v_add_f64 v[47:48], v[45:46], -v[51:52]
	v_ldexp_f64 v[51:52], v[45:46], 1
	v_add_f64 v[43:44], v[43:44], -v[47:48]
	v_mul_f64 v[47:48], v[45:46], v[45:46]
	v_ldexp_f64 v[43:44], v[43:44], 1
	v_fma_f64 v[49:50], v[47:48], s[18:19], v[1:2]
	v_mul_f64 v[45:46], v[45:46], v[47:48]
	v_fma_f64 v[49:50], v[47:48], v[49:50], s[20:21]
	v_fma_f64 v[49:50], v[47:48], v[49:50], s[22:23]
	;; [unrolled: 1-line block ×5, first 2 shown]
	v_mul_f64 v[45:46], v[45:46], v[49:50]
	v_add_f64 v[47:48], v[51:52], v[45:46]
	v_add_f64 v[49:50], v[47:48], -v[51:52]
	v_add_f64 v[45:46], v[45:46], -v[49:50]
	v_add_f64 v[43:44], v[43:44], v[45:46]
	v_add_f64 v[45:46], v[47:48], v[43:44]
	v_add_f64 v[47:48], v[45:46], -v[47:48]
	v_add_f64 v[43:44], v[43:44], -v[47:48]
	v_cvt_f64_i32_e32 v[47:48], v37
	v_mul_f64 v[49:50], v[47:48], s[28:29]
	v_fma_f64 v[51:52], v[47:48], s[28:29], -v[49:50]
	v_fma_f64 v[47:48], v[47:48], s[30:31], v[51:52]
	v_add_f64 v[51:52], v[49:50], v[47:48]
	v_add_f64 v[49:50], v[51:52], -v[49:50]
	v_add_f64 v[47:48], v[47:48], -v[49:50]
	v_add_f64 v[49:50], v[51:52], v[45:46]
	v_add_f64 v[53:54], v[49:50], -v[51:52]
	v_add_f64 v[55:56], v[49:50], -v[53:54]
	;; [unrolled: 1-line block ×4, first 2 shown]
	v_add_f64 v[45:46], v[45:46], v[51:52]
	v_add_f64 v[51:52], v[47:48], v[43:44]
	v_add_f64 v[53:54], v[51:52], -v[47:48]
	v_add_f64 v[45:46], v[51:52], v[45:46]
	v_add_f64 v[55:56], v[51:52], -v[53:54]
	v_add_f64 v[43:44], v[43:44], -v[53:54]
	;; [unrolled: 1-line block ×3, first 2 shown]
	v_add_f64 v[43:44], v[43:44], v[47:48]
	v_add_f64 v[47:48], v[49:50], v[45:46]
	v_add_f64 v[49:50], v[47:48], -v[49:50]
	v_add_f64 v[45:46], v[45:46], -v[49:50]
	v_add_f64 v[43:44], v[43:44], v[45:46]
	v_add_f64 v[43:44], v[47:48], v[43:44]
	v_add_f64 v[43:44], v[43:44], -1.0
	v_cndmask_b32_e32 v37, v80, v44, vcc
	s_and_b64 vcc, s[8:9], vcc
	v_cndmask_b32_e32 v43, 0, v43, vcc
	v_cndmask_b32_e64 v44, v81, v37, s[8:9]
	v_fma_f64 v[39:40], v[41:42], v[43:44], v[39:40]
.LBB8_160:                              ;   in Loop: Header=BB8_145 Depth=1
	s_or_b64 exec, exec, s[78:79]
.LBB8_161:                              ;   in Loop: Header=BB8_145 Depth=1
	s_andn2_saveexec_b64 s[8:9], s[76:77]
	s_cbranch_execz .LBB8_163
; %bb.162:                              ;   in Loop: Header=BB8_145 Depth=1
	v_cvt_i32_f64_e32 v37, v[37:38]
	s_mov_b32 s76, 0xdd17e945
	s_mov_b32 s77, 0x3f00bfec
	;; [unrolled: 1-line block ×3, first 2 shown]
	v_cvt_f64_i32_e32 v[39:40], v37
	s_mov_b32 s17, s61
	v_add_f64 v[41:42], |v[35:36]|, -v[39:40]
	v_fma_f64 v[39:40], v[41:42], s[76:77], v[5:6]
	s_mov_b32 s76, 0x7e939961
	s_mov_b32 s77, 0x3f9b481c
	v_fma_f64 v[39:40], v[41:42], v[39:40], s[76:77]
	s_mov_b32 s76, 0xbee5f2f7
	s_mov_b32 s77, 0x3fc2bb9c
	v_fma_f64 v[39:40], v[41:42], v[39:40], s[76:77]
	s_mov_b32 s76, 0x4f139f59
	s_mov_b32 s77, 0x3fd4d98f
	v_fma_f64 v[39:40], v[41:42], v[39:40], s[76:77]
	s_mov_b32 s76, 0x36e20878
	s_mov_b32 s77, 0x3fcb848b
	v_fma_f64 v[39:40], v[41:42], v[39:40], s[76:77]
	s_mov_b32 s76, 0xa5b38140
	s_mov_b32 s77, 0x3edebaf7
	v_fma_f64 v[43:44], v[41:42], s[76:77], v[7:8]
	s_mov_b32 s76, 0x742ed475
	s_mov_b32 s77, 0x3f9317ea
	v_fma_f64 v[39:40], v[41:42], v[39:40], s[94:95]
	v_fma_f64 v[43:44], v[41:42], v[43:44], s[76:77]
	s_mov_b32 s76, 0xccfbdf27
	s_mov_b32 s77, 0x3fc601ed
	v_mul_f64 v[39:40], v[41:42], v[39:40]
	v_fma_f64 v[43:44], v[41:42], v[43:44], s[76:77]
	s_mov_b32 s76, 0x93d3dcdc
	s_mov_b32 s77, 0x3fe71a18
	v_fma_f64 v[43:44], v[41:42], v[43:44], s[76:77]
	s_mov_b32 s76, 0x62c4ab74
	s_mov_b32 s77, 0x3ff645a7
	v_fma_f64 v[43:44], v[41:42], v[43:44], s[76:77]
	v_fma_f64 v[43:44], v[41:42], v[43:44], 1.0
	v_div_scale_f64 v[45:46], s[76:77], v[43:44], v[43:44], v[39:40]
	s_mov_b32 s76, 0
	s_mov_b32 s77, 0x40080000
	v_rcp_f64_e32 v[47:48], v[45:46]
	v_fma_f64 v[49:50], -v[45:46], v[47:48], 1.0
	v_fma_f64 v[47:48], v[47:48], v[49:50], v[47:48]
	v_fma_f64 v[49:50], -v[45:46], v[47:48], 1.0
	v_fma_f64 v[47:48], v[47:48], v[49:50], v[47:48]
	v_div_scale_f64 v[49:50], vcc, v[39:40], v[43:44], v[39:40]
	v_mul_f64 v[51:52], v[49:50], v[47:48]
	v_fma_f64 v[45:46], -v[45:46], v[51:52], v[49:50]
	s_nop 1
	v_div_fmas_f64 v[45:46], v[45:46], v[47:48], v[51:52]
	v_cmp_lt_i32_e32 vcc, 2, v37
	v_add_f64 v[47:48], v[41:42], 4.0
	v_div_fixup_f64 v[39:40], v[45:46], v[43:44], v[39:40]
	v_add_f64 v[43:44], v[41:42], 2.0
	v_add_f64 v[45:46], v[41:42], s[76:77]
	s_mov_b32 s76, 0
	s_mov_b32 s77, 0x40140000
	v_add_f64 v[49:50], v[41:42], s[76:77]
	v_fma_f64 v[39:40], v[41:42], 0.5, v[39:40]
	v_cndmask_b32_e32 v44, v82, v44, vcc
	v_cndmask_b32_e32 v43, 0, v43, vcc
	v_cmp_lt_i32_e32 vcc, 3, v37
	v_cndmask_b32_e32 v46, v82, v46, vcc
	v_cndmask_b32_e32 v45, 0, v45, vcc
	v_mul_f64 v[43:44], v[43:44], v[45:46]
	v_cmp_lt_i32_e32 vcc, 4, v37
	v_cndmask_b32_e32 v46, v82, v48, vcc
	v_cndmask_b32_e32 v45, 0, v47, vcc
	v_cmp_lt_i32_e32 vcc, 5, v37
	v_add_f64 v[41:42], v[41:42], s[68:69]
	v_mul_f64 v[43:44], v[45:46], v[43:44]
	v_cndmask_b32_e32 v46, v82, v50, vcc
	v_cndmask_b32_e32 v45, 0, v49, vcc
	v_cmp_lt_i32_e32 vcc, 6, v37
	v_cndmask_b32_e32 v42, v82, v42, vcc
	v_cndmask_b32_e32 v41, 0, v41, vcc
	v_mul_f64 v[43:44], v[45:46], v[43:44]
	v_mul_f64 v[41:42], v[41:42], v[43:44]
	v_frexp_mant_f64_e32 v[43:44], v[41:42]
	v_frexp_exp_i32_f64_e32 v37, v[41:42]
	v_cmp_gt_f64_e32 vcc, s[60:61], v[43:44]
	v_cndmask_b32_e64 v45, 0, 1, vcc
	v_ldexp_f64 v[43:44], v[43:44], v45
	v_subbrev_co_u32_e32 v37, vcc, 0, v37, vcc
	v_cmp_class_f64_e64 vcc, v[41:42], s85
	v_add_f64 v[47:48], v[43:44], 1.0
	v_add_f64 v[45:46], v[43:44], -1.0
	v_add_f64 v[49:50], v[47:48], -1.0
	v_add_f64 v[43:44], v[43:44], -v[49:50]
	v_rcp_f64_e32 v[49:50], v[47:48]
	v_fma_f64 v[51:52], -v[47:48], v[49:50], 1.0
	v_fma_f64 v[49:50], v[51:52], v[49:50], v[49:50]
	v_fma_f64 v[51:52], -v[47:48], v[49:50], 1.0
	v_fma_f64 v[49:50], v[51:52], v[49:50], v[49:50]
	v_mul_f64 v[51:52], v[45:46], v[49:50]
	v_mul_f64 v[53:54], v[47:48], v[51:52]
	v_fma_f64 v[47:48], v[51:52], v[47:48], -v[53:54]
	v_fma_f64 v[43:44], v[51:52], v[43:44], v[47:48]
	v_add_f64 v[47:48], v[53:54], v[43:44]
	v_add_f64 v[55:56], v[45:46], -v[47:48]
	v_add_f64 v[53:54], v[47:48], -v[53:54]
	;; [unrolled: 1-line block ×5, first 2 shown]
	v_add_f64 v[43:44], v[43:44], v[45:46]
	v_add_f64 v[43:44], v[55:56], v[43:44]
	v_mul_f64 v[43:44], v[49:50], v[43:44]
	v_add_f64 v[45:46], v[51:52], v[43:44]
	v_add_f64 v[47:48], v[45:46], -v[51:52]
	v_ldexp_f64 v[51:52], v[45:46], 1
	v_add_f64 v[43:44], v[43:44], -v[47:48]
	v_mul_f64 v[47:48], v[45:46], v[45:46]
	v_ldexp_f64 v[43:44], v[43:44], 1
	v_fma_f64 v[49:50], v[47:48], s[18:19], v[1:2]
	v_mul_f64 v[45:46], v[45:46], v[47:48]
	v_fma_f64 v[49:50], v[47:48], v[49:50], s[20:21]
	v_fma_f64 v[49:50], v[47:48], v[49:50], s[22:23]
	;; [unrolled: 1-line block ×5, first 2 shown]
	v_mul_f64 v[45:46], v[45:46], v[49:50]
	v_add_f64 v[47:48], v[51:52], v[45:46]
	v_add_f64 v[49:50], v[47:48], -v[51:52]
	v_add_f64 v[45:46], v[45:46], -v[49:50]
	v_add_f64 v[43:44], v[43:44], v[45:46]
	v_add_f64 v[45:46], v[47:48], v[43:44]
	v_add_f64 v[47:48], v[45:46], -v[47:48]
	v_add_f64 v[43:44], v[43:44], -v[47:48]
	v_cvt_f64_i32_e32 v[47:48], v37
	v_mul_f64 v[49:50], v[47:48], s[28:29]
	v_fma_f64 v[51:52], v[47:48], s[28:29], -v[49:50]
	v_fma_f64 v[47:48], v[47:48], s[30:31], v[51:52]
	v_add_f64 v[51:52], v[49:50], v[47:48]
	v_add_f64 v[49:50], v[51:52], -v[49:50]
	v_add_f64 v[47:48], v[47:48], -v[49:50]
	v_add_f64 v[49:50], v[51:52], v[45:46]
	v_add_f64 v[53:54], v[49:50], -v[51:52]
	v_add_f64 v[55:56], v[49:50], -v[53:54]
	;; [unrolled: 1-line block ×4, first 2 shown]
	v_add_f64 v[45:46], v[45:46], v[51:52]
	v_add_f64 v[51:52], v[47:48], v[43:44]
	v_add_f64 v[53:54], v[51:52], -v[47:48]
	v_add_f64 v[45:46], v[51:52], v[45:46]
	v_add_f64 v[55:56], v[51:52], -v[53:54]
	v_add_f64 v[43:44], v[43:44], -v[53:54]
	;; [unrolled: 1-line block ×3, first 2 shown]
	v_add_f64 v[43:44], v[43:44], v[47:48]
	v_add_f64 v[47:48], v[49:50], v[45:46]
	v_add_f64 v[49:50], v[47:48], -v[49:50]
	v_add_f64 v[45:46], v[45:46], -v[49:50]
	v_add_f64 v[43:44], v[43:44], v[45:46]
	v_add_f64 v[43:44], v[47:48], v[43:44]
	v_cndmask_b32_e32 v37, v43, v41, vcc
	v_cndmask_b32_e32 v43, v44, v42, vcc
	v_cmp_ngt_f64_e32 vcc, 0, v[41:42]
	v_cndmask_b32_e32 v44, v83, v43, vcc
	v_cmp_nge_f64_e32 vcc, 0, v[41:42]
	v_cndmask_b32_e32 v43, 0, v37, vcc
	v_cmp_neq_f64_e32 vcc, 0, v[41:42]
	v_cndmask_b32_e32 v44, v81, v44, vcc
	v_add_f64 v[39:40], v[39:40], v[43:44]
.LBB8_163:                              ;   in Loop: Header=BB8_145 Depth=1
	s_or_b64 exec, exec, s[8:9]
.LBB8_164:                              ;   in Loop: Header=BB8_145 Depth=1
	s_andn2_saveexec_b64 s[74:75], s[74:75]
	s_cbranch_execz .LBB8_178
; %bb.165:                              ;   in Loop: Header=BB8_145 Depth=1
	v_cmp_lt_u32_e32 vcc, s84, v38
                                        ; implicit-def: $vgpr37
                                        ; implicit-def: $vgpr41_vgpr42
	s_and_saveexec_b64 s[8:9], vcc
	s_xor_b64 s[8:9], exec, s[8:9]
	s_cbranch_execz .LBB8_167
; %bb.166:                              ;   in Loop: Header=BB8_145 Depth=1
	s_mov_b32 s76, 0x6356be3f
	s_mov_b32 s77, 0xbff762d8
	v_add_f64 v[39:40], -|v[35:36]|, 2.0
	v_add_f64 v[41:42], |v[35:36]|, s[76:77]
	v_add_f64 v[43:44], |v[35:36]|, -1.0
	s_mov_b32 s17, 0x3ffbb4c3
	v_cmp_gt_u32_e32 vcc, s17, v38
	s_mov_b32 s17, 0x3ff3b4c4
	v_cndmask_b32_e64 v37, 0, 1, vcc
	v_cndmask_b32_e32 v39, v39, v41, vcc
	v_cndmask_b32_e32 v40, v40, v42, vcc
	v_cmp_gt_u32_e32 vcc, s17, v38
	v_cndmask_b32_e32 v42, v40, v44, vcc
	v_cndmask_b32_e32 v41, v39, v43, vcc
	v_cndmask_b32_e64 v37, v37, 2, vcc
.LBB8_167:                              ;   in Loop: Header=BB8_145 Depth=1
	s_or_saveexec_b64 s[76:77], s[8:9]
	v_mov_b32_e32 v39, 0
	v_mov_b32_e32 v40, 0
	s_xor_b64 exec, exec, s[76:77]
	s_cbranch_execz .LBB8_169
; %bb.168:                              ;   in Loop: Header=BB8_145 Depth=1
	v_frexp_mant_f64_e64 v[39:40], |v[35:36]|
	s_mov_b32 s17, s61
	v_frexp_exp_i32_f64_e32 v37, v[35:36]
	v_cmp_neq_f64_e64 s[8:9], 0, v[35:36]
	v_cmp_gt_f64_e32 vcc, s[60:61], v[39:40]
	v_cndmask_b32_e64 v41, 0, 1, vcc
	v_ldexp_f64 v[39:40], v[39:40], v41
	v_subbrev_co_u32_e32 v37, vcc, 0, v37, vcc
	v_cmp_neq_f64_e64 vcc, |v[35:36]|, s[62:63]
	v_add_f64 v[43:44], v[39:40], 1.0
	v_add_f64 v[41:42], v[39:40], -1.0
	v_add_f64 v[45:46], v[43:44], -1.0
	v_add_f64 v[39:40], v[39:40], -v[45:46]
	v_rcp_f64_e32 v[45:46], v[43:44]
	v_fma_f64 v[47:48], -v[43:44], v[45:46], 1.0
	v_fma_f64 v[45:46], v[47:48], v[45:46], v[45:46]
	v_fma_f64 v[47:48], -v[43:44], v[45:46], 1.0
	v_fma_f64 v[45:46], v[47:48], v[45:46], v[45:46]
	v_mul_f64 v[47:48], v[41:42], v[45:46]
	v_mul_f64 v[49:50], v[43:44], v[47:48]
	v_fma_f64 v[43:44], v[47:48], v[43:44], -v[49:50]
	v_fma_f64 v[39:40], v[47:48], v[39:40], v[43:44]
	v_add_f64 v[43:44], v[49:50], v[39:40]
	v_add_f64 v[51:52], v[41:42], -v[43:44]
	v_add_f64 v[49:50], v[43:44], -v[49:50]
	;; [unrolled: 1-line block ×5, first 2 shown]
	v_add_f64 v[39:40], v[39:40], v[41:42]
	v_add_f64 v[39:40], v[51:52], v[39:40]
	v_mul_f64 v[39:40], v[45:46], v[39:40]
	v_add_f64 v[41:42], v[47:48], v[39:40]
	v_add_f64 v[43:44], v[41:42], -v[47:48]
	v_ldexp_f64 v[47:48], v[41:42], 1
	v_add_f64 v[39:40], v[39:40], -v[43:44]
	v_mul_f64 v[43:44], v[41:42], v[41:42]
	v_ldexp_f64 v[39:40], v[39:40], 1
	v_fma_f64 v[45:46], v[43:44], s[18:19], v[1:2]
	v_mul_f64 v[41:42], v[41:42], v[43:44]
	v_fma_f64 v[45:46], v[43:44], v[45:46], s[20:21]
	v_fma_f64 v[45:46], v[43:44], v[45:46], s[22:23]
	v_fma_f64 v[45:46], v[43:44], v[45:46], s[24:25]
	v_fma_f64 v[45:46], v[43:44], v[45:46], s[26:27]
	v_fma_f64 v[45:46], v[43:44], v[45:46], s[16:17]
	v_mul_f64 v[41:42], v[41:42], v[45:46]
	v_add_f64 v[43:44], v[47:48], v[41:42]
	v_add_f64 v[45:46], v[43:44], -v[47:48]
	v_add_f64 v[41:42], v[41:42], -v[45:46]
	v_add_f64 v[39:40], v[39:40], v[41:42]
	v_add_f64 v[41:42], v[43:44], v[39:40]
	v_add_f64 v[43:44], v[41:42], -v[43:44]
	v_add_f64 v[39:40], v[39:40], -v[43:44]
	v_cvt_f64_i32_e32 v[43:44], v37
	v_mul_f64 v[45:46], v[43:44], s[28:29]
	v_fma_f64 v[47:48], v[43:44], s[28:29], -v[45:46]
	v_fma_f64 v[43:44], v[43:44], s[30:31], v[47:48]
	v_add_f64 v[47:48], v[45:46], v[43:44]
	v_add_f64 v[45:46], v[47:48], -v[45:46]
	v_add_f64 v[43:44], v[43:44], -v[45:46]
	v_add_f64 v[45:46], v[47:48], v[41:42]
	v_add_f64 v[49:50], v[45:46], -v[47:48]
	v_add_f64 v[51:52], v[45:46], -v[49:50]
	;; [unrolled: 1-line block ×4, first 2 shown]
	v_add_f64 v[41:42], v[41:42], v[47:48]
	v_add_f64 v[47:48], v[43:44], v[39:40]
	v_add_f64 v[49:50], v[47:48], -v[43:44]
	v_add_f64 v[41:42], v[47:48], v[41:42]
	v_add_f64 v[51:52], v[47:48], -v[49:50]
	v_add_f64 v[39:40], v[39:40], -v[49:50]
	;; [unrolled: 1-line block ×3, first 2 shown]
	v_add_f64 v[39:40], v[39:40], v[43:44]
	v_add_f64 v[43:44], v[45:46], v[41:42]
	v_add_f64 v[45:46], v[43:44], -v[45:46]
	v_add_f64 v[41:42], v[41:42], -v[45:46]
	v_add_f64 v[39:40], v[39:40], v[41:42]
	v_add_f64 v[41:42], -|v[35:36]|, 1.0
	v_add_f64 v[39:40], v[43:44], v[39:40]
	v_xor_b32_e32 v37, 0x80000000, v40
	v_cndmask_b32_e32 v37, v81, v37, vcc
	s_and_b64 vcc, s[8:9], vcc
	v_cndmask_b32_e64 v40, v80, v37, s[8:9]
	s_mov_b32 s8, 0x3fe76944
	v_cndmask_b32_e32 v39, 0, v39, vcc
	v_cmp_gt_u32_e32 vcc, s8, v38
	s_mov_b32 s8, 0x8d5af8fc
	s_mov_b32 s9, 0xbfdd8b61
	v_add_f64 v[43:44], |v[35:36]|, s[8:9]
	s_mov_b32 s8, 0x3fcda661
	v_cndmask_b32_e32 v37, v41, v43, vcc
	v_cndmask_b32_e32 v41, v42, v44, vcc
	v_cndmask_b32_e64 v43, 0, 1, vcc
	v_cmp_gt_u32_e32 vcc, s8, v38
	v_cndmask_b32_e32 v42, v41, v38, vcc
	v_cndmask_b32_e32 v41, v37, v35, vcc
	v_cndmask_b32_e64 v37, v43, 2, vcc
.LBB8_169:                              ;   in Loop: Header=BB8_145 Depth=1
	s_or_b64 exec, exec, s[76:77]
	v_cmp_lt_i32_e32 vcc, 1, v37
                                        ; implicit-def: $vgpr43_vgpr44
	s_and_saveexec_b64 s[8:9], vcc
	s_xor_b64 s[8:9], exec, s[8:9]
	s_cbranch_execz .LBB8_171
; %bb.170:                              ;   in Loop: Header=BB8_145 Depth=1
	s_mov_b32 s76, 0xbf2bab09
	s_mov_b32 s77, 0x3f8b678b
	v_fma_f64 v[43:44], v[41:42], s[76:77], v[9:10]
	s_mov_b32 s76, 0x57d0cf61
	s_mov_b32 s77, 0x3f6a5abb
	v_fma_f64 v[45:46], v[41:42], s[76:77], v[11:12]
	s_mov_b32 s76, 0x44ea8450
	s_mov_b32 s77, 0x3fef4976
	;; [unrolled: 1-line block ×3, first 2 shown]
                                        ; implicit-def: $vgpr37
	v_fma_f64 v[43:44], v[41:42], v[43:44], s[76:77]
	s_mov_b32 s76, 0xe45050af
	s_mov_b32 s77, 0x3fe89dfb
	v_fma_f64 v[45:46], v[41:42], v[45:46], s[76:77]
	s_mov_b32 s76, 0xd119bd6f
	s_mov_b32 s77, 0x3ff7475c
	v_fma_f64 v[43:44], v[41:42], v[43:44], s[76:77]
	s_mov_b32 s76, 0xa42b18f5
	s_mov_b32 s77, 0x40010725
	v_fma_f64 v[45:46], v[41:42], v[45:46], s[76:77]
	s_mov_b32 s76, 0x8b005dff
	s_mov_b32 s77, 0x3fe4401e
	v_fma_f64 v[43:44], v[41:42], v[43:44], s[76:77]
	s_mov_b32 s76, 0xc2bd619c
	s_mov_b32 s77, 0x4003a5d7
	v_fma_f64 v[45:46], v[41:42], v[45:46], s[76:77]
	v_fma_f64 v[43:44], v[41:42], v[43:44], s[94:95]
	v_fma_f64 v[45:46], v[41:42], v[45:46], 1.0
	v_mul_f64 v[43:44], v[41:42], v[43:44]
	v_div_scale_f64 v[47:48], s[76:77], v[45:46], v[45:46], v[43:44]
	v_div_scale_f64 v[53:54], vcc, v[43:44], v[45:46], v[43:44]
	v_rcp_f64_e32 v[49:50], v[47:48]
	v_fma_f64 v[51:52], -v[47:48], v[49:50], 1.0
	v_fma_f64 v[49:50], v[49:50], v[51:52], v[49:50]
	v_fma_f64 v[51:52], -v[47:48], v[49:50], 1.0
	v_fma_f64 v[49:50], v[49:50], v[51:52], v[49:50]
	v_mul_f64 v[51:52], v[53:54], v[49:50]
	v_fma_f64 v[47:48], -v[47:48], v[51:52], v[53:54]
	v_div_fmas_f64 v[47:48], v[47:48], v[49:50], v[51:52]
	v_div_fixup_f64 v[43:44], v[47:48], v[45:46], v[43:44]
	v_fma_f64 v[43:44], v[41:42], -0.5, v[43:44]
                                        ; implicit-def: $vgpr41_vgpr42
.LBB8_171:                              ;   in Loop: Header=BB8_145 Depth=1
	s_andn2_saveexec_b64 s[8:9], s[8:9]
	s_cbranch_execz .LBB8_177
; %bb.172:                              ;   in Loop: Header=BB8_145 Depth=1
	v_cmp_ne_u32_e32 vcc, 1, v37
                                        ; implicit-def: $vgpr43_vgpr44
	s_and_saveexec_b64 s[76:77], vcc
	s_xor_b64 s[76:77], exec, s[76:77]
	s_cbranch_execz .LBB8_174
; %bb.173:                              ;   in Loop: Header=BB8_145 Depth=1
	v_mul_f64 v[43:44], v[41:42], v[41:42]
	s_mov_b32 s78, 0x90a45837
	s_mov_b32 s79, 0x3f07858e
	v_fma_f64 v[45:46], v[43:44], s[78:79], v[15:16]
	s_mov_b32 s78, 0x428cfa52
	s_mov_b32 s79, 0x3efa7074
	v_fma_f64 v[47:48], v[43:44], s[78:79], v[13:14]
	;; [unrolled: 3-line block ×9, first 2 shown]
	v_fma_f64 v[47:48], v[43:44], v[47:48], s[70:71]
	v_mul_f64 v[43:44], v[43:44], v[45:46]
	v_fma_f64 v[43:44], v[41:42], v[47:48], v[43:44]
	v_fma_f64 v[43:44], v[41:42], -0.5, v[43:44]
                                        ; implicit-def: $vgpr41_vgpr42
.LBB8_174:                              ;   in Loop: Header=BB8_145 Depth=1
	s_andn2_saveexec_b64 s[76:77], s[76:77]
	s_cbranch_execz .LBB8_176
; %bb.175:                              ;   in Loop: Header=BB8_145 Depth=1
	v_mul_f64 v[43:44], v[41:42], v[41:42]
	s_mov_b32 s78, 0xecc38c38
	s_mov_b32 s79, 0xbf347f24
	v_mul_f64 v[45:46], v[41:42], v[43:44]
	v_fma_f64 v[47:48], v[45:46], s[78:79], v[19:20]
	s_mov_b32 s78, 0xe8c2d3f4
	s_mov_b32 s79, 0x3f35fd3e
	v_fma_f64 v[49:50], v[45:46], s[78:79], v[21:22]
	s_mov_b32 s78, 0xb3e914d7
	s_mov_b32 s79, 0xbf6e2eff
	;; [unrolled: 3-line block ×11, first 2 shown]
	v_fma_f64 v[41:42], v[41:42], v[49:50], v[47:48]
	v_fma_f64 v[47:48], v[45:46], v[51:52], s[78:79]
	s_mov_b32 s78, 0xa48a971f
	s_mov_b32 s79, 0xbc50c7ca
	v_fma_f64 v[41:42], v[45:46], -v[41:42], s[78:79]
	s_mov_b32 s78, 0xbcc38a42
	s_mov_b32 s79, 0xbfbf19b9
	v_fma_f64 v[41:42], v[43:44], v[47:48], -v[41:42]
	v_add_f64 v[43:44], v[41:42], s[78:79]
.LBB8_176:                              ;   in Loop: Header=BB8_145 Depth=1
	s_or_b64 exec, exec, s[76:77]
.LBB8_177:                              ;   in Loop: Header=BB8_145 Depth=1
	s_or_b64 exec, exec, s[8:9]
	v_add_f64 v[39:40], v[39:40], v[43:44]
.LBB8_178:                              ;   in Loop: Header=BB8_145 Depth=1
	s_or_b64 exec, exec, s[74:75]
.LBB8_179:                              ;   in Loop: Header=BB8_145 Depth=1
	s_andn2_saveexec_b64 s[72:73], s[72:73]
	s_cbranch_execz .LBB8_181
; %bb.180:                              ;   in Loop: Header=BB8_145 Depth=1
	v_frexp_mant_f64_e64 v[41:42], |v[35:36]|
	s_mov_b32 s17, s61
	v_frexp_exp_i32_f64_e32 v37, v[35:36]
	v_fma_f64 v[39:40], |v[35:36]|, s[92:93], v[23:24]
	v_cmp_neq_f64_e64 s[8:9], 0, v[35:36]
	v_cmp_gt_f64_e32 vcc, s[60:61], v[41:42]
	v_fma_f64 v[39:40], |v[35:36]|, v[39:40], s[34:35]
	v_cndmask_b32_e64 v43, 0, 1, vcc
	v_ldexp_f64 v[41:42], v[41:42], v43
	v_subbrev_co_u32_e32 v37, vcc, 0, v37, vcc
	v_fma_f64 v[39:40], |v[35:36]|, v[39:40], s[36:37]
	v_cmp_neq_f64_e64 vcc, |v[35:36]|, s[62:63]
	v_add_f64 v[45:46], v[41:42], 1.0
	v_add_f64 v[43:44], v[41:42], -1.0
	v_fma_f64 v[39:40], |v[35:36]|, v[39:40], s[38:39]
	v_add_f64 v[47:48], v[45:46], -1.0
	v_add_f64 v[41:42], v[41:42], -v[47:48]
	v_rcp_f64_e32 v[47:48], v[45:46]
	v_fma_f64 v[49:50], -v[45:46], v[47:48], 1.0
	v_fma_f64 v[47:48], v[49:50], v[47:48], v[47:48]
	v_fma_f64 v[49:50], -v[45:46], v[47:48], 1.0
	v_fma_f64 v[47:48], v[49:50], v[47:48], v[47:48]
	v_mul_f64 v[49:50], v[43:44], v[47:48]
	v_mul_f64 v[51:52], v[45:46], v[49:50]
	v_fma_f64 v[45:46], v[49:50], v[45:46], -v[51:52]
	v_fma_f64 v[41:42], v[49:50], v[41:42], v[45:46]
	v_add_f64 v[45:46], v[51:52], v[41:42]
	v_add_f64 v[53:54], v[43:44], -v[45:46]
	v_add_f64 v[51:52], v[45:46], -v[51:52]
	;; [unrolled: 1-line block ×5, first 2 shown]
	v_add_f64 v[41:42], v[41:42], v[43:44]
	v_add_f64 v[41:42], v[53:54], v[41:42]
	v_mul_f64 v[41:42], v[47:48], v[41:42]
	v_add_f64 v[43:44], v[49:50], v[41:42]
	v_add_f64 v[45:46], v[43:44], -v[49:50]
	v_ldexp_f64 v[49:50], v[43:44], 1
	v_add_f64 v[41:42], v[41:42], -v[45:46]
	v_mul_f64 v[45:46], v[43:44], v[43:44]
	v_ldexp_f64 v[41:42], v[41:42], 1
	v_fma_f64 v[47:48], v[45:46], s[18:19], v[1:2]
	v_mul_f64 v[43:44], v[43:44], v[45:46]
	v_fma_f64 v[47:48], v[45:46], v[47:48], s[20:21]
	v_fma_f64 v[47:48], v[45:46], v[47:48], s[22:23]
	v_fma_f64 v[47:48], v[45:46], v[47:48], s[24:25]
	v_fma_f64 v[47:48], v[45:46], v[47:48], s[26:27]
	v_fma_f64 v[47:48], v[45:46], v[47:48], s[16:17]
	v_mul_f64 v[43:44], v[43:44], v[47:48]
	v_add_f64 v[45:46], v[49:50], v[43:44]
	v_add_f64 v[47:48], v[45:46], -v[49:50]
	v_add_f64 v[43:44], v[43:44], -v[47:48]
	v_add_f64 v[41:42], v[41:42], v[43:44]
	v_add_f64 v[43:44], v[45:46], v[41:42]
	v_add_f64 v[45:46], v[43:44], -v[45:46]
	v_add_f64 v[41:42], v[41:42], -v[45:46]
	v_cvt_f64_i32_e32 v[45:46], v37
	v_mul_f64 v[47:48], v[45:46], s[28:29]
	v_fma_f64 v[49:50], v[45:46], s[28:29], -v[47:48]
	v_fma_f64 v[45:46], v[45:46], s[30:31], v[49:50]
	v_add_f64 v[49:50], v[47:48], v[45:46]
	v_add_f64 v[47:48], v[49:50], -v[47:48]
	v_add_f64 v[45:46], v[45:46], -v[47:48]
	v_add_f64 v[47:48], v[49:50], v[43:44]
	v_add_f64 v[51:52], v[47:48], -v[49:50]
	v_add_f64 v[53:54], v[47:48], -v[51:52]
	;; [unrolled: 1-line block ×4, first 2 shown]
	v_add_f64 v[43:44], v[43:44], v[49:50]
	v_add_f64 v[49:50], v[45:46], v[41:42]
	v_add_f64 v[51:52], v[49:50], -v[45:46]
	v_add_f64 v[43:44], v[49:50], v[43:44]
	v_add_f64 v[53:54], v[49:50], -v[51:52]
	v_add_f64 v[41:42], v[41:42], -v[51:52]
	;; [unrolled: 1-line block ×3, first 2 shown]
	v_add_f64 v[41:42], v[41:42], v[45:46]
	v_add_f64 v[45:46], v[47:48], v[43:44]
	v_add_f64 v[47:48], v[45:46], -v[47:48]
	v_add_f64 v[43:44], v[43:44], -v[47:48]
	v_add_f64 v[41:42], v[41:42], v[43:44]
	v_add_f64 v[41:42], v[45:46], v[41:42]
	v_xor_b32_e32 v37, 0x80000000, v42
	v_cndmask_b32_e32 v37, v81, v37, vcc
	s_and_b64 vcc, s[8:9], vcc
	v_cndmask_b32_e32 v41, 0, v41, vcc
	v_cndmask_b32_e64 v42, v80, v37, s[8:9]
	v_fma_f64 v[39:40], |v[35:36]|, v[39:40], v[41:42]
.LBB8_181:                              ;   in Loop: Header=BB8_145 Depth=1
	s_or_b64 exec, exec, s[72:73]
	v_cmp_le_f64_e32 vcc, 0, v[35:36]
	s_and_saveexec_b64 s[8:9], vcc
	s_xor_b64 s[72:73], exec, s[8:9]
	s_cbranch_execz .LBB8_183
; %bb.182:                              ;   in Loop: Header=BB8_145 Depth=1
	v_cmp_eq_f64_e32 vcc, 1.0, v[35:36]
	v_cmp_eq_f64_e64 s[8:9], 2.0, v[35:36]
	s_or_b64 s[8:9], vcc, s[8:9]
	v_cndmask_b32_e64 v40, v40, 0, s[8:9]
	v_cndmask_b32_e64 v39, v39, 0, s[8:9]
.LBB8_183:                              ;   in Loop: Header=BB8_145 Depth=1
	s_andn2_saveexec_b64 s[8:9], s[72:73]
	s_cbranch_execz .LBB8_187
; %bb.184:                              ;   in Loop: Header=BB8_145 Depth=1
	v_add_u32_e32 v37, 0xc32fffff, v38
	v_cmp_gt_u32_e32 vcc, s64, v37
	s_and_saveexec_b64 s[72:73], vcc
	s_cbranch_execz .LBB8_186
; %bb.185:                              ;   in Loop: Header=BB8_145 Depth=1
	v_mul_f64 v[41:42], |v[35:36]|, 0.5
	s_mov_b32 s17, s61
	v_fract_f64_e32 v[43:44], v[41:42]
	v_cmp_neq_f64_e64 vcc, |v[41:42]|, s[62:63]
	v_add_f64 v[43:44], v[43:44], v[43:44]
	v_cndmask_b32_e32 v37, 0, v43, vcc
	v_cndmask_b32_e32 v41, 0, v44, vcc
	v_cmp_gt_f64_e64 vcc, |v[35:36]|, 1.0
	v_cndmask_b32_e32 v42, v38, v41, vcc
	v_cndmask_b32_e32 v41, v35, v37, vcc
	v_add_f64 v[43:44], v[41:42], v[41:42]
	v_rndne_f64_e32 v[43:44], v[43:44]
	v_fma_f64 v[41:42], v[43:44], -0.5, v[41:42]
	v_cvt_i32_f64_e32 v37, v[43:44]
	v_mul_f64 v[43:44], v[41:42], v[41:42]
	v_fma_f64 v[45:46], v[43:44], s[40:41], v[25:26]
	v_mul_f64 v[47:48], v[41:42], v[43:44]
	v_fma_f64 v[45:46], v[43:44], v[45:46], s[42:43]
	v_fma_f64 v[45:46], v[43:44], v[45:46], s[44:45]
	;; [unrolled: 1-line block ×4, first 2 shown]
	v_mul_f64 v[45:46], v[47:48], v[45:46]
	v_fma_f64 v[41:42], v[41:42], s[90:91], v[45:46]
	v_fma_f64 v[45:46], v[43:44], s[46:47], v[27:28]
	;; [unrolled: 1-line block ×7, first 2 shown]
	v_fma_f64 v[43:44], v[43:44], v[45:46], 1.0
	v_and_b32_e32 v45, 1, v37
	v_cmp_eq_u32_e32 vcc, 0, v45
	v_lshlrev_b32_e32 v37, 30, v37
	v_xor_b32_e32 v37, v37, v36
	v_and_b32_e32 v37, 0x80000000, v37
	v_cndmask_b32_e32 v41, v43, v41, vcc
	v_cndmask_b32_e32 v42, v44, v42, vcc
	v_cmp_class_f64_e64 vcc, v[35:36], s65
	v_xor_b32_e32 v37, v42, v37
	v_cndmask_b32_e32 v41, 0, v41, vcc
	v_cndmask_b32_e32 v42, v83, v37, vcc
	v_mul_f64 v[41:42], v[35:36], v[41:42]
	v_and_b32_e32 v44, 0x7fffffff, v42
	v_mov_b32_e32 v43, v41
	v_div_scale_f64 v[45:46], s[74:75], v[43:44], v[43:44], s[90:91]
	v_div_scale_f64 v[43:44], vcc, s[90:91], v[43:44], s[90:91]
	v_cmp_class_f64_e64 s[74:75], v[35:36], s85
	v_rcp_f64_e32 v[47:48], v[45:46]
	v_fma_f64 v[49:50], -v[45:46], v[47:48], 1.0
	v_fma_f64 v[47:48], v[47:48], v[49:50], v[47:48]
	v_fma_f64 v[49:50], -v[45:46], v[47:48], 1.0
	v_fma_f64 v[47:48], v[47:48], v[49:50], v[47:48]
	v_mul_f64 v[49:50], v[43:44], v[47:48]
	v_fma_f64 v[43:44], -v[45:46], v[49:50], v[43:44]
	v_div_fmas_f64 v[43:44], v[43:44], v[47:48], v[49:50]
	v_div_fixup_f64 v[41:42], v[43:44], |v[41:42]|, s[90:91]
	v_frexp_mant_f64_e32 v[43:44], v[41:42]
	v_frexp_exp_i32_f64_e32 v37, v[41:42]
	v_cmp_gt_f64_e32 vcc, s[60:61], v[43:44]
	v_cndmask_b32_e64 v45, 0, 1, vcc
	v_ldexp_f64 v[43:44], v[43:44], v45
	v_subbrev_co_u32_e32 v37, vcc, 0, v37, vcc
	v_cmp_class_f64_e64 vcc, v[41:42], s85
	v_add_f64 v[47:48], v[43:44], 1.0
	v_add_f64 v[45:46], v[43:44], -1.0
	v_add_f64 v[49:50], v[47:48], -1.0
	v_add_f64 v[43:44], v[43:44], -v[49:50]
	v_rcp_f64_e32 v[49:50], v[47:48]
	v_fma_f64 v[51:52], -v[47:48], v[49:50], 1.0
	v_fma_f64 v[49:50], v[51:52], v[49:50], v[49:50]
	v_fma_f64 v[51:52], -v[47:48], v[49:50], 1.0
	v_fma_f64 v[49:50], v[51:52], v[49:50], v[49:50]
	v_mul_f64 v[51:52], v[45:46], v[49:50]
	v_mul_f64 v[53:54], v[47:48], v[51:52]
	v_fma_f64 v[47:48], v[51:52], v[47:48], -v[53:54]
	v_fma_f64 v[43:44], v[51:52], v[43:44], v[47:48]
	v_add_f64 v[47:48], v[53:54], v[43:44]
	v_add_f64 v[55:56], v[45:46], -v[47:48]
	v_add_f64 v[53:54], v[47:48], -v[53:54]
	;; [unrolled: 1-line block ×5, first 2 shown]
	v_add_f64 v[43:44], v[43:44], v[45:46]
	v_add_f64 v[43:44], v[55:56], v[43:44]
	v_mul_f64 v[43:44], v[49:50], v[43:44]
	v_add_f64 v[45:46], v[51:52], v[43:44]
	v_add_f64 v[47:48], v[45:46], -v[51:52]
	v_ldexp_f64 v[51:52], v[45:46], 1
	v_add_f64 v[43:44], v[43:44], -v[47:48]
	v_mul_f64 v[47:48], v[45:46], v[45:46]
	v_ldexp_f64 v[43:44], v[43:44], 1
	v_fma_f64 v[49:50], v[47:48], s[18:19], v[1:2]
	v_mul_f64 v[45:46], v[45:46], v[47:48]
	v_fma_f64 v[49:50], v[47:48], v[49:50], s[20:21]
	v_fma_f64 v[49:50], v[47:48], v[49:50], s[22:23]
	;; [unrolled: 1-line block ×5, first 2 shown]
	v_mul_f64 v[45:46], v[45:46], v[49:50]
	v_add_f64 v[47:48], v[51:52], v[45:46]
	v_add_f64 v[49:50], v[47:48], -v[51:52]
	v_add_f64 v[45:46], v[45:46], -v[49:50]
	v_add_f64 v[43:44], v[43:44], v[45:46]
	v_add_f64 v[45:46], v[47:48], v[43:44]
	v_add_f64 v[47:48], v[45:46], -v[47:48]
	v_add_f64 v[43:44], v[43:44], -v[47:48]
	v_cvt_f64_i32_e32 v[47:48], v37
	v_mul_f64 v[49:50], v[47:48], s[28:29]
	v_fma_f64 v[51:52], v[47:48], s[28:29], -v[49:50]
	v_fma_f64 v[47:48], v[47:48], s[30:31], v[51:52]
	v_add_f64 v[51:52], v[49:50], v[47:48]
	v_add_f64 v[49:50], v[51:52], -v[49:50]
	v_add_f64 v[47:48], v[47:48], -v[49:50]
	v_add_f64 v[49:50], v[51:52], v[45:46]
	v_add_f64 v[53:54], v[49:50], -v[51:52]
	v_add_f64 v[55:56], v[49:50], -v[53:54]
	;; [unrolled: 1-line block ×4, first 2 shown]
	v_add_f64 v[45:46], v[45:46], v[51:52]
	v_add_f64 v[51:52], v[47:48], v[43:44]
	v_add_f64 v[53:54], v[51:52], -v[47:48]
	v_add_f64 v[45:46], v[51:52], v[45:46]
	v_add_f64 v[55:56], v[51:52], -v[53:54]
	v_add_f64 v[43:44], v[43:44], -v[53:54]
	;; [unrolled: 1-line block ×3, first 2 shown]
	v_add_f64 v[43:44], v[43:44], v[47:48]
	v_add_f64 v[47:48], v[49:50], v[45:46]
	v_add_f64 v[49:50], v[47:48], -v[49:50]
	v_add_f64 v[45:46], v[45:46], -v[49:50]
	v_add_f64 v[43:44], v[43:44], v[45:46]
	v_add_f64 v[43:44], v[47:48], v[43:44]
	v_cndmask_b32_e32 v37, v43, v41, vcc
	v_cndmask_b32_e32 v43, v44, v42, vcc
	v_cmp_neq_f64_e32 vcc, 0, v[41:42]
	v_cndmask_b32_e32 v42, v81, v43, vcc
	v_cndmask_b32_e32 v41, 0, v37, vcc
	v_add_f64 v[39:40], v[41:42], -v[39:40]
	v_fract_f64_e32 v[41:42], v[35:36]
	v_cmp_eq_f64_e32 vcc, 0, v[41:42]
	s_or_b64 vcc, s[74:75], vcc
	v_cndmask_b32_e32 v40, v40, v80, vcc
	v_cndmask_b32_e64 v39, v39, 0, vcc
.LBB8_186:                              ;   in Loop: Header=BB8_145 Depth=1
	s_or_b64 exec, exec, s[72:73]
.LBB8_187:                              ;   in Loop: Header=BB8_145 Depth=1
	s_or_b64 exec, exec, s[8:9]
	v_and_b32_e32 v42, 0x7fffffff, v32
	v_mov_b32_e32 v41, v31
	v_cmp_lt_u32_e32 vcc, s81, v42
                                        ; implicit-def: $vgpr43_vgpr44
	s_and_saveexec_b64 s[8:9], vcc
	s_xor_b64 s[72:73], exec, s[8:9]
	s_cbranch_execz .LBB8_213
; %bb.188:                              ;   in Loop: Header=BB8_145 Depth=1
	v_cmp_lt_u32_e32 vcc, s82, v42
                                        ; implicit-def: $vgpr43_vgpr44
	s_and_saveexec_b64 s[8:9], vcc
	s_xor_b64 s[74:75], exec, s[8:9]
	s_cbranch_execz .LBB8_198
; %bb.189:                              ;   in Loop: Header=BB8_145 Depth=1
	;; [unrolled: 6-line block ×4, first 2 shown]
	v_frexp_mant_f64_e64 v[43:44], |v[31:32]|
	s_mov_b32 s17, s61
	v_frexp_exp_i32_f64_e32 v37, v[31:32]
	v_cmp_neq_f64_e64 s[8:9], 0, v[31:32]
	v_cmp_gt_f64_e32 vcc, s[60:61], v[43:44]
	v_cndmask_b32_e64 v41, 0, 1, vcc
	v_ldexp_f64 v[43:44], v[43:44], v41
	v_subbrev_co_u32_e32 v37, vcc, 0, v37, vcc
	v_cmp_neq_f64_e64 vcc, |v[31:32]|, s[62:63]
	v_add_f64 v[47:48], v[43:44], 1.0
	v_add_f64 v[45:46], v[43:44], -1.0
	v_add_f64 v[49:50], v[47:48], -1.0
	v_add_f64 v[43:44], v[43:44], -v[49:50]
	v_rcp_f64_e32 v[49:50], v[47:48]
	v_fma_f64 v[51:52], -v[47:48], v[49:50], 1.0
	v_fma_f64 v[49:50], v[51:52], v[49:50], v[49:50]
	v_fma_f64 v[51:52], -v[47:48], v[49:50], 1.0
	v_fma_f64 v[49:50], v[51:52], v[49:50], v[49:50]
	v_mul_f64 v[51:52], v[45:46], v[49:50]
	v_mul_f64 v[53:54], v[47:48], v[51:52]
	v_fma_f64 v[47:48], v[51:52], v[47:48], -v[53:54]
	v_fma_f64 v[43:44], v[51:52], v[43:44], v[47:48]
	v_add_f64 v[47:48], v[53:54], v[43:44]
	v_add_f64 v[55:56], v[45:46], -v[47:48]
	v_add_f64 v[53:54], v[47:48], -v[53:54]
	;; [unrolled: 1-line block ×5, first 2 shown]
	v_add_f64 v[43:44], v[43:44], v[45:46]
	v_add_f64 v[43:44], v[55:56], v[43:44]
	v_mul_f64 v[43:44], v[49:50], v[43:44]
	v_add_f64 v[45:46], v[51:52], v[43:44]
	v_add_f64 v[47:48], v[45:46], -v[51:52]
	v_ldexp_f64 v[51:52], v[45:46], 1
	v_add_f64 v[43:44], v[43:44], -v[47:48]
	v_mul_f64 v[47:48], v[45:46], v[45:46]
	v_ldexp_f64 v[43:44], v[43:44], 1
	v_fma_f64 v[49:50], v[47:48], s[18:19], v[1:2]
	v_mul_f64 v[45:46], v[45:46], v[47:48]
	v_fma_f64 v[49:50], v[47:48], v[49:50], s[20:21]
	v_fma_f64 v[49:50], v[47:48], v[49:50], s[22:23]
	v_fma_f64 v[49:50], v[47:48], v[49:50], s[24:25]
	v_fma_f64 v[49:50], v[47:48], v[49:50], s[26:27]
	v_fma_f64 v[49:50], v[47:48], v[49:50], s[16:17]
	v_mul_f64 v[45:46], v[45:46], v[49:50]
	v_add_f64 v[47:48], v[51:52], v[45:46]
	v_add_f64 v[49:50], v[47:48], -v[51:52]
	v_add_f64 v[45:46], v[45:46], -v[49:50]
	v_add_f64 v[43:44], v[43:44], v[45:46]
	v_add_f64 v[45:46], v[47:48], v[43:44]
	v_add_f64 v[47:48], v[45:46], -v[47:48]
	v_add_f64 v[43:44], v[43:44], -v[47:48]
	v_cvt_f64_i32_e32 v[47:48], v37
	v_mul_f64 v[49:50], v[47:48], s[28:29]
	v_fma_f64 v[51:52], v[47:48], s[28:29], -v[49:50]
	v_fma_f64 v[47:48], v[47:48], s[30:31], v[51:52]
	v_add_f64 v[51:52], v[49:50], v[47:48]
	v_add_f64 v[49:50], v[51:52], -v[49:50]
	v_add_f64 v[47:48], v[47:48], -v[49:50]
	v_add_f64 v[49:50], v[51:52], v[45:46]
	v_add_f64 v[53:54], v[49:50], -v[51:52]
	v_add_f64 v[55:56], v[49:50], -v[53:54]
	;; [unrolled: 1-line block ×4, first 2 shown]
	v_add_f64 v[45:46], v[45:46], v[51:52]
	v_add_f64 v[51:52], v[47:48], v[43:44]
	v_add_f64 v[53:54], v[51:52], -v[47:48]
	v_add_f64 v[45:46], v[51:52], v[45:46]
	v_add_f64 v[55:56], v[51:52], -v[53:54]
	v_add_f64 v[43:44], v[43:44], -v[53:54]
	;; [unrolled: 1-line block ×3, first 2 shown]
	v_add_f64 v[43:44], v[43:44], v[47:48]
	v_add_f64 v[47:48], v[49:50], v[45:46]
	v_add_f64 v[49:50], v[47:48], -v[49:50]
	v_add_f64 v[45:46], v[45:46], -v[49:50]
	v_add_f64 v[43:44], v[43:44], v[45:46]
	v_add_f64 v[43:44], v[47:48], v[43:44]
	v_cndmask_b32_e32 v37, v80, v44, vcc
	s_and_b64 vcc, s[8:9], vcc
	v_cndmask_b32_e32 v43, 0, v43, vcc
	v_cndmask_b32_e64 v44, v81, v37, s[8:9]
	v_fma_f64 v[43:44], |v[31:32]|, v[43:44], -|v[31:32]|
.LBB8_192:                              ;   in Loop: Header=BB8_145 Depth=1
	s_andn2_saveexec_b64 s[78:79], s[78:79]
	s_cbranch_execz .LBB8_194
; %bb.193:                              ;   in Loop: Header=BB8_145 Depth=1
	v_mov_b32_e32 v41, v31
	v_div_scale_f64 v[43:44], s[8:9], v[41:42], v[41:42], 1.0
	s_mov_b32 s8, 0xb9e43e4
	s_mov_b32 s9, 0xbf5ab89d
	;; [unrolled: 1-line block ×3, first 2 shown]
	v_frexp_exp_i32_f64_e32 v37, v[31:32]
	v_rcp_f64_e32 v[45:46], v[43:44]
	v_fma_f64 v[47:48], -v[43:44], v[45:46], 1.0
	v_fma_f64 v[45:46], v[45:46], v[47:48], v[45:46]
	v_fma_f64 v[47:48], -v[43:44], v[45:46], 1.0
	v_fma_f64 v[45:46], v[45:46], v[47:48], v[45:46]
	v_div_scale_f64 v[47:48], vcc, 1.0, v[41:42], 1.0
	v_mul_f64 v[49:50], v[47:48], v[45:46]
	v_fma_f64 v[43:44], -v[43:44], v[49:50], v[47:48]
	s_nop 1
	v_div_fmas_f64 v[43:44], v[43:44], v[45:46], v[49:50]
	v_div_fixup_f64 v[43:44], v[43:44], |v[31:32]|, 1.0
	v_mul_f64 v[45:46], v[43:44], v[43:44]
	v_fma_f64 v[47:48], v[45:46], s[8:9], v[3:4]
	s_mov_b32 s8, 0x8c0fe741
	s_mov_b32 s9, 0xbf4380cb
	v_fma_f64 v[47:48], v[45:46], v[47:48], s[8:9]
	s_mov_b32 s8, 0x98cf38b6
	s_mov_b32 s9, 0x3f4a019f
	;; [unrolled: 3-line block ×4, first 2 shown]
	v_fma_f64 v[45:46], v[45:46], v[47:48], s[8:9]
	v_frexp_mant_f64_e64 v[47:48], |v[31:32]|
	s_mov_b32 s8, 0x90c97d69
	s_mov_b32 s9, 0x3fdacfe3
	v_fma_f64 v[43:44], v[43:44], v[45:46], s[8:9]
	v_cmp_gt_f64_e32 vcc, s[60:61], v[47:48]
	v_cmp_neq_f64_e64 s[8:9], 0, v[31:32]
	v_add_f64 v[45:46], |v[31:32]|, -0.5
	v_cndmask_b32_e64 v41, 0, 1, vcc
	v_ldexp_f64 v[47:48], v[47:48], v41
	v_subbrev_co_u32_e32 v37, vcc, 0, v37, vcc
	v_cmp_neq_f64_e64 vcc, |v[31:32]|, s[62:63]
	v_add_f64 v[51:52], v[47:48], 1.0
	v_add_f64 v[49:50], v[47:48], -1.0
	v_add_f64 v[53:54], v[51:52], -1.0
	v_add_f64 v[47:48], v[47:48], -v[53:54]
	v_rcp_f64_e32 v[53:54], v[51:52]
	v_fma_f64 v[55:56], -v[51:52], v[53:54], 1.0
	v_fma_f64 v[53:54], v[55:56], v[53:54], v[53:54]
	v_fma_f64 v[55:56], -v[51:52], v[53:54], 1.0
	v_fma_f64 v[53:54], v[55:56], v[53:54], v[53:54]
	v_mul_f64 v[55:56], v[49:50], v[53:54]
	v_mul_f64 v[84:85], v[51:52], v[55:56]
	v_fma_f64 v[51:52], v[55:56], v[51:52], -v[84:85]
	v_fma_f64 v[47:48], v[55:56], v[47:48], v[51:52]
	v_add_f64 v[51:52], v[84:85], v[47:48]
	v_add_f64 v[86:87], v[49:50], -v[51:52]
	v_add_f64 v[84:85], v[51:52], -v[84:85]
	;; [unrolled: 1-line block ×5, first 2 shown]
	v_add_f64 v[47:48], v[47:48], v[49:50]
	v_add_f64 v[47:48], v[86:87], v[47:48]
	v_mul_f64 v[47:48], v[53:54], v[47:48]
	v_add_f64 v[49:50], v[55:56], v[47:48]
	v_add_f64 v[51:52], v[49:50], -v[55:56]
	v_ldexp_f64 v[55:56], v[49:50], 1
	v_add_f64 v[47:48], v[47:48], -v[51:52]
	v_mul_f64 v[51:52], v[49:50], v[49:50]
	v_ldexp_f64 v[47:48], v[47:48], 1
	v_fma_f64 v[53:54], v[51:52], s[18:19], v[1:2]
	v_mul_f64 v[49:50], v[49:50], v[51:52]
	v_fma_f64 v[53:54], v[51:52], v[53:54], s[20:21]
	v_fma_f64 v[53:54], v[51:52], v[53:54], s[22:23]
	;; [unrolled: 1-line block ×5, first 2 shown]
	v_mul_f64 v[49:50], v[49:50], v[53:54]
	v_add_f64 v[51:52], v[55:56], v[49:50]
	v_add_f64 v[53:54], v[51:52], -v[55:56]
	v_add_f64 v[49:50], v[49:50], -v[53:54]
	v_add_f64 v[47:48], v[47:48], v[49:50]
	v_add_f64 v[49:50], v[51:52], v[47:48]
	v_add_f64 v[51:52], v[49:50], -v[51:52]
	v_add_f64 v[47:48], v[47:48], -v[51:52]
	v_cvt_f64_i32_e32 v[51:52], v37
	v_mul_f64 v[53:54], v[51:52], s[28:29]
	v_fma_f64 v[55:56], v[51:52], s[28:29], -v[53:54]
	v_fma_f64 v[51:52], v[51:52], s[30:31], v[55:56]
	v_add_f64 v[55:56], v[53:54], v[51:52]
	v_add_f64 v[53:54], v[55:56], -v[53:54]
	v_add_f64 v[51:52], v[51:52], -v[53:54]
	v_add_f64 v[53:54], v[55:56], v[49:50]
	v_add_f64 v[84:85], v[53:54], -v[55:56]
	v_add_f64 v[86:87], v[53:54], -v[84:85]
	v_add_f64 v[49:50], v[49:50], -v[84:85]
	v_add_f64 v[55:56], v[55:56], -v[86:87]
	v_add_f64 v[49:50], v[49:50], v[55:56]
	v_add_f64 v[55:56], v[51:52], v[47:48]
	v_add_f64 v[84:85], v[55:56], -v[51:52]
	v_add_f64 v[49:50], v[55:56], v[49:50]
	v_add_f64 v[86:87], v[55:56], -v[84:85]
	v_add_f64 v[47:48], v[47:48], -v[84:85]
	;; [unrolled: 1-line block ×3, first 2 shown]
	v_add_f64 v[47:48], v[47:48], v[51:52]
	v_add_f64 v[51:52], v[53:54], v[49:50]
	v_add_f64 v[53:54], v[51:52], -v[53:54]
	v_add_f64 v[49:50], v[49:50], -v[53:54]
	v_add_f64 v[47:48], v[47:48], v[49:50]
	v_add_f64 v[47:48], v[51:52], v[47:48]
	v_add_f64 v[47:48], v[47:48], -1.0
	v_cndmask_b32_e32 v37, v80, v48, vcc
	s_and_b64 vcc, s[8:9], vcc
	v_cndmask_b32_e32 v47, 0, v47, vcc
	v_cndmask_b32_e64 v48, v81, v37, s[8:9]
	v_fma_f64 v[43:44], v[45:46], v[47:48], v[43:44]
.LBB8_194:                              ;   in Loop: Header=BB8_145 Depth=1
	s_or_b64 exec, exec, s[78:79]
.LBB8_195:                              ;   in Loop: Header=BB8_145 Depth=1
	s_andn2_saveexec_b64 s[8:9], s[76:77]
	s_cbranch_execz .LBB8_197
; %bb.196:                              ;   in Loop: Header=BB8_145 Depth=1
	v_cvt_i32_f64_e32 v37, v[41:42]
	s_mov_b32 s76, 0xdd17e945
	s_mov_b32 s77, 0x3f00bfec
	;; [unrolled: 1-line block ×3, first 2 shown]
	v_cvt_f64_i32_e32 v[43:44], v37
	s_mov_b32 s17, s61
	v_add_f64 v[45:46], |v[31:32]|, -v[43:44]
	v_fma_f64 v[43:44], v[45:46], s[76:77], v[5:6]
	s_mov_b32 s76, 0x7e939961
	s_mov_b32 s77, 0x3f9b481c
	v_fma_f64 v[43:44], v[45:46], v[43:44], s[76:77]
	s_mov_b32 s76, 0xbee5f2f7
	s_mov_b32 s77, 0x3fc2bb9c
	;; [unrolled: 3-line block ×6, first 2 shown]
	v_fma_f64 v[43:44], v[45:46], v[43:44], s[94:95]
	v_fma_f64 v[47:48], v[45:46], v[47:48], s[76:77]
	s_mov_b32 s76, 0xccfbdf27
	s_mov_b32 s77, 0x3fc601ed
	v_mul_f64 v[43:44], v[45:46], v[43:44]
	v_fma_f64 v[47:48], v[45:46], v[47:48], s[76:77]
	s_mov_b32 s76, 0x93d3dcdc
	s_mov_b32 s77, 0x3fe71a18
	v_fma_f64 v[47:48], v[45:46], v[47:48], s[76:77]
	s_mov_b32 s76, 0x62c4ab74
	s_mov_b32 s77, 0x3ff645a7
	v_fma_f64 v[47:48], v[45:46], v[47:48], s[76:77]
	v_fma_f64 v[47:48], v[45:46], v[47:48], 1.0
	v_div_scale_f64 v[49:50], s[76:77], v[47:48], v[47:48], v[43:44]
	s_mov_b32 s76, 0
	s_mov_b32 s77, 0x40080000
	v_rcp_f64_e32 v[51:52], v[49:50]
	v_fma_f64 v[53:54], -v[49:50], v[51:52], 1.0
	v_fma_f64 v[51:52], v[51:52], v[53:54], v[51:52]
	v_fma_f64 v[53:54], -v[49:50], v[51:52], 1.0
	v_fma_f64 v[51:52], v[51:52], v[53:54], v[51:52]
	v_div_scale_f64 v[53:54], vcc, v[43:44], v[47:48], v[43:44]
	v_mul_f64 v[55:56], v[53:54], v[51:52]
	v_fma_f64 v[49:50], -v[49:50], v[55:56], v[53:54]
	s_nop 1
	v_div_fmas_f64 v[49:50], v[49:50], v[51:52], v[55:56]
	v_cmp_lt_i32_e32 vcc, 2, v37
	v_add_f64 v[51:52], v[45:46], 4.0
	v_div_fixup_f64 v[43:44], v[49:50], v[47:48], v[43:44]
	v_add_f64 v[47:48], v[45:46], 2.0
	v_add_f64 v[49:50], v[45:46], s[76:77]
	s_mov_b32 s76, 0
	s_mov_b32 s77, 0x40140000
	v_add_f64 v[53:54], v[45:46], s[76:77]
	v_fma_f64 v[43:44], v[45:46], 0.5, v[43:44]
	v_cndmask_b32_e32 v48, v82, v48, vcc
	v_cndmask_b32_e32 v47, 0, v47, vcc
	v_cmp_lt_i32_e32 vcc, 3, v37
	v_cndmask_b32_e32 v50, v82, v50, vcc
	v_cndmask_b32_e32 v49, 0, v49, vcc
	v_mul_f64 v[47:48], v[47:48], v[49:50]
	v_cmp_lt_i32_e32 vcc, 4, v37
	v_cndmask_b32_e32 v50, v82, v52, vcc
	v_cndmask_b32_e32 v49, 0, v51, vcc
	v_cmp_lt_i32_e32 vcc, 5, v37
	v_add_f64 v[45:46], v[45:46], s[68:69]
	v_mul_f64 v[47:48], v[49:50], v[47:48]
	v_cndmask_b32_e32 v50, v82, v54, vcc
	v_cndmask_b32_e32 v49, 0, v53, vcc
	v_cmp_lt_i32_e32 vcc, 6, v37
	v_cndmask_b32_e32 v46, v82, v46, vcc
	v_cndmask_b32_e32 v45, 0, v45, vcc
	v_mul_f64 v[47:48], v[49:50], v[47:48]
	v_mul_f64 v[45:46], v[45:46], v[47:48]
	v_frexp_mant_f64_e32 v[47:48], v[45:46]
	v_frexp_exp_i32_f64_e32 v37, v[45:46]
	v_cmp_gt_f64_e32 vcc, s[60:61], v[47:48]
	v_cndmask_b32_e64 v41, 0, 1, vcc
	v_ldexp_f64 v[47:48], v[47:48], v41
	v_subbrev_co_u32_e32 v37, vcc, 0, v37, vcc
	v_cmp_class_f64_e64 vcc, v[45:46], s85
	v_add_f64 v[51:52], v[47:48], 1.0
	v_add_f64 v[49:50], v[47:48], -1.0
	v_add_f64 v[53:54], v[51:52], -1.0
	v_add_f64 v[47:48], v[47:48], -v[53:54]
	v_rcp_f64_e32 v[53:54], v[51:52]
	v_fma_f64 v[55:56], -v[51:52], v[53:54], 1.0
	v_fma_f64 v[53:54], v[55:56], v[53:54], v[53:54]
	v_fma_f64 v[55:56], -v[51:52], v[53:54], 1.0
	v_fma_f64 v[53:54], v[55:56], v[53:54], v[53:54]
	v_mul_f64 v[55:56], v[49:50], v[53:54]
	v_mul_f64 v[84:85], v[51:52], v[55:56]
	v_fma_f64 v[51:52], v[55:56], v[51:52], -v[84:85]
	v_fma_f64 v[47:48], v[55:56], v[47:48], v[51:52]
	v_add_f64 v[51:52], v[84:85], v[47:48]
	v_add_f64 v[86:87], v[49:50], -v[51:52]
	v_add_f64 v[84:85], v[51:52], -v[84:85]
	;; [unrolled: 1-line block ×5, first 2 shown]
	v_add_f64 v[47:48], v[47:48], v[49:50]
	v_add_f64 v[47:48], v[86:87], v[47:48]
	v_mul_f64 v[47:48], v[53:54], v[47:48]
	v_add_f64 v[49:50], v[55:56], v[47:48]
	v_add_f64 v[51:52], v[49:50], -v[55:56]
	v_ldexp_f64 v[55:56], v[49:50], 1
	v_add_f64 v[47:48], v[47:48], -v[51:52]
	v_mul_f64 v[51:52], v[49:50], v[49:50]
	v_ldexp_f64 v[47:48], v[47:48], 1
	v_fma_f64 v[53:54], v[51:52], s[18:19], v[1:2]
	v_mul_f64 v[49:50], v[49:50], v[51:52]
	v_fma_f64 v[53:54], v[51:52], v[53:54], s[20:21]
	v_fma_f64 v[53:54], v[51:52], v[53:54], s[22:23]
	;; [unrolled: 1-line block ×5, first 2 shown]
	v_mul_f64 v[49:50], v[49:50], v[53:54]
	v_add_f64 v[51:52], v[55:56], v[49:50]
	v_add_f64 v[53:54], v[51:52], -v[55:56]
	v_add_f64 v[49:50], v[49:50], -v[53:54]
	v_add_f64 v[47:48], v[47:48], v[49:50]
	v_add_f64 v[49:50], v[51:52], v[47:48]
	v_add_f64 v[51:52], v[49:50], -v[51:52]
	v_add_f64 v[47:48], v[47:48], -v[51:52]
	v_cvt_f64_i32_e32 v[51:52], v37
	v_mul_f64 v[53:54], v[51:52], s[28:29]
	v_fma_f64 v[55:56], v[51:52], s[28:29], -v[53:54]
	v_fma_f64 v[51:52], v[51:52], s[30:31], v[55:56]
	v_add_f64 v[55:56], v[53:54], v[51:52]
	v_add_f64 v[53:54], v[55:56], -v[53:54]
	v_add_f64 v[51:52], v[51:52], -v[53:54]
	v_add_f64 v[53:54], v[55:56], v[49:50]
	v_add_f64 v[84:85], v[53:54], -v[55:56]
	v_add_f64 v[86:87], v[53:54], -v[84:85]
	;; [unrolled: 1-line block ×4, first 2 shown]
	v_add_f64 v[49:50], v[49:50], v[55:56]
	v_add_f64 v[55:56], v[51:52], v[47:48]
	v_add_f64 v[84:85], v[55:56], -v[51:52]
	v_add_f64 v[49:50], v[55:56], v[49:50]
	v_add_f64 v[86:87], v[55:56], -v[84:85]
	v_add_f64 v[47:48], v[47:48], -v[84:85]
	;; [unrolled: 1-line block ×3, first 2 shown]
	v_add_f64 v[47:48], v[47:48], v[51:52]
	v_add_f64 v[51:52], v[53:54], v[49:50]
	v_add_f64 v[53:54], v[51:52], -v[53:54]
	v_add_f64 v[49:50], v[49:50], -v[53:54]
	v_add_f64 v[47:48], v[47:48], v[49:50]
	v_add_f64 v[47:48], v[51:52], v[47:48]
	v_cndmask_b32_e32 v37, v47, v45, vcc
	v_cndmask_b32_e32 v41, v48, v46, vcc
	v_cmp_ngt_f64_e32 vcc, 0, v[45:46]
	v_cndmask_b32_e32 v41, v83, v41, vcc
	v_cmp_nge_f64_e32 vcc, 0, v[45:46]
	v_cndmask_b32_e32 v47, 0, v37, vcc
	v_cmp_neq_f64_e32 vcc, 0, v[45:46]
	v_cndmask_b32_e32 v48, v81, v41, vcc
	v_add_f64 v[43:44], v[43:44], v[47:48]
.LBB8_197:                              ;   in Loop: Header=BB8_145 Depth=1
	s_or_b64 exec, exec, s[8:9]
.LBB8_198:                              ;   in Loop: Header=BB8_145 Depth=1
	s_andn2_saveexec_b64 s[74:75], s[74:75]
	s_cbranch_execz .LBB8_212
; %bb.199:                              ;   in Loop: Header=BB8_145 Depth=1
	v_cmp_lt_u32_e32 vcc, s84, v42
                                        ; implicit-def: $vgpr37
                                        ; implicit-def: $vgpr45_vgpr46
	s_and_saveexec_b64 s[8:9], vcc
	s_xor_b64 s[8:9], exec, s[8:9]
	s_cbranch_execz .LBB8_201
; %bb.200:                              ;   in Loop: Header=BB8_145 Depth=1
	s_mov_b32 s76, 0x6356be3f
	s_mov_b32 s77, 0xbff762d8
	v_add_f64 v[43:44], -|v[31:32]|, 2.0
	v_add_f64 v[45:46], |v[31:32]|, s[76:77]
	s_mov_b32 s17, 0x3ffbb4c3
	v_cmp_gt_u32_e32 vcc, s17, v42
	s_mov_b32 s17, 0x3ff3b4c4
	v_cndmask_b32_e64 v47, 0, 1, vcc
	v_cndmask_b32_e32 v37, v43, v45, vcc
	v_cndmask_b32_e32 v41, v44, v46, vcc
	v_add_f64 v[43:44], |v[31:32]|, -1.0
	v_cmp_gt_u32_e32 vcc, s17, v42
	v_cndmask_b32_e32 v46, v41, v44, vcc
	v_cndmask_b32_e32 v45, v37, v43, vcc
	v_cndmask_b32_e64 v37, v47, 2, vcc
.LBB8_201:                              ;   in Loop: Header=BB8_145 Depth=1
	s_or_saveexec_b64 s[76:77], s[8:9]
	v_mov_b32_e32 v43, 0
	v_mov_b32_e32 v44, 0
	s_xor_b64 exec, exec, s[76:77]
	s_cbranch_execz .LBB8_203
; %bb.202:                              ;   in Loop: Header=BB8_145 Depth=1
	v_frexp_mant_f64_e64 v[43:44], |v[31:32]|
	s_mov_b32 s17, s61
	v_frexp_exp_i32_f64_e32 v37, v[31:32]
	v_cmp_neq_f64_e64 s[8:9], 0, v[31:32]
	v_cmp_gt_f64_e32 vcc, s[60:61], v[43:44]
	v_cndmask_b32_e64 v41, 0, 1, vcc
	v_ldexp_f64 v[43:44], v[43:44], v41
	v_subbrev_co_u32_e32 v37, vcc, 0, v37, vcc
	v_cmp_neq_f64_e64 vcc, |v[31:32]|, s[62:63]
	v_add_f64 v[47:48], v[43:44], 1.0
	v_add_f64 v[45:46], v[43:44], -1.0
	v_add_f64 v[49:50], v[47:48], -1.0
	v_add_f64 v[43:44], v[43:44], -v[49:50]
	v_rcp_f64_e32 v[49:50], v[47:48]
	v_fma_f64 v[51:52], -v[47:48], v[49:50], 1.0
	v_fma_f64 v[49:50], v[51:52], v[49:50], v[49:50]
	v_fma_f64 v[51:52], -v[47:48], v[49:50], 1.0
	v_fma_f64 v[49:50], v[51:52], v[49:50], v[49:50]
	v_mul_f64 v[51:52], v[45:46], v[49:50]
	v_mul_f64 v[53:54], v[47:48], v[51:52]
	v_fma_f64 v[47:48], v[51:52], v[47:48], -v[53:54]
	v_fma_f64 v[43:44], v[51:52], v[43:44], v[47:48]
	v_add_f64 v[47:48], v[53:54], v[43:44]
	v_add_f64 v[55:56], v[45:46], -v[47:48]
	v_add_f64 v[53:54], v[47:48], -v[53:54]
	;; [unrolled: 1-line block ×5, first 2 shown]
	v_add_f64 v[43:44], v[43:44], v[45:46]
	v_add_f64 v[43:44], v[55:56], v[43:44]
	v_mul_f64 v[43:44], v[49:50], v[43:44]
	v_add_f64 v[45:46], v[51:52], v[43:44]
	v_add_f64 v[47:48], v[45:46], -v[51:52]
	v_ldexp_f64 v[51:52], v[45:46], 1
	v_add_f64 v[43:44], v[43:44], -v[47:48]
	v_mul_f64 v[47:48], v[45:46], v[45:46]
	v_ldexp_f64 v[43:44], v[43:44], 1
	v_fma_f64 v[49:50], v[47:48], s[18:19], v[1:2]
	v_mul_f64 v[45:46], v[45:46], v[47:48]
	v_fma_f64 v[49:50], v[47:48], v[49:50], s[20:21]
	v_fma_f64 v[49:50], v[47:48], v[49:50], s[22:23]
	;; [unrolled: 1-line block ×5, first 2 shown]
	v_mul_f64 v[45:46], v[45:46], v[49:50]
	v_add_f64 v[47:48], v[51:52], v[45:46]
	v_add_f64 v[49:50], v[47:48], -v[51:52]
	v_add_f64 v[45:46], v[45:46], -v[49:50]
	v_add_f64 v[43:44], v[43:44], v[45:46]
	v_add_f64 v[45:46], v[47:48], v[43:44]
	v_add_f64 v[47:48], v[45:46], -v[47:48]
	v_add_f64 v[43:44], v[43:44], -v[47:48]
	v_cvt_f64_i32_e32 v[47:48], v37
	v_mul_f64 v[49:50], v[47:48], s[28:29]
	v_fma_f64 v[51:52], v[47:48], s[28:29], -v[49:50]
	v_fma_f64 v[47:48], v[47:48], s[30:31], v[51:52]
	v_add_f64 v[51:52], v[49:50], v[47:48]
	v_add_f64 v[49:50], v[51:52], -v[49:50]
	v_add_f64 v[47:48], v[47:48], -v[49:50]
	v_add_f64 v[49:50], v[51:52], v[45:46]
	v_add_f64 v[53:54], v[49:50], -v[51:52]
	v_add_f64 v[55:56], v[49:50], -v[53:54]
	;; [unrolled: 1-line block ×4, first 2 shown]
	v_add_f64 v[45:46], v[45:46], v[51:52]
	v_add_f64 v[51:52], v[47:48], v[43:44]
	v_add_f64 v[53:54], v[51:52], -v[47:48]
	v_add_f64 v[45:46], v[51:52], v[45:46]
	v_add_f64 v[55:56], v[51:52], -v[53:54]
	v_add_f64 v[43:44], v[43:44], -v[53:54]
	;; [unrolled: 1-line block ×3, first 2 shown]
	v_add_f64 v[43:44], v[43:44], v[47:48]
	v_add_f64 v[47:48], v[49:50], v[45:46]
	v_add_f64 v[49:50], v[47:48], -v[49:50]
	v_add_f64 v[45:46], v[45:46], -v[49:50]
	v_add_f64 v[43:44], v[43:44], v[45:46]
	v_add_f64 v[45:46], -|v[31:32]|, 1.0
	v_add_f64 v[43:44], v[47:48], v[43:44]
	v_xor_b32_e32 v37, 0x80000000, v44
	v_cndmask_b32_e32 v37, v81, v37, vcc
	s_and_b64 vcc, s[8:9], vcc
	v_cndmask_b32_e64 v44, v80, v37, s[8:9]
	s_mov_b32 s8, 0x3fe76944
	v_cndmask_b32_e32 v43, 0, v43, vcc
	v_cmp_gt_u32_e32 vcc, s8, v42
	s_mov_b32 s8, 0x8d5af8fc
	s_mov_b32 s9, 0xbfdd8b61
	v_add_f64 v[47:48], |v[31:32]|, s[8:9]
	s_mov_b32 s8, 0x3fcda661
	v_cndmask_b32_e32 v37, v45, v47, vcc
	v_cndmask_b32_e32 v41, v46, v48, vcc
	v_cndmask_b32_e64 v47, 0, 1, vcc
	v_cmp_gt_u32_e32 vcc, s8, v42
	v_cndmask_b32_e32 v46, v41, v42, vcc
	v_cndmask_b32_e32 v45, v37, v31, vcc
	v_cndmask_b32_e64 v37, v47, 2, vcc
.LBB8_203:                              ;   in Loop: Header=BB8_145 Depth=1
	s_or_b64 exec, exec, s[76:77]
	v_cmp_lt_i32_e32 vcc, 1, v37
                                        ; implicit-def: $vgpr47_vgpr48
	s_and_saveexec_b64 s[8:9], vcc
	s_xor_b64 s[8:9], exec, s[8:9]
	s_cbranch_execz .LBB8_205
; %bb.204:                              ;   in Loop: Header=BB8_145 Depth=1
	s_mov_b32 s76, 0xbf2bab09
	s_mov_b32 s77, 0x3f8b678b
	v_fma_f64 v[47:48], v[45:46], s[76:77], v[9:10]
	s_mov_b32 s76, 0x57d0cf61
	s_mov_b32 s77, 0x3f6a5abb
	v_fma_f64 v[49:50], v[45:46], s[76:77], v[11:12]
	s_mov_b32 s76, 0x44ea8450
	s_mov_b32 s77, 0x3fef4976
	;; [unrolled: 1-line block ×3, first 2 shown]
                                        ; implicit-def: $vgpr37
	v_fma_f64 v[47:48], v[45:46], v[47:48], s[76:77]
	s_mov_b32 s76, 0xe45050af
	s_mov_b32 s77, 0x3fe89dfb
	v_fma_f64 v[49:50], v[45:46], v[49:50], s[76:77]
	s_mov_b32 s76, 0xd119bd6f
	s_mov_b32 s77, 0x3ff7475c
	;; [unrolled: 3-line block ×5, first 2 shown]
	v_fma_f64 v[49:50], v[45:46], v[49:50], s[76:77]
	v_fma_f64 v[47:48], v[45:46], v[47:48], s[94:95]
	v_fma_f64 v[49:50], v[45:46], v[49:50], 1.0
	v_mul_f64 v[47:48], v[45:46], v[47:48]
	v_div_scale_f64 v[51:52], s[76:77], v[49:50], v[49:50], v[47:48]
	v_div_scale_f64 v[84:85], vcc, v[47:48], v[49:50], v[47:48]
	v_rcp_f64_e32 v[53:54], v[51:52]
	v_fma_f64 v[55:56], -v[51:52], v[53:54], 1.0
	v_fma_f64 v[53:54], v[53:54], v[55:56], v[53:54]
	v_fma_f64 v[55:56], -v[51:52], v[53:54], 1.0
	v_fma_f64 v[53:54], v[53:54], v[55:56], v[53:54]
	v_mul_f64 v[55:56], v[84:85], v[53:54]
	v_fma_f64 v[51:52], -v[51:52], v[55:56], v[84:85]
	v_div_fmas_f64 v[51:52], v[51:52], v[53:54], v[55:56]
	v_div_fixup_f64 v[47:48], v[51:52], v[49:50], v[47:48]
	v_fma_f64 v[47:48], v[45:46], -0.5, v[47:48]
                                        ; implicit-def: $vgpr45_vgpr46
.LBB8_205:                              ;   in Loop: Header=BB8_145 Depth=1
	s_andn2_saveexec_b64 s[8:9], s[8:9]
	s_cbranch_execz .LBB8_211
; %bb.206:                              ;   in Loop: Header=BB8_145 Depth=1
	v_cmp_ne_u32_e32 vcc, 1, v37
                                        ; implicit-def: $vgpr47_vgpr48
	s_and_saveexec_b64 s[76:77], vcc
	s_xor_b64 s[76:77], exec, s[76:77]
	s_cbranch_execz .LBB8_208
; %bb.207:                              ;   in Loop: Header=BB8_145 Depth=1
	v_mul_f64 v[47:48], v[45:46], v[45:46]
	s_mov_b32 s78, 0x90a45837
	s_mov_b32 s79, 0x3f07858e
	v_fma_f64 v[49:50], v[47:48], s[78:79], v[15:16]
	s_mov_b32 s78, 0x428cfa52
	s_mov_b32 s79, 0x3efa7074
	v_fma_f64 v[51:52], v[47:48], s[78:79], v[13:14]
	;; [unrolled: 3-line block ×9, first 2 shown]
	v_fma_f64 v[51:52], v[47:48], v[51:52], s[70:71]
	v_mul_f64 v[47:48], v[47:48], v[49:50]
	v_fma_f64 v[47:48], v[45:46], v[51:52], v[47:48]
	v_fma_f64 v[47:48], v[45:46], -0.5, v[47:48]
                                        ; implicit-def: $vgpr45_vgpr46
.LBB8_208:                              ;   in Loop: Header=BB8_145 Depth=1
	s_andn2_saveexec_b64 s[76:77], s[76:77]
	s_cbranch_execz .LBB8_210
; %bb.209:                              ;   in Loop: Header=BB8_145 Depth=1
	v_mul_f64 v[47:48], v[45:46], v[45:46]
	s_mov_b32 s78, 0xecc38c38
	s_mov_b32 s79, 0xbf347f24
	v_mul_f64 v[49:50], v[45:46], v[47:48]
	v_fma_f64 v[51:52], v[49:50], s[78:79], v[19:20]
	s_mov_b32 s78, 0xe8c2d3f4
	s_mov_b32 s79, 0x3f35fd3e
	v_fma_f64 v[53:54], v[49:50], s[78:79], v[21:22]
	s_mov_b32 s78, 0xb3e914d7
	s_mov_b32 s79, 0xbf6e2eff
	;; [unrolled: 3-line block ×11, first 2 shown]
	v_fma_f64 v[45:46], v[45:46], v[53:54], v[51:52]
	v_fma_f64 v[51:52], v[49:50], v[55:56], s[78:79]
	s_mov_b32 s78, 0xa48a971f
	s_mov_b32 s79, 0xbc50c7ca
	v_fma_f64 v[45:46], v[49:50], -v[45:46], s[78:79]
	s_mov_b32 s78, 0xbcc38a42
	s_mov_b32 s79, 0xbfbf19b9
	v_fma_f64 v[45:46], v[47:48], v[51:52], -v[45:46]
	v_add_f64 v[47:48], v[45:46], s[78:79]
.LBB8_210:                              ;   in Loop: Header=BB8_145 Depth=1
	s_or_b64 exec, exec, s[76:77]
.LBB8_211:                              ;   in Loop: Header=BB8_145 Depth=1
	s_or_b64 exec, exec, s[8:9]
	v_add_f64 v[43:44], v[43:44], v[47:48]
.LBB8_212:                              ;   in Loop: Header=BB8_145 Depth=1
	s_or_b64 exec, exec, s[74:75]
.LBB8_213:                              ;   in Loop: Header=BB8_145 Depth=1
	s_andn2_saveexec_b64 s[72:73], s[72:73]
	s_cbranch_execz .LBB8_215
; %bb.214:                              ;   in Loop: Header=BB8_145 Depth=1
	v_frexp_mant_f64_e64 v[45:46], |v[31:32]|
	s_mov_b32 s17, s61
	v_frexp_exp_i32_f64_e32 v37, v[31:32]
	v_fma_f64 v[43:44], |v[31:32]|, s[92:93], v[23:24]
	v_cmp_neq_f64_e64 s[8:9], 0, v[31:32]
	v_cmp_gt_f64_e32 vcc, s[60:61], v[45:46]
	v_fma_f64 v[43:44], |v[31:32]|, v[43:44], s[34:35]
	v_cndmask_b32_e64 v41, 0, 1, vcc
	v_ldexp_f64 v[45:46], v[45:46], v41
	v_subbrev_co_u32_e32 v37, vcc, 0, v37, vcc
	v_fma_f64 v[43:44], |v[31:32]|, v[43:44], s[36:37]
	v_cmp_neq_f64_e64 vcc, |v[31:32]|, s[62:63]
	v_add_f64 v[49:50], v[45:46], 1.0
	v_add_f64 v[47:48], v[45:46], -1.0
	v_fma_f64 v[43:44], |v[31:32]|, v[43:44], s[38:39]
	v_add_f64 v[51:52], v[49:50], -1.0
	v_add_f64 v[45:46], v[45:46], -v[51:52]
	v_rcp_f64_e32 v[51:52], v[49:50]
	v_fma_f64 v[53:54], -v[49:50], v[51:52], 1.0
	v_fma_f64 v[51:52], v[53:54], v[51:52], v[51:52]
	v_fma_f64 v[53:54], -v[49:50], v[51:52], 1.0
	v_fma_f64 v[51:52], v[53:54], v[51:52], v[51:52]
	v_mul_f64 v[53:54], v[47:48], v[51:52]
	v_mul_f64 v[55:56], v[49:50], v[53:54]
	v_fma_f64 v[49:50], v[53:54], v[49:50], -v[55:56]
	v_fma_f64 v[45:46], v[53:54], v[45:46], v[49:50]
	v_add_f64 v[49:50], v[55:56], v[45:46]
	v_add_f64 v[84:85], v[47:48], -v[49:50]
	v_add_f64 v[55:56], v[49:50], -v[55:56]
	;; [unrolled: 1-line block ×5, first 2 shown]
	v_add_f64 v[45:46], v[45:46], v[47:48]
	v_add_f64 v[45:46], v[84:85], v[45:46]
	v_mul_f64 v[45:46], v[51:52], v[45:46]
	v_add_f64 v[47:48], v[53:54], v[45:46]
	v_add_f64 v[49:50], v[47:48], -v[53:54]
	v_ldexp_f64 v[53:54], v[47:48], 1
	v_add_f64 v[45:46], v[45:46], -v[49:50]
	v_mul_f64 v[49:50], v[47:48], v[47:48]
	v_ldexp_f64 v[45:46], v[45:46], 1
	v_fma_f64 v[51:52], v[49:50], s[18:19], v[1:2]
	v_mul_f64 v[47:48], v[47:48], v[49:50]
	v_fma_f64 v[51:52], v[49:50], v[51:52], s[20:21]
	v_fma_f64 v[51:52], v[49:50], v[51:52], s[22:23]
	;; [unrolled: 1-line block ×5, first 2 shown]
	v_mul_f64 v[47:48], v[47:48], v[51:52]
	v_add_f64 v[49:50], v[53:54], v[47:48]
	v_add_f64 v[51:52], v[49:50], -v[53:54]
	v_add_f64 v[47:48], v[47:48], -v[51:52]
	v_add_f64 v[45:46], v[45:46], v[47:48]
	v_add_f64 v[47:48], v[49:50], v[45:46]
	v_add_f64 v[49:50], v[47:48], -v[49:50]
	v_add_f64 v[45:46], v[45:46], -v[49:50]
	v_cvt_f64_i32_e32 v[49:50], v37
	v_mul_f64 v[51:52], v[49:50], s[28:29]
	v_fma_f64 v[53:54], v[49:50], s[28:29], -v[51:52]
	v_fma_f64 v[49:50], v[49:50], s[30:31], v[53:54]
	v_add_f64 v[53:54], v[51:52], v[49:50]
	v_add_f64 v[51:52], v[53:54], -v[51:52]
	v_add_f64 v[49:50], v[49:50], -v[51:52]
	v_add_f64 v[51:52], v[53:54], v[47:48]
	v_add_f64 v[55:56], v[51:52], -v[53:54]
	v_add_f64 v[84:85], v[51:52], -v[55:56]
	;; [unrolled: 1-line block ×4, first 2 shown]
	v_add_f64 v[47:48], v[47:48], v[53:54]
	v_add_f64 v[53:54], v[49:50], v[45:46]
	v_add_f64 v[55:56], v[53:54], -v[49:50]
	v_add_f64 v[47:48], v[53:54], v[47:48]
	v_add_f64 v[84:85], v[53:54], -v[55:56]
	v_add_f64 v[45:46], v[45:46], -v[55:56]
	;; [unrolled: 1-line block ×3, first 2 shown]
	v_add_f64 v[45:46], v[45:46], v[49:50]
	v_add_f64 v[49:50], v[51:52], v[47:48]
	v_add_f64 v[51:52], v[49:50], -v[51:52]
	v_add_f64 v[47:48], v[47:48], -v[51:52]
	v_add_f64 v[45:46], v[45:46], v[47:48]
	v_add_f64 v[45:46], v[49:50], v[45:46]
	v_xor_b32_e32 v37, 0x80000000, v46
	v_cndmask_b32_e32 v37, v81, v37, vcc
	s_and_b64 vcc, s[8:9], vcc
	v_cndmask_b32_e32 v45, 0, v45, vcc
	v_cndmask_b32_e64 v46, v80, v37, s[8:9]
	v_fma_f64 v[43:44], |v[31:32]|, v[43:44], v[45:46]
.LBB8_215:                              ;   in Loop: Header=BB8_145 Depth=1
	s_or_b64 exec, exec, s[72:73]
	v_cmp_le_f64_e32 vcc, 0, v[31:32]
	s_and_saveexec_b64 s[8:9], vcc
	s_xor_b64 s[72:73], exec, s[8:9]
	s_cbranch_execz .LBB8_217
; %bb.216:                              ;   in Loop: Header=BB8_145 Depth=1
	v_cmp_eq_f64_e32 vcc, 1.0, v[31:32]
	v_cmp_eq_f64_e64 s[8:9], 2.0, v[31:32]
	s_or_b64 s[8:9], vcc, s[8:9]
	v_cndmask_b32_e64 v44, v44, 0, s[8:9]
	v_cndmask_b32_e64 v43, v43, 0, s[8:9]
.LBB8_217:                              ;   in Loop: Header=BB8_145 Depth=1
	s_andn2_saveexec_b64 s[8:9], s[72:73]
	s_cbranch_execz .LBB8_221
; %bb.218:                              ;   in Loop: Header=BB8_145 Depth=1
	v_add_u32_e32 v37, 0xc32fffff, v42
	v_cmp_gt_u32_e32 vcc, s64, v37
	s_and_saveexec_b64 s[72:73], vcc
	s_cbranch_execz .LBB8_220
; %bb.219:                              ;   in Loop: Header=BB8_145 Depth=1
	v_mul_f64 v[45:46], |v[31:32]|, 0.5
	s_mov_b32 s17, s61
	v_fract_f64_e32 v[47:48], v[45:46]
	v_cmp_neq_f64_e64 vcc, |v[45:46]|, s[62:63]
	v_add_f64 v[47:48], v[47:48], v[47:48]
	v_cndmask_b32_e32 v37, 0, v47, vcc
	v_cndmask_b32_e32 v41, 0, v48, vcc
	v_cmp_gt_f64_e64 vcc, |v[31:32]|, 1.0
	v_cndmask_b32_e32 v46, v42, v41, vcc
	v_cndmask_b32_e32 v45, v31, v37, vcc
	v_add_f64 v[47:48], v[45:46], v[45:46]
	v_rndne_f64_e32 v[47:48], v[47:48]
	v_fma_f64 v[45:46], v[47:48], -0.5, v[45:46]
	v_cvt_i32_f64_e32 v37, v[47:48]
	v_and_b32_e32 v41, 1, v37
	v_cmp_eq_u32_e32 vcc, 0, v41
	v_lshlrev_b32_e32 v37, 30, v37
	v_mul_f64 v[47:48], v[45:46], v[45:46]
	v_xor_b32_e32 v37, v37, v32
	v_and_b32_e32 v37, 0x80000000, v37
	v_fma_f64 v[49:50], v[47:48], s[40:41], v[25:26]
	v_mul_f64 v[51:52], v[45:46], v[47:48]
	v_fma_f64 v[49:50], v[47:48], v[49:50], s[42:43]
	v_fma_f64 v[49:50], v[47:48], v[49:50], s[44:45]
	;; [unrolled: 1-line block ×4, first 2 shown]
	v_mul_f64 v[49:50], v[51:52], v[49:50]
	v_fma_f64 v[45:46], v[45:46], s[90:91], v[49:50]
	v_fma_f64 v[49:50], v[47:48], s[46:47], v[27:28]
	v_fma_f64 v[49:50], v[47:48], v[49:50], s[48:49]
	v_fma_f64 v[49:50], v[47:48], v[49:50], s[50:51]
	v_fma_f64 v[49:50], v[47:48], v[49:50], s[52:53]
	v_fma_f64 v[49:50], v[47:48], v[49:50], s[54:55]
	v_fma_f64 v[49:50], v[47:48], v[49:50], s[56:57]
	v_fma_f64 v[47:48], v[47:48], v[49:50], 1.0
	v_cndmask_b32_e32 v41, v47, v45, vcc
	v_cndmask_b32_e32 v45, v48, v46, vcc
	v_cmp_class_f64_e64 vcc, v[31:32], s65
	v_xor_b32_e32 v37, v45, v37
	v_cndmask_b32_e32 v45, 0, v41, vcc
	v_cndmask_b32_e32 v46, v83, v37, vcc
	v_mul_f64 v[45:46], v[31:32], v[45:46]
	v_and_b32_e32 v48, 0x7fffffff, v46
	v_mov_b32_e32 v47, v45
	v_div_scale_f64 v[49:50], s[74:75], v[47:48], v[47:48], s[90:91]
	v_div_scale_f64 v[47:48], vcc, s[90:91], v[47:48], s[90:91]
	v_cmp_class_f64_e64 s[74:75], v[31:32], s85
	v_rcp_f64_e32 v[51:52], v[49:50]
	v_fma_f64 v[53:54], -v[49:50], v[51:52], 1.0
	v_fma_f64 v[51:52], v[51:52], v[53:54], v[51:52]
	v_fma_f64 v[53:54], -v[49:50], v[51:52], 1.0
	v_fma_f64 v[51:52], v[51:52], v[53:54], v[51:52]
	v_mul_f64 v[53:54], v[47:48], v[51:52]
	v_fma_f64 v[47:48], -v[49:50], v[53:54], v[47:48]
	v_div_fmas_f64 v[47:48], v[47:48], v[51:52], v[53:54]
	v_div_fixup_f64 v[45:46], v[47:48], |v[45:46]|, s[90:91]
	v_frexp_mant_f64_e32 v[47:48], v[45:46]
	v_frexp_exp_i32_f64_e32 v37, v[45:46]
	v_cmp_gt_f64_e32 vcc, s[60:61], v[47:48]
	v_cndmask_b32_e64 v41, 0, 1, vcc
	v_ldexp_f64 v[47:48], v[47:48], v41
	v_subbrev_co_u32_e32 v37, vcc, 0, v37, vcc
	v_cmp_class_f64_e64 vcc, v[45:46], s85
	v_add_f64 v[51:52], v[47:48], 1.0
	v_add_f64 v[49:50], v[47:48], -1.0
	v_add_f64 v[53:54], v[51:52], -1.0
	v_add_f64 v[47:48], v[47:48], -v[53:54]
	v_rcp_f64_e32 v[53:54], v[51:52]
	v_fma_f64 v[55:56], -v[51:52], v[53:54], 1.0
	v_fma_f64 v[53:54], v[55:56], v[53:54], v[53:54]
	v_fma_f64 v[55:56], -v[51:52], v[53:54], 1.0
	v_fma_f64 v[53:54], v[55:56], v[53:54], v[53:54]
	v_mul_f64 v[55:56], v[49:50], v[53:54]
	v_mul_f64 v[84:85], v[51:52], v[55:56]
	v_fma_f64 v[51:52], v[55:56], v[51:52], -v[84:85]
	v_fma_f64 v[47:48], v[55:56], v[47:48], v[51:52]
	v_add_f64 v[51:52], v[84:85], v[47:48]
	v_add_f64 v[86:87], v[49:50], -v[51:52]
	v_add_f64 v[84:85], v[51:52], -v[84:85]
	;; [unrolled: 1-line block ×5, first 2 shown]
	v_add_f64 v[47:48], v[47:48], v[49:50]
	v_add_f64 v[47:48], v[86:87], v[47:48]
	v_mul_f64 v[47:48], v[53:54], v[47:48]
	v_add_f64 v[49:50], v[55:56], v[47:48]
	v_add_f64 v[51:52], v[49:50], -v[55:56]
	v_ldexp_f64 v[55:56], v[49:50], 1
	v_add_f64 v[47:48], v[47:48], -v[51:52]
	v_mul_f64 v[51:52], v[49:50], v[49:50]
	v_ldexp_f64 v[47:48], v[47:48], 1
	v_fma_f64 v[53:54], v[51:52], s[18:19], v[1:2]
	v_mul_f64 v[49:50], v[49:50], v[51:52]
	v_fma_f64 v[53:54], v[51:52], v[53:54], s[20:21]
	v_fma_f64 v[53:54], v[51:52], v[53:54], s[22:23]
	;; [unrolled: 1-line block ×5, first 2 shown]
	v_mul_f64 v[49:50], v[49:50], v[53:54]
	v_add_f64 v[51:52], v[55:56], v[49:50]
	v_add_f64 v[53:54], v[51:52], -v[55:56]
	v_add_f64 v[49:50], v[49:50], -v[53:54]
	v_add_f64 v[47:48], v[47:48], v[49:50]
	v_add_f64 v[49:50], v[51:52], v[47:48]
	v_add_f64 v[51:52], v[49:50], -v[51:52]
	v_add_f64 v[47:48], v[47:48], -v[51:52]
	v_cvt_f64_i32_e32 v[51:52], v37
	v_mul_f64 v[53:54], v[51:52], s[28:29]
	v_fma_f64 v[55:56], v[51:52], s[28:29], -v[53:54]
	v_fma_f64 v[51:52], v[51:52], s[30:31], v[55:56]
	v_add_f64 v[55:56], v[53:54], v[51:52]
	v_add_f64 v[53:54], v[55:56], -v[53:54]
	v_add_f64 v[51:52], v[51:52], -v[53:54]
	v_add_f64 v[53:54], v[55:56], v[49:50]
	v_add_f64 v[84:85], v[53:54], -v[55:56]
	v_add_f64 v[86:87], v[53:54], -v[84:85]
	;; [unrolled: 1-line block ×4, first 2 shown]
	v_add_f64 v[49:50], v[49:50], v[55:56]
	v_add_f64 v[55:56], v[51:52], v[47:48]
	v_add_f64 v[84:85], v[55:56], -v[51:52]
	v_add_f64 v[49:50], v[55:56], v[49:50]
	v_add_f64 v[86:87], v[55:56], -v[84:85]
	v_add_f64 v[47:48], v[47:48], -v[84:85]
	;; [unrolled: 1-line block ×3, first 2 shown]
	v_add_f64 v[47:48], v[47:48], v[51:52]
	v_add_f64 v[51:52], v[53:54], v[49:50]
	v_add_f64 v[53:54], v[51:52], -v[53:54]
	v_add_f64 v[49:50], v[49:50], -v[53:54]
	v_add_f64 v[47:48], v[47:48], v[49:50]
	v_add_f64 v[47:48], v[51:52], v[47:48]
	v_cndmask_b32_e32 v37, v47, v45, vcc
	v_cndmask_b32_e32 v41, v48, v46, vcc
	v_cmp_neq_f64_e32 vcc, 0, v[45:46]
	v_cndmask_b32_e32 v46, v81, v41, vcc
	v_cndmask_b32_e32 v45, 0, v37, vcc
	v_add_f64 v[43:44], v[45:46], -v[43:44]
	v_fract_f64_e32 v[45:46], v[31:32]
	v_cmp_eq_f64_e32 vcc, 0, v[45:46]
	s_or_b64 vcc, s[74:75], vcc
	v_cndmask_b32_e32 v44, v44, v80, vcc
	v_cndmask_b32_e64 v43, v43, 0, vcc
.LBB8_220:                              ;   in Loop: Header=BB8_145 Depth=1
	s_or_b64 exec, exec, s[72:73]
.LBB8_221:                              ;   in Loop: Header=BB8_145 Depth=1
	s_or_b64 exec, exec, s[8:9]
	v_and_b32_e32 v46, 0x7fffffff, v34
	v_mov_b32_e32 v45, v33
	v_cmp_lt_u32_e32 vcc, s81, v46
                                        ; implicit-def: $vgpr47_vgpr48
	s_and_saveexec_b64 s[8:9], vcc
	s_xor_b64 s[72:73], exec, s[8:9]
	s_cbranch_execz .LBB8_247
; %bb.222:                              ;   in Loop: Header=BB8_145 Depth=1
	v_cmp_lt_u32_e32 vcc, s82, v46
                                        ; implicit-def: $vgpr47_vgpr48
	s_and_saveexec_b64 s[8:9], vcc
	s_xor_b64 s[74:75], exec, s[8:9]
	s_cbranch_execz .LBB8_232
; %bb.223:                              ;   in Loop: Header=BB8_145 Depth=1
	;; [unrolled: 6-line block ×4, first 2 shown]
	v_frexp_mant_f64_e64 v[47:48], |v[33:34]|
	s_mov_b32 s17, s61
	v_frexp_exp_i32_f64_e32 v37, v[33:34]
	v_cmp_neq_f64_e64 s[8:9], 0, v[33:34]
	v_cmp_gt_f64_e32 vcc, s[60:61], v[47:48]
	v_cndmask_b32_e64 v41, 0, 1, vcc
	v_ldexp_f64 v[47:48], v[47:48], v41
	v_subbrev_co_u32_e32 v37, vcc, 0, v37, vcc
	v_cmp_neq_f64_e64 vcc, |v[33:34]|, s[62:63]
	v_add_f64 v[51:52], v[47:48], 1.0
	v_add_f64 v[49:50], v[47:48], -1.0
	v_add_f64 v[53:54], v[51:52], -1.0
	v_add_f64 v[47:48], v[47:48], -v[53:54]
	v_rcp_f64_e32 v[53:54], v[51:52]
	v_fma_f64 v[55:56], -v[51:52], v[53:54], 1.0
	v_fma_f64 v[53:54], v[55:56], v[53:54], v[53:54]
	v_fma_f64 v[55:56], -v[51:52], v[53:54], 1.0
	v_fma_f64 v[53:54], v[55:56], v[53:54], v[53:54]
	v_mul_f64 v[55:56], v[49:50], v[53:54]
	v_mul_f64 v[84:85], v[51:52], v[55:56]
	v_fma_f64 v[51:52], v[55:56], v[51:52], -v[84:85]
	v_fma_f64 v[47:48], v[55:56], v[47:48], v[51:52]
	v_add_f64 v[51:52], v[84:85], v[47:48]
	v_add_f64 v[86:87], v[49:50], -v[51:52]
	v_add_f64 v[84:85], v[51:52], -v[84:85]
	;; [unrolled: 1-line block ×5, first 2 shown]
	v_add_f64 v[47:48], v[47:48], v[49:50]
	v_add_f64 v[47:48], v[86:87], v[47:48]
	v_mul_f64 v[47:48], v[53:54], v[47:48]
	v_add_f64 v[49:50], v[55:56], v[47:48]
	v_add_f64 v[51:52], v[49:50], -v[55:56]
	v_ldexp_f64 v[55:56], v[49:50], 1
	v_add_f64 v[47:48], v[47:48], -v[51:52]
	v_mul_f64 v[51:52], v[49:50], v[49:50]
	v_ldexp_f64 v[47:48], v[47:48], 1
	v_fma_f64 v[53:54], v[51:52], s[18:19], v[1:2]
	v_mul_f64 v[49:50], v[49:50], v[51:52]
	v_fma_f64 v[53:54], v[51:52], v[53:54], s[20:21]
	v_fma_f64 v[53:54], v[51:52], v[53:54], s[22:23]
	;; [unrolled: 1-line block ×5, first 2 shown]
	v_mul_f64 v[49:50], v[49:50], v[53:54]
	v_add_f64 v[51:52], v[55:56], v[49:50]
	v_add_f64 v[53:54], v[51:52], -v[55:56]
	v_add_f64 v[49:50], v[49:50], -v[53:54]
	v_add_f64 v[47:48], v[47:48], v[49:50]
	v_add_f64 v[49:50], v[51:52], v[47:48]
	v_add_f64 v[51:52], v[49:50], -v[51:52]
	v_add_f64 v[47:48], v[47:48], -v[51:52]
	v_cvt_f64_i32_e32 v[51:52], v37
	v_mul_f64 v[53:54], v[51:52], s[28:29]
	v_fma_f64 v[55:56], v[51:52], s[28:29], -v[53:54]
	v_fma_f64 v[51:52], v[51:52], s[30:31], v[55:56]
	v_add_f64 v[55:56], v[53:54], v[51:52]
	v_add_f64 v[53:54], v[55:56], -v[53:54]
	v_add_f64 v[51:52], v[51:52], -v[53:54]
	v_add_f64 v[53:54], v[55:56], v[49:50]
	v_add_f64 v[84:85], v[53:54], -v[55:56]
	v_add_f64 v[86:87], v[53:54], -v[84:85]
	;; [unrolled: 1-line block ×4, first 2 shown]
	v_add_f64 v[49:50], v[49:50], v[55:56]
	v_add_f64 v[55:56], v[51:52], v[47:48]
	v_add_f64 v[84:85], v[55:56], -v[51:52]
	v_add_f64 v[49:50], v[55:56], v[49:50]
	v_add_f64 v[86:87], v[55:56], -v[84:85]
	v_add_f64 v[47:48], v[47:48], -v[84:85]
	;; [unrolled: 1-line block ×3, first 2 shown]
	v_add_f64 v[47:48], v[47:48], v[51:52]
	v_add_f64 v[51:52], v[53:54], v[49:50]
	v_add_f64 v[53:54], v[51:52], -v[53:54]
	v_add_f64 v[49:50], v[49:50], -v[53:54]
	v_add_f64 v[47:48], v[47:48], v[49:50]
	v_add_f64 v[47:48], v[51:52], v[47:48]
	v_cndmask_b32_e32 v37, v80, v48, vcc
	s_and_b64 vcc, s[8:9], vcc
	v_cndmask_b32_e32 v47, 0, v47, vcc
	v_cndmask_b32_e64 v48, v81, v37, s[8:9]
	v_fma_f64 v[47:48], |v[33:34]|, v[47:48], -|v[33:34]|
.LBB8_226:                              ;   in Loop: Header=BB8_145 Depth=1
	s_andn2_saveexec_b64 s[78:79], s[78:79]
	s_cbranch_execz .LBB8_228
; %bb.227:                              ;   in Loop: Header=BB8_145 Depth=1
	v_mov_b32_e32 v45, v33
	v_div_scale_f64 v[47:48], s[8:9], v[45:46], v[45:46], 1.0
	s_mov_b32 s8, 0xb9e43e4
	s_mov_b32 s9, 0xbf5ab89d
	;; [unrolled: 1-line block ×3, first 2 shown]
	v_frexp_exp_i32_f64_e32 v37, v[33:34]
	v_rcp_f64_e32 v[49:50], v[47:48]
	v_fma_f64 v[51:52], -v[47:48], v[49:50], 1.0
	v_fma_f64 v[49:50], v[49:50], v[51:52], v[49:50]
	v_fma_f64 v[51:52], -v[47:48], v[49:50], 1.0
	v_fma_f64 v[49:50], v[49:50], v[51:52], v[49:50]
	v_div_scale_f64 v[51:52], vcc, 1.0, v[45:46], 1.0
	v_mul_f64 v[53:54], v[51:52], v[49:50]
	v_fma_f64 v[47:48], -v[47:48], v[53:54], v[51:52]
	s_nop 1
	v_div_fmas_f64 v[47:48], v[47:48], v[49:50], v[53:54]
	v_div_fixup_f64 v[47:48], v[47:48], |v[33:34]|, 1.0
	v_mul_f64 v[49:50], v[47:48], v[47:48]
	v_fma_f64 v[51:52], v[49:50], s[8:9], v[3:4]
	s_mov_b32 s8, 0x8c0fe741
	s_mov_b32 s9, 0xbf4380cb
	v_fma_f64 v[51:52], v[49:50], v[51:52], s[8:9]
	s_mov_b32 s8, 0x98cf38b6
	s_mov_b32 s9, 0x3f4a019f
	;; [unrolled: 3-line block ×4, first 2 shown]
	v_fma_f64 v[49:50], v[49:50], v[51:52], s[8:9]
	v_frexp_mant_f64_e64 v[51:52], |v[33:34]|
	s_mov_b32 s8, 0x90c97d69
	s_mov_b32 s9, 0x3fdacfe3
	v_fma_f64 v[47:48], v[47:48], v[49:50], s[8:9]
	v_cmp_gt_f64_e32 vcc, s[60:61], v[51:52]
	v_cmp_neq_f64_e64 s[8:9], 0, v[33:34]
	v_add_f64 v[49:50], |v[33:34]|, -0.5
	v_cndmask_b32_e64 v41, 0, 1, vcc
	v_ldexp_f64 v[51:52], v[51:52], v41
	v_subbrev_co_u32_e32 v37, vcc, 0, v37, vcc
	v_cmp_neq_f64_e64 vcc, |v[33:34]|, s[62:63]
	v_add_f64 v[55:56], v[51:52], 1.0
	v_add_f64 v[53:54], v[51:52], -1.0
	v_add_f64 v[84:85], v[55:56], -1.0
	v_add_f64 v[51:52], v[51:52], -v[84:85]
	v_rcp_f64_e32 v[84:85], v[55:56]
	v_fma_f64 v[86:87], -v[55:56], v[84:85], 1.0
	v_fma_f64 v[84:85], v[86:87], v[84:85], v[84:85]
	v_fma_f64 v[86:87], -v[55:56], v[84:85], 1.0
	v_fma_f64 v[84:85], v[86:87], v[84:85], v[84:85]
	v_mul_f64 v[86:87], v[53:54], v[84:85]
	v_mul_f64 v[88:89], v[55:56], v[86:87]
	v_fma_f64 v[55:56], v[86:87], v[55:56], -v[88:89]
	v_fma_f64 v[51:52], v[86:87], v[51:52], v[55:56]
	v_add_f64 v[55:56], v[88:89], v[51:52]
	v_add_f64 v[90:91], v[53:54], -v[55:56]
	v_add_f64 v[88:89], v[55:56], -v[88:89]
	;; [unrolled: 1-line block ×5, first 2 shown]
	v_add_f64 v[51:52], v[51:52], v[53:54]
	v_add_f64 v[51:52], v[90:91], v[51:52]
	v_mul_f64 v[51:52], v[84:85], v[51:52]
	v_add_f64 v[53:54], v[86:87], v[51:52]
	v_add_f64 v[55:56], v[53:54], -v[86:87]
	v_ldexp_f64 v[86:87], v[53:54], 1
	v_add_f64 v[51:52], v[51:52], -v[55:56]
	v_mul_f64 v[55:56], v[53:54], v[53:54]
	v_ldexp_f64 v[51:52], v[51:52], 1
	v_fma_f64 v[84:85], v[55:56], s[18:19], v[1:2]
	v_mul_f64 v[53:54], v[53:54], v[55:56]
	v_fma_f64 v[84:85], v[55:56], v[84:85], s[20:21]
	v_fma_f64 v[84:85], v[55:56], v[84:85], s[22:23]
	;; [unrolled: 1-line block ×5, first 2 shown]
	v_mul_f64 v[53:54], v[53:54], v[84:85]
	v_add_f64 v[55:56], v[86:87], v[53:54]
	v_add_f64 v[84:85], v[55:56], -v[86:87]
	v_add_f64 v[53:54], v[53:54], -v[84:85]
	v_add_f64 v[51:52], v[51:52], v[53:54]
	v_add_f64 v[53:54], v[55:56], v[51:52]
	v_add_f64 v[55:56], v[53:54], -v[55:56]
	v_add_f64 v[51:52], v[51:52], -v[55:56]
	v_cvt_f64_i32_e32 v[55:56], v37
	v_mul_f64 v[84:85], v[55:56], s[28:29]
	v_fma_f64 v[86:87], v[55:56], s[28:29], -v[84:85]
	v_fma_f64 v[55:56], v[55:56], s[30:31], v[86:87]
	v_add_f64 v[86:87], v[84:85], v[55:56]
	v_add_f64 v[84:85], v[86:87], -v[84:85]
	v_add_f64 v[55:56], v[55:56], -v[84:85]
	v_add_f64 v[84:85], v[86:87], v[53:54]
	v_add_f64 v[88:89], v[84:85], -v[86:87]
	v_add_f64 v[90:91], v[84:85], -v[88:89]
	v_add_f64 v[53:54], v[53:54], -v[88:89]
	v_add_f64 v[86:87], v[86:87], -v[90:91]
	v_add_f64 v[53:54], v[53:54], v[86:87]
	v_add_f64 v[86:87], v[55:56], v[51:52]
	v_add_f64 v[88:89], v[86:87], -v[55:56]
	v_add_f64 v[53:54], v[86:87], v[53:54]
	v_add_f64 v[90:91], v[86:87], -v[88:89]
	v_add_f64 v[51:52], v[51:52], -v[88:89]
	;; [unrolled: 1-line block ×3, first 2 shown]
	v_add_f64 v[51:52], v[51:52], v[55:56]
	v_add_f64 v[55:56], v[84:85], v[53:54]
	v_add_f64 v[84:85], v[55:56], -v[84:85]
	v_add_f64 v[53:54], v[53:54], -v[84:85]
	v_add_f64 v[51:52], v[51:52], v[53:54]
	v_add_f64 v[51:52], v[55:56], v[51:52]
	v_add_f64 v[51:52], v[51:52], -1.0
	v_cndmask_b32_e32 v37, v80, v52, vcc
	s_and_b64 vcc, s[8:9], vcc
	v_cndmask_b32_e32 v51, 0, v51, vcc
	v_cndmask_b32_e64 v52, v81, v37, s[8:9]
	v_fma_f64 v[47:48], v[49:50], v[51:52], v[47:48]
.LBB8_228:                              ;   in Loop: Header=BB8_145 Depth=1
	s_or_b64 exec, exec, s[78:79]
.LBB8_229:                              ;   in Loop: Header=BB8_145 Depth=1
	s_andn2_saveexec_b64 s[8:9], s[76:77]
	s_cbranch_execz .LBB8_231
; %bb.230:                              ;   in Loop: Header=BB8_145 Depth=1
	v_cvt_i32_f64_e32 v37, v[45:46]
	s_mov_b32 s76, 0xdd17e945
	s_mov_b32 s77, 0x3f00bfec
	;; [unrolled: 1-line block ×3, first 2 shown]
	v_cvt_f64_i32_e32 v[47:48], v37
	s_mov_b32 s17, s61
	v_add_f64 v[49:50], |v[33:34]|, -v[47:48]
	v_fma_f64 v[47:48], v[49:50], s[76:77], v[5:6]
	s_mov_b32 s76, 0x7e939961
	s_mov_b32 s77, 0x3f9b481c
	v_fma_f64 v[47:48], v[49:50], v[47:48], s[76:77]
	s_mov_b32 s76, 0xbee5f2f7
	s_mov_b32 s77, 0x3fc2bb9c
	;; [unrolled: 3-line block ×6, first 2 shown]
	v_fma_f64 v[47:48], v[49:50], v[47:48], s[94:95]
	v_fma_f64 v[51:52], v[49:50], v[51:52], s[76:77]
	s_mov_b32 s76, 0xccfbdf27
	s_mov_b32 s77, 0x3fc601ed
	v_mul_f64 v[47:48], v[49:50], v[47:48]
	v_fma_f64 v[51:52], v[49:50], v[51:52], s[76:77]
	s_mov_b32 s76, 0x93d3dcdc
	s_mov_b32 s77, 0x3fe71a18
	v_fma_f64 v[51:52], v[49:50], v[51:52], s[76:77]
	s_mov_b32 s76, 0x62c4ab74
	s_mov_b32 s77, 0x3ff645a7
	v_fma_f64 v[51:52], v[49:50], v[51:52], s[76:77]
	v_fma_f64 v[51:52], v[49:50], v[51:52], 1.0
	v_div_scale_f64 v[53:54], s[76:77], v[51:52], v[51:52], v[47:48]
	s_mov_b32 s76, 0
	s_mov_b32 s77, 0x40080000
	v_rcp_f64_e32 v[55:56], v[53:54]
	v_fma_f64 v[84:85], -v[53:54], v[55:56], 1.0
	v_fma_f64 v[55:56], v[55:56], v[84:85], v[55:56]
	v_fma_f64 v[84:85], -v[53:54], v[55:56], 1.0
	v_fma_f64 v[55:56], v[55:56], v[84:85], v[55:56]
	v_div_scale_f64 v[84:85], vcc, v[47:48], v[51:52], v[47:48]
	v_mul_f64 v[86:87], v[84:85], v[55:56]
	v_fma_f64 v[53:54], -v[53:54], v[86:87], v[84:85]
	s_nop 1
	v_div_fmas_f64 v[53:54], v[53:54], v[55:56], v[86:87]
	v_cmp_lt_i32_e32 vcc, 2, v37
	v_add_f64 v[55:56], v[49:50], 4.0
	v_div_fixup_f64 v[47:48], v[53:54], v[51:52], v[47:48]
	v_add_f64 v[51:52], v[49:50], 2.0
	v_add_f64 v[53:54], v[49:50], s[76:77]
	s_mov_b32 s76, 0
	s_mov_b32 s77, 0x40140000
	v_add_f64 v[84:85], v[49:50], s[76:77]
	v_fma_f64 v[47:48], v[49:50], 0.5, v[47:48]
	v_cndmask_b32_e32 v52, v82, v52, vcc
	v_cndmask_b32_e32 v51, 0, v51, vcc
	v_cmp_lt_i32_e32 vcc, 3, v37
	v_cndmask_b32_e32 v54, v82, v54, vcc
	v_cndmask_b32_e32 v53, 0, v53, vcc
	v_mul_f64 v[51:52], v[51:52], v[53:54]
	v_cmp_lt_i32_e32 vcc, 4, v37
	v_cndmask_b32_e32 v54, v82, v56, vcc
	v_cndmask_b32_e32 v53, 0, v55, vcc
	v_cmp_lt_i32_e32 vcc, 5, v37
	v_add_f64 v[49:50], v[49:50], s[68:69]
	v_mul_f64 v[51:52], v[53:54], v[51:52]
	v_cndmask_b32_e32 v54, v82, v85, vcc
	v_cndmask_b32_e32 v53, 0, v84, vcc
	v_cmp_lt_i32_e32 vcc, 6, v37
	v_cndmask_b32_e32 v50, v82, v50, vcc
	v_cndmask_b32_e32 v49, 0, v49, vcc
	v_mul_f64 v[51:52], v[53:54], v[51:52]
	v_mul_f64 v[49:50], v[49:50], v[51:52]
	v_frexp_mant_f64_e32 v[51:52], v[49:50]
	v_frexp_exp_i32_f64_e32 v37, v[49:50]
	v_cmp_gt_f64_e32 vcc, s[60:61], v[51:52]
	v_cndmask_b32_e64 v41, 0, 1, vcc
	v_ldexp_f64 v[51:52], v[51:52], v41
	v_subbrev_co_u32_e32 v37, vcc, 0, v37, vcc
	v_cmp_class_f64_e64 vcc, v[49:50], s85
	v_add_f64 v[55:56], v[51:52], 1.0
	v_add_f64 v[53:54], v[51:52], -1.0
	v_add_f64 v[84:85], v[55:56], -1.0
	v_add_f64 v[51:52], v[51:52], -v[84:85]
	v_rcp_f64_e32 v[84:85], v[55:56]
	v_fma_f64 v[86:87], -v[55:56], v[84:85], 1.0
	v_fma_f64 v[84:85], v[86:87], v[84:85], v[84:85]
	v_fma_f64 v[86:87], -v[55:56], v[84:85], 1.0
	v_fma_f64 v[84:85], v[86:87], v[84:85], v[84:85]
	v_mul_f64 v[86:87], v[53:54], v[84:85]
	v_mul_f64 v[88:89], v[55:56], v[86:87]
	v_fma_f64 v[55:56], v[86:87], v[55:56], -v[88:89]
	v_fma_f64 v[51:52], v[86:87], v[51:52], v[55:56]
	v_add_f64 v[55:56], v[88:89], v[51:52]
	v_add_f64 v[90:91], v[53:54], -v[55:56]
	v_add_f64 v[88:89], v[55:56], -v[88:89]
	;; [unrolled: 1-line block ×5, first 2 shown]
	v_add_f64 v[51:52], v[51:52], v[53:54]
	v_add_f64 v[51:52], v[90:91], v[51:52]
	v_mul_f64 v[51:52], v[84:85], v[51:52]
	v_add_f64 v[53:54], v[86:87], v[51:52]
	v_add_f64 v[55:56], v[53:54], -v[86:87]
	v_ldexp_f64 v[86:87], v[53:54], 1
	v_add_f64 v[51:52], v[51:52], -v[55:56]
	v_mul_f64 v[55:56], v[53:54], v[53:54]
	v_ldexp_f64 v[51:52], v[51:52], 1
	v_fma_f64 v[84:85], v[55:56], s[18:19], v[1:2]
	v_mul_f64 v[53:54], v[53:54], v[55:56]
	v_fma_f64 v[84:85], v[55:56], v[84:85], s[20:21]
	v_fma_f64 v[84:85], v[55:56], v[84:85], s[22:23]
	;; [unrolled: 1-line block ×5, first 2 shown]
	v_mul_f64 v[53:54], v[53:54], v[84:85]
	v_add_f64 v[55:56], v[86:87], v[53:54]
	v_add_f64 v[84:85], v[55:56], -v[86:87]
	v_add_f64 v[53:54], v[53:54], -v[84:85]
	v_add_f64 v[51:52], v[51:52], v[53:54]
	v_add_f64 v[53:54], v[55:56], v[51:52]
	v_add_f64 v[55:56], v[53:54], -v[55:56]
	v_add_f64 v[51:52], v[51:52], -v[55:56]
	v_cvt_f64_i32_e32 v[55:56], v37
	v_mul_f64 v[84:85], v[55:56], s[28:29]
	v_fma_f64 v[86:87], v[55:56], s[28:29], -v[84:85]
	v_fma_f64 v[55:56], v[55:56], s[30:31], v[86:87]
	v_add_f64 v[86:87], v[84:85], v[55:56]
	v_add_f64 v[84:85], v[86:87], -v[84:85]
	v_add_f64 v[55:56], v[55:56], -v[84:85]
	v_add_f64 v[84:85], v[86:87], v[53:54]
	v_add_f64 v[88:89], v[84:85], -v[86:87]
	v_add_f64 v[90:91], v[84:85], -v[88:89]
	;; [unrolled: 1-line block ×4, first 2 shown]
	v_add_f64 v[53:54], v[53:54], v[86:87]
	v_add_f64 v[86:87], v[55:56], v[51:52]
	v_add_f64 v[88:89], v[86:87], -v[55:56]
	v_add_f64 v[53:54], v[86:87], v[53:54]
	v_add_f64 v[90:91], v[86:87], -v[88:89]
	v_add_f64 v[51:52], v[51:52], -v[88:89]
	;; [unrolled: 1-line block ×3, first 2 shown]
	v_add_f64 v[51:52], v[51:52], v[55:56]
	v_add_f64 v[55:56], v[84:85], v[53:54]
	v_add_f64 v[84:85], v[55:56], -v[84:85]
	v_add_f64 v[53:54], v[53:54], -v[84:85]
	v_add_f64 v[51:52], v[51:52], v[53:54]
	v_add_f64 v[51:52], v[55:56], v[51:52]
	v_cndmask_b32_e32 v37, v51, v49, vcc
	v_cndmask_b32_e32 v41, v52, v50, vcc
	v_cmp_ngt_f64_e32 vcc, 0, v[49:50]
	v_cndmask_b32_e32 v41, v83, v41, vcc
	v_cmp_nge_f64_e32 vcc, 0, v[49:50]
	v_cndmask_b32_e32 v51, 0, v37, vcc
	v_cmp_neq_f64_e32 vcc, 0, v[49:50]
	v_cndmask_b32_e32 v52, v81, v41, vcc
	v_add_f64 v[47:48], v[47:48], v[51:52]
.LBB8_231:                              ;   in Loop: Header=BB8_145 Depth=1
	s_or_b64 exec, exec, s[8:9]
.LBB8_232:                              ;   in Loop: Header=BB8_145 Depth=1
	s_andn2_saveexec_b64 s[74:75], s[74:75]
	s_cbranch_execz .LBB8_246
; %bb.233:                              ;   in Loop: Header=BB8_145 Depth=1
	v_cmp_lt_u32_e32 vcc, s84, v46
                                        ; implicit-def: $vgpr37
                                        ; implicit-def: $vgpr49_vgpr50
	s_and_saveexec_b64 s[8:9], vcc
	s_xor_b64 s[8:9], exec, s[8:9]
	s_cbranch_execz .LBB8_235
; %bb.234:                              ;   in Loop: Header=BB8_145 Depth=1
	s_mov_b32 s76, 0x6356be3f
	s_mov_b32 s77, 0xbff762d8
	v_add_f64 v[47:48], -|v[33:34]|, 2.0
	v_add_f64 v[49:50], |v[33:34]|, s[76:77]
	s_mov_b32 s17, 0x3ffbb4c3
	v_cmp_gt_u32_e32 vcc, s17, v46
	s_mov_b32 s17, 0x3ff3b4c4
	v_cndmask_b32_e64 v45, 0, 1, vcc
	v_cndmask_b32_e32 v37, v47, v49, vcc
	v_cndmask_b32_e32 v41, v48, v50, vcc
	v_add_f64 v[47:48], |v[33:34]|, -1.0
	v_cmp_gt_u32_e32 vcc, s17, v46
	v_cndmask_b32_e32 v50, v41, v48, vcc
	v_cndmask_b32_e32 v49, v37, v47, vcc
	v_cndmask_b32_e64 v37, v45, 2, vcc
.LBB8_235:                              ;   in Loop: Header=BB8_145 Depth=1
	s_or_saveexec_b64 s[76:77], s[8:9]
	v_mov_b32_e32 v47, 0
	v_mov_b32_e32 v48, 0
	s_xor_b64 exec, exec, s[76:77]
	s_cbranch_execz .LBB8_237
; %bb.236:                              ;   in Loop: Header=BB8_145 Depth=1
	v_frexp_mant_f64_e64 v[47:48], |v[33:34]|
	s_mov_b32 s17, s61
	v_frexp_exp_i32_f64_e32 v37, v[33:34]
	v_cmp_neq_f64_e64 s[8:9], 0, v[33:34]
	v_cmp_gt_f64_e32 vcc, s[60:61], v[47:48]
	v_cndmask_b32_e64 v41, 0, 1, vcc
	v_ldexp_f64 v[47:48], v[47:48], v41
	v_subbrev_co_u32_e32 v37, vcc, 0, v37, vcc
	v_cmp_neq_f64_e64 vcc, |v[33:34]|, s[62:63]
	v_add_f64 v[51:52], v[47:48], 1.0
	v_add_f64 v[49:50], v[47:48], -1.0
	v_add_f64 v[53:54], v[51:52], -1.0
	v_add_f64 v[47:48], v[47:48], -v[53:54]
	v_rcp_f64_e32 v[53:54], v[51:52]
	v_fma_f64 v[55:56], -v[51:52], v[53:54], 1.0
	v_fma_f64 v[53:54], v[55:56], v[53:54], v[53:54]
	v_fma_f64 v[55:56], -v[51:52], v[53:54], 1.0
	v_fma_f64 v[53:54], v[55:56], v[53:54], v[53:54]
	v_mul_f64 v[55:56], v[49:50], v[53:54]
	v_mul_f64 v[84:85], v[51:52], v[55:56]
	v_fma_f64 v[51:52], v[55:56], v[51:52], -v[84:85]
	v_fma_f64 v[47:48], v[55:56], v[47:48], v[51:52]
	v_add_f64 v[51:52], v[84:85], v[47:48]
	v_add_f64 v[86:87], v[49:50], -v[51:52]
	v_add_f64 v[84:85], v[51:52], -v[84:85]
	v_add_f64 v[49:50], v[49:50], -v[86:87]
	v_add_f64 v[47:48], v[84:85], -v[47:48]
	v_add_f64 v[49:50], v[49:50], -v[51:52]
	v_add_f64 v[47:48], v[47:48], v[49:50]
	v_add_f64 v[47:48], v[86:87], v[47:48]
	v_mul_f64 v[47:48], v[53:54], v[47:48]
	v_add_f64 v[49:50], v[55:56], v[47:48]
	v_add_f64 v[51:52], v[49:50], -v[55:56]
	v_ldexp_f64 v[55:56], v[49:50], 1
	v_add_f64 v[47:48], v[47:48], -v[51:52]
	v_mul_f64 v[51:52], v[49:50], v[49:50]
	v_ldexp_f64 v[47:48], v[47:48], 1
	v_fma_f64 v[53:54], v[51:52], s[18:19], v[1:2]
	v_mul_f64 v[49:50], v[49:50], v[51:52]
	v_fma_f64 v[53:54], v[51:52], v[53:54], s[20:21]
	v_fma_f64 v[53:54], v[51:52], v[53:54], s[22:23]
	;; [unrolled: 1-line block ×5, first 2 shown]
	v_mul_f64 v[49:50], v[49:50], v[53:54]
	v_add_f64 v[51:52], v[55:56], v[49:50]
	v_add_f64 v[53:54], v[51:52], -v[55:56]
	v_add_f64 v[49:50], v[49:50], -v[53:54]
	v_add_f64 v[47:48], v[47:48], v[49:50]
	v_add_f64 v[49:50], v[51:52], v[47:48]
	v_add_f64 v[51:52], v[49:50], -v[51:52]
	v_add_f64 v[47:48], v[47:48], -v[51:52]
	v_cvt_f64_i32_e32 v[51:52], v37
	v_mul_f64 v[53:54], v[51:52], s[28:29]
	v_fma_f64 v[55:56], v[51:52], s[28:29], -v[53:54]
	v_fma_f64 v[51:52], v[51:52], s[30:31], v[55:56]
	v_add_f64 v[55:56], v[53:54], v[51:52]
	v_add_f64 v[53:54], v[55:56], -v[53:54]
	v_add_f64 v[51:52], v[51:52], -v[53:54]
	v_add_f64 v[53:54], v[55:56], v[49:50]
	v_add_f64 v[84:85], v[53:54], -v[55:56]
	v_add_f64 v[86:87], v[53:54], -v[84:85]
	;; [unrolled: 1-line block ×4, first 2 shown]
	v_add_f64 v[49:50], v[49:50], v[55:56]
	v_add_f64 v[55:56], v[51:52], v[47:48]
	v_add_f64 v[84:85], v[55:56], -v[51:52]
	v_add_f64 v[49:50], v[55:56], v[49:50]
	v_add_f64 v[86:87], v[55:56], -v[84:85]
	v_add_f64 v[47:48], v[47:48], -v[84:85]
	;; [unrolled: 1-line block ×3, first 2 shown]
	v_add_f64 v[47:48], v[47:48], v[51:52]
	v_add_f64 v[51:52], v[53:54], v[49:50]
	v_add_f64 v[53:54], v[51:52], -v[53:54]
	v_add_f64 v[49:50], v[49:50], -v[53:54]
	v_add_f64 v[47:48], v[47:48], v[49:50]
	v_add_f64 v[49:50], -|v[33:34]|, 1.0
	v_add_f64 v[47:48], v[51:52], v[47:48]
	v_xor_b32_e32 v37, 0x80000000, v48
	v_cndmask_b32_e32 v37, v81, v37, vcc
	s_and_b64 vcc, s[8:9], vcc
	v_cndmask_b32_e64 v48, v80, v37, s[8:9]
	s_mov_b32 s8, 0x3fe76944
	v_cndmask_b32_e32 v47, 0, v47, vcc
	v_cmp_gt_u32_e32 vcc, s8, v46
	s_mov_b32 s8, 0x8d5af8fc
	s_mov_b32 s9, 0xbfdd8b61
	v_add_f64 v[51:52], |v[33:34]|, s[8:9]
	s_mov_b32 s8, 0x3fcda661
	v_cndmask_b32_e64 v45, 0, 1, vcc
	v_cndmask_b32_e32 v37, v49, v51, vcc
	v_cndmask_b32_e32 v41, v50, v52, vcc
	v_cmp_gt_u32_e32 vcc, s8, v46
	v_cndmask_b32_e32 v50, v41, v46, vcc
	v_cndmask_b32_e32 v49, v37, v33, vcc
	v_cndmask_b32_e64 v37, v45, 2, vcc
.LBB8_237:                              ;   in Loop: Header=BB8_145 Depth=1
	s_or_b64 exec, exec, s[76:77]
	v_cmp_lt_i32_e32 vcc, 1, v37
                                        ; implicit-def: $vgpr51_vgpr52
	s_and_saveexec_b64 s[8:9], vcc
	s_xor_b64 s[8:9], exec, s[8:9]
	s_cbranch_execz .LBB8_239
; %bb.238:                              ;   in Loop: Header=BB8_145 Depth=1
	s_mov_b32 s76, 0xbf2bab09
	s_mov_b32 s77, 0x3f8b678b
	v_fma_f64 v[51:52], v[49:50], s[76:77], v[9:10]
	s_mov_b32 s76, 0x57d0cf61
	s_mov_b32 s77, 0x3f6a5abb
	v_fma_f64 v[53:54], v[49:50], s[76:77], v[11:12]
	s_mov_b32 s76, 0x44ea8450
	s_mov_b32 s77, 0x3fef4976
	;; [unrolled: 1-line block ×3, first 2 shown]
                                        ; implicit-def: $vgpr37
	v_fma_f64 v[51:52], v[49:50], v[51:52], s[76:77]
	s_mov_b32 s76, 0xe45050af
	s_mov_b32 s77, 0x3fe89dfb
	v_fma_f64 v[53:54], v[49:50], v[53:54], s[76:77]
	s_mov_b32 s76, 0xd119bd6f
	s_mov_b32 s77, 0x3ff7475c
	v_fma_f64 v[51:52], v[49:50], v[51:52], s[76:77]
	s_mov_b32 s76, 0xa42b18f5
	s_mov_b32 s77, 0x40010725
	v_fma_f64 v[53:54], v[49:50], v[53:54], s[76:77]
	s_mov_b32 s76, 0x8b005dff
	s_mov_b32 s77, 0x3fe4401e
	v_fma_f64 v[51:52], v[49:50], v[51:52], s[76:77]
	s_mov_b32 s76, 0xc2bd619c
	s_mov_b32 s77, 0x4003a5d7
	v_fma_f64 v[53:54], v[49:50], v[53:54], s[76:77]
	v_fma_f64 v[51:52], v[49:50], v[51:52], s[94:95]
	v_fma_f64 v[53:54], v[49:50], v[53:54], 1.0
	v_mul_f64 v[51:52], v[49:50], v[51:52]
	v_div_scale_f64 v[55:56], s[76:77], v[53:54], v[53:54], v[51:52]
	v_div_scale_f64 v[88:89], vcc, v[51:52], v[53:54], v[51:52]
	v_rcp_f64_e32 v[84:85], v[55:56]
	v_fma_f64 v[86:87], -v[55:56], v[84:85], 1.0
	v_fma_f64 v[84:85], v[84:85], v[86:87], v[84:85]
	v_fma_f64 v[86:87], -v[55:56], v[84:85], 1.0
	v_fma_f64 v[84:85], v[84:85], v[86:87], v[84:85]
	v_mul_f64 v[86:87], v[88:89], v[84:85]
	v_fma_f64 v[55:56], -v[55:56], v[86:87], v[88:89]
	v_div_fmas_f64 v[55:56], v[55:56], v[84:85], v[86:87]
	v_div_fixup_f64 v[51:52], v[55:56], v[53:54], v[51:52]
	v_fma_f64 v[51:52], v[49:50], -0.5, v[51:52]
                                        ; implicit-def: $vgpr49_vgpr50
.LBB8_239:                              ;   in Loop: Header=BB8_145 Depth=1
	s_andn2_saveexec_b64 s[8:9], s[8:9]
	s_cbranch_execz .LBB8_245
; %bb.240:                              ;   in Loop: Header=BB8_145 Depth=1
	v_cmp_ne_u32_e32 vcc, 1, v37
                                        ; implicit-def: $vgpr51_vgpr52
	s_and_saveexec_b64 s[76:77], vcc
	s_xor_b64 s[76:77], exec, s[76:77]
	s_cbranch_execz .LBB8_242
; %bb.241:                              ;   in Loop: Header=BB8_145 Depth=1
	v_mul_f64 v[51:52], v[49:50], v[49:50]
	s_mov_b32 s78, 0x90a45837
	s_mov_b32 s79, 0x3f07858e
	v_fma_f64 v[53:54], v[51:52], s[78:79], v[15:16]
	s_mov_b32 s78, 0x428cfa52
	s_mov_b32 s79, 0x3efa7074
	v_fma_f64 v[55:56], v[51:52], s[78:79], v[13:14]
	;; [unrolled: 3-line block ×9, first 2 shown]
	v_fma_f64 v[55:56], v[51:52], v[55:56], s[70:71]
	v_mul_f64 v[51:52], v[51:52], v[53:54]
	v_fma_f64 v[51:52], v[49:50], v[55:56], v[51:52]
	v_fma_f64 v[51:52], v[49:50], -0.5, v[51:52]
                                        ; implicit-def: $vgpr49_vgpr50
.LBB8_242:                              ;   in Loop: Header=BB8_145 Depth=1
	s_andn2_saveexec_b64 s[76:77], s[76:77]
	s_cbranch_execz .LBB8_244
; %bb.243:                              ;   in Loop: Header=BB8_145 Depth=1
	v_mul_f64 v[51:52], v[49:50], v[49:50]
	s_mov_b32 s78, 0xecc38c38
	s_mov_b32 s79, 0xbf347f24
	v_mul_f64 v[53:54], v[49:50], v[51:52]
	v_fma_f64 v[55:56], v[53:54], s[78:79], v[19:20]
	s_mov_b32 s78, 0xe8c2d3f4
	s_mov_b32 s79, 0x3f35fd3e
	v_fma_f64 v[84:85], v[53:54], s[78:79], v[21:22]
	s_mov_b32 s78, 0xb3e914d7
	s_mov_b32 s79, 0xbf6e2eff
	;; [unrolled: 3-line block ×11, first 2 shown]
	v_fma_f64 v[49:50], v[49:50], v[84:85], v[55:56]
	v_fma_f64 v[55:56], v[53:54], v[86:87], s[78:79]
	s_mov_b32 s78, 0xa48a971f
	s_mov_b32 s79, 0xbc50c7ca
	v_fma_f64 v[49:50], v[53:54], -v[49:50], s[78:79]
	s_mov_b32 s78, 0xbcc38a42
	s_mov_b32 s79, 0xbfbf19b9
	v_fma_f64 v[49:50], v[51:52], v[55:56], -v[49:50]
	v_add_f64 v[51:52], v[49:50], s[78:79]
.LBB8_244:                              ;   in Loop: Header=BB8_145 Depth=1
	s_or_b64 exec, exec, s[76:77]
.LBB8_245:                              ;   in Loop: Header=BB8_145 Depth=1
	s_or_b64 exec, exec, s[8:9]
	v_add_f64 v[47:48], v[47:48], v[51:52]
.LBB8_246:                              ;   in Loop: Header=BB8_145 Depth=1
	s_or_b64 exec, exec, s[74:75]
.LBB8_247:                              ;   in Loop: Header=BB8_145 Depth=1
	s_andn2_saveexec_b64 s[72:73], s[72:73]
	s_cbranch_execz .LBB8_249
; %bb.248:                              ;   in Loop: Header=BB8_145 Depth=1
	v_frexp_mant_f64_e64 v[49:50], |v[33:34]|
	s_mov_b32 s17, s61
	v_frexp_exp_i32_f64_e32 v37, v[33:34]
	v_fma_f64 v[47:48], |v[33:34]|, s[92:93], v[23:24]
	v_cmp_neq_f64_e64 s[8:9], 0, v[33:34]
	v_cmp_gt_f64_e32 vcc, s[60:61], v[49:50]
	v_fma_f64 v[47:48], |v[33:34]|, v[47:48], s[34:35]
	v_cndmask_b32_e64 v41, 0, 1, vcc
	v_ldexp_f64 v[49:50], v[49:50], v41
	v_subbrev_co_u32_e32 v37, vcc, 0, v37, vcc
	v_fma_f64 v[47:48], |v[33:34]|, v[47:48], s[36:37]
	v_cmp_neq_f64_e64 vcc, |v[33:34]|, s[62:63]
	v_add_f64 v[53:54], v[49:50], 1.0
	v_add_f64 v[51:52], v[49:50], -1.0
	v_fma_f64 v[47:48], |v[33:34]|, v[47:48], s[38:39]
	v_add_f64 v[55:56], v[53:54], -1.0
	v_add_f64 v[49:50], v[49:50], -v[55:56]
	v_rcp_f64_e32 v[55:56], v[53:54]
	v_fma_f64 v[84:85], -v[53:54], v[55:56], 1.0
	v_fma_f64 v[55:56], v[84:85], v[55:56], v[55:56]
	v_fma_f64 v[84:85], -v[53:54], v[55:56], 1.0
	v_fma_f64 v[55:56], v[84:85], v[55:56], v[55:56]
	v_mul_f64 v[84:85], v[51:52], v[55:56]
	v_mul_f64 v[86:87], v[53:54], v[84:85]
	v_fma_f64 v[53:54], v[84:85], v[53:54], -v[86:87]
	v_fma_f64 v[49:50], v[84:85], v[49:50], v[53:54]
	v_add_f64 v[53:54], v[86:87], v[49:50]
	v_add_f64 v[88:89], v[51:52], -v[53:54]
	v_add_f64 v[86:87], v[53:54], -v[86:87]
	;; [unrolled: 1-line block ×5, first 2 shown]
	v_add_f64 v[49:50], v[49:50], v[51:52]
	v_add_f64 v[49:50], v[88:89], v[49:50]
	v_mul_f64 v[49:50], v[55:56], v[49:50]
	v_add_f64 v[51:52], v[84:85], v[49:50]
	v_add_f64 v[53:54], v[51:52], -v[84:85]
	v_ldexp_f64 v[84:85], v[51:52], 1
	v_add_f64 v[49:50], v[49:50], -v[53:54]
	v_mul_f64 v[53:54], v[51:52], v[51:52]
	v_ldexp_f64 v[49:50], v[49:50], 1
	v_fma_f64 v[55:56], v[53:54], s[18:19], v[1:2]
	v_mul_f64 v[51:52], v[51:52], v[53:54]
	v_fma_f64 v[55:56], v[53:54], v[55:56], s[20:21]
	v_fma_f64 v[55:56], v[53:54], v[55:56], s[22:23]
	;; [unrolled: 1-line block ×5, first 2 shown]
	v_mul_f64 v[51:52], v[51:52], v[55:56]
	v_add_f64 v[53:54], v[84:85], v[51:52]
	v_add_f64 v[55:56], v[53:54], -v[84:85]
	v_add_f64 v[51:52], v[51:52], -v[55:56]
	v_add_f64 v[49:50], v[49:50], v[51:52]
	v_add_f64 v[51:52], v[53:54], v[49:50]
	v_add_f64 v[53:54], v[51:52], -v[53:54]
	v_add_f64 v[49:50], v[49:50], -v[53:54]
	v_cvt_f64_i32_e32 v[53:54], v37
	v_mul_f64 v[55:56], v[53:54], s[28:29]
	v_fma_f64 v[84:85], v[53:54], s[28:29], -v[55:56]
	v_fma_f64 v[53:54], v[53:54], s[30:31], v[84:85]
	v_add_f64 v[84:85], v[55:56], v[53:54]
	v_add_f64 v[55:56], v[84:85], -v[55:56]
	v_add_f64 v[53:54], v[53:54], -v[55:56]
	v_add_f64 v[55:56], v[84:85], v[51:52]
	v_add_f64 v[86:87], v[55:56], -v[84:85]
	v_add_f64 v[88:89], v[55:56], -v[86:87]
	;; [unrolled: 1-line block ×4, first 2 shown]
	v_add_f64 v[51:52], v[51:52], v[84:85]
	v_add_f64 v[84:85], v[53:54], v[49:50]
	v_add_f64 v[86:87], v[84:85], -v[53:54]
	v_add_f64 v[51:52], v[84:85], v[51:52]
	v_add_f64 v[88:89], v[84:85], -v[86:87]
	v_add_f64 v[49:50], v[49:50], -v[86:87]
	;; [unrolled: 1-line block ×3, first 2 shown]
	v_add_f64 v[49:50], v[49:50], v[53:54]
	v_add_f64 v[53:54], v[55:56], v[51:52]
	v_add_f64 v[55:56], v[53:54], -v[55:56]
	v_add_f64 v[51:52], v[51:52], -v[55:56]
	v_add_f64 v[49:50], v[49:50], v[51:52]
	v_add_f64 v[49:50], v[53:54], v[49:50]
	v_xor_b32_e32 v37, 0x80000000, v50
	v_cndmask_b32_e32 v37, v81, v37, vcc
	s_and_b64 vcc, s[8:9], vcc
	v_cndmask_b32_e32 v49, 0, v49, vcc
	v_cndmask_b32_e64 v50, v80, v37, s[8:9]
	v_fma_f64 v[47:48], |v[33:34]|, v[47:48], v[49:50]
.LBB8_249:                              ;   in Loop: Header=BB8_145 Depth=1
	s_or_b64 exec, exec, s[72:73]
	v_cmp_le_f64_e32 vcc, 0, v[33:34]
	s_and_saveexec_b64 s[8:9], vcc
	s_xor_b64 s[72:73], exec, s[8:9]
	s_cbranch_execz .LBB8_251
; %bb.250:                              ;   in Loop: Header=BB8_145 Depth=1
	v_cmp_eq_f64_e32 vcc, 1.0, v[33:34]
	v_cmp_eq_f64_e64 s[8:9], 2.0, v[33:34]
	s_or_b64 s[8:9], vcc, s[8:9]
	v_cndmask_b32_e64 v48, v48, 0, s[8:9]
	v_cndmask_b32_e64 v47, v47, 0, s[8:9]
.LBB8_251:                              ;   in Loop: Header=BB8_145 Depth=1
	s_andn2_saveexec_b64 s[8:9], s[72:73]
	s_cbranch_execz .LBB8_255
; %bb.252:                              ;   in Loop: Header=BB8_145 Depth=1
	v_add_u32_e32 v37, 0xc32fffff, v46
	v_cmp_gt_u32_e32 vcc, s64, v37
	s_and_saveexec_b64 s[72:73], vcc
	s_cbranch_execz .LBB8_254
; %bb.253:                              ;   in Loop: Header=BB8_145 Depth=1
	v_mul_f64 v[49:50], |v[33:34]|, 0.5
	s_mov_b32 s17, s61
	v_fract_f64_e32 v[51:52], v[49:50]
	v_cmp_neq_f64_e64 vcc, |v[49:50]|, s[62:63]
	v_add_f64 v[51:52], v[51:52], v[51:52]
	v_cndmask_b32_e32 v37, 0, v51, vcc
	v_cndmask_b32_e32 v41, 0, v52, vcc
	v_cmp_gt_f64_e64 vcc, |v[33:34]|, 1.0
	v_cndmask_b32_e32 v50, v46, v41, vcc
	v_cndmask_b32_e32 v49, v33, v37, vcc
	v_add_f64 v[51:52], v[49:50], v[49:50]
	v_rndne_f64_e32 v[51:52], v[51:52]
	v_fma_f64 v[49:50], v[51:52], -0.5, v[49:50]
	v_cvt_i32_f64_e32 v37, v[51:52]
	v_and_b32_e32 v41, 1, v37
	v_cmp_eq_u32_e32 vcc, 0, v41
	v_lshlrev_b32_e32 v37, 30, v37
	v_mul_f64 v[51:52], v[49:50], v[49:50]
	v_xor_b32_e32 v37, v37, v34
	v_and_b32_e32 v37, 0x80000000, v37
	v_fma_f64 v[53:54], v[51:52], s[40:41], v[25:26]
	v_mul_f64 v[55:56], v[49:50], v[51:52]
	v_fma_f64 v[53:54], v[51:52], v[53:54], s[42:43]
	v_fma_f64 v[53:54], v[51:52], v[53:54], s[44:45]
	;; [unrolled: 1-line block ×4, first 2 shown]
	v_mul_f64 v[53:54], v[55:56], v[53:54]
	v_fma_f64 v[49:50], v[49:50], s[90:91], v[53:54]
	v_fma_f64 v[53:54], v[51:52], s[46:47], v[27:28]
	;; [unrolled: 1-line block ×7, first 2 shown]
	v_fma_f64 v[51:52], v[51:52], v[53:54], 1.0
	v_cndmask_b32_e32 v41, v51, v49, vcc
	v_cndmask_b32_e32 v45, v52, v50, vcc
	v_cmp_class_f64_e64 vcc, v[33:34], s65
	v_xor_b32_e32 v37, v45, v37
	v_cndmask_b32_e32 v49, 0, v41, vcc
	v_cndmask_b32_e32 v50, v83, v37, vcc
	v_mul_f64 v[49:50], v[33:34], v[49:50]
	v_and_b32_e32 v52, 0x7fffffff, v50
	v_mov_b32_e32 v51, v49
	v_div_scale_f64 v[53:54], s[74:75], v[51:52], v[51:52], s[90:91]
	v_div_scale_f64 v[51:52], vcc, s[90:91], v[51:52], s[90:91]
	v_cmp_class_f64_e64 s[74:75], v[33:34], s85
	v_rcp_f64_e32 v[55:56], v[53:54]
	v_fma_f64 v[84:85], -v[53:54], v[55:56], 1.0
	v_fma_f64 v[55:56], v[55:56], v[84:85], v[55:56]
	v_fma_f64 v[84:85], -v[53:54], v[55:56], 1.0
	v_fma_f64 v[55:56], v[55:56], v[84:85], v[55:56]
	v_mul_f64 v[84:85], v[51:52], v[55:56]
	v_fma_f64 v[51:52], -v[53:54], v[84:85], v[51:52]
	v_div_fmas_f64 v[51:52], v[51:52], v[55:56], v[84:85]
	v_div_fixup_f64 v[49:50], v[51:52], |v[49:50]|, s[90:91]
	v_frexp_mant_f64_e32 v[51:52], v[49:50]
	v_frexp_exp_i32_f64_e32 v37, v[49:50]
	v_cmp_gt_f64_e32 vcc, s[60:61], v[51:52]
	v_cndmask_b32_e64 v41, 0, 1, vcc
	v_ldexp_f64 v[51:52], v[51:52], v41
	v_subbrev_co_u32_e32 v37, vcc, 0, v37, vcc
	v_cmp_class_f64_e64 vcc, v[49:50], s85
	v_add_f64 v[55:56], v[51:52], 1.0
	v_add_f64 v[53:54], v[51:52], -1.0
	v_add_f64 v[84:85], v[55:56], -1.0
	v_add_f64 v[51:52], v[51:52], -v[84:85]
	v_rcp_f64_e32 v[84:85], v[55:56]
	v_fma_f64 v[86:87], -v[55:56], v[84:85], 1.0
	v_fma_f64 v[84:85], v[86:87], v[84:85], v[84:85]
	v_fma_f64 v[86:87], -v[55:56], v[84:85], 1.0
	v_fma_f64 v[84:85], v[86:87], v[84:85], v[84:85]
	v_mul_f64 v[86:87], v[53:54], v[84:85]
	v_mul_f64 v[88:89], v[55:56], v[86:87]
	v_fma_f64 v[55:56], v[86:87], v[55:56], -v[88:89]
	v_fma_f64 v[51:52], v[86:87], v[51:52], v[55:56]
	v_add_f64 v[55:56], v[88:89], v[51:52]
	v_add_f64 v[90:91], v[53:54], -v[55:56]
	v_add_f64 v[88:89], v[55:56], -v[88:89]
	;; [unrolled: 1-line block ×5, first 2 shown]
	v_add_f64 v[51:52], v[51:52], v[53:54]
	v_add_f64 v[51:52], v[90:91], v[51:52]
	v_mul_f64 v[51:52], v[84:85], v[51:52]
	v_add_f64 v[53:54], v[86:87], v[51:52]
	v_add_f64 v[55:56], v[53:54], -v[86:87]
	v_ldexp_f64 v[86:87], v[53:54], 1
	v_add_f64 v[51:52], v[51:52], -v[55:56]
	v_mul_f64 v[55:56], v[53:54], v[53:54]
	v_ldexp_f64 v[51:52], v[51:52], 1
	v_fma_f64 v[84:85], v[55:56], s[18:19], v[1:2]
	v_mul_f64 v[53:54], v[53:54], v[55:56]
	v_fma_f64 v[84:85], v[55:56], v[84:85], s[20:21]
	v_fma_f64 v[84:85], v[55:56], v[84:85], s[22:23]
	;; [unrolled: 1-line block ×5, first 2 shown]
	v_mul_f64 v[53:54], v[53:54], v[84:85]
	v_add_f64 v[55:56], v[86:87], v[53:54]
	v_add_f64 v[84:85], v[55:56], -v[86:87]
	v_add_f64 v[53:54], v[53:54], -v[84:85]
	v_add_f64 v[51:52], v[51:52], v[53:54]
	v_add_f64 v[53:54], v[55:56], v[51:52]
	v_add_f64 v[55:56], v[53:54], -v[55:56]
	v_add_f64 v[51:52], v[51:52], -v[55:56]
	v_cvt_f64_i32_e32 v[55:56], v37
	v_mul_f64 v[84:85], v[55:56], s[28:29]
	v_fma_f64 v[86:87], v[55:56], s[28:29], -v[84:85]
	v_fma_f64 v[55:56], v[55:56], s[30:31], v[86:87]
	v_add_f64 v[86:87], v[84:85], v[55:56]
	v_add_f64 v[84:85], v[86:87], -v[84:85]
	v_add_f64 v[55:56], v[55:56], -v[84:85]
	v_add_f64 v[84:85], v[86:87], v[53:54]
	v_add_f64 v[88:89], v[84:85], -v[86:87]
	v_add_f64 v[90:91], v[84:85], -v[88:89]
	;; [unrolled: 1-line block ×4, first 2 shown]
	v_add_f64 v[53:54], v[53:54], v[86:87]
	v_add_f64 v[86:87], v[55:56], v[51:52]
	v_add_f64 v[88:89], v[86:87], -v[55:56]
	v_add_f64 v[53:54], v[86:87], v[53:54]
	v_add_f64 v[90:91], v[86:87], -v[88:89]
	v_add_f64 v[51:52], v[51:52], -v[88:89]
	;; [unrolled: 1-line block ×3, first 2 shown]
	v_add_f64 v[51:52], v[51:52], v[55:56]
	v_add_f64 v[55:56], v[84:85], v[53:54]
	v_add_f64 v[84:85], v[55:56], -v[84:85]
	v_add_f64 v[53:54], v[53:54], -v[84:85]
	v_add_f64 v[51:52], v[51:52], v[53:54]
	v_add_f64 v[51:52], v[55:56], v[51:52]
	v_cndmask_b32_e32 v37, v51, v49, vcc
	v_cndmask_b32_e32 v41, v52, v50, vcc
	v_cmp_neq_f64_e32 vcc, 0, v[49:50]
	v_cndmask_b32_e32 v50, v81, v41, vcc
	v_cndmask_b32_e32 v49, 0, v37, vcc
	v_add_f64 v[47:48], v[49:50], -v[47:48]
	v_fract_f64_e32 v[49:50], v[33:34]
	v_cmp_eq_f64_e32 vcc, 0, v[49:50]
	s_or_b64 vcc, s[74:75], vcc
	v_cndmask_b32_e32 v48, v48, v80, vcc
	v_cndmask_b32_e64 v47, v47, 0, vcc
.LBB8_254:                              ;   in Loop: Header=BB8_145 Depth=1
	s_or_b64 exec, exec, s[72:73]
.LBB8_255:                              ;   in Loop: Header=BB8_145 Depth=1
	s_or_b64 exec, exec, s[8:9]
	v_and_b32_e32 v50, 0x7fffffff, v30
	v_mov_b32_e32 v49, v29
	v_cmp_lt_u32_e32 vcc, s81, v50
                                        ; implicit-def: $vgpr51_vgpr52
	s_and_saveexec_b64 s[8:9], vcc
	s_xor_b64 s[72:73], exec, s[8:9]
	s_cbranch_execz .LBB8_281
; %bb.256:                              ;   in Loop: Header=BB8_145 Depth=1
	v_cmp_lt_u32_e32 vcc, s82, v50
                                        ; implicit-def: $vgpr51_vgpr52
	s_and_saveexec_b64 s[8:9], vcc
	s_xor_b64 s[74:75], exec, s[8:9]
	s_cbranch_execz .LBB8_266
; %bb.257:                              ;   in Loop: Header=BB8_145 Depth=1
	;; [unrolled: 6-line block ×4, first 2 shown]
	v_frexp_mant_f64_e64 v[51:52], |v[29:30]|
	s_mov_b32 s17, s61
	v_frexp_exp_i32_f64_e32 v37, v[29:30]
	v_cmp_neq_f64_e64 s[8:9], 0, v[29:30]
	v_cmp_gt_f64_e32 vcc, s[60:61], v[51:52]
	v_cndmask_b32_e64 v41, 0, 1, vcc
	v_ldexp_f64 v[51:52], v[51:52], v41
	v_subbrev_co_u32_e32 v37, vcc, 0, v37, vcc
	v_cmp_neq_f64_e64 vcc, |v[29:30]|, s[62:63]
	v_add_f64 v[55:56], v[51:52], 1.0
	v_add_f64 v[53:54], v[51:52], -1.0
	v_add_f64 v[84:85], v[55:56], -1.0
	v_add_f64 v[51:52], v[51:52], -v[84:85]
	v_rcp_f64_e32 v[84:85], v[55:56]
	v_fma_f64 v[86:87], -v[55:56], v[84:85], 1.0
	v_fma_f64 v[84:85], v[86:87], v[84:85], v[84:85]
	v_fma_f64 v[86:87], -v[55:56], v[84:85], 1.0
	v_fma_f64 v[84:85], v[86:87], v[84:85], v[84:85]
	v_mul_f64 v[86:87], v[53:54], v[84:85]
	v_mul_f64 v[88:89], v[55:56], v[86:87]
	v_fma_f64 v[55:56], v[86:87], v[55:56], -v[88:89]
	v_fma_f64 v[51:52], v[86:87], v[51:52], v[55:56]
	v_add_f64 v[55:56], v[88:89], v[51:52]
	v_add_f64 v[90:91], v[53:54], -v[55:56]
	v_add_f64 v[88:89], v[55:56], -v[88:89]
	;; [unrolled: 1-line block ×5, first 2 shown]
	v_add_f64 v[51:52], v[51:52], v[53:54]
	v_add_f64 v[51:52], v[90:91], v[51:52]
	v_mul_f64 v[51:52], v[84:85], v[51:52]
	v_add_f64 v[53:54], v[86:87], v[51:52]
	v_add_f64 v[55:56], v[53:54], -v[86:87]
	v_ldexp_f64 v[86:87], v[53:54], 1
	v_add_f64 v[51:52], v[51:52], -v[55:56]
	v_mul_f64 v[55:56], v[53:54], v[53:54]
	v_ldexp_f64 v[51:52], v[51:52], 1
	v_fma_f64 v[84:85], v[55:56], s[18:19], v[1:2]
	v_mul_f64 v[53:54], v[53:54], v[55:56]
	v_fma_f64 v[84:85], v[55:56], v[84:85], s[20:21]
	v_fma_f64 v[84:85], v[55:56], v[84:85], s[22:23]
	;; [unrolled: 1-line block ×5, first 2 shown]
	v_mul_f64 v[53:54], v[53:54], v[84:85]
	v_add_f64 v[55:56], v[86:87], v[53:54]
	v_add_f64 v[84:85], v[55:56], -v[86:87]
	v_add_f64 v[53:54], v[53:54], -v[84:85]
	v_add_f64 v[51:52], v[51:52], v[53:54]
	v_add_f64 v[53:54], v[55:56], v[51:52]
	v_add_f64 v[55:56], v[53:54], -v[55:56]
	v_add_f64 v[51:52], v[51:52], -v[55:56]
	v_cvt_f64_i32_e32 v[55:56], v37
	v_mul_f64 v[84:85], v[55:56], s[28:29]
	v_fma_f64 v[86:87], v[55:56], s[28:29], -v[84:85]
	v_fma_f64 v[55:56], v[55:56], s[30:31], v[86:87]
	v_add_f64 v[86:87], v[84:85], v[55:56]
	v_add_f64 v[84:85], v[86:87], -v[84:85]
	v_add_f64 v[55:56], v[55:56], -v[84:85]
	v_add_f64 v[84:85], v[86:87], v[53:54]
	v_add_f64 v[88:89], v[84:85], -v[86:87]
	v_add_f64 v[90:91], v[84:85], -v[88:89]
	;; [unrolled: 1-line block ×4, first 2 shown]
	v_add_f64 v[53:54], v[53:54], v[86:87]
	v_add_f64 v[86:87], v[55:56], v[51:52]
	v_add_f64 v[88:89], v[86:87], -v[55:56]
	v_add_f64 v[53:54], v[86:87], v[53:54]
	v_add_f64 v[90:91], v[86:87], -v[88:89]
	v_add_f64 v[51:52], v[51:52], -v[88:89]
	;; [unrolled: 1-line block ×3, first 2 shown]
	v_add_f64 v[51:52], v[51:52], v[55:56]
	v_add_f64 v[55:56], v[84:85], v[53:54]
	v_add_f64 v[84:85], v[55:56], -v[84:85]
	v_add_f64 v[53:54], v[53:54], -v[84:85]
	v_add_f64 v[51:52], v[51:52], v[53:54]
	v_add_f64 v[51:52], v[55:56], v[51:52]
	v_cndmask_b32_e32 v37, v80, v52, vcc
	s_and_b64 vcc, s[8:9], vcc
	v_cndmask_b32_e32 v51, 0, v51, vcc
	v_cndmask_b32_e64 v52, v81, v37, s[8:9]
	v_fma_f64 v[51:52], |v[29:30]|, v[51:52], -|v[29:30]|
.LBB8_260:                              ;   in Loop: Header=BB8_145 Depth=1
	s_andn2_saveexec_b64 s[78:79], s[78:79]
	s_cbranch_execz .LBB8_262
; %bb.261:                              ;   in Loop: Header=BB8_145 Depth=1
	v_mov_b32_e32 v49, v29
	v_div_scale_f64 v[51:52], s[8:9], v[49:50], v[49:50], 1.0
	s_mov_b32 s8, 0xb9e43e4
	s_mov_b32 s9, 0xbf5ab89d
	;; [unrolled: 1-line block ×3, first 2 shown]
	v_frexp_exp_i32_f64_e32 v37, v[29:30]
	v_rcp_f64_e32 v[53:54], v[51:52]
	v_fma_f64 v[55:56], -v[51:52], v[53:54], 1.0
	v_fma_f64 v[53:54], v[53:54], v[55:56], v[53:54]
	v_fma_f64 v[55:56], -v[51:52], v[53:54], 1.0
	v_fma_f64 v[53:54], v[53:54], v[55:56], v[53:54]
	v_div_scale_f64 v[55:56], vcc, 1.0, v[49:50], 1.0
	v_mul_f64 v[84:85], v[55:56], v[53:54]
	v_fma_f64 v[51:52], -v[51:52], v[84:85], v[55:56]
	s_nop 1
	v_div_fmas_f64 v[51:52], v[51:52], v[53:54], v[84:85]
	v_div_fixup_f64 v[51:52], v[51:52], |v[29:30]|, 1.0
	v_mul_f64 v[53:54], v[51:52], v[51:52]
	v_fma_f64 v[55:56], v[53:54], s[8:9], v[3:4]
	s_mov_b32 s8, 0x8c0fe741
	s_mov_b32 s9, 0xbf4380cb
	v_fma_f64 v[55:56], v[53:54], v[55:56], s[8:9]
	s_mov_b32 s8, 0x98cf38b6
	s_mov_b32 s9, 0x3f4a019f
	v_fma_f64 v[55:56], v[53:54], v[55:56], s[8:9]
	s_mov_b32 s8, 0x16b02e5c
	s_mov_b32 s9, 0xbf66c16c
	v_fma_f64 v[55:56], v[53:54], v[55:56], s[8:9]
	s_mov_b32 s8, 0x5555553b
	s_mov_b32 s9, 0x3fb55555
	v_fma_f64 v[53:54], v[53:54], v[55:56], s[8:9]
	v_frexp_mant_f64_e64 v[55:56], |v[29:30]|
	s_mov_b32 s8, 0x90c97d69
	s_mov_b32 s9, 0x3fdacfe3
	v_fma_f64 v[51:52], v[51:52], v[53:54], s[8:9]
	v_cmp_gt_f64_e32 vcc, s[60:61], v[55:56]
	v_cmp_neq_f64_e64 s[8:9], 0, v[29:30]
	v_add_f64 v[53:54], |v[29:30]|, -0.5
	v_cndmask_b32_e64 v41, 0, 1, vcc
	v_ldexp_f64 v[55:56], v[55:56], v41
	v_subbrev_co_u32_e32 v37, vcc, 0, v37, vcc
	v_cmp_neq_f64_e64 vcc, |v[29:30]|, s[62:63]
	v_add_f64 v[86:87], v[55:56], 1.0
	v_add_f64 v[84:85], v[55:56], -1.0
	v_add_f64 v[88:89], v[86:87], -1.0
	v_add_f64 v[55:56], v[55:56], -v[88:89]
	v_rcp_f64_e32 v[88:89], v[86:87]
	v_fma_f64 v[90:91], -v[86:87], v[88:89], 1.0
	v_fma_f64 v[88:89], v[90:91], v[88:89], v[88:89]
	v_fma_f64 v[90:91], -v[86:87], v[88:89], 1.0
	v_fma_f64 v[88:89], v[90:91], v[88:89], v[88:89]
	v_mul_f64 v[90:91], v[84:85], v[88:89]
	v_mul_f64 v[92:93], v[86:87], v[90:91]
	v_fma_f64 v[86:87], v[90:91], v[86:87], -v[92:93]
	v_fma_f64 v[55:56], v[90:91], v[55:56], v[86:87]
	v_add_f64 v[86:87], v[92:93], v[55:56]
	v_add_f64 v[94:95], v[84:85], -v[86:87]
	v_add_f64 v[92:93], v[86:87], -v[92:93]
	;; [unrolled: 1-line block ×5, first 2 shown]
	v_add_f64 v[55:56], v[55:56], v[84:85]
	v_add_f64 v[55:56], v[94:95], v[55:56]
	v_mul_f64 v[55:56], v[88:89], v[55:56]
	v_add_f64 v[84:85], v[90:91], v[55:56]
	v_add_f64 v[86:87], v[84:85], -v[90:91]
	v_ldexp_f64 v[90:91], v[84:85], 1
	v_add_f64 v[55:56], v[55:56], -v[86:87]
	v_mul_f64 v[86:87], v[84:85], v[84:85]
	v_ldexp_f64 v[55:56], v[55:56], 1
	v_fma_f64 v[88:89], v[86:87], s[18:19], v[1:2]
	v_mul_f64 v[84:85], v[84:85], v[86:87]
	v_fma_f64 v[88:89], v[86:87], v[88:89], s[20:21]
	v_fma_f64 v[88:89], v[86:87], v[88:89], s[22:23]
	;; [unrolled: 1-line block ×5, first 2 shown]
	v_mul_f64 v[84:85], v[84:85], v[88:89]
	v_add_f64 v[86:87], v[90:91], v[84:85]
	v_add_f64 v[88:89], v[86:87], -v[90:91]
	v_add_f64 v[84:85], v[84:85], -v[88:89]
	v_add_f64 v[55:56], v[55:56], v[84:85]
	v_add_f64 v[84:85], v[86:87], v[55:56]
	v_add_f64 v[86:87], v[84:85], -v[86:87]
	v_add_f64 v[55:56], v[55:56], -v[86:87]
	v_cvt_f64_i32_e32 v[86:87], v37
	v_mul_f64 v[88:89], v[86:87], s[28:29]
	v_fma_f64 v[90:91], v[86:87], s[28:29], -v[88:89]
	v_fma_f64 v[86:87], v[86:87], s[30:31], v[90:91]
	v_add_f64 v[90:91], v[88:89], v[86:87]
	v_add_f64 v[88:89], v[90:91], -v[88:89]
	v_add_f64 v[86:87], v[86:87], -v[88:89]
	v_add_f64 v[88:89], v[90:91], v[84:85]
	v_add_f64 v[92:93], v[88:89], -v[90:91]
	v_add_f64 v[94:95], v[88:89], -v[92:93]
	;; [unrolled: 1-line block ×4, first 2 shown]
	v_add_f64 v[84:85], v[84:85], v[90:91]
	v_add_f64 v[90:91], v[86:87], v[55:56]
	v_add_f64 v[92:93], v[90:91], -v[86:87]
	v_add_f64 v[84:85], v[90:91], v[84:85]
	v_add_f64 v[94:95], v[90:91], -v[92:93]
	v_add_f64 v[55:56], v[55:56], -v[92:93]
	;; [unrolled: 1-line block ×3, first 2 shown]
	v_add_f64 v[55:56], v[55:56], v[86:87]
	v_add_f64 v[86:87], v[88:89], v[84:85]
	v_add_f64 v[88:89], v[86:87], -v[88:89]
	v_add_f64 v[84:85], v[84:85], -v[88:89]
	v_add_f64 v[55:56], v[55:56], v[84:85]
	v_add_f64 v[55:56], v[86:87], v[55:56]
	v_add_f64 v[55:56], v[55:56], -1.0
	v_cndmask_b32_e32 v37, v80, v56, vcc
	s_and_b64 vcc, s[8:9], vcc
	v_cndmask_b32_e32 v55, 0, v55, vcc
	v_cndmask_b32_e64 v56, v81, v37, s[8:9]
	v_fma_f64 v[51:52], v[53:54], v[55:56], v[51:52]
.LBB8_262:                              ;   in Loop: Header=BB8_145 Depth=1
	s_or_b64 exec, exec, s[78:79]
.LBB8_263:                              ;   in Loop: Header=BB8_145 Depth=1
	s_andn2_saveexec_b64 s[8:9], s[76:77]
	s_cbranch_execz .LBB8_265
; %bb.264:                              ;   in Loop: Header=BB8_145 Depth=1
	v_cvt_i32_f64_e32 v37, v[49:50]
	s_mov_b32 s76, 0xdd17e945
	s_mov_b32 s77, 0x3f00bfec
	;; [unrolled: 1-line block ×3, first 2 shown]
	v_cvt_f64_i32_e32 v[51:52], v37
	s_mov_b32 s17, s61
	v_add_f64 v[53:54], |v[29:30]|, -v[51:52]
	v_fma_f64 v[51:52], v[53:54], s[76:77], v[5:6]
	s_mov_b32 s76, 0x7e939961
	s_mov_b32 s77, 0x3f9b481c
	v_fma_f64 v[51:52], v[53:54], v[51:52], s[76:77]
	s_mov_b32 s76, 0xbee5f2f7
	s_mov_b32 s77, 0x3fc2bb9c
	;; [unrolled: 3-line block ×6, first 2 shown]
	v_fma_f64 v[51:52], v[53:54], v[51:52], s[94:95]
	v_fma_f64 v[55:56], v[53:54], v[55:56], s[76:77]
	s_mov_b32 s76, 0xccfbdf27
	s_mov_b32 s77, 0x3fc601ed
	v_mul_f64 v[51:52], v[53:54], v[51:52]
	v_fma_f64 v[55:56], v[53:54], v[55:56], s[76:77]
	s_mov_b32 s76, 0x93d3dcdc
	s_mov_b32 s77, 0x3fe71a18
	v_fma_f64 v[55:56], v[53:54], v[55:56], s[76:77]
	s_mov_b32 s76, 0x62c4ab74
	s_mov_b32 s77, 0x3ff645a7
	v_fma_f64 v[55:56], v[53:54], v[55:56], s[76:77]
	v_fma_f64 v[55:56], v[53:54], v[55:56], 1.0
	v_div_scale_f64 v[84:85], s[76:77], v[55:56], v[55:56], v[51:52]
	s_mov_b32 s76, 0
	s_mov_b32 s77, 0x40080000
	v_rcp_f64_e32 v[86:87], v[84:85]
	v_fma_f64 v[88:89], -v[84:85], v[86:87], 1.0
	v_fma_f64 v[86:87], v[86:87], v[88:89], v[86:87]
	v_fma_f64 v[88:89], -v[84:85], v[86:87], 1.0
	v_fma_f64 v[86:87], v[86:87], v[88:89], v[86:87]
	v_div_scale_f64 v[88:89], vcc, v[51:52], v[55:56], v[51:52]
	v_mul_f64 v[90:91], v[88:89], v[86:87]
	v_fma_f64 v[84:85], -v[84:85], v[90:91], v[88:89]
	s_nop 1
	v_div_fmas_f64 v[84:85], v[84:85], v[86:87], v[90:91]
	v_cmp_lt_i32_e32 vcc, 2, v37
	v_add_f64 v[86:87], v[53:54], 4.0
	v_div_fixup_f64 v[51:52], v[84:85], v[55:56], v[51:52]
	v_add_f64 v[55:56], v[53:54], 2.0
	v_add_f64 v[84:85], v[53:54], s[76:77]
	s_mov_b32 s76, 0
	s_mov_b32 s77, 0x40140000
	v_add_f64 v[88:89], v[53:54], s[76:77]
	v_fma_f64 v[51:52], v[53:54], 0.5, v[51:52]
	v_cndmask_b32_e32 v56, v82, v56, vcc
	v_cndmask_b32_e32 v55, 0, v55, vcc
	v_cmp_lt_i32_e32 vcc, 3, v37
	v_cndmask_b32_e32 v85, v82, v85, vcc
	v_cndmask_b32_e32 v84, 0, v84, vcc
	v_mul_f64 v[55:56], v[55:56], v[84:85]
	v_cmp_lt_i32_e32 vcc, 4, v37
	v_cndmask_b32_e32 v85, v82, v87, vcc
	v_cndmask_b32_e32 v84, 0, v86, vcc
	v_cmp_lt_i32_e32 vcc, 5, v37
	v_add_f64 v[53:54], v[53:54], s[68:69]
	v_mul_f64 v[55:56], v[84:85], v[55:56]
	v_cndmask_b32_e32 v85, v82, v89, vcc
	v_cndmask_b32_e32 v84, 0, v88, vcc
	v_cmp_lt_i32_e32 vcc, 6, v37
	v_cndmask_b32_e32 v54, v82, v54, vcc
	v_cndmask_b32_e32 v53, 0, v53, vcc
	v_mul_f64 v[55:56], v[84:85], v[55:56]
	v_mul_f64 v[53:54], v[53:54], v[55:56]
	v_frexp_mant_f64_e32 v[55:56], v[53:54]
	v_frexp_exp_i32_f64_e32 v37, v[53:54]
	v_cmp_gt_f64_e32 vcc, s[60:61], v[55:56]
	v_cndmask_b32_e64 v41, 0, 1, vcc
	v_ldexp_f64 v[55:56], v[55:56], v41
	v_subbrev_co_u32_e32 v37, vcc, 0, v37, vcc
	v_cmp_class_f64_e64 vcc, v[53:54], s85
	v_add_f64 v[86:87], v[55:56], 1.0
	v_add_f64 v[84:85], v[55:56], -1.0
	v_add_f64 v[88:89], v[86:87], -1.0
	v_add_f64 v[55:56], v[55:56], -v[88:89]
	v_rcp_f64_e32 v[88:89], v[86:87]
	v_fma_f64 v[90:91], -v[86:87], v[88:89], 1.0
	v_fma_f64 v[88:89], v[90:91], v[88:89], v[88:89]
	v_fma_f64 v[90:91], -v[86:87], v[88:89], 1.0
	v_fma_f64 v[88:89], v[90:91], v[88:89], v[88:89]
	v_mul_f64 v[90:91], v[84:85], v[88:89]
	v_mul_f64 v[92:93], v[86:87], v[90:91]
	v_fma_f64 v[86:87], v[90:91], v[86:87], -v[92:93]
	v_fma_f64 v[55:56], v[90:91], v[55:56], v[86:87]
	v_add_f64 v[86:87], v[92:93], v[55:56]
	v_add_f64 v[94:95], v[84:85], -v[86:87]
	v_add_f64 v[92:93], v[86:87], -v[92:93]
	;; [unrolled: 1-line block ×5, first 2 shown]
	v_add_f64 v[55:56], v[55:56], v[84:85]
	v_add_f64 v[55:56], v[94:95], v[55:56]
	v_mul_f64 v[55:56], v[88:89], v[55:56]
	v_add_f64 v[84:85], v[90:91], v[55:56]
	v_add_f64 v[86:87], v[84:85], -v[90:91]
	v_ldexp_f64 v[90:91], v[84:85], 1
	v_add_f64 v[55:56], v[55:56], -v[86:87]
	v_mul_f64 v[86:87], v[84:85], v[84:85]
	v_ldexp_f64 v[55:56], v[55:56], 1
	v_fma_f64 v[88:89], v[86:87], s[18:19], v[1:2]
	v_mul_f64 v[84:85], v[84:85], v[86:87]
	v_fma_f64 v[88:89], v[86:87], v[88:89], s[20:21]
	v_fma_f64 v[88:89], v[86:87], v[88:89], s[22:23]
	;; [unrolled: 1-line block ×5, first 2 shown]
	v_mul_f64 v[84:85], v[84:85], v[88:89]
	v_add_f64 v[86:87], v[90:91], v[84:85]
	v_add_f64 v[88:89], v[86:87], -v[90:91]
	v_add_f64 v[84:85], v[84:85], -v[88:89]
	v_add_f64 v[55:56], v[55:56], v[84:85]
	v_add_f64 v[84:85], v[86:87], v[55:56]
	v_add_f64 v[86:87], v[84:85], -v[86:87]
	v_add_f64 v[55:56], v[55:56], -v[86:87]
	v_cvt_f64_i32_e32 v[86:87], v37
	v_mul_f64 v[88:89], v[86:87], s[28:29]
	v_fma_f64 v[90:91], v[86:87], s[28:29], -v[88:89]
	v_fma_f64 v[86:87], v[86:87], s[30:31], v[90:91]
	v_add_f64 v[90:91], v[88:89], v[86:87]
	v_add_f64 v[88:89], v[90:91], -v[88:89]
	v_add_f64 v[86:87], v[86:87], -v[88:89]
	v_add_f64 v[88:89], v[90:91], v[84:85]
	v_add_f64 v[92:93], v[88:89], -v[90:91]
	v_add_f64 v[94:95], v[88:89], -v[92:93]
	v_add_f64 v[84:85], v[84:85], -v[92:93]
	v_add_f64 v[90:91], v[90:91], -v[94:95]
	v_add_f64 v[84:85], v[84:85], v[90:91]
	v_add_f64 v[90:91], v[86:87], v[55:56]
	v_add_f64 v[92:93], v[90:91], -v[86:87]
	v_add_f64 v[84:85], v[90:91], v[84:85]
	v_add_f64 v[94:95], v[90:91], -v[92:93]
	v_add_f64 v[55:56], v[55:56], -v[92:93]
	;; [unrolled: 1-line block ×3, first 2 shown]
	v_add_f64 v[55:56], v[55:56], v[86:87]
	v_add_f64 v[86:87], v[88:89], v[84:85]
	v_add_f64 v[88:89], v[86:87], -v[88:89]
	v_add_f64 v[84:85], v[84:85], -v[88:89]
	v_add_f64 v[55:56], v[55:56], v[84:85]
	v_add_f64 v[55:56], v[86:87], v[55:56]
	v_cndmask_b32_e32 v37, v55, v53, vcc
	v_cndmask_b32_e32 v41, v56, v54, vcc
	v_cmp_ngt_f64_e32 vcc, 0, v[53:54]
	v_cndmask_b32_e32 v41, v83, v41, vcc
	v_cmp_nge_f64_e32 vcc, 0, v[53:54]
	v_cndmask_b32_e32 v55, 0, v37, vcc
	v_cmp_neq_f64_e32 vcc, 0, v[53:54]
	v_cndmask_b32_e32 v56, v81, v41, vcc
	v_add_f64 v[51:52], v[51:52], v[55:56]
.LBB8_265:                              ;   in Loop: Header=BB8_145 Depth=1
	s_or_b64 exec, exec, s[8:9]
.LBB8_266:                              ;   in Loop: Header=BB8_145 Depth=1
	s_andn2_saveexec_b64 s[74:75], s[74:75]
	s_cbranch_execz .LBB8_280
; %bb.267:                              ;   in Loop: Header=BB8_145 Depth=1
	v_cmp_lt_u32_e32 vcc, s84, v50
                                        ; implicit-def: $vgpr37
                                        ; implicit-def: $vgpr53_vgpr54
	s_and_saveexec_b64 s[8:9], vcc
	s_xor_b64 s[8:9], exec, s[8:9]
	s_cbranch_execz .LBB8_269
; %bb.268:                              ;   in Loop: Header=BB8_145 Depth=1
	s_mov_b32 s76, 0x6356be3f
	s_mov_b32 s77, 0xbff762d8
	v_add_f64 v[51:52], -|v[29:30]|, 2.0
	v_add_f64 v[53:54], |v[29:30]|, s[76:77]
	s_mov_b32 s17, 0x3ffbb4c3
	v_cmp_gt_u32_e32 vcc, s17, v50
	s_mov_b32 s17, 0x3ff3b4c4
	v_cndmask_b32_e64 v45, 0, 1, vcc
	v_cndmask_b32_e32 v37, v51, v53, vcc
	v_cndmask_b32_e32 v41, v52, v54, vcc
	v_add_f64 v[51:52], |v[29:30]|, -1.0
	v_cmp_gt_u32_e32 vcc, s17, v50
	v_cndmask_b32_e32 v54, v41, v52, vcc
	v_cndmask_b32_e32 v53, v37, v51, vcc
	v_cndmask_b32_e64 v37, v45, 2, vcc
.LBB8_269:                              ;   in Loop: Header=BB8_145 Depth=1
	s_or_saveexec_b64 s[76:77], s[8:9]
	v_mov_b32_e32 v51, 0
	v_mov_b32_e32 v52, 0
	s_xor_b64 exec, exec, s[76:77]
	s_cbranch_execz .LBB8_271
; %bb.270:                              ;   in Loop: Header=BB8_145 Depth=1
	v_frexp_mant_f64_e64 v[51:52], |v[29:30]|
	s_mov_b32 s17, s61
	v_frexp_exp_i32_f64_e32 v37, v[29:30]
	v_cmp_neq_f64_e64 s[8:9], 0, v[29:30]
	v_cmp_gt_f64_e32 vcc, s[60:61], v[51:52]
	v_cndmask_b32_e64 v41, 0, 1, vcc
	v_ldexp_f64 v[51:52], v[51:52], v41
	v_subbrev_co_u32_e32 v37, vcc, 0, v37, vcc
	v_cmp_neq_f64_e64 vcc, |v[29:30]|, s[62:63]
	v_add_f64 v[55:56], v[51:52], 1.0
	v_add_f64 v[53:54], v[51:52], -1.0
	v_add_f64 v[84:85], v[55:56], -1.0
	v_add_f64 v[51:52], v[51:52], -v[84:85]
	v_rcp_f64_e32 v[84:85], v[55:56]
	v_fma_f64 v[86:87], -v[55:56], v[84:85], 1.0
	v_fma_f64 v[84:85], v[86:87], v[84:85], v[84:85]
	v_fma_f64 v[86:87], -v[55:56], v[84:85], 1.0
	v_fma_f64 v[84:85], v[86:87], v[84:85], v[84:85]
	v_mul_f64 v[86:87], v[53:54], v[84:85]
	v_mul_f64 v[88:89], v[55:56], v[86:87]
	v_fma_f64 v[55:56], v[86:87], v[55:56], -v[88:89]
	v_fma_f64 v[51:52], v[86:87], v[51:52], v[55:56]
	v_add_f64 v[55:56], v[88:89], v[51:52]
	v_add_f64 v[90:91], v[53:54], -v[55:56]
	v_add_f64 v[88:89], v[55:56], -v[88:89]
	;; [unrolled: 1-line block ×5, first 2 shown]
	v_add_f64 v[51:52], v[51:52], v[53:54]
	v_add_f64 v[51:52], v[90:91], v[51:52]
	v_mul_f64 v[51:52], v[84:85], v[51:52]
	v_add_f64 v[53:54], v[86:87], v[51:52]
	v_add_f64 v[55:56], v[53:54], -v[86:87]
	v_ldexp_f64 v[86:87], v[53:54], 1
	v_add_f64 v[51:52], v[51:52], -v[55:56]
	v_mul_f64 v[55:56], v[53:54], v[53:54]
	v_ldexp_f64 v[51:52], v[51:52], 1
	v_fma_f64 v[84:85], v[55:56], s[18:19], v[1:2]
	v_mul_f64 v[53:54], v[53:54], v[55:56]
	v_fma_f64 v[84:85], v[55:56], v[84:85], s[20:21]
	v_fma_f64 v[84:85], v[55:56], v[84:85], s[22:23]
	;; [unrolled: 1-line block ×5, first 2 shown]
	v_mul_f64 v[53:54], v[53:54], v[84:85]
	v_add_f64 v[55:56], v[86:87], v[53:54]
	v_add_f64 v[84:85], v[55:56], -v[86:87]
	v_add_f64 v[53:54], v[53:54], -v[84:85]
	v_add_f64 v[51:52], v[51:52], v[53:54]
	v_add_f64 v[53:54], v[55:56], v[51:52]
	v_add_f64 v[55:56], v[53:54], -v[55:56]
	v_add_f64 v[51:52], v[51:52], -v[55:56]
	v_cvt_f64_i32_e32 v[55:56], v37
	v_mul_f64 v[84:85], v[55:56], s[28:29]
	v_fma_f64 v[86:87], v[55:56], s[28:29], -v[84:85]
	v_fma_f64 v[55:56], v[55:56], s[30:31], v[86:87]
	v_add_f64 v[86:87], v[84:85], v[55:56]
	v_add_f64 v[84:85], v[86:87], -v[84:85]
	v_add_f64 v[55:56], v[55:56], -v[84:85]
	v_add_f64 v[84:85], v[86:87], v[53:54]
	v_add_f64 v[88:89], v[84:85], -v[86:87]
	v_add_f64 v[90:91], v[84:85], -v[88:89]
	;; [unrolled: 1-line block ×4, first 2 shown]
	v_add_f64 v[53:54], v[53:54], v[86:87]
	v_add_f64 v[86:87], v[55:56], v[51:52]
	v_add_f64 v[88:89], v[86:87], -v[55:56]
	v_add_f64 v[53:54], v[86:87], v[53:54]
	v_add_f64 v[90:91], v[86:87], -v[88:89]
	v_add_f64 v[51:52], v[51:52], -v[88:89]
	;; [unrolled: 1-line block ×3, first 2 shown]
	v_add_f64 v[51:52], v[51:52], v[55:56]
	v_add_f64 v[55:56], v[84:85], v[53:54]
	v_add_f64 v[84:85], v[55:56], -v[84:85]
	v_add_f64 v[53:54], v[53:54], -v[84:85]
	v_add_f64 v[51:52], v[51:52], v[53:54]
	v_add_f64 v[53:54], -|v[29:30]|, 1.0
	v_add_f64 v[51:52], v[55:56], v[51:52]
	v_xor_b32_e32 v37, 0x80000000, v52
	v_cndmask_b32_e32 v37, v81, v37, vcc
	s_and_b64 vcc, s[8:9], vcc
	v_cndmask_b32_e64 v52, v80, v37, s[8:9]
	s_mov_b32 s8, 0x3fe76944
	v_cndmask_b32_e32 v51, 0, v51, vcc
	v_cmp_gt_u32_e32 vcc, s8, v50
	s_mov_b32 s8, 0x8d5af8fc
	s_mov_b32 s9, 0xbfdd8b61
	v_add_f64 v[55:56], |v[29:30]|, s[8:9]
	s_mov_b32 s8, 0x3fcda661
	v_cndmask_b32_e64 v45, 0, 1, vcc
	v_cndmask_b32_e32 v37, v53, v55, vcc
	v_cndmask_b32_e32 v41, v54, v56, vcc
	v_cmp_gt_u32_e32 vcc, s8, v50
	v_cndmask_b32_e32 v54, v41, v50, vcc
	v_cndmask_b32_e32 v53, v37, v29, vcc
	v_cndmask_b32_e64 v37, v45, 2, vcc
.LBB8_271:                              ;   in Loop: Header=BB8_145 Depth=1
	s_or_b64 exec, exec, s[76:77]
	v_cmp_lt_i32_e32 vcc, 1, v37
                                        ; implicit-def: $vgpr55_vgpr56
	s_and_saveexec_b64 s[8:9], vcc
	s_xor_b64 s[8:9], exec, s[8:9]
	s_cbranch_execz .LBB8_273
; %bb.272:                              ;   in Loop: Header=BB8_145 Depth=1
	s_mov_b32 s76, 0xbf2bab09
	s_mov_b32 s77, 0x3f8b678b
	v_fma_f64 v[55:56], v[53:54], s[76:77], v[9:10]
	s_mov_b32 s76, 0x57d0cf61
	s_mov_b32 s77, 0x3f6a5abb
	v_fma_f64 v[84:85], v[53:54], s[76:77], v[11:12]
	s_mov_b32 s76, 0x44ea8450
	s_mov_b32 s77, 0x3fef4976
	;; [unrolled: 1-line block ×3, first 2 shown]
                                        ; implicit-def: $vgpr37
	v_fma_f64 v[55:56], v[53:54], v[55:56], s[76:77]
	s_mov_b32 s76, 0xe45050af
	s_mov_b32 s77, 0x3fe89dfb
	v_fma_f64 v[84:85], v[53:54], v[84:85], s[76:77]
	s_mov_b32 s76, 0xd119bd6f
	s_mov_b32 s77, 0x3ff7475c
	;; [unrolled: 3-line block ×5, first 2 shown]
	v_fma_f64 v[84:85], v[53:54], v[84:85], s[76:77]
	v_fma_f64 v[55:56], v[53:54], v[55:56], s[94:95]
	v_fma_f64 v[84:85], v[53:54], v[84:85], 1.0
	v_mul_f64 v[55:56], v[53:54], v[55:56]
	v_div_scale_f64 v[86:87], s[76:77], v[84:85], v[84:85], v[55:56]
	v_div_scale_f64 v[92:93], vcc, v[55:56], v[84:85], v[55:56]
	v_rcp_f64_e32 v[88:89], v[86:87]
	v_fma_f64 v[90:91], -v[86:87], v[88:89], 1.0
	v_fma_f64 v[88:89], v[88:89], v[90:91], v[88:89]
	v_fma_f64 v[90:91], -v[86:87], v[88:89], 1.0
	v_fma_f64 v[88:89], v[88:89], v[90:91], v[88:89]
	v_mul_f64 v[90:91], v[92:93], v[88:89]
	v_fma_f64 v[86:87], -v[86:87], v[90:91], v[92:93]
	v_div_fmas_f64 v[86:87], v[86:87], v[88:89], v[90:91]
	v_div_fixup_f64 v[55:56], v[86:87], v[84:85], v[55:56]
	v_fma_f64 v[55:56], v[53:54], -0.5, v[55:56]
                                        ; implicit-def: $vgpr53_vgpr54
.LBB8_273:                              ;   in Loop: Header=BB8_145 Depth=1
	s_andn2_saveexec_b64 s[8:9], s[8:9]
	s_cbranch_execz .LBB8_279
; %bb.274:                              ;   in Loop: Header=BB8_145 Depth=1
	v_cmp_ne_u32_e32 vcc, 1, v37
                                        ; implicit-def: $vgpr55_vgpr56
	s_and_saveexec_b64 s[76:77], vcc
	s_xor_b64 s[76:77], exec, s[76:77]
	s_cbranch_execz .LBB8_276
; %bb.275:                              ;   in Loop: Header=BB8_145 Depth=1
	v_mul_f64 v[55:56], v[53:54], v[53:54]
	s_mov_b32 s78, 0x90a45837
	s_mov_b32 s79, 0x3f07858e
	v_fma_f64 v[84:85], v[55:56], s[78:79], v[15:16]
	s_mov_b32 s78, 0x428cfa52
	s_mov_b32 s79, 0x3efa7074
	v_fma_f64 v[86:87], v[55:56], s[78:79], v[13:14]
	;; [unrolled: 3-line block ×9, first 2 shown]
	v_fma_f64 v[86:87], v[55:56], v[86:87], s[70:71]
	v_mul_f64 v[55:56], v[55:56], v[84:85]
	v_fma_f64 v[55:56], v[53:54], v[86:87], v[55:56]
	v_fma_f64 v[55:56], v[53:54], -0.5, v[55:56]
                                        ; implicit-def: $vgpr53_vgpr54
.LBB8_276:                              ;   in Loop: Header=BB8_145 Depth=1
	s_andn2_saveexec_b64 s[76:77], s[76:77]
	s_cbranch_execz .LBB8_278
; %bb.277:                              ;   in Loop: Header=BB8_145 Depth=1
	v_mul_f64 v[55:56], v[53:54], v[53:54]
	s_mov_b32 s78, 0xecc38c38
	s_mov_b32 s79, 0xbf347f24
	v_mul_f64 v[84:85], v[53:54], v[55:56]
	v_fma_f64 v[86:87], v[84:85], s[78:79], v[19:20]
	s_mov_b32 s78, 0xe8c2d3f4
	s_mov_b32 s79, 0x3f35fd3e
	v_fma_f64 v[88:89], v[84:85], s[78:79], v[21:22]
	s_mov_b32 s78, 0xb3e914d7
	s_mov_b32 s79, 0xbf6e2eff
	;; [unrolled: 3-line block ×11, first 2 shown]
	v_fma_f64 v[53:54], v[53:54], v[88:89], v[86:87]
	v_fma_f64 v[86:87], v[84:85], v[90:91], s[78:79]
	s_mov_b32 s78, 0xa48a971f
	s_mov_b32 s79, 0xbc50c7ca
	v_fma_f64 v[53:54], v[84:85], -v[53:54], s[78:79]
	s_mov_b32 s78, 0xbcc38a42
	s_mov_b32 s79, 0xbfbf19b9
	v_fma_f64 v[53:54], v[55:56], v[86:87], -v[53:54]
	v_add_f64 v[55:56], v[53:54], s[78:79]
.LBB8_278:                              ;   in Loop: Header=BB8_145 Depth=1
	s_or_b64 exec, exec, s[76:77]
.LBB8_279:                              ;   in Loop: Header=BB8_145 Depth=1
	s_or_b64 exec, exec, s[8:9]
	v_add_f64 v[51:52], v[51:52], v[55:56]
.LBB8_280:                              ;   in Loop: Header=BB8_145 Depth=1
	s_or_b64 exec, exec, s[74:75]
.LBB8_281:                              ;   in Loop: Header=BB8_145 Depth=1
	s_andn2_saveexec_b64 s[72:73], s[72:73]
	s_cbranch_execz .LBB8_283
; %bb.282:                              ;   in Loop: Header=BB8_145 Depth=1
	v_frexp_mant_f64_e64 v[53:54], |v[29:30]|
	s_mov_b32 s17, s61
	v_frexp_exp_i32_f64_e32 v37, v[29:30]
	v_fma_f64 v[51:52], |v[29:30]|, s[92:93], v[23:24]
	v_cmp_neq_f64_e64 s[8:9], 0, v[29:30]
	v_cmp_gt_f64_e32 vcc, s[60:61], v[53:54]
	v_fma_f64 v[51:52], |v[29:30]|, v[51:52], s[34:35]
	v_cndmask_b32_e64 v41, 0, 1, vcc
	v_ldexp_f64 v[53:54], v[53:54], v41
	v_subbrev_co_u32_e32 v37, vcc, 0, v37, vcc
	v_fma_f64 v[51:52], |v[29:30]|, v[51:52], s[36:37]
	v_cmp_neq_f64_e64 vcc, |v[29:30]|, s[62:63]
	v_add_f64 v[84:85], v[53:54], 1.0
	v_add_f64 v[55:56], v[53:54], -1.0
	v_fma_f64 v[51:52], |v[29:30]|, v[51:52], s[38:39]
	v_add_f64 v[86:87], v[84:85], -1.0
	v_add_f64 v[53:54], v[53:54], -v[86:87]
	v_rcp_f64_e32 v[86:87], v[84:85]
	v_fma_f64 v[88:89], -v[84:85], v[86:87], 1.0
	v_fma_f64 v[86:87], v[88:89], v[86:87], v[86:87]
	v_fma_f64 v[88:89], -v[84:85], v[86:87], 1.0
	v_fma_f64 v[86:87], v[88:89], v[86:87], v[86:87]
	v_mul_f64 v[88:89], v[55:56], v[86:87]
	v_mul_f64 v[90:91], v[84:85], v[88:89]
	v_fma_f64 v[84:85], v[88:89], v[84:85], -v[90:91]
	v_fma_f64 v[53:54], v[88:89], v[53:54], v[84:85]
	v_add_f64 v[84:85], v[90:91], v[53:54]
	v_add_f64 v[92:93], v[55:56], -v[84:85]
	v_add_f64 v[90:91], v[84:85], -v[90:91]
	;; [unrolled: 1-line block ×5, first 2 shown]
	v_add_f64 v[53:54], v[53:54], v[55:56]
	v_add_f64 v[53:54], v[92:93], v[53:54]
	v_mul_f64 v[53:54], v[86:87], v[53:54]
	v_add_f64 v[55:56], v[88:89], v[53:54]
	v_add_f64 v[84:85], v[55:56], -v[88:89]
	v_ldexp_f64 v[88:89], v[55:56], 1
	v_add_f64 v[53:54], v[53:54], -v[84:85]
	v_mul_f64 v[84:85], v[55:56], v[55:56]
	v_ldexp_f64 v[53:54], v[53:54], 1
	v_fma_f64 v[86:87], v[84:85], s[18:19], v[1:2]
	v_mul_f64 v[55:56], v[55:56], v[84:85]
	v_fma_f64 v[86:87], v[84:85], v[86:87], s[20:21]
	v_fma_f64 v[86:87], v[84:85], v[86:87], s[22:23]
	;; [unrolled: 1-line block ×5, first 2 shown]
	v_mul_f64 v[55:56], v[55:56], v[86:87]
	v_add_f64 v[84:85], v[88:89], v[55:56]
	v_add_f64 v[86:87], v[84:85], -v[88:89]
	v_add_f64 v[55:56], v[55:56], -v[86:87]
	v_add_f64 v[53:54], v[53:54], v[55:56]
	v_add_f64 v[55:56], v[84:85], v[53:54]
	v_add_f64 v[84:85], v[55:56], -v[84:85]
	v_add_f64 v[53:54], v[53:54], -v[84:85]
	v_cvt_f64_i32_e32 v[84:85], v37
	v_mul_f64 v[86:87], v[84:85], s[28:29]
	v_fma_f64 v[88:89], v[84:85], s[28:29], -v[86:87]
	v_fma_f64 v[84:85], v[84:85], s[30:31], v[88:89]
	v_add_f64 v[88:89], v[86:87], v[84:85]
	v_add_f64 v[86:87], v[88:89], -v[86:87]
	v_add_f64 v[84:85], v[84:85], -v[86:87]
	v_add_f64 v[86:87], v[88:89], v[55:56]
	v_add_f64 v[90:91], v[86:87], -v[88:89]
	v_add_f64 v[92:93], v[86:87], -v[90:91]
	;; [unrolled: 1-line block ×4, first 2 shown]
	v_add_f64 v[55:56], v[55:56], v[88:89]
	v_add_f64 v[88:89], v[84:85], v[53:54]
	v_add_f64 v[90:91], v[88:89], -v[84:85]
	v_add_f64 v[55:56], v[88:89], v[55:56]
	v_add_f64 v[92:93], v[88:89], -v[90:91]
	v_add_f64 v[53:54], v[53:54], -v[90:91]
	;; [unrolled: 1-line block ×3, first 2 shown]
	v_add_f64 v[53:54], v[53:54], v[84:85]
	v_add_f64 v[84:85], v[86:87], v[55:56]
	v_add_f64 v[86:87], v[84:85], -v[86:87]
	v_add_f64 v[55:56], v[55:56], -v[86:87]
	v_add_f64 v[53:54], v[53:54], v[55:56]
	v_add_f64 v[53:54], v[84:85], v[53:54]
	v_xor_b32_e32 v37, 0x80000000, v54
	v_cndmask_b32_e32 v37, v81, v37, vcc
	s_and_b64 vcc, s[8:9], vcc
	v_cndmask_b32_e32 v53, 0, v53, vcc
	v_cndmask_b32_e64 v54, v80, v37, s[8:9]
	v_fma_f64 v[51:52], |v[29:30]|, v[51:52], v[53:54]
.LBB8_283:                              ;   in Loop: Header=BB8_145 Depth=1
	s_or_b64 exec, exec, s[72:73]
	v_cmp_le_f64_e32 vcc, 0, v[29:30]
	s_and_saveexec_b64 s[8:9], vcc
	s_xor_b64 s[72:73], exec, s[8:9]
	s_cbranch_execnz .LBB8_289
; %bb.284:                              ;   in Loop: Header=BB8_145 Depth=1
	s_andn2_saveexec_b64 s[8:9], s[72:73]
	s_cbranch_execnz .LBB8_290
.LBB8_285:                              ;   in Loop: Header=BB8_145 Depth=1
	s_or_b64 exec, exec, s[8:9]
	s_and_saveexec_b64 s[8:9], s[6:7]
	s_xor_b64 s[72:73], exec, s[8:9]
	s_cbranch_execnz .LBB8_293
.LBB8_286:                              ;   in Loop: Header=BB8_145 Depth=1
	s_or_b64 exec, exec, s[72:73]
	s_and_saveexec_b64 s[8:9], s[4:5]
	s_cbranch_execnz .LBB8_294
.LBB8_287:                              ;   in Loop: Header=BB8_145 Depth=1
	s_or_b64 exec, exec, s[8:9]
	s_and_saveexec_b64 s[6:7], s[2:3]
	s_cbranch_execnz .LBB8_295
.LBB8_288:                              ;   in Loop: Header=BB8_145 Depth=1
	s_or_b64 exec, exec, s[6:7]
	s_and_saveexec_b64 s[4:5], s[0:1]
	s_cbranch_execz .LBB8_144
	s_branch .LBB8_296
.LBB8_289:                              ;   in Loop: Header=BB8_145 Depth=1
	v_cmp_eq_f64_e32 vcc, 1.0, v[29:30]
	v_cmp_eq_f64_e64 s[8:9], 2.0, v[29:30]
	s_or_b64 s[8:9], vcc, s[8:9]
	v_cndmask_b32_e64 v52, v52, 0, s[8:9]
	v_cndmask_b32_e64 v51, v51, 0, s[8:9]
	s_andn2_saveexec_b64 s[8:9], s[72:73]
	s_cbranch_execz .LBB8_285
.LBB8_290:                              ;   in Loop: Header=BB8_145 Depth=1
	v_add_u32_e32 v37, 0xc32fffff, v50
	v_cmp_gt_u32_e32 vcc, s64, v37
	s_and_saveexec_b64 s[72:73], vcc
	s_cbranch_execz .LBB8_292
; %bb.291:                              ;   in Loop: Header=BB8_145 Depth=1
	v_mul_f64 v[53:54], |v[29:30]|, 0.5
	s_mov_b32 s17, s61
	v_fract_f64_e32 v[55:56], v[53:54]
	v_cmp_neq_f64_e64 vcc, |v[53:54]|, s[62:63]
	v_add_f64 v[55:56], v[55:56], v[55:56]
	v_cndmask_b32_e32 v37, 0, v55, vcc
	v_cndmask_b32_e32 v41, 0, v56, vcc
	v_cmp_gt_f64_e64 vcc, |v[29:30]|, 1.0
	v_cndmask_b32_e32 v54, v50, v41, vcc
	v_cndmask_b32_e32 v53, v29, v37, vcc
	v_add_f64 v[55:56], v[53:54], v[53:54]
	v_rndne_f64_e32 v[55:56], v[55:56]
	v_fma_f64 v[53:54], v[55:56], -0.5, v[53:54]
	v_cvt_i32_f64_e32 v37, v[55:56]
	v_and_b32_e32 v41, 1, v37
	v_cmp_eq_u32_e32 vcc, 0, v41
	v_lshlrev_b32_e32 v37, 30, v37
	v_mul_f64 v[55:56], v[53:54], v[53:54]
	v_xor_b32_e32 v37, v37, v30
	v_and_b32_e32 v37, 0x80000000, v37
	v_fma_f64 v[84:85], v[55:56], s[40:41], v[25:26]
	v_mul_f64 v[86:87], v[53:54], v[55:56]
	v_fma_f64 v[84:85], v[55:56], v[84:85], s[42:43]
	v_fma_f64 v[84:85], v[55:56], v[84:85], s[44:45]
	;; [unrolled: 1-line block ×4, first 2 shown]
	v_mul_f64 v[84:85], v[86:87], v[84:85]
	v_fma_f64 v[53:54], v[53:54], s[90:91], v[84:85]
	v_fma_f64 v[84:85], v[55:56], s[46:47], v[27:28]
	;; [unrolled: 1-line block ×7, first 2 shown]
	v_fma_f64 v[55:56], v[55:56], v[84:85], 1.0
	v_cndmask_b32_e32 v41, v55, v53, vcc
	v_cndmask_b32_e32 v45, v56, v54, vcc
	v_cmp_class_f64_e64 vcc, v[29:30], s65
	v_xor_b32_e32 v37, v45, v37
	v_cndmask_b32_e32 v53, 0, v41, vcc
	v_cndmask_b32_e32 v54, v83, v37, vcc
	v_mul_f64 v[53:54], v[29:30], v[53:54]
	v_and_b32_e32 v56, 0x7fffffff, v54
	v_mov_b32_e32 v55, v53
	v_div_scale_f64 v[84:85], s[74:75], v[55:56], v[55:56], s[90:91]
	v_div_scale_f64 v[55:56], vcc, s[90:91], v[55:56], s[90:91]
	v_cmp_class_f64_e64 s[74:75], v[29:30], s85
	v_rcp_f64_e32 v[86:87], v[84:85]
	v_fma_f64 v[88:89], -v[84:85], v[86:87], 1.0
	v_fma_f64 v[86:87], v[86:87], v[88:89], v[86:87]
	v_fma_f64 v[88:89], -v[84:85], v[86:87], 1.0
	v_fma_f64 v[86:87], v[86:87], v[88:89], v[86:87]
	v_mul_f64 v[88:89], v[55:56], v[86:87]
	v_fma_f64 v[55:56], -v[84:85], v[88:89], v[55:56]
	v_div_fmas_f64 v[55:56], v[55:56], v[86:87], v[88:89]
	v_div_fixup_f64 v[53:54], v[55:56], |v[53:54]|, s[90:91]
	v_frexp_mant_f64_e32 v[55:56], v[53:54]
	v_frexp_exp_i32_f64_e32 v37, v[53:54]
	v_cmp_gt_f64_e32 vcc, s[60:61], v[55:56]
	v_cndmask_b32_e64 v41, 0, 1, vcc
	v_ldexp_f64 v[55:56], v[55:56], v41
	v_subbrev_co_u32_e32 v37, vcc, 0, v37, vcc
	v_cmp_class_f64_e64 vcc, v[53:54], s85
	v_add_f64 v[86:87], v[55:56], 1.0
	v_add_f64 v[84:85], v[55:56], -1.0
	v_add_f64 v[88:89], v[86:87], -1.0
	v_add_f64 v[55:56], v[55:56], -v[88:89]
	v_rcp_f64_e32 v[88:89], v[86:87]
	v_fma_f64 v[90:91], -v[86:87], v[88:89], 1.0
	v_fma_f64 v[88:89], v[90:91], v[88:89], v[88:89]
	v_fma_f64 v[90:91], -v[86:87], v[88:89], 1.0
	v_fma_f64 v[88:89], v[90:91], v[88:89], v[88:89]
	v_mul_f64 v[90:91], v[84:85], v[88:89]
	v_mul_f64 v[92:93], v[86:87], v[90:91]
	v_fma_f64 v[86:87], v[90:91], v[86:87], -v[92:93]
	v_fma_f64 v[55:56], v[90:91], v[55:56], v[86:87]
	v_add_f64 v[86:87], v[92:93], v[55:56]
	v_add_f64 v[94:95], v[84:85], -v[86:87]
	v_add_f64 v[92:93], v[86:87], -v[92:93]
	;; [unrolled: 1-line block ×5, first 2 shown]
	v_add_f64 v[55:56], v[55:56], v[84:85]
	v_add_f64 v[55:56], v[94:95], v[55:56]
	v_mul_f64 v[55:56], v[88:89], v[55:56]
	v_add_f64 v[84:85], v[90:91], v[55:56]
	v_add_f64 v[86:87], v[84:85], -v[90:91]
	v_ldexp_f64 v[90:91], v[84:85], 1
	v_add_f64 v[55:56], v[55:56], -v[86:87]
	v_mul_f64 v[86:87], v[84:85], v[84:85]
	v_ldexp_f64 v[55:56], v[55:56], 1
	v_fma_f64 v[88:89], v[86:87], s[18:19], v[1:2]
	v_mul_f64 v[84:85], v[84:85], v[86:87]
	v_fma_f64 v[88:89], v[86:87], v[88:89], s[20:21]
	v_fma_f64 v[88:89], v[86:87], v[88:89], s[22:23]
	v_fma_f64 v[88:89], v[86:87], v[88:89], s[24:25]
	v_fma_f64 v[88:89], v[86:87], v[88:89], s[26:27]
	v_fma_f64 v[88:89], v[86:87], v[88:89], s[16:17]
	v_mul_f64 v[84:85], v[84:85], v[88:89]
	v_add_f64 v[86:87], v[90:91], v[84:85]
	v_add_f64 v[88:89], v[86:87], -v[90:91]
	v_add_f64 v[84:85], v[84:85], -v[88:89]
	v_add_f64 v[55:56], v[55:56], v[84:85]
	v_add_f64 v[84:85], v[86:87], v[55:56]
	v_add_f64 v[86:87], v[84:85], -v[86:87]
	v_add_f64 v[55:56], v[55:56], -v[86:87]
	v_cvt_f64_i32_e32 v[86:87], v37
	v_mul_f64 v[88:89], v[86:87], s[28:29]
	v_fma_f64 v[90:91], v[86:87], s[28:29], -v[88:89]
	v_fma_f64 v[86:87], v[86:87], s[30:31], v[90:91]
	v_add_f64 v[90:91], v[88:89], v[86:87]
	v_add_f64 v[88:89], v[90:91], -v[88:89]
	v_add_f64 v[86:87], v[86:87], -v[88:89]
	v_add_f64 v[88:89], v[90:91], v[84:85]
	v_add_f64 v[92:93], v[88:89], -v[90:91]
	v_add_f64 v[94:95], v[88:89], -v[92:93]
	;; [unrolled: 1-line block ×4, first 2 shown]
	v_add_f64 v[84:85], v[84:85], v[90:91]
	v_add_f64 v[90:91], v[86:87], v[55:56]
	v_add_f64 v[92:93], v[90:91], -v[86:87]
	v_add_f64 v[84:85], v[90:91], v[84:85]
	v_add_f64 v[94:95], v[90:91], -v[92:93]
	v_add_f64 v[55:56], v[55:56], -v[92:93]
	;; [unrolled: 1-line block ×3, first 2 shown]
	v_add_f64 v[55:56], v[55:56], v[86:87]
	v_add_f64 v[86:87], v[88:89], v[84:85]
	v_add_f64 v[88:89], v[86:87], -v[88:89]
	v_add_f64 v[84:85], v[84:85], -v[88:89]
	v_add_f64 v[55:56], v[55:56], v[84:85]
	v_add_f64 v[55:56], v[86:87], v[55:56]
	v_cndmask_b32_e32 v37, v55, v53, vcc
	v_cndmask_b32_e32 v41, v56, v54, vcc
	v_cmp_neq_f64_e32 vcc, 0, v[53:54]
	v_cndmask_b32_e32 v54, v81, v41, vcc
	v_cndmask_b32_e32 v53, 0, v37, vcc
	v_add_f64 v[51:52], v[53:54], -v[51:52]
	v_fract_f64_e32 v[53:54], v[29:30]
	v_cmp_eq_f64_e32 vcc, 0, v[53:54]
	s_or_b64 vcc, s[74:75], vcc
	v_cndmask_b32_e32 v52, v52, v80, vcc
	v_cndmask_b32_e64 v51, v51, 0, vcc
.LBB8_292:                              ;   in Loop: Header=BB8_145 Depth=1
	s_or_b64 exec, exec, s[72:73]
	s_or_b64 exec, exec, s[8:9]
	s_and_saveexec_b64 s[8:9], s[6:7]
	s_xor_b64 s[72:73], exec, s[8:9]
	s_cbranch_execz .LBB8_286
.LBB8_293:                              ;   in Loop: Header=BB8_145 Depth=1
	v_cmp_gt_f64_e32 vcc, 0, v[35:36]
	v_cmp_class_f64_e64 s[6:7], v[35:36], v79
	v_cmp_lt_u32_e64 s[8:9], s66, v38
	s_and_b64 s[8:9], vcc, s[8:9]
	s_or_b64 vcc, s[6:7], s[8:9]
	v_cndmask_b32_e64 v37, v39, 0, vcc
	v_cndmask_b32_e32 v38, v40, v80, vcc
	v_cmp_u_f64_e32 vcc, v[35:36], v[35:36]
	v_mov_b32_e32 v39, s15
	v_cndmask_b32_e32 v36, v38, v36, vcc
	v_cndmask_b32_e32 v35, v37, v35, vcc
	v_add_co_u32_e32 v37, vcc, s14, v59
	v_addc_co_u32_e32 v38, vcc, v60, v39, vcc
	global_store_dwordx2 v[37:38], v[35:36], off
	s_or_b64 exec, exec, s[72:73]
	s_and_saveexec_b64 s[8:9], s[4:5]
	s_cbranch_execz .LBB8_287
.LBB8_294:                              ;   in Loop: Header=BB8_145 Depth=1
	v_cmp_gt_f64_e32 vcc, 0, v[31:32]
	v_cmp_class_f64_e64 s[4:5], v[31:32], v79
	v_cmp_lt_u32_e64 s[6:7], s66, v42
	v_mov_b32_e32 v37, s15
	s_and_b64 s[6:7], vcc, s[6:7]
	s_or_b64 vcc, s[4:5], s[6:7]
	v_cndmask_b32_e64 v35, v43, 0, vcc
	v_cndmask_b32_e32 v36, v44, v80, vcc
	v_cmp_u_f64_e32 vcc, v[31:32], v[31:32]
	v_cndmask_b32_e32 v32, v36, v32, vcc
	v_cndmask_b32_e32 v31, v35, v31, vcc
	v_add_co_u32_e32 v35, vcc, s14, v73
	v_addc_co_u32_e32 v36, vcc, v74, v37, vcc
	global_store_dwordx2 v[35:36], v[31:32], off
	s_or_b64 exec, exec, s[8:9]
	s_and_saveexec_b64 s[6:7], s[2:3]
	s_cbranch_execz .LBB8_288
.LBB8_295:                              ;   in Loop: Header=BB8_145 Depth=1
	v_cmp_gt_f64_e32 vcc, 0, v[33:34]
	v_cmp_class_f64_e64 s[2:3], v[33:34], v79
	v_cmp_lt_u32_e64 s[4:5], s66, v46
	v_mov_b32_e32 v35, s15
	s_and_b64 s[4:5], vcc, s[4:5]
	s_or_b64 vcc, s[2:3], s[4:5]
	v_cndmask_b32_e64 v31, v47, 0, vcc
	v_cndmask_b32_e32 v32, v48, v80, vcc
	v_cmp_u_f64_e32 vcc, v[33:34], v[33:34]
	v_cndmask_b32_e32 v32, v32, v34, vcc
	v_cndmask_b32_e32 v31, v31, v33, vcc
	v_add_co_u32_e32 v33, vcc, s14, v67
	v_addc_co_u32_e32 v34, vcc, v68, v35, vcc
	global_store_dwordx2 v[33:34], v[31:32], off
	s_or_b64 exec, exec, s[6:7]
	s_and_saveexec_b64 s[4:5], s[0:1]
	s_cbranch_execz .LBB8_144
.LBB8_296:                              ;   in Loop: Header=BB8_145 Depth=1
	v_cmp_gt_f64_e32 vcc, 0, v[29:30]
	v_cmp_class_f64_e64 s[0:1], v[29:30], v79
	v_cmp_lt_u32_e64 s[2:3], s66, v50
	v_mov_b32_e32 v33, s15
	s_and_b64 s[2:3], vcc, s[2:3]
	s_or_b64 vcc, s[0:1], s[2:3]
	v_cndmask_b32_e64 v31, v51, 0, vcc
	v_cndmask_b32_e32 v32, v52, v80, vcc
	v_cmp_u_f64_e32 vcc, v[29:30], v[29:30]
	v_cndmask_b32_e32 v30, v32, v30, vcc
	v_cndmask_b32_e32 v29, v31, v29, vcc
	v_add_co_u32_e32 v31, vcc, s14, v63
	v_addc_co_u32_e32 v32, vcc, v64, v33, vcc
	global_store_dwordx2 v[31:32], v[29:30], off
	s_branch .LBB8_144
.LBB8_297:
	s_endpgm
	.section	.rodata,"a",@progbits
	.p2align	6, 0x0
	.amdhsa_kernel _ZN2at6native12_GLOBAL__N_125multi_tensor_apply_kernelINS1_18TensorListMetadataILi2EEENS1_14UnaryOpFunctorIdLi2ELi1ELi1EEEJNS0_6LgammaIdEEEEEvT_T0_DpT1_
		.amdhsa_group_segment_fixed_size 0
		.amdhsa_private_segment_fixed_size 0
		.amdhsa_kernarg_size 3408
		.amdhsa_user_sgpr_count 6
		.amdhsa_user_sgpr_private_segment_buffer 1
		.amdhsa_user_sgpr_dispatch_ptr 0
		.amdhsa_user_sgpr_queue_ptr 0
		.amdhsa_user_sgpr_kernarg_segment_ptr 1
		.amdhsa_user_sgpr_dispatch_id 0
		.amdhsa_user_sgpr_flat_scratch_init 0
		.amdhsa_user_sgpr_private_segment_size 0
		.amdhsa_uses_dynamic_stack 0
		.amdhsa_system_sgpr_private_segment_wavefront_offset 0
		.amdhsa_system_sgpr_workgroup_id_x 1
		.amdhsa_system_sgpr_workgroup_id_y 0
		.amdhsa_system_sgpr_workgroup_id_z 0
		.amdhsa_system_sgpr_workgroup_info 0
		.amdhsa_system_vgpr_workitem_id 0
		.amdhsa_next_free_vgpr 97
		.amdhsa_next_free_sgpr 96
		.amdhsa_reserve_vcc 1
		.amdhsa_reserve_flat_scratch 0
		.amdhsa_float_round_mode_32 0
		.amdhsa_float_round_mode_16_64 0
		.amdhsa_float_denorm_mode_32 3
		.amdhsa_float_denorm_mode_16_64 3
		.amdhsa_dx10_clamp 1
		.amdhsa_ieee_mode 1
		.amdhsa_fp16_overflow 0
		.amdhsa_exception_fp_ieee_invalid_op 0
		.amdhsa_exception_fp_denorm_src 0
		.amdhsa_exception_fp_ieee_div_zero 0
		.amdhsa_exception_fp_ieee_overflow 0
		.amdhsa_exception_fp_ieee_underflow 0
		.amdhsa_exception_fp_ieee_inexact 0
		.amdhsa_exception_int_div_zero 0
	.end_amdhsa_kernel
	.section	.text._ZN2at6native12_GLOBAL__N_125multi_tensor_apply_kernelINS1_18TensorListMetadataILi2EEENS1_14UnaryOpFunctorIdLi2ELi1ELi1EEEJNS0_6LgammaIdEEEEEvT_T0_DpT1_,"axG",@progbits,_ZN2at6native12_GLOBAL__N_125multi_tensor_apply_kernelINS1_18TensorListMetadataILi2EEENS1_14UnaryOpFunctorIdLi2ELi1ELi1EEEJNS0_6LgammaIdEEEEEvT_T0_DpT1_,comdat
.Lfunc_end8:
	.size	_ZN2at6native12_GLOBAL__N_125multi_tensor_apply_kernelINS1_18TensorListMetadataILi2EEENS1_14UnaryOpFunctorIdLi2ELi1ELi1EEEJNS0_6LgammaIdEEEEEvT_T0_DpT1_, .Lfunc_end8-_ZN2at6native12_GLOBAL__N_125multi_tensor_apply_kernelINS1_18TensorListMetadataILi2EEENS1_14UnaryOpFunctorIdLi2ELi1ELi1EEEJNS0_6LgammaIdEEEEEvT_T0_DpT1_
                                        ; -- End function
	.set _ZN2at6native12_GLOBAL__N_125multi_tensor_apply_kernelINS1_18TensorListMetadataILi2EEENS1_14UnaryOpFunctorIdLi2ELi1ELi1EEEJNS0_6LgammaIdEEEEEvT_T0_DpT1_.num_vgpr, 97
	.set _ZN2at6native12_GLOBAL__N_125multi_tensor_apply_kernelINS1_18TensorListMetadataILi2EEENS1_14UnaryOpFunctorIdLi2ELi1ELi1EEEJNS0_6LgammaIdEEEEEvT_T0_DpT1_.num_agpr, 0
	.set _ZN2at6native12_GLOBAL__N_125multi_tensor_apply_kernelINS1_18TensorListMetadataILi2EEENS1_14UnaryOpFunctorIdLi2ELi1ELi1EEEJNS0_6LgammaIdEEEEEvT_T0_DpT1_.numbered_sgpr, 96
	.set _ZN2at6native12_GLOBAL__N_125multi_tensor_apply_kernelINS1_18TensorListMetadataILi2EEENS1_14UnaryOpFunctorIdLi2ELi1ELi1EEEJNS0_6LgammaIdEEEEEvT_T0_DpT1_.num_named_barrier, 0
	.set _ZN2at6native12_GLOBAL__N_125multi_tensor_apply_kernelINS1_18TensorListMetadataILi2EEENS1_14UnaryOpFunctorIdLi2ELi1ELi1EEEJNS0_6LgammaIdEEEEEvT_T0_DpT1_.private_seg_size, 0
	.set _ZN2at6native12_GLOBAL__N_125multi_tensor_apply_kernelINS1_18TensorListMetadataILi2EEENS1_14UnaryOpFunctorIdLi2ELi1ELi1EEEJNS0_6LgammaIdEEEEEvT_T0_DpT1_.uses_vcc, 1
	.set _ZN2at6native12_GLOBAL__N_125multi_tensor_apply_kernelINS1_18TensorListMetadataILi2EEENS1_14UnaryOpFunctorIdLi2ELi1ELi1EEEJNS0_6LgammaIdEEEEEvT_T0_DpT1_.uses_flat_scratch, 0
	.set _ZN2at6native12_GLOBAL__N_125multi_tensor_apply_kernelINS1_18TensorListMetadataILi2EEENS1_14UnaryOpFunctorIdLi2ELi1ELi1EEEJNS0_6LgammaIdEEEEEvT_T0_DpT1_.has_dyn_sized_stack, 0
	.set _ZN2at6native12_GLOBAL__N_125multi_tensor_apply_kernelINS1_18TensorListMetadataILi2EEENS1_14UnaryOpFunctorIdLi2ELi1ELi1EEEJNS0_6LgammaIdEEEEEvT_T0_DpT1_.has_recursion, 0
	.set _ZN2at6native12_GLOBAL__N_125multi_tensor_apply_kernelINS1_18TensorListMetadataILi2EEENS1_14UnaryOpFunctorIdLi2ELi1ELi1EEEJNS0_6LgammaIdEEEEEvT_T0_DpT1_.has_indirect_call, 0
	.section	.AMDGPU.csdata,"",@progbits
; Kernel info:
; codeLenInByte = 54476
; TotalNumSgprs: 100
; NumVgprs: 97
; ScratchSize: 0
; MemoryBound: 1
; FloatMode: 240
; IeeeMode: 1
; LDSByteSize: 0 bytes/workgroup (compile time only)
; SGPRBlocks: 12
; VGPRBlocks: 24
; NumSGPRsForWavesPerEU: 100
; NumVGPRsForWavesPerEU: 97
; Occupancy: 2
; WaveLimiterHint : 0
; COMPUTE_PGM_RSRC2:SCRATCH_EN: 0
; COMPUTE_PGM_RSRC2:USER_SGPR: 6
; COMPUTE_PGM_RSRC2:TRAP_HANDLER: 0
; COMPUTE_PGM_RSRC2:TGID_X_EN: 1
; COMPUTE_PGM_RSRC2:TGID_Y_EN: 0
; COMPUTE_PGM_RSRC2:TGID_Z_EN: 0
; COMPUTE_PGM_RSRC2:TIDIG_COMP_CNT: 0
	.section	.text._ZN2at6native12_GLOBAL__N_125multi_tensor_apply_kernelINS1_18TensorListMetadataILi2EEENS1_14UnaryOpFunctorIfLi2ELi1ELi1EEEJNS0_6LgammaIfEEEEEvT_T0_DpT1_,"axG",@progbits,_ZN2at6native12_GLOBAL__N_125multi_tensor_apply_kernelINS1_18TensorListMetadataILi2EEENS1_14UnaryOpFunctorIfLi2ELi1ELi1EEEJNS0_6LgammaIfEEEEEvT_T0_DpT1_,comdat
	.globl	_ZN2at6native12_GLOBAL__N_125multi_tensor_apply_kernelINS1_18TensorListMetadataILi2EEENS1_14UnaryOpFunctorIfLi2ELi1ELi1EEEJNS0_6LgammaIfEEEEEvT_T0_DpT1_ ; -- Begin function _ZN2at6native12_GLOBAL__N_125multi_tensor_apply_kernelINS1_18TensorListMetadataILi2EEENS1_14UnaryOpFunctorIfLi2ELi1ELi1EEEJNS0_6LgammaIfEEEEEvT_T0_DpT1_
	.p2align	8
	.type	_ZN2at6native12_GLOBAL__N_125multi_tensor_apply_kernelINS1_18TensorListMetadataILi2EEENS1_14UnaryOpFunctorIfLi2ELi1ELi1EEEJNS0_6LgammaIfEEEEEvT_T0_DpT1_,@function
_ZN2at6native12_GLOBAL__N_125multi_tensor_apply_kernelINS1_18TensorListMetadataILi2EEENS1_14UnaryOpFunctorIfLi2ELi1ELi1EEEJNS0_6LgammaIfEEEEEvT_T0_DpT1_: ; @_ZN2at6native12_GLOBAL__N_125multi_tensor_apply_kernelINS1_18TensorListMetadataILi2EEENS1_14UnaryOpFunctorIfLi2ELi1ELi1EEEJNS0_6LgammaIfEEEEEvT_T0_DpT1_
; %bb.0:
	v_mov_b32_e32 v1, s6
	global_load_ubyte v1, v1, s[4:5] offset:1536
	s_add_u32 s0, s4, s6
	s_mul_hi_u32 s2, s6, 3
	s_mul_i32 s6, s6, 3
	s_addc_u32 s7, s5, 0
	s_add_u32 s6, s0, s6
	s_addc_u32 s7, s7, s2
	s_load_dword s6, s[6:7], 0x740
	s_mov_b32 s1, 0
	s_mov_b32 s3, s1
	s_waitcnt lgkmcnt(0)
	s_ashr_i32 s7, s6, 31
	s_lshl_b64 s[18:19], s[6:7], 18
	s_lshl_b64 s[6:7], s[6:7], 16
	s_waitcnt vmcnt(0)
	v_readfirstlane_b32 s0, v1
	s_lshl_b32 s0, s0, 3
	s_load_dwordx2 s[8:9], s[4:5], s0 offset:0x400
	s_load_dwordx2 s[14:15], s[4:5], s0 offset:0x0
	;; [unrolled: 1-line block ×3, first 2 shown]
	s_waitcnt lgkmcnt(0)
	s_add_u32 s0, s14, s18
	s_and_b32 s2, s12, 15
	s_and_b32 s0, s0, 15
	s_sub_u32 s16, s8, s6
	s_subb_u32 s17, s9, s7
	s_and_b32 s6, s8, 3
	s_mov_b32 s7, s1
	s_or_b64 s[2:3], s[2:3], s[6:7]
	s_or_b64 s[0:1], s[2:3], s[0:1]
	s_cmp_eq_u64 s[0:1], 0
	s_mov_b64 s[0:1], -1
	s_cbranch_scc0 .LBB9_157
; %bb.1:
	v_mov_b32_e32 v1, 0x10000
	v_mov_b32_e32 v2, 0
	v_cmp_lt_i64_e32 vcc, s[16:17], v[1:2]
	v_mov_b32_e32 v2, 0
	s_and_b64 s[0:1], vcc, exec
	s_cselect_b32 s21, s17, 0
	s_cselect_b32 s20, s16, 0x10000
	v_lshlrev_b32_e32 v1, 2, v0
	v_cmp_gt_i64_e32 vcc, s[20:21], v[1:2]
	s_and_saveexec_b64 s[22:23], vcc
	s_cbranch_execz .LBB9_156
; %bb.2:
	s_load_dword s0, s[4:5], 0xc5c
	v_mov_b32_e32 v1, v2
	v_lshlrev_b32_e32 v2, 4, v0
	v_mov_b32_e32 v3, s19
	v_add_co_u32_e32 v7, vcc, s18, v2
	s_waitcnt lgkmcnt(0)
	s_and_b32 s33, s0, 0xffff
	v_mov_b32_e32 v6, v1
	v_addc_co_u32_e32 v8, vcc, 0, v3, vcc
	s_lshl_b32 s34, s33, 4
	s_mov_b64 s[24:25], 0
	v_mov_b32_e32 v9, s15
	s_mov_b32 s35, 0x3c800000
	s_mov_b32 s36, 0x41000000
	;; [unrolled: 1-line block ×6, first 2 shown]
	v_mov_b32_e32 v10, 0xba1c065c
	v_mov_b32_e32 v11, 0x3a500cfd
	;; [unrolled: 1-line block ×14, first 2 shown]
	s_mov_b32 s41, 0x3f666666
	s_mov_b32 s42, 0x3f3b4a23
	;; [unrolled: 1-line block ×7, first 2 shown]
	v_mov_b32_e32 v24, 0x3f7a4bb2
	v_mov_b32_e32 v25, 0x3fba3ae7
	;; [unrolled: 1-line block ×15, first 2 shown]
	s_mov_b32 s48, 0xa2863e55
	v_mov_b32_e32 v39, 0x3a9c54a1
	v_mov_b32_e32 v40, 0x3bf2027e
	;; [unrolled: 1-line block ×8, first 2 shown]
	s_mov_b32 s49, 0x3e8a8991
	s_mov_b32 s50, 0x3f528d33
	;; [unrolled: 1-line block ×5, first 2 shown]
	v_mov_b32_e32 v47, 0x40234736
	v_mov_b32_e32 v48, 0xc0a55e0e
	v_mov_b32_e32 v49, 0xbfaad1da
	v_mov_b32_e32 v50, 0x4081e0d3
	v_mov_b32_e32 v51, 0xc09de9e6
	v_mov_b32_e32 v52, 0x264
	v_mov_b32_e32 v53, 0x41b17218
	v_mov_b32_e32 v54, 0xbecd26ab
	v_mov_b32_e32 v55, 0x7f800000
	v_mov_b32_e32 v5, v0
	s_branch .LBB9_4
.LBB9_3:                                ;   in Loop: Header=BB9_4 Depth=1
	s_or_b64 exec, exec, s[26:27]
	v_cmp_lt_f32_e64 s[8:9], |v3|, s52
	s_or_b64 s[2:3], s[2:3], s[8:9]
	v_cndmask_b32_e64 v58, v55, v58, s[2:3]
	v_cmp_class_f32_e64 s[2:3], v3, v52
	v_cndmask_b32_e64 v58, v58, v55, s[2:3]
	v_cmp_u_f32_e64 s[2:3], v3, v3
	v_cndmask_b32_e64 v3, v58, v3, s[2:3]
	v_cmp_lt_f32_e64 s[2:3], |v2|, s52
	s_or_b64 s[0:1], s[0:1], s[2:3]
	v_cndmask_b32_e64 v57, v55, v57, s[0:1]
	v_cmp_class_f32_e64 s[0:1], v2, v52
	v_cndmask_b32_e64 v57, v57, v55, s[0:1]
	v_cmp_u_f32_e64 s[0:1], v2, v2
	v_cndmask_b32_e64 v2, v57, v2, s[0:1]
	v_cmp_lt_f32_e64 s[0:1], |v1|, s52
	s_or_b64 vcc, vcc, s[0:1]
	v_cndmask_b32_e32 v56, v55, v56, vcc
	v_cmp_class_f32_e32 vcc, v1, v52
	v_cndmask_b32_e32 v56, v56, v55, vcc
	v_cmp_u_f32_e32 vcc, v1, v1
	v_cmp_lt_f32_e64 s[0:1], |v4|, s52
	v_cndmask_b32_e32 v1, v56, v1, vcc
	s_or_b64 vcc, s[6:7], s[0:1]
	v_cndmask_b32_e32 v56, v55, v60, vcc
	v_cmp_class_f32_e32 vcc, v4, v52
	v_cndmask_b32_e32 v56, v56, v55, vcc
	v_cmp_u_f32_e32 vcc, v4, v4
	v_cndmask_b32_e32 v4, v56, v4, vcc
	v_add_co_u32_e32 v5, vcc, s33, v5
	v_addc_co_u32_e32 v6, vcc, 0, v6, vcc
	v_mov_b32_e32 v59, s13
	v_lshlrev_b64 v[56:57], 2, v[5:6]
	v_add_co_u32_e32 v58, vcc, s12, v7
	v_addc_co_u32_e32 v59, vcc, v59, v8, vcc
	v_cmp_le_i64_e32 vcc, s[20:21], v[56:57]
	global_store_dwordx4 v[58:59], v[1:4], off
	s_or_b64 s[24:25], vcc, s[24:25]
	v_add_co_u32_e32 v7, vcc, s34, v7
	v_addc_co_u32_e32 v8, vcc, 0, v8, vcc
	s_andn2_b64 exec, exec, s[24:25]
	s_cbranch_execz .LBB9_156
.LBB9_4:                                ; =>This Inner Loop Header: Depth=1
	v_add_co_u32_e32 v1, vcc, s14, v7
	v_addc_co_u32_e32 v2, vcc, v9, v8, vcc
	global_load_dwordx4 v[1:4], v[1:2], off
                                        ; implicit-def: $vgpr56
	s_waitcnt vmcnt(0)
	v_and_b32_e32 v57, 0x7fffffff, v1
	v_cmp_nlt_f32_e64 s[0:1], |v1|, s35
	s_and_saveexec_b64 s[2:3], s[0:1]
	s_xor_b64 s[2:3], exec, s[2:3]
	s_cbranch_execz .LBB9_34
; %bb.5:                                ;   in Loop: Header=BB9_4 Depth=1
	v_cmp_nlt_f32_e64 s[0:1], |v1|, 2.0
                                        ; implicit-def: $vgpr56
	s_and_saveexec_b64 s[6:7], s[0:1]
	s_xor_b64 s[6:7], exec, s[6:7]
	s_cbranch_execz .LBB9_15
; %bb.6:                                ;   in Loop: Header=BB9_4 Depth=1
	v_cmp_nlt_f32_e64 s[0:1], |v1|, s36
                                        ; implicit-def: $vgpr56
	s_and_saveexec_b64 s[8:9], s[0:1]
	s_xor_b64 s[8:9], exec, s[8:9]
	s_cbranch_execz .LBB9_12
; %bb.7:                                ;   in Loop: Header=BB9_4 Depth=1
	v_cmp_nlt_f32_e64 s[0:1], |v1|, s37
                                        ; implicit-def: $vgpr56
	s_and_saveexec_b64 s[10:11], s[0:1]
	s_xor_b64 s[10:11], exec, s[10:11]
	s_cbranch_execz .LBB9_9
; %bb.8:                                ;   in Loop: Header=BB9_4 Depth=1
	v_cmp_lt_f32_e64 vcc, |v1|, s38
	v_cndmask_b32_e64 v56, 0, 32, vcc
	v_ldexp_f32 v56, |v1|, v56
	v_log_f32_e32 v56, v56
	v_mul_f32_e32 v58, 0x3f317217, v56
	v_fma_f32 v59, v56, s39, -v58
	v_fmac_f32_e32 v59, 0x3377d1cf, v56
	v_add_f32_e32 v58, v58, v59
	v_cmp_lt_f32_e64 s[0:1], |v56|, s40
	v_cndmask_b32_e64 v56, v56, v58, s[0:1]
	v_cndmask_b32_e32 v58, 0, v53, vcc
	v_sub_f32_e32 v56, v56, v58
	v_fma_f32 v56, |v1|, v56, -|v1|
.LBB9_9:                                ;   in Loop: Header=BB9_4 Depth=1
	s_andn2_saveexec_b64 s[10:11], s[10:11]
	s_cbranch_execz .LBB9_11
; %bb.10:                               ;   in Loop: Header=BB9_4 Depth=1
	v_rcp_f32_e64 v56, |v1|
	v_cmp_lt_f32_e64 vcc, |v1|, s38
	v_cndmask_b32_e64 v59, 0, 32, vcc
	v_mov_b32_e32 v58, 0x3a5b3dd2
	v_mul_f32_e32 v60, v56, v56
	v_ldexp_f32 v59, |v1|, v59
	v_fmac_f32_e32 v58, 0xbad5c4e8, v60
	v_log_f32_e32 v59, v59
	v_fma_f32 v58, v60, v58, v10
	v_fma_f32 v58, v60, v58, v11
	;; [unrolled: 1-line block ×4, first 2 shown]
	v_mul_f32_e32 v60, 0x3f317217, v59
	v_fma_f32 v61, v59, s39, -v60
	v_fmac_f32_e32 v61, 0x3377d1cf, v59
	v_add_f32_e32 v60, v60, v61
	v_cmp_lt_f32_e64 s[0:1], |v59|, s40
	v_cndmask_b32_e64 v59, v59, v60, s[0:1]
	v_cndmask_b32_e32 v60, 0, v53, vcc
	v_sub_f32_e32 v59, v59, v60
	v_fma_f32 v56, v56, v58, v14
	v_add_f32_e64 v58, |v1|, -0.5
	v_add_f32_e32 v59, -1.0, v59
	v_fmac_f32_e32 v56, v58, v59
.LBB9_11:                               ;   in Loop: Header=BB9_4 Depth=1
	s_or_b64 exec, exec, s[10:11]
.LBB9_12:                               ;   in Loop: Header=BB9_4 Depth=1
	s_andn2_saveexec_b64 s[8:9], s[8:9]
	s_cbranch_execz .LBB9_14
; %bb.13:                               ;   in Loop: Header=BB9_4 Depth=1
	v_cvt_i32_f32_e32 v56, v57
	v_mov_b32_e32 v60, 0x3a4beed6
	v_mov_b32_e32 v59, 0x3af135b4
	v_cvt_f32_i32_e32 v58, v56
	v_cmp_lt_i32_e32 vcc, 2, v56
	v_sub_f32_e64 v58, |v1|, v58
	v_add_f32_e32 v61, 2.0, v58
	v_add_f32_e32 v62, 0x40400000, v58
	v_cndmask_b32_e32 v61, 1.0, v61, vcc
	v_cmp_lt_i32_e32 vcc, 3, v56
	v_add_f32_e32 v63, 4.0, v58
	v_cndmask_b32_e32 v62, 1.0, v62, vcc
	v_cmp_lt_i32_e32 vcc, 4, v56
	v_fmac_f32_e32 v60, 0x36f5d7bd, v58
	v_add_f32_e32 v64, 0x40a00000, v58
	v_mul_f32_e32 v61, v61, v62
	v_cndmask_b32_e32 v62, 1.0, v63, vcc
	v_cmp_lt_i32_e32 vcc, 5, v56
	v_fma_f32 v60, v58, v60, v20
	v_add_f32_e32 v65, 0x40c00000, v58
	v_mul_f32_e32 v61, v62, v61
	v_cndmask_b32_e32 v62, 1.0, v64, vcc
	v_cmp_lt_i32_e32 vcc, 6, v56
	v_fma_f32 v60, v58, v60, v21
	v_mul_f32_e32 v61, v62, v61
	v_cndmask_b32_e32 v56, 1.0, v65, vcc
	v_fmac_f32_e32 v59, 0x3805ff67, v58
	v_fma_f32 v60, v58, v60, v22
	v_mul_f32_e32 v56, v56, v61
	v_fma_f32 v59, v58, v59, v15
	v_fma_f32 v60, v58, v60, v23
	v_cmp_gt_f32_e32 vcc, s38, v56
	v_fma_f32 v59, v58, v59, v16
	v_fma_f32 v60, v58, v60, 1.0
	v_cndmask_b32_e64 v61, 0, 32, vcc
	v_fma_f32 v59, v58, v59, v17
	v_rcp_f32_e32 v60, v60
	v_ldexp_f32 v56, v56, v61
	v_fma_f32 v59, v58, v59, v18
	v_log_f32_e32 v56, v56
	v_fma_f32 v59, v58, v59, v19
	v_mul_f32_e32 v59, v58, v59
	v_mul_f32_e32 v59, v59, v60
	v_fmac_f32_e32 v59, 0.5, v58
	v_mul_f32_e32 v58, 0x3f317217, v56
	v_fma_f32 v60, v56, s39, -v58
	v_fmac_f32_e32 v60, 0x3377d1cf, v56
	v_add_f32_e32 v58, v58, v60
	v_cmp_lt_f32_e64 s[0:1], |v56|, s40
	v_cndmask_b32_e64 v56, v56, v58, s[0:1]
	v_cndmask_b32_e32 v58, 0, v53, vcc
	v_sub_f32_e32 v56, v56, v58
	v_add_f32_e32 v56, v56, v59
.LBB9_14:                               ;   in Loop: Header=BB9_4 Depth=1
	s_or_b64 exec, exec, s[8:9]
.LBB9_15:                               ;   in Loop: Header=BB9_4 Depth=1
	s_andn2_saveexec_b64 s[0:1], s[6:7]
	s_cbranch_execz .LBB9_33
; %bb.16:                               ;   in Loop: Header=BB9_4 Depth=1
	v_cmp_le_f32_e64 s[6:7], |v1|, s41
                                        ; implicit-def: $vgpr56
                                        ; implicit-def: $vgpr59
                                        ; implicit-def: $vgpr58
	s_and_saveexec_b64 s[8:9], s[6:7]
	s_xor_b64 s[6:7], exec, s[8:9]
	s_cbranch_execz .LBB9_18
; %bb.17:                               ;   in Loop: Header=BB9_4 Depth=1
	v_cmp_lt_f32_e64 vcc, |v1|, s38
	v_cndmask_b32_e64 v56, 0, 32, vcc
	v_ldexp_f32 v56, |v1|, v56
	v_log_f32_e32 v56, v56
	v_cndmask_b32_e32 v58, 0, v53, vcc
	v_cmp_lt_f32_e64 s[8:9], |v1|, s44
	v_mul_f32_e32 v59, 0x3f317217, v56
	v_fma_f32 v60, v56, s39, -v59
	v_fmac_f32_e32 v60, 0x3377d1cf, v56
	v_add_f32_e32 v59, v59, v60
	v_cmp_lt_f32_e64 vcc, |v56|, s40
	v_cndmask_b32_e32 v56, v56, v59, vcc
	v_sub_f32_e32 v56, v56, v58
	v_sub_f32_e64 v58, 1.0, |v1|
	v_add_f32_e64 v59, |v1|, s43
	v_cmp_lt_f32_e64 vcc, |v1|, s42
	v_cndmask_b32_e32 v58, v58, v59, vcc
	v_cndmask_b32_e64 v59, 0, 1, vcc
	v_xor_b32_e32 v56, 0x80000000, v56
	v_cndmask_b32_e64 v58, v58, |v1|, s[8:9]
	v_cndmask_b32_e64 v59, v59, 2, s[8:9]
.LBB9_18:                               ;   in Loop: Header=BB9_4 Depth=1
	s_andn2_saveexec_b64 s[6:7], s[6:7]
	s_cbranch_execz .LBB9_20
; %bb.19:                               ;   in Loop: Header=BB9_4 Depth=1
	v_sub_f32_e64 v56, 2.0, |v1|
	v_add_f32_e64 v58, |v1|, s46
	v_cmp_lt_f32_e64 vcc, |v1|, s45
	v_cndmask_b32_e32 v58, v56, v58, vcc
	v_cndmask_b32_e64 v56, v56, 1.0, vcc
	v_cvt_i32_f32_e32 v56, v56
	v_add_f32_e64 v59, |v1|, -1.0
	v_cmp_lt_f32_e64 vcc, |v1|, s47
	v_cndmask_b32_e32 v58, v58, v59, vcc
	v_cndmask_b32_e64 v59, v56, 2, vcc
	v_mov_b32_e32 v56, 0
.LBB9_20:                               ;   in Loop: Header=BB9_4 Depth=1
	s_or_b64 exec, exec, s[6:7]
	v_cmp_lt_i32_e32 vcc, 0, v59
	s_and_saveexec_b64 s[6:7], vcc
	s_xor_b64 s[6:7], exec, s[6:7]
	s_cbranch_execz .LBB9_28
; %bb.21:                               ;   in Loop: Header=BB9_4 Depth=1
	v_cmp_lt_i32_e32 vcc, 1, v59
	s_and_saveexec_b64 s[8:9], vcc
	s_xor_b64 s[8:9], exec, s[8:9]
	s_cbranch_execz .LBB9_25
; %bb.22:                               ;   in Loop: Header=BB9_4 Depth=1
	v_cmp_eq_u32_e32 vcc, 2, v59
	s_and_saveexec_b64 s[10:11], vcc
	s_cbranch_execz .LBB9_24
; %bb.23:                               ;   in Loop: Header=BB9_4 Depth=1
	v_mov_b32_e32 v60, 0x3dd572af
	v_fmac_f32_e32 v60, 0x3b52d5db, v58
	v_fma_f32 v60, v58, v60, v27
	v_mov_b32_e32 v59, 0x3e6a7578
	v_fma_f32 v60, v58, v60, v28
	v_fmac_f32_e32 v59, 0x3c5b3c5e, v58
	v_fma_f32 v60, v58, v60, v29
	v_fma_f32 v59, v58, v59, v24
	v_fma_f32 v60, v58, v60, 1.0
	v_fma_f32 v59, v58, v59, v25
	v_rcp_f32_e32 v60, v60
	v_fma_f32 v59, v58, v59, v26
	v_fma_f32 v59, v58, v59, v19
	v_mul_f32_e32 v59, v58, v59
	v_mul_f32_e32 v59, v59, v60
	v_fmac_f32_e32 v59, -0.5, v58
	v_add_f32_e32 v56, v56, v59
.LBB9_24:                               ;   in Loop: Header=BB9_4 Depth=1
	s_or_b64 exec, exec, s[10:11]
                                        ; implicit-def: $vgpr58
.LBB9_25:                               ;   in Loop: Header=BB9_4 Depth=1
	s_andn2_saveexec_b64 s[8:9], s[8:9]
	s_cbranch_execz .LBB9_27
; %bb.26:                               ;   in Loop: Header=BB9_4 Depth=1
	v_mul_f32_e32 v59, v58, v58
	v_mul_f32_e32 v60, v58, v59
	v_mov_b32_e32 v62, 0x3a66f867
	v_mov_b32_e32 v63, 0xba0d3085
	v_fmac_f32_e32 v62, 0xb9a3f927, v60
	v_fmac_f32_e32 v63, 0x39afe9f7, v60
	v_mov_b32_e32 v61, 0xbab7f476
	v_fma_f32 v62, v60, v62, v33
	v_fma_f32 v63, v60, v63, v36
	v_fmac_f32_e32 v61, 0x39a57b6b, v60
	v_fma_f32 v62, v60, v62, v34
	v_fma_f32 v63, v60, v63, v37
	;; [unrolled: 1-line block ×6, first 2 shown]
	v_fmac_f32_e32 v62, v58, v63
	v_fma_f32 v61, v60, v61, v32
	v_fma_f32 v58, v60, -v62, s48
	v_fma_f32 v58, v59, v61, -v58
	v_add_f32_e32 v58, 0xbdf8cdce, v58
	v_add_f32_e32 v56, v56, v58
.LBB9_27:                               ;   in Loop: Header=BB9_4 Depth=1
	s_or_b64 exec, exec, s[8:9]
                                        ; implicit-def: $vgpr59
                                        ; implicit-def: $vgpr58
.LBB9_28:                               ;   in Loop: Header=BB9_4 Depth=1
	s_andn2_saveexec_b64 s[6:7], s[6:7]
	s_cbranch_execz .LBB9_32
; %bb.29:                               ;   in Loop: Header=BB9_4 Depth=1
	v_cmp_eq_u32_e32 vcc, 0, v59
	s_and_saveexec_b64 s[8:9], vcc
	s_cbranch_execz .LBB9_31
; %bb.30:                               ;   in Loop: Header=BB9_4 Depth=1
	v_mul_f32_e32 v59, v58, v58
	v_mov_b32_e32 v61, 0x38e28445
	v_mov_b32_e32 v60, 0x39679767
	v_fmac_f32_e32 v61, 0x383c2c75, v59
	v_fmac_f32_e32 v60, 0x37d383a2, v59
	v_fma_f32 v61, v59, v61, v43
	v_fma_f32 v60, v59, v60, v39
	;; [unrolled: 1-line block ×8, first 2 shown]
	v_mul_f32_e32 v59, v59, v61
	v_fmac_f32_e32 v59, v58, v60
	v_fmac_f32_e32 v59, -0.5, v58
	v_add_f32_e32 v56, v56, v59
.LBB9_31:                               ;   in Loop: Header=BB9_4 Depth=1
	s_or_b64 exec, exec, s[8:9]
.LBB9_32:                               ;   in Loop: Header=BB9_4 Depth=1
	s_or_b64 exec, exec, s[6:7]
.LBB9_33:                               ;   in Loop: Header=BB9_4 Depth=1
	s_or_b64 exec, exec, s[0:1]
.LBB9_34:                               ;   in Loop: Header=BB9_4 Depth=1
	s_andn2_saveexec_b64 s[2:3], s[2:3]
	s_cbranch_execz .LBB9_36
; %bb.35:                               ;   in Loop: Header=BB9_4 Depth=1
	v_cmp_lt_f32_e64 vcc, |v1|, s38
	v_cndmask_b32_e64 v56, 0, 32, vcc
	v_ldexp_f32 v56, |v1|, v56
	v_log_f32_e32 v56, v56
	v_fma_f32 v58, |v1|, s49, v54
	v_fma_f32 v58, |v1|, v58, s50
	;; [unrolled: 1-line block ×3, first 2 shown]
	v_mul_f32_e32 v59, 0x3f317217, v56
	v_fma_f32 v60, v56, s39, -v59
	v_fmac_f32_e32 v60, 0x3377d1cf, v56
	v_add_f32_e32 v59, v59, v60
	v_cmp_lt_f32_e64 s[0:1], |v56|, s40
	v_cndmask_b32_e64 v56, v56, v59, s[0:1]
	v_cndmask_b32_e32 v59, 0, v53, vcc
	v_sub_f32_e32 v56, v56, v59
	v_fma_f32 v56, |v1|, v58, -v56
.LBB9_36:                               ;   in Loop: Header=BB9_4 Depth=1
	s_or_b64 exec, exec, s[2:3]
	v_cmp_le_f32_e32 vcc, 0, v1
	v_cmp_nle_f32_e64 s[0:1], 0, v1
	s_and_saveexec_b64 s[2:3], s[0:1]
	s_xor_b64 s[6:7], exec, s[2:3]
	s_cbranch_execz .LBB9_40
; %bb.37:                               ;   in Loop: Header=BB9_4 Depth=1
	v_cmp_lt_f32_e64 s[0:1], |v1|, s52
	v_cmp_gt_f32_e64 s[2:3], |v1|, s53
	s_and_b64 s[0:1], s[0:1], s[2:3]
	s_and_saveexec_b64 s[8:9], s[0:1]
	s_cbranch_execz .LBB9_39
; %bb.38:                               ;   in Loop: Header=BB9_4 Depth=1
	v_mul_f32_e64 v58, |v1|, 0.5
	v_floor_f32_e32 v59, v58
	v_sub_f32_e32 v59, v58, v59
	v_min_f32_e32 v59, 0x3f7fffff, v59
	v_add_f32_e32 v59, v59, v59
	v_cmp_neq_f32_e64 s[0:1], s40, v58
	v_cndmask_b32_e64 v58, 0, v59, s[0:1]
	v_cmp_gt_f32_e64 s[0:1], |v1|, 1.0
	v_cndmask_b32_e64 v58, |v1|, v58, s[0:1]
	v_add_f32_e32 v59, v58, v58
	v_rndne_f32_e32 v59, v59
	v_fmac_f32_e32 v58, -0.5, v59
	v_mul_f32_e32 v60, v58, v58
	v_mov_b32_e32 v61, 0xbf1f24be
	v_fmac_f32_e32 v61, 0x3e75aa41, v60
	v_fma_f32 v61, v60, v61, v47
	v_fma_f32 v61, v60, v61, v48
	v_mul_f32_e32 v62, v58, v60
	v_mul_f32_e32 v61, v62, v61
	v_fmac_f32_e32 v61, 0x40490fdb, v58
	v_mov_b32_e32 v58, 0x3e642e9d
	v_cvt_i32_f32_e32 v59, v59
	v_fmac_f32_e32 v58, 0x3d4be544, v60
	v_fma_f32 v58, v60, v58, v49
	v_fma_f32 v58, v60, v58, v50
	;; [unrolled: 1-line block ×3, first 2 shown]
	v_fma_f32 v58, v60, v58, 1.0
	v_and_b32_e32 v60, 1, v59
	v_lshlrev_b32_e32 v59, 30, v59
	v_cmp_eq_u32_e64 s[0:1], 0, v60
	v_and_b32_e32 v59, 0x80000000, v59
	v_xor_b32_e32 v57, v57, v1
	v_cndmask_b32_e64 v58, v58, v61, s[0:1]
	v_xor_b32_e32 v57, v57, v59
	v_xor_b32_e32 v57, v57, v58
	v_mul_f32_e32 v57, v1, v57
	v_frexp_mant_f32_e64 v58, |v57|
	v_rcp_f32_e32 v58, v58
	v_frexp_exp_i32_f32_e32 v57, v57
	v_sub_u32_e32 v57, 2, v57
	v_mul_f32_e32 v58, 0x3f490fdb, v58
	v_ldexp_f32 v57, v58, v57
	v_cmp_gt_f32_e64 s[0:1], s38, v57
	v_cndmask_b32_e64 v58, 0, 32, s[0:1]
	v_ldexp_f32 v57, v57, v58
	v_log_f32_e32 v57, v57
	v_mul_f32_e32 v58, 0x3f317217, v57
	v_fma_f32 v59, v57, s39, -v58
	v_fmac_f32_e32 v59, 0x3377d1cf, v57
	v_add_f32_e32 v58, v58, v59
	v_cmp_lt_f32_e64 s[2:3], |v57|, s40
	v_cndmask_b32_e64 v57, v57, v58, s[2:3]
	v_cndmask_b32_e64 v58, 0, v53, s[0:1]
	v_sub_f32_e32 v57, v57, v58
	v_sub_f32_e32 v56, v57, v56
	v_floor_f32_e32 v57, v1
	v_sub_f32_e32 v57, v1, v57
	v_min_f32_e32 v57, 0x3f7fffff, v57
	v_cmp_neq_f32_e64 s[0:1], 0, v57
	v_cndmask_b32_e64 v56, v55, v56, s[0:1]
.LBB9_39:                               ;   in Loop: Header=BB9_4 Depth=1
	s_or_b64 exec, exec, s[8:9]
.LBB9_40:                               ;   in Loop: Header=BB9_4 Depth=1
	s_andn2_saveexec_b64 s[6:7], s[6:7]
; %bb.41:                               ;   in Loop: Header=BB9_4 Depth=1
	v_cmp_eq_f32_e64 s[0:1], 1.0, v1
	v_cmp_eq_f32_e64 s[2:3], 2.0, v1
	s_or_b64 s[0:1], s[0:1], s[2:3]
	v_cndmask_b32_e64 v56, v56, 0, s[0:1]
; %bb.42:                               ;   in Loop: Header=BB9_4 Depth=1
	s_or_b64 exec, exec, s[6:7]
	v_and_b32_e32 v58, 0x7fffffff, v2
	v_cmp_nlt_f32_e64 s[0:1], |v2|, s35
                                        ; implicit-def: $vgpr57
	s_and_saveexec_b64 s[2:3], s[0:1]
	s_xor_b64 s[6:7], exec, s[2:3]
	s_cbranch_execz .LBB9_72
; %bb.43:                               ;   in Loop: Header=BB9_4 Depth=1
	v_cmp_nlt_f32_e64 s[0:1], |v2|, 2.0
                                        ; implicit-def: $vgpr57
	s_and_saveexec_b64 s[2:3], s[0:1]
	s_xor_b64 s[8:9], exec, s[2:3]
	s_cbranch_execz .LBB9_53
; %bb.44:                               ;   in Loop: Header=BB9_4 Depth=1
	v_cmp_nlt_f32_e64 s[0:1], |v2|, s36
                                        ; implicit-def: $vgpr57
	s_and_saveexec_b64 s[2:3], s[0:1]
	s_xor_b64 s[10:11], exec, s[2:3]
	s_cbranch_execz .LBB9_50
; %bb.45:                               ;   in Loop: Header=BB9_4 Depth=1
	v_cmp_nlt_f32_e64 s[0:1], |v2|, s37
                                        ; implicit-def: $vgpr57
	s_and_saveexec_b64 s[2:3], s[0:1]
	s_xor_b64 s[26:27], exec, s[2:3]
	s_cbranch_execz .LBB9_47
; %bb.46:                               ;   in Loop: Header=BB9_4 Depth=1
	v_cmp_lt_f32_e64 s[0:1], |v2|, s38
	v_cndmask_b32_e64 v57, 0, 32, s[0:1]
	v_ldexp_f32 v57, |v2|, v57
	v_log_f32_e32 v57, v57
	v_mul_f32_e32 v59, 0x3f317217, v57
	v_fma_f32 v60, v57, s39, -v59
	v_fmac_f32_e32 v60, 0x3377d1cf, v57
	v_add_f32_e32 v59, v59, v60
	v_cmp_lt_f32_e64 s[2:3], |v57|, s40
	v_cndmask_b32_e64 v57, v57, v59, s[2:3]
	v_cndmask_b32_e64 v59, 0, v53, s[0:1]
	v_sub_f32_e32 v57, v57, v59
	v_fma_f32 v57, |v2|, v57, -|v2|
.LBB9_47:                               ;   in Loop: Header=BB9_4 Depth=1
	s_andn2_saveexec_b64 s[26:27], s[26:27]
	s_cbranch_execz .LBB9_49
; %bb.48:                               ;   in Loop: Header=BB9_4 Depth=1
	v_rcp_f32_e64 v57, |v2|
	v_cmp_lt_f32_e64 s[0:1], |v2|, s38
	v_cndmask_b32_e64 v60, 0, 32, s[0:1]
	v_mov_b32_e32 v59, 0x3a5b3dd2
	v_mul_f32_e32 v61, v57, v57
	v_ldexp_f32 v60, |v2|, v60
	v_fmac_f32_e32 v59, 0xbad5c4e8, v61
	v_log_f32_e32 v60, v60
	v_fma_f32 v59, v61, v59, v10
	v_fma_f32 v59, v61, v59, v11
	;; [unrolled: 1-line block ×4, first 2 shown]
	v_mul_f32_e32 v61, 0x3f317217, v60
	v_fma_f32 v62, v60, s39, -v61
	v_fmac_f32_e32 v62, 0x3377d1cf, v60
	v_add_f32_e32 v61, v61, v62
	v_cmp_lt_f32_e64 s[2:3], |v60|, s40
	v_cndmask_b32_e64 v60, v60, v61, s[2:3]
	v_cndmask_b32_e64 v61, 0, v53, s[0:1]
	v_sub_f32_e32 v60, v60, v61
	v_fma_f32 v57, v57, v59, v14
	v_add_f32_e64 v59, |v2|, -0.5
	v_add_f32_e32 v60, -1.0, v60
	v_fmac_f32_e32 v57, v59, v60
.LBB9_49:                               ;   in Loop: Header=BB9_4 Depth=1
	s_or_b64 exec, exec, s[26:27]
.LBB9_50:                               ;   in Loop: Header=BB9_4 Depth=1
	s_andn2_saveexec_b64 s[10:11], s[10:11]
	s_cbranch_execz .LBB9_52
; %bb.51:                               ;   in Loop: Header=BB9_4 Depth=1
	v_cvt_i32_f32_e32 v57, v58
	v_mov_b32_e32 v61, 0x3a4beed6
	v_mov_b32_e32 v60, 0x3af135b4
	v_cvt_f32_i32_e32 v59, v57
	v_cmp_lt_i32_e64 s[0:1], 2, v57
	v_sub_f32_e64 v59, |v2|, v59
	v_add_f32_e32 v62, 2.0, v59
	v_add_f32_e32 v63, 0x40400000, v59
	v_cndmask_b32_e64 v62, 1.0, v62, s[0:1]
	v_cmp_lt_i32_e64 s[0:1], 3, v57
	v_add_f32_e32 v64, 4.0, v59
	v_cndmask_b32_e64 v63, 1.0, v63, s[0:1]
	v_cmp_lt_i32_e64 s[0:1], 4, v57
	v_fmac_f32_e32 v61, 0x36f5d7bd, v59
	v_add_f32_e32 v65, 0x40a00000, v59
	v_mul_f32_e32 v62, v62, v63
	v_cndmask_b32_e64 v63, 1.0, v64, s[0:1]
	v_cmp_lt_i32_e64 s[0:1], 5, v57
	v_fma_f32 v61, v59, v61, v20
	v_add_f32_e32 v66, 0x40c00000, v59
	v_mul_f32_e32 v62, v63, v62
	v_cndmask_b32_e64 v63, 1.0, v65, s[0:1]
	v_cmp_lt_i32_e64 s[0:1], 6, v57
	v_fma_f32 v61, v59, v61, v21
	v_mul_f32_e32 v62, v63, v62
	v_cndmask_b32_e64 v57, 1.0, v66, s[0:1]
	v_fmac_f32_e32 v60, 0x3805ff67, v59
	v_fma_f32 v61, v59, v61, v22
	v_mul_f32_e32 v57, v57, v62
	v_fma_f32 v60, v59, v60, v15
	v_fma_f32 v61, v59, v61, v23
	v_cmp_gt_f32_e64 s[0:1], s38, v57
	v_fma_f32 v60, v59, v60, v16
	v_fma_f32 v61, v59, v61, 1.0
	v_cndmask_b32_e64 v62, 0, 32, s[0:1]
	v_fma_f32 v60, v59, v60, v17
	v_rcp_f32_e32 v61, v61
	v_ldexp_f32 v57, v57, v62
	v_fma_f32 v60, v59, v60, v18
	v_log_f32_e32 v57, v57
	v_fma_f32 v60, v59, v60, v19
	v_mul_f32_e32 v60, v59, v60
	v_mul_f32_e32 v60, v60, v61
	v_fmac_f32_e32 v60, 0.5, v59
	v_mul_f32_e32 v59, 0x3f317217, v57
	v_fma_f32 v61, v57, s39, -v59
	v_fmac_f32_e32 v61, 0x3377d1cf, v57
	v_add_f32_e32 v59, v59, v61
	v_cmp_lt_f32_e64 s[2:3], |v57|, s40
	v_cndmask_b32_e64 v57, v57, v59, s[2:3]
	v_cndmask_b32_e64 v59, 0, v53, s[0:1]
	v_sub_f32_e32 v57, v57, v59
	v_add_f32_e32 v57, v57, v60
.LBB9_52:                               ;   in Loop: Header=BB9_4 Depth=1
	s_or_b64 exec, exec, s[10:11]
.LBB9_53:                               ;   in Loop: Header=BB9_4 Depth=1
	s_andn2_saveexec_b64 s[2:3], s[8:9]
	s_cbranch_execz .LBB9_71
; %bb.54:                               ;   in Loop: Header=BB9_4 Depth=1
	v_cmp_le_f32_e64 s[0:1], |v2|, s41
                                        ; implicit-def: $vgpr57
                                        ; implicit-def: $vgpr60
                                        ; implicit-def: $vgpr59
	s_and_saveexec_b64 s[8:9], s[0:1]
	s_xor_b64 s[8:9], exec, s[8:9]
	s_cbranch_execz .LBB9_56
; %bb.55:                               ;   in Loop: Header=BB9_4 Depth=1
	v_cmp_lt_f32_e64 s[0:1], |v2|, s38
	v_cndmask_b32_e64 v57, 0, 32, s[0:1]
	v_ldexp_f32 v57, |v2|, v57
	v_log_f32_e32 v57, v57
	v_cndmask_b32_e64 v59, 0, v53, s[0:1]
	v_mul_f32_e32 v60, 0x3f317217, v57
	v_fma_f32 v61, v57, s39, -v60
	v_fmac_f32_e32 v61, 0x3377d1cf, v57
	v_add_f32_e32 v60, v60, v61
	v_cmp_lt_f32_e64 s[0:1], |v57|, s40
	v_cndmask_b32_e64 v57, v57, v60, s[0:1]
	v_sub_f32_e32 v57, v57, v59
	v_sub_f32_e64 v59, 1.0, |v2|
	v_add_f32_e64 v60, |v2|, s43
	v_cmp_lt_f32_e64 s[0:1], |v2|, s42
	v_cndmask_b32_e64 v59, v59, v60, s[0:1]
	v_cndmask_b32_e64 v60, 0, 1, s[0:1]
	v_cmp_lt_f32_e64 s[0:1], |v2|, s44
	v_xor_b32_e32 v57, 0x80000000, v57
	v_cndmask_b32_e64 v59, v59, |v2|, s[0:1]
	v_cndmask_b32_e64 v60, v60, 2, s[0:1]
.LBB9_56:                               ;   in Loop: Header=BB9_4 Depth=1
	s_andn2_saveexec_b64 s[8:9], s[8:9]
	s_cbranch_execz .LBB9_58
; %bb.57:                               ;   in Loop: Header=BB9_4 Depth=1
	v_sub_f32_e64 v57, 2.0, |v2|
	v_add_f32_e64 v59, |v2|, s46
	v_cmp_lt_f32_e64 s[0:1], |v2|, s45
	v_cndmask_b32_e64 v59, v57, v59, s[0:1]
	v_cndmask_b32_e64 v57, v57, 1.0, s[0:1]
	v_cvt_i32_f32_e32 v57, v57
	v_add_f32_e64 v60, |v2|, -1.0
	v_cmp_lt_f32_e64 s[0:1], |v2|, s47
	v_cndmask_b32_e64 v59, v59, v60, s[0:1]
	v_cndmask_b32_e64 v60, v57, 2, s[0:1]
	v_mov_b32_e32 v57, 0
.LBB9_58:                               ;   in Loop: Header=BB9_4 Depth=1
	s_or_b64 exec, exec, s[8:9]
	v_cmp_lt_i32_e64 s[0:1], 0, v60
	s_and_saveexec_b64 s[8:9], s[0:1]
	s_xor_b64 s[8:9], exec, s[8:9]
	s_cbranch_execz .LBB9_66
; %bb.59:                               ;   in Loop: Header=BB9_4 Depth=1
	v_cmp_lt_i32_e64 s[0:1], 1, v60
	s_and_saveexec_b64 s[10:11], s[0:1]
	s_xor_b64 s[10:11], exec, s[10:11]
	s_cbranch_execz .LBB9_63
; %bb.60:                               ;   in Loop: Header=BB9_4 Depth=1
	v_cmp_eq_u32_e64 s[0:1], 2, v60
	s_and_saveexec_b64 s[26:27], s[0:1]
	s_cbranch_execz .LBB9_62
; %bb.61:                               ;   in Loop: Header=BB9_4 Depth=1
	v_mov_b32_e32 v61, 0x3dd572af
	v_fmac_f32_e32 v61, 0x3b52d5db, v59
	v_fma_f32 v61, v59, v61, v27
	v_mov_b32_e32 v60, 0x3e6a7578
	v_fma_f32 v61, v59, v61, v28
	v_fmac_f32_e32 v60, 0x3c5b3c5e, v59
	v_fma_f32 v61, v59, v61, v29
	v_fma_f32 v60, v59, v60, v24
	v_fma_f32 v61, v59, v61, 1.0
	v_fma_f32 v60, v59, v60, v25
	v_rcp_f32_e32 v61, v61
	v_fma_f32 v60, v59, v60, v26
	v_fma_f32 v60, v59, v60, v19
	v_mul_f32_e32 v60, v59, v60
	v_mul_f32_e32 v60, v60, v61
	v_fmac_f32_e32 v60, -0.5, v59
	v_add_f32_e32 v57, v57, v60
.LBB9_62:                               ;   in Loop: Header=BB9_4 Depth=1
	s_or_b64 exec, exec, s[26:27]
                                        ; implicit-def: $vgpr59
.LBB9_63:                               ;   in Loop: Header=BB9_4 Depth=1
	s_andn2_saveexec_b64 s[0:1], s[10:11]
	s_cbranch_execz .LBB9_65
; %bb.64:                               ;   in Loop: Header=BB9_4 Depth=1
	v_mul_f32_e32 v60, v59, v59
	v_mul_f32_e32 v61, v59, v60
	v_mov_b32_e32 v63, 0x3a66f867
	v_mov_b32_e32 v64, 0xba0d3085
	v_fmac_f32_e32 v63, 0xb9a3f927, v61
	v_fmac_f32_e32 v64, 0x39afe9f7, v61
	v_mov_b32_e32 v62, 0xbab7f476
	v_fma_f32 v63, v61, v63, v33
	v_fma_f32 v64, v61, v64, v36
	v_fmac_f32_e32 v62, 0x39a57b6b, v61
	v_fma_f32 v63, v61, v63, v34
	v_fma_f32 v64, v61, v64, v37
	;; [unrolled: 1-line block ×6, first 2 shown]
	v_fmac_f32_e32 v63, v59, v64
	v_fma_f32 v62, v61, v62, v32
	v_fma_f32 v59, v61, -v63, s48
	v_fma_f32 v59, v60, v62, -v59
	v_add_f32_e32 v59, 0xbdf8cdce, v59
	v_add_f32_e32 v57, v57, v59
.LBB9_65:                               ;   in Loop: Header=BB9_4 Depth=1
	s_or_b64 exec, exec, s[0:1]
                                        ; implicit-def: $vgpr60
                                        ; implicit-def: $vgpr59
.LBB9_66:                               ;   in Loop: Header=BB9_4 Depth=1
	s_andn2_saveexec_b64 s[8:9], s[8:9]
	s_cbranch_execz .LBB9_70
; %bb.67:                               ;   in Loop: Header=BB9_4 Depth=1
	v_cmp_eq_u32_e64 s[0:1], 0, v60
	s_and_saveexec_b64 s[10:11], s[0:1]
	s_cbranch_execz .LBB9_69
; %bb.68:                               ;   in Loop: Header=BB9_4 Depth=1
	v_mul_f32_e32 v60, v59, v59
	v_mov_b32_e32 v62, 0x38e28445
	v_mov_b32_e32 v61, 0x39679767
	v_fmac_f32_e32 v62, 0x383c2c75, v60
	v_fmac_f32_e32 v61, 0x37d383a2, v60
	v_fma_f32 v62, v60, v62, v43
	v_fma_f32 v61, v60, v61, v39
	;; [unrolled: 1-line block ×8, first 2 shown]
	v_mul_f32_e32 v60, v60, v62
	v_fmac_f32_e32 v60, v59, v61
	v_fmac_f32_e32 v60, -0.5, v59
	v_add_f32_e32 v57, v57, v60
.LBB9_69:                               ;   in Loop: Header=BB9_4 Depth=1
	s_or_b64 exec, exec, s[10:11]
.LBB9_70:                               ;   in Loop: Header=BB9_4 Depth=1
	s_or_b64 exec, exec, s[8:9]
.LBB9_71:                               ;   in Loop: Header=BB9_4 Depth=1
	s_or_b64 exec, exec, s[2:3]
.LBB9_72:                               ;   in Loop: Header=BB9_4 Depth=1
	s_andn2_saveexec_b64 s[6:7], s[6:7]
	s_cbranch_execz .LBB9_74
; %bb.73:                               ;   in Loop: Header=BB9_4 Depth=1
	v_cmp_lt_f32_e64 s[0:1], |v2|, s38
	v_cndmask_b32_e64 v57, 0, 32, s[0:1]
	v_ldexp_f32 v57, |v2|, v57
	v_log_f32_e32 v57, v57
	v_fma_f32 v59, |v2|, s49, v54
	v_fma_f32 v59, |v2|, v59, s50
	;; [unrolled: 1-line block ×3, first 2 shown]
	v_mul_f32_e32 v60, 0x3f317217, v57
	v_fma_f32 v61, v57, s39, -v60
	v_fmac_f32_e32 v61, 0x3377d1cf, v57
	v_add_f32_e32 v60, v60, v61
	v_cmp_lt_f32_e64 s[2:3], |v57|, s40
	v_cndmask_b32_e64 v57, v57, v60, s[2:3]
	v_cndmask_b32_e64 v60, 0, v53, s[0:1]
	v_sub_f32_e32 v57, v57, v60
	v_fma_f32 v57, |v2|, v59, -v57
.LBB9_74:                               ;   in Loop: Header=BB9_4 Depth=1
	s_or_b64 exec, exec, s[6:7]
	v_cmp_le_f32_e64 s[0:1], 0, v2
	v_cmp_nle_f32_e64 s[2:3], 0, v2
	s_and_saveexec_b64 s[6:7], s[2:3]
	s_xor_b64 s[8:9], exec, s[6:7]
	s_cbranch_execz .LBB9_78
; %bb.75:                               ;   in Loop: Header=BB9_4 Depth=1
	v_cmp_lt_f32_e64 s[2:3], |v2|, s52
	v_cmp_gt_f32_e64 s[6:7], |v2|, s53
	s_and_b64 s[2:3], s[2:3], s[6:7]
	s_and_saveexec_b64 s[10:11], s[2:3]
	s_cbranch_execz .LBB9_77
; %bb.76:                               ;   in Loop: Header=BB9_4 Depth=1
	v_mul_f32_e64 v59, |v2|, 0.5
	v_floor_f32_e32 v60, v59
	v_sub_f32_e32 v60, v59, v60
	v_min_f32_e32 v60, 0x3f7fffff, v60
	v_add_f32_e32 v60, v60, v60
	v_cmp_neq_f32_e64 s[2:3], s40, v59
	v_cndmask_b32_e64 v59, 0, v60, s[2:3]
	v_cmp_gt_f32_e64 s[2:3], |v2|, 1.0
	v_cndmask_b32_e64 v59, |v2|, v59, s[2:3]
	v_add_f32_e32 v60, v59, v59
	v_rndne_f32_e32 v60, v60
	v_fmac_f32_e32 v59, -0.5, v60
	v_mul_f32_e32 v61, v59, v59
	v_mov_b32_e32 v62, 0xbf1f24be
	v_fmac_f32_e32 v62, 0x3e75aa41, v61
	v_fma_f32 v62, v61, v62, v47
	v_fma_f32 v62, v61, v62, v48
	v_mul_f32_e32 v63, v59, v61
	v_mul_f32_e32 v62, v63, v62
	v_fmac_f32_e32 v62, 0x40490fdb, v59
	v_mov_b32_e32 v59, 0x3e642e9d
	v_cvt_i32_f32_e32 v60, v60
	v_fmac_f32_e32 v59, 0x3d4be544, v61
	v_fma_f32 v59, v61, v59, v49
	v_fma_f32 v59, v61, v59, v50
	v_fma_f32 v59, v61, v59, v51
	v_fma_f32 v59, v61, v59, 1.0
	v_and_b32_e32 v61, 1, v60
	v_lshlrev_b32_e32 v60, 30, v60
	v_cmp_eq_u32_e64 s[2:3], 0, v61
	v_and_b32_e32 v60, 0x80000000, v60
	v_xor_b32_e32 v58, v58, v2
	v_cndmask_b32_e64 v59, v59, v62, s[2:3]
	v_xor_b32_e32 v58, v58, v60
	v_xor_b32_e32 v58, v58, v59
	v_mul_f32_e32 v58, v2, v58
	v_frexp_mant_f32_e64 v59, |v58|
	v_rcp_f32_e32 v59, v59
	v_frexp_exp_i32_f32_e32 v58, v58
	v_sub_u32_e32 v58, 2, v58
	v_mul_f32_e32 v59, 0x3f490fdb, v59
	v_ldexp_f32 v58, v59, v58
	v_cmp_gt_f32_e64 s[2:3], s38, v58
	v_cndmask_b32_e64 v59, 0, 32, s[2:3]
	v_ldexp_f32 v58, v58, v59
	v_log_f32_e32 v58, v58
	v_mul_f32_e32 v59, 0x3f317217, v58
	v_fma_f32 v60, v58, s39, -v59
	v_fmac_f32_e32 v60, 0x3377d1cf, v58
	v_add_f32_e32 v59, v59, v60
	v_cmp_lt_f32_e64 s[6:7], |v58|, s40
	v_cndmask_b32_e64 v58, v58, v59, s[6:7]
	v_cndmask_b32_e64 v59, 0, v53, s[2:3]
	v_sub_f32_e32 v58, v58, v59
	v_sub_f32_e32 v57, v58, v57
	v_floor_f32_e32 v58, v2
	v_sub_f32_e32 v58, v2, v58
	v_min_f32_e32 v58, 0x3f7fffff, v58
	v_cmp_neq_f32_e64 s[2:3], 0, v58
	v_cndmask_b32_e64 v57, v55, v57, s[2:3]
.LBB9_77:                               ;   in Loop: Header=BB9_4 Depth=1
	s_or_b64 exec, exec, s[10:11]
.LBB9_78:                               ;   in Loop: Header=BB9_4 Depth=1
	s_andn2_saveexec_b64 s[8:9], s[8:9]
; %bb.79:                               ;   in Loop: Header=BB9_4 Depth=1
	v_cmp_eq_f32_e64 s[2:3], 1.0, v2
	v_cmp_eq_f32_e64 s[6:7], 2.0, v2
	s_or_b64 s[2:3], s[2:3], s[6:7]
	v_cndmask_b32_e64 v57, v57, 0, s[2:3]
; %bb.80:                               ;   in Loop: Header=BB9_4 Depth=1
	s_or_b64 exec, exec, s[8:9]
	v_and_b32_e32 v59, 0x7fffffff, v3
	v_cmp_nlt_f32_e64 s[2:3], |v3|, s35
                                        ; implicit-def: $vgpr58
	s_and_saveexec_b64 s[6:7], s[2:3]
	s_xor_b64 s[8:9], exec, s[6:7]
	s_cbranch_execz .LBB9_110
; %bb.81:                               ;   in Loop: Header=BB9_4 Depth=1
	v_cmp_nlt_f32_e64 s[2:3], |v3|, 2.0
                                        ; implicit-def: $vgpr58
	s_and_saveexec_b64 s[6:7], s[2:3]
	s_xor_b64 s[10:11], exec, s[6:7]
	s_cbranch_execz .LBB9_91
; %bb.82:                               ;   in Loop: Header=BB9_4 Depth=1
	v_cmp_nlt_f32_e64 s[2:3], |v3|, s36
                                        ; implicit-def: $vgpr58
	s_and_saveexec_b64 s[6:7], s[2:3]
	s_xor_b64 s[26:27], exec, s[6:7]
	s_cbranch_execz .LBB9_88
; %bb.83:                               ;   in Loop: Header=BB9_4 Depth=1
	v_cmp_nlt_f32_e64 s[2:3], |v3|, s37
                                        ; implicit-def: $vgpr58
	s_and_saveexec_b64 s[6:7], s[2:3]
	s_xor_b64 s[28:29], exec, s[6:7]
	s_cbranch_execz .LBB9_85
; %bb.84:                               ;   in Loop: Header=BB9_4 Depth=1
	v_cmp_lt_f32_e64 s[2:3], |v3|, s38
	v_cndmask_b32_e64 v58, 0, 32, s[2:3]
	v_ldexp_f32 v58, |v3|, v58
	v_log_f32_e32 v58, v58
	v_mul_f32_e32 v60, 0x3f317217, v58
	v_fma_f32 v61, v58, s39, -v60
	v_fmac_f32_e32 v61, 0x3377d1cf, v58
	v_add_f32_e32 v60, v60, v61
	v_cmp_lt_f32_e64 s[6:7], |v58|, s40
	v_cndmask_b32_e64 v58, v58, v60, s[6:7]
	v_cndmask_b32_e64 v60, 0, v53, s[2:3]
	v_sub_f32_e32 v58, v58, v60
	v_fma_f32 v58, |v3|, v58, -|v3|
.LBB9_85:                               ;   in Loop: Header=BB9_4 Depth=1
	s_andn2_saveexec_b64 s[28:29], s[28:29]
	s_cbranch_execz .LBB9_87
; %bb.86:                               ;   in Loop: Header=BB9_4 Depth=1
	v_rcp_f32_e64 v58, |v3|
	v_cmp_lt_f32_e64 s[2:3], |v3|, s38
	v_cndmask_b32_e64 v61, 0, 32, s[2:3]
	v_mov_b32_e32 v60, 0x3a5b3dd2
	v_mul_f32_e32 v62, v58, v58
	v_ldexp_f32 v61, |v3|, v61
	v_fmac_f32_e32 v60, 0xbad5c4e8, v62
	v_log_f32_e32 v61, v61
	v_fma_f32 v60, v62, v60, v10
	v_fma_f32 v60, v62, v60, v11
	;; [unrolled: 1-line block ×4, first 2 shown]
	v_mul_f32_e32 v62, 0x3f317217, v61
	v_fma_f32 v63, v61, s39, -v62
	v_fmac_f32_e32 v63, 0x3377d1cf, v61
	v_add_f32_e32 v62, v62, v63
	v_cmp_lt_f32_e64 s[6:7], |v61|, s40
	v_cndmask_b32_e64 v61, v61, v62, s[6:7]
	v_cndmask_b32_e64 v62, 0, v53, s[2:3]
	v_sub_f32_e32 v61, v61, v62
	v_fma_f32 v58, v58, v60, v14
	v_add_f32_e64 v60, |v3|, -0.5
	v_add_f32_e32 v61, -1.0, v61
	v_fmac_f32_e32 v58, v60, v61
.LBB9_87:                               ;   in Loop: Header=BB9_4 Depth=1
	s_or_b64 exec, exec, s[28:29]
.LBB9_88:                               ;   in Loop: Header=BB9_4 Depth=1
	s_andn2_saveexec_b64 s[26:27], s[26:27]
	s_cbranch_execz .LBB9_90
; %bb.89:                               ;   in Loop: Header=BB9_4 Depth=1
	v_cvt_i32_f32_e32 v58, v59
	v_mov_b32_e32 v62, 0x3a4beed6
	v_mov_b32_e32 v61, 0x3af135b4
	v_cvt_f32_i32_e32 v60, v58
	v_cmp_lt_i32_e64 s[2:3], 2, v58
	v_sub_f32_e64 v60, |v3|, v60
	v_add_f32_e32 v63, 2.0, v60
	v_add_f32_e32 v64, 0x40400000, v60
	v_cndmask_b32_e64 v63, 1.0, v63, s[2:3]
	v_cmp_lt_i32_e64 s[2:3], 3, v58
	v_add_f32_e32 v65, 4.0, v60
	v_cndmask_b32_e64 v64, 1.0, v64, s[2:3]
	v_cmp_lt_i32_e64 s[2:3], 4, v58
	v_fmac_f32_e32 v62, 0x36f5d7bd, v60
	v_add_f32_e32 v66, 0x40a00000, v60
	v_mul_f32_e32 v63, v63, v64
	v_cndmask_b32_e64 v64, 1.0, v65, s[2:3]
	v_cmp_lt_i32_e64 s[2:3], 5, v58
	v_fma_f32 v62, v60, v62, v20
	v_add_f32_e32 v67, 0x40c00000, v60
	v_mul_f32_e32 v63, v64, v63
	v_cndmask_b32_e64 v64, 1.0, v66, s[2:3]
	v_cmp_lt_i32_e64 s[2:3], 6, v58
	v_fma_f32 v62, v60, v62, v21
	v_mul_f32_e32 v63, v64, v63
	v_cndmask_b32_e64 v58, 1.0, v67, s[2:3]
	v_fmac_f32_e32 v61, 0x3805ff67, v60
	v_fma_f32 v62, v60, v62, v22
	v_mul_f32_e32 v58, v58, v63
	v_fma_f32 v61, v60, v61, v15
	v_fma_f32 v62, v60, v62, v23
	v_cmp_gt_f32_e64 s[2:3], s38, v58
	v_fma_f32 v61, v60, v61, v16
	v_fma_f32 v62, v60, v62, 1.0
	v_cndmask_b32_e64 v63, 0, 32, s[2:3]
	v_fma_f32 v61, v60, v61, v17
	v_rcp_f32_e32 v62, v62
	v_ldexp_f32 v58, v58, v63
	v_fma_f32 v61, v60, v61, v18
	v_log_f32_e32 v58, v58
	v_fma_f32 v61, v60, v61, v19
	v_mul_f32_e32 v61, v60, v61
	v_mul_f32_e32 v61, v61, v62
	v_fmac_f32_e32 v61, 0.5, v60
	v_mul_f32_e32 v60, 0x3f317217, v58
	v_fma_f32 v62, v58, s39, -v60
	v_fmac_f32_e32 v62, 0x3377d1cf, v58
	v_add_f32_e32 v60, v60, v62
	v_cmp_lt_f32_e64 s[6:7], |v58|, s40
	v_cndmask_b32_e64 v58, v58, v60, s[6:7]
	v_cndmask_b32_e64 v60, 0, v53, s[2:3]
	v_sub_f32_e32 v58, v58, v60
	v_add_f32_e32 v58, v58, v61
.LBB9_90:                               ;   in Loop: Header=BB9_4 Depth=1
	s_or_b64 exec, exec, s[26:27]
.LBB9_91:                               ;   in Loop: Header=BB9_4 Depth=1
	s_andn2_saveexec_b64 s[6:7], s[10:11]
	s_cbranch_execz .LBB9_109
; %bb.92:                               ;   in Loop: Header=BB9_4 Depth=1
	v_cmp_le_f32_e64 s[2:3], |v3|, s41
                                        ; implicit-def: $vgpr58
                                        ; implicit-def: $vgpr61
                                        ; implicit-def: $vgpr60
	s_and_saveexec_b64 s[10:11], s[2:3]
	s_xor_b64 s[10:11], exec, s[10:11]
	s_cbranch_execz .LBB9_94
; %bb.93:                               ;   in Loop: Header=BB9_4 Depth=1
	v_cmp_lt_f32_e64 s[2:3], |v3|, s38
	v_cndmask_b32_e64 v58, 0, 32, s[2:3]
	v_ldexp_f32 v58, |v3|, v58
	v_log_f32_e32 v58, v58
	v_cndmask_b32_e64 v60, 0, v53, s[2:3]
	v_mul_f32_e32 v61, 0x3f317217, v58
	v_fma_f32 v62, v58, s39, -v61
	v_fmac_f32_e32 v62, 0x3377d1cf, v58
	v_add_f32_e32 v61, v61, v62
	v_cmp_lt_f32_e64 s[2:3], |v58|, s40
	v_cndmask_b32_e64 v58, v58, v61, s[2:3]
	v_sub_f32_e32 v58, v58, v60
	v_sub_f32_e64 v60, 1.0, |v3|
	v_add_f32_e64 v61, |v3|, s43
	v_cmp_lt_f32_e64 s[2:3], |v3|, s42
	v_cndmask_b32_e64 v60, v60, v61, s[2:3]
	v_cndmask_b32_e64 v61, 0, 1, s[2:3]
	v_cmp_lt_f32_e64 s[2:3], |v3|, s44
	v_xor_b32_e32 v58, 0x80000000, v58
	v_cndmask_b32_e64 v60, v60, |v3|, s[2:3]
	v_cndmask_b32_e64 v61, v61, 2, s[2:3]
.LBB9_94:                               ;   in Loop: Header=BB9_4 Depth=1
	s_andn2_saveexec_b64 s[10:11], s[10:11]
	s_cbranch_execz .LBB9_96
; %bb.95:                               ;   in Loop: Header=BB9_4 Depth=1
	v_sub_f32_e64 v58, 2.0, |v3|
	v_add_f32_e64 v60, |v3|, s46
	v_cmp_lt_f32_e64 s[2:3], |v3|, s45
	v_cndmask_b32_e64 v60, v58, v60, s[2:3]
	v_cndmask_b32_e64 v58, v58, 1.0, s[2:3]
	v_cvt_i32_f32_e32 v58, v58
	v_add_f32_e64 v61, |v3|, -1.0
	v_cmp_lt_f32_e64 s[2:3], |v3|, s47
	v_cndmask_b32_e64 v60, v60, v61, s[2:3]
	v_cndmask_b32_e64 v61, v58, 2, s[2:3]
	v_mov_b32_e32 v58, 0
.LBB9_96:                               ;   in Loop: Header=BB9_4 Depth=1
	s_or_b64 exec, exec, s[10:11]
	v_cmp_lt_i32_e64 s[2:3], 0, v61
	s_and_saveexec_b64 s[10:11], s[2:3]
	s_xor_b64 s[10:11], exec, s[10:11]
	s_cbranch_execz .LBB9_104
; %bb.97:                               ;   in Loop: Header=BB9_4 Depth=1
	v_cmp_lt_i32_e64 s[2:3], 1, v61
	s_and_saveexec_b64 s[26:27], s[2:3]
	s_xor_b64 s[26:27], exec, s[26:27]
	s_cbranch_execz .LBB9_101
; %bb.98:                               ;   in Loop: Header=BB9_4 Depth=1
	v_cmp_eq_u32_e64 s[2:3], 2, v61
	s_and_saveexec_b64 s[28:29], s[2:3]
	s_cbranch_execz .LBB9_100
; %bb.99:                               ;   in Loop: Header=BB9_4 Depth=1
	v_mov_b32_e32 v62, 0x3dd572af
	v_fmac_f32_e32 v62, 0x3b52d5db, v60
	v_fma_f32 v62, v60, v62, v27
	v_mov_b32_e32 v61, 0x3e6a7578
	v_fma_f32 v62, v60, v62, v28
	v_fmac_f32_e32 v61, 0x3c5b3c5e, v60
	v_fma_f32 v62, v60, v62, v29
	v_fma_f32 v61, v60, v61, v24
	v_fma_f32 v62, v60, v62, 1.0
	v_fma_f32 v61, v60, v61, v25
	v_rcp_f32_e32 v62, v62
	v_fma_f32 v61, v60, v61, v26
	v_fma_f32 v61, v60, v61, v19
	v_mul_f32_e32 v61, v60, v61
	v_mul_f32_e32 v61, v61, v62
	v_fmac_f32_e32 v61, -0.5, v60
	v_add_f32_e32 v58, v58, v61
.LBB9_100:                              ;   in Loop: Header=BB9_4 Depth=1
	s_or_b64 exec, exec, s[28:29]
                                        ; implicit-def: $vgpr60
.LBB9_101:                              ;   in Loop: Header=BB9_4 Depth=1
	s_andn2_saveexec_b64 s[2:3], s[26:27]
	s_cbranch_execz .LBB9_103
; %bb.102:                              ;   in Loop: Header=BB9_4 Depth=1
	v_mul_f32_e32 v61, v60, v60
	v_mul_f32_e32 v62, v60, v61
	v_mov_b32_e32 v64, 0x3a66f867
	v_mov_b32_e32 v65, 0xba0d3085
	v_fmac_f32_e32 v64, 0xb9a3f927, v62
	v_fmac_f32_e32 v65, 0x39afe9f7, v62
	v_mov_b32_e32 v63, 0xbab7f476
	v_fma_f32 v64, v62, v64, v33
	v_fma_f32 v65, v62, v65, v36
	v_fmac_f32_e32 v63, 0x39a57b6b, v62
	v_fma_f32 v64, v62, v64, v34
	v_fma_f32 v65, v62, v65, v37
	;; [unrolled: 1-line block ×6, first 2 shown]
	v_fmac_f32_e32 v64, v60, v65
	v_fma_f32 v63, v62, v63, v32
	v_fma_f32 v60, v62, -v64, s48
	v_fma_f32 v60, v61, v63, -v60
	v_add_f32_e32 v60, 0xbdf8cdce, v60
	v_add_f32_e32 v58, v58, v60
.LBB9_103:                              ;   in Loop: Header=BB9_4 Depth=1
	s_or_b64 exec, exec, s[2:3]
                                        ; implicit-def: $vgpr61
                                        ; implicit-def: $vgpr60
.LBB9_104:                              ;   in Loop: Header=BB9_4 Depth=1
	s_andn2_saveexec_b64 s[10:11], s[10:11]
	s_cbranch_execz .LBB9_108
; %bb.105:                              ;   in Loop: Header=BB9_4 Depth=1
	v_cmp_eq_u32_e64 s[2:3], 0, v61
	s_and_saveexec_b64 s[26:27], s[2:3]
	s_cbranch_execz .LBB9_107
; %bb.106:                              ;   in Loop: Header=BB9_4 Depth=1
	v_mul_f32_e32 v61, v60, v60
	v_mov_b32_e32 v63, 0x38e28445
	v_mov_b32_e32 v62, 0x39679767
	v_fmac_f32_e32 v63, 0x383c2c75, v61
	v_fmac_f32_e32 v62, 0x37d383a2, v61
	v_fma_f32 v63, v61, v63, v43
	v_fma_f32 v62, v61, v62, v39
	;; [unrolled: 1-line block ×8, first 2 shown]
	v_mul_f32_e32 v61, v61, v63
	v_fmac_f32_e32 v61, v60, v62
	v_fmac_f32_e32 v61, -0.5, v60
	v_add_f32_e32 v58, v58, v61
.LBB9_107:                              ;   in Loop: Header=BB9_4 Depth=1
	s_or_b64 exec, exec, s[26:27]
.LBB9_108:                              ;   in Loop: Header=BB9_4 Depth=1
	s_or_b64 exec, exec, s[10:11]
.LBB9_109:                              ;   in Loop: Header=BB9_4 Depth=1
	s_or_b64 exec, exec, s[6:7]
.LBB9_110:                              ;   in Loop: Header=BB9_4 Depth=1
	s_andn2_saveexec_b64 s[8:9], s[8:9]
	s_cbranch_execz .LBB9_112
; %bb.111:                              ;   in Loop: Header=BB9_4 Depth=1
	v_cmp_lt_f32_e64 s[2:3], |v3|, s38
	v_cndmask_b32_e64 v58, 0, 32, s[2:3]
	v_ldexp_f32 v58, |v3|, v58
	v_log_f32_e32 v58, v58
	v_fma_f32 v60, |v3|, s49, v54
	v_fma_f32 v60, |v3|, v60, s50
	;; [unrolled: 1-line block ×3, first 2 shown]
	v_mul_f32_e32 v61, 0x3f317217, v58
	v_fma_f32 v62, v58, s39, -v61
	v_fmac_f32_e32 v62, 0x3377d1cf, v58
	v_add_f32_e32 v61, v61, v62
	v_cmp_lt_f32_e64 s[6:7], |v58|, s40
	v_cndmask_b32_e64 v58, v58, v61, s[6:7]
	v_cndmask_b32_e64 v61, 0, v53, s[2:3]
	v_sub_f32_e32 v58, v58, v61
	v_fma_f32 v58, |v3|, v60, -v58
.LBB9_112:                              ;   in Loop: Header=BB9_4 Depth=1
	s_or_b64 exec, exec, s[8:9]
	v_cmp_le_f32_e64 s[2:3], 0, v3
	v_cmp_nle_f32_e64 s[6:7], 0, v3
	s_and_saveexec_b64 s[8:9], s[6:7]
	s_xor_b64 s[10:11], exec, s[8:9]
	s_cbranch_execz .LBB9_116
; %bb.113:                              ;   in Loop: Header=BB9_4 Depth=1
	v_cmp_lt_f32_e64 s[6:7], |v3|, s52
	v_cmp_gt_f32_e64 s[8:9], |v3|, s53
	s_and_b64 s[6:7], s[6:7], s[8:9]
	s_and_saveexec_b64 s[26:27], s[6:7]
	s_cbranch_execz .LBB9_115
; %bb.114:                              ;   in Loop: Header=BB9_4 Depth=1
	v_mul_f32_e64 v60, |v3|, 0.5
	v_floor_f32_e32 v61, v60
	v_sub_f32_e32 v61, v60, v61
	v_min_f32_e32 v61, 0x3f7fffff, v61
	v_add_f32_e32 v61, v61, v61
	v_cmp_neq_f32_e64 s[6:7], s40, v60
	v_cndmask_b32_e64 v60, 0, v61, s[6:7]
	v_cmp_gt_f32_e64 s[6:7], |v3|, 1.0
	v_cndmask_b32_e64 v60, |v3|, v60, s[6:7]
	v_add_f32_e32 v61, v60, v60
	v_rndne_f32_e32 v61, v61
	v_fmac_f32_e32 v60, -0.5, v61
	v_mul_f32_e32 v62, v60, v60
	v_mov_b32_e32 v63, 0xbf1f24be
	v_fmac_f32_e32 v63, 0x3e75aa41, v62
	v_fma_f32 v63, v62, v63, v47
	v_fma_f32 v63, v62, v63, v48
	v_mul_f32_e32 v64, v60, v62
	v_mul_f32_e32 v63, v64, v63
	v_fmac_f32_e32 v63, 0x40490fdb, v60
	v_mov_b32_e32 v60, 0x3e642e9d
	v_cvt_i32_f32_e32 v61, v61
	v_fmac_f32_e32 v60, 0x3d4be544, v62
	v_fma_f32 v60, v62, v60, v49
	v_fma_f32 v60, v62, v60, v50
	;; [unrolled: 1-line block ×3, first 2 shown]
	v_fma_f32 v60, v62, v60, 1.0
	v_and_b32_e32 v62, 1, v61
	v_lshlrev_b32_e32 v61, 30, v61
	v_cmp_eq_u32_e64 s[6:7], 0, v62
	v_and_b32_e32 v61, 0x80000000, v61
	v_xor_b32_e32 v59, v59, v3
	v_cndmask_b32_e64 v60, v60, v63, s[6:7]
	v_xor_b32_e32 v59, v59, v61
	v_xor_b32_e32 v59, v59, v60
	v_mul_f32_e32 v59, v3, v59
	v_frexp_mant_f32_e64 v60, |v59|
	v_rcp_f32_e32 v60, v60
	v_frexp_exp_i32_f32_e32 v59, v59
	v_sub_u32_e32 v59, 2, v59
	v_mul_f32_e32 v60, 0x3f490fdb, v60
	v_ldexp_f32 v59, v60, v59
	v_cmp_gt_f32_e64 s[6:7], s38, v59
	v_cndmask_b32_e64 v60, 0, 32, s[6:7]
	v_ldexp_f32 v59, v59, v60
	v_log_f32_e32 v59, v59
	v_mul_f32_e32 v60, 0x3f317217, v59
	v_fma_f32 v61, v59, s39, -v60
	v_fmac_f32_e32 v61, 0x3377d1cf, v59
	v_add_f32_e32 v60, v60, v61
	v_cmp_lt_f32_e64 s[8:9], |v59|, s40
	v_cndmask_b32_e64 v59, v59, v60, s[8:9]
	v_cndmask_b32_e64 v60, 0, v53, s[6:7]
	v_sub_f32_e32 v59, v59, v60
	v_sub_f32_e32 v58, v59, v58
	v_floor_f32_e32 v59, v3
	v_sub_f32_e32 v59, v3, v59
	v_min_f32_e32 v59, 0x3f7fffff, v59
	v_cmp_neq_f32_e64 s[6:7], 0, v59
	v_cndmask_b32_e64 v58, v55, v58, s[6:7]
.LBB9_115:                              ;   in Loop: Header=BB9_4 Depth=1
	s_or_b64 exec, exec, s[26:27]
.LBB9_116:                              ;   in Loop: Header=BB9_4 Depth=1
	s_andn2_saveexec_b64 s[10:11], s[10:11]
; %bb.117:                              ;   in Loop: Header=BB9_4 Depth=1
	v_cmp_eq_f32_e64 s[6:7], 1.0, v3
	v_cmp_eq_f32_e64 s[8:9], 2.0, v3
	s_or_b64 s[6:7], s[6:7], s[8:9]
	v_cndmask_b32_e64 v58, v58, 0, s[6:7]
; %bb.118:                              ;   in Loop: Header=BB9_4 Depth=1
	s_or_b64 exec, exec, s[10:11]
	v_and_b32_e32 v59, 0x7fffffff, v4
	v_cmp_nlt_f32_e64 s[6:7], |v4|, s35
                                        ; implicit-def: $vgpr60
	s_and_saveexec_b64 s[8:9], s[6:7]
	s_xor_b64 s[10:11], exec, s[8:9]
	s_cbranch_execz .LBB9_148
; %bb.119:                              ;   in Loop: Header=BB9_4 Depth=1
	v_cmp_nlt_f32_e64 s[6:7], |v4|, 2.0
                                        ; implicit-def: $vgpr60
	s_and_saveexec_b64 s[8:9], s[6:7]
	s_xor_b64 s[26:27], exec, s[8:9]
	s_cbranch_execz .LBB9_129
; %bb.120:                              ;   in Loop: Header=BB9_4 Depth=1
	v_cmp_nlt_f32_e64 s[6:7], |v4|, s36
                                        ; implicit-def: $vgpr60
	s_and_saveexec_b64 s[8:9], s[6:7]
	s_xor_b64 s[28:29], exec, s[8:9]
	s_cbranch_execz .LBB9_126
; %bb.121:                              ;   in Loop: Header=BB9_4 Depth=1
	v_cmp_nlt_f32_e64 s[6:7], |v4|, s37
                                        ; implicit-def: $vgpr60
	s_and_saveexec_b64 s[8:9], s[6:7]
	s_xor_b64 s[30:31], exec, s[8:9]
	s_cbranch_execz .LBB9_123
; %bb.122:                              ;   in Loop: Header=BB9_4 Depth=1
	v_cmp_lt_f32_e64 s[6:7], |v4|, s38
	v_cndmask_b32_e64 v60, 0, 32, s[6:7]
	v_ldexp_f32 v60, |v4|, v60
	v_log_f32_e32 v60, v60
	v_mul_f32_e32 v61, 0x3f317217, v60
	v_fma_f32 v62, v60, s39, -v61
	v_fmac_f32_e32 v62, 0x3377d1cf, v60
	v_add_f32_e32 v61, v61, v62
	v_cmp_lt_f32_e64 s[8:9], |v60|, s40
	v_cndmask_b32_e64 v60, v60, v61, s[8:9]
	v_cndmask_b32_e64 v61, 0, v53, s[6:7]
	v_sub_f32_e32 v60, v60, v61
	v_fma_f32 v60, |v4|, v60, -|v4|
.LBB9_123:                              ;   in Loop: Header=BB9_4 Depth=1
	s_andn2_saveexec_b64 s[30:31], s[30:31]
	s_cbranch_execz .LBB9_125
; %bb.124:                              ;   in Loop: Header=BB9_4 Depth=1
	v_rcp_f32_e64 v60, |v4|
	v_cmp_lt_f32_e64 s[6:7], |v4|, s38
	v_cndmask_b32_e64 v62, 0, 32, s[6:7]
	v_mov_b32_e32 v61, 0x3a5b3dd2
	v_mul_f32_e32 v63, v60, v60
	v_ldexp_f32 v62, |v4|, v62
	v_fmac_f32_e32 v61, 0xbad5c4e8, v63
	v_log_f32_e32 v62, v62
	v_fma_f32 v61, v63, v61, v10
	v_fma_f32 v61, v63, v61, v11
	;; [unrolled: 1-line block ×4, first 2 shown]
	v_mul_f32_e32 v63, 0x3f317217, v62
	v_fma_f32 v64, v62, s39, -v63
	v_fmac_f32_e32 v64, 0x3377d1cf, v62
	v_add_f32_e32 v63, v63, v64
	v_cmp_lt_f32_e64 s[8:9], |v62|, s40
	v_cndmask_b32_e64 v62, v62, v63, s[8:9]
	v_cndmask_b32_e64 v63, 0, v53, s[6:7]
	v_sub_f32_e32 v62, v62, v63
	v_fma_f32 v60, v60, v61, v14
	v_add_f32_e64 v61, |v4|, -0.5
	v_add_f32_e32 v62, -1.0, v62
	v_fmac_f32_e32 v60, v61, v62
.LBB9_125:                              ;   in Loop: Header=BB9_4 Depth=1
	s_or_b64 exec, exec, s[30:31]
.LBB9_126:                              ;   in Loop: Header=BB9_4 Depth=1
	s_andn2_saveexec_b64 s[28:29], s[28:29]
	s_cbranch_execz .LBB9_128
; %bb.127:                              ;   in Loop: Header=BB9_4 Depth=1
	v_cvt_i32_f32_e32 v60, v59
	v_mov_b32_e32 v63, 0x3a4beed6
	v_mov_b32_e32 v62, 0x3af135b4
	v_cvt_f32_i32_e32 v61, v60
	v_cmp_lt_i32_e64 s[6:7], 2, v60
	v_sub_f32_e64 v61, |v4|, v61
	v_add_f32_e32 v64, 2.0, v61
	v_add_f32_e32 v65, 0x40400000, v61
	v_cndmask_b32_e64 v64, 1.0, v64, s[6:7]
	v_cmp_lt_i32_e64 s[6:7], 3, v60
	v_add_f32_e32 v66, 4.0, v61
	v_cndmask_b32_e64 v65, 1.0, v65, s[6:7]
	v_cmp_lt_i32_e64 s[6:7], 4, v60
	v_fmac_f32_e32 v63, 0x36f5d7bd, v61
	v_add_f32_e32 v67, 0x40a00000, v61
	v_mul_f32_e32 v64, v64, v65
	v_cndmask_b32_e64 v65, 1.0, v66, s[6:7]
	v_cmp_lt_i32_e64 s[6:7], 5, v60
	v_fma_f32 v63, v61, v63, v20
	v_add_f32_e32 v68, 0x40c00000, v61
	v_mul_f32_e32 v64, v65, v64
	v_cndmask_b32_e64 v65, 1.0, v67, s[6:7]
	v_cmp_lt_i32_e64 s[6:7], 6, v60
	v_fma_f32 v63, v61, v63, v21
	v_mul_f32_e32 v64, v65, v64
	v_cndmask_b32_e64 v60, 1.0, v68, s[6:7]
	v_fmac_f32_e32 v62, 0x3805ff67, v61
	v_fma_f32 v63, v61, v63, v22
	v_mul_f32_e32 v60, v60, v64
	v_fma_f32 v62, v61, v62, v15
	v_fma_f32 v63, v61, v63, v23
	v_cmp_gt_f32_e64 s[6:7], s38, v60
	v_fma_f32 v62, v61, v62, v16
	v_fma_f32 v63, v61, v63, 1.0
	v_cndmask_b32_e64 v64, 0, 32, s[6:7]
	v_fma_f32 v62, v61, v62, v17
	v_rcp_f32_e32 v63, v63
	v_ldexp_f32 v60, v60, v64
	v_fma_f32 v62, v61, v62, v18
	v_log_f32_e32 v60, v60
	v_fma_f32 v62, v61, v62, v19
	v_mul_f32_e32 v62, v61, v62
	v_mul_f32_e32 v62, v62, v63
	v_fmac_f32_e32 v62, 0.5, v61
	v_mul_f32_e32 v61, 0x3f317217, v60
	v_fma_f32 v63, v60, s39, -v61
	v_fmac_f32_e32 v63, 0x3377d1cf, v60
	v_add_f32_e32 v61, v61, v63
	v_cmp_lt_f32_e64 s[8:9], |v60|, s40
	v_cndmask_b32_e64 v60, v60, v61, s[8:9]
	v_cndmask_b32_e64 v61, 0, v53, s[6:7]
	v_sub_f32_e32 v60, v60, v61
	v_add_f32_e32 v60, v60, v62
.LBB9_128:                              ;   in Loop: Header=BB9_4 Depth=1
	s_or_b64 exec, exec, s[28:29]
.LBB9_129:                              ;   in Loop: Header=BB9_4 Depth=1
	s_andn2_saveexec_b64 s[8:9], s[26:27]
	s_cbranch_execz .LBB9_147
; %bb.130:                              ;   in Loop: Header=BB9_4 Depth=1
	v_cmp_le_f32_e64 s[6:7], |v4|, s41
                                        ; implicit-def: $vgpr60
                                        ; implicit-def: $vgpr62
                                        ; implicit-def: $vgpr61
	s_and_saveexec_b64 s[26:27], s[6:7]
	s_xor_b64 s[26:27], exec, s[26:27]
	s_cbranch_execz .LBB9_132
; %bb.131:                              ;   in Loop: Header=BB9_4 Depth=1
	v_cmp_lt_f32_e64 s[6:7], |v4|, s38
	v_cndmask_b32_e64 v60, 0, 32, s[6:7]
	v_ldexp_f32 v60, |v4|, v60
	v_log_f32_e32 v60, v60
	v_cndmask_b32_e64 v61, 0, v53, s[6:7]
	v_mul_f32_e32 v62, 0x3f317217, v60
	v_fma_f32 v63, v60, s39, -v62
	v_fmac_f32_e32 v63, 0x3377d1cf, v60
	v_add_f32_e32 v62, v62, v63
	v_cmp_lt_f32_e64 s[6:7], |v60|, s40
	v_cndmask_b32_e64 v60, v60, v62, s[6:7]
	v_sub_f32_e32 v60, v60, v61
	v_sub_f32_e64 v61, 1.0, |v4|
	v_add_f32_e64 v62, |v4|, s43
	v_cmp_lt_f32_e64 s[6:7], |v4|, s42
	v_cndmask_b32_e64 v61, v61, v62, s[6:7]
	v_cndmask_b32_e64 v62, 0, 1, s[6:7]
	v_cmp_lt_f32_e64 s[6:7], |v4|, s44
	v_xor_b32_e32 v60, 0x80000000, v60
	v_cndmask_b32_e64 v61, v61, |v4|, s[6:7]
	v_cndmask_b32_e64 v62, v62, 2, s[6:7]
.LBB9_132:                              ;   in Loop: Header=BB9_4 Depth=1
	s_andn2_saveexec_b64 s[26:27], s[26:27]
	s_cbranch_execz .LBB9_134
; %bb.133:                              ;   in Loop: Header=BB9_4 Depth=1
	v_sub_f32_e64 v60, 2.0, |v4|
	v_add_f32_e64 v61, |v4|, s46
	v_cmp_lt_f32_e64 s[6:7], |v4|, s45
	v_cndmask_b32_e64 v61, v60, v61, s[6:7]
	v_cndmask_b32_e64 v60, v60, 1.0, s[6:7]
	v_cvt_i32_f32_e32 v60, v60
	v_add_f32_e64 v62, |v4|, -1.0
	v_cmp_lt_f32_e64 s[6:7], |v4|, s47
	v_cndmask_b32_e64 v61, v61, v62, s[6:7]
	v_cndmask_b32_e64 v62, v60, 2, s[6:7]
	v_mov_b32_e32 v60, 0
.LBB9_134:                              ;   in Loop: Header=BB9_4 Depth=1
	s_or_b64 exec, exec, s[26:27]
	v_cmp_lt_i32_e64 s[6:7], 0, v62
	s_and_saveexec_b64 s[26:27], s[6:7]
	s_xor_b64 s[26:27], exec, s[26:27]
	s_cbranch_execz .LBB9_142
; %bb.135:                              ;   in Loop: Header=BB9_4 Depth=1
	v_cmp_lt_i32_e64 s[6:7], 1, v62
	s_and_saveexec_b64 s[28:29], s[6:7]
	s_xor_b64 s[28:29], exec, s[28:29]
	s_cbranch_execz .LBB9_139
; %bb.136:                              ;   in Loop: Header=BB9_4 Depth=1
	v_cmp_eq_u32_e64 s[6:7], 2, v62
	s_and_saveexec_b64 s[30:31], s[6:7]
	s_cbranch_execz .LBB9_138
; %bb.137:                              ;   in Loop: Header=BB9_4 Depth=1
	v_mov_b32_e32 v63, 0x3dd572af
	v_fmac_f32_e32 v63, 0x3b52d5db, v61
	v_fma_f32 v63, v61, v63, v27
	v_mov_b32_e32 v62, 0x3e6a7578
	v_fma_f32 v63, v61, v63, v28
	v_fmac_f32_e32 v62, 0x3c5b3c5e, v61
	v_fma_f32 v63, v61, v63, v29
	v_fma_f32 v62, v61, v62, v24
	v_fma_f32 v63, v61, v63, 1.0
	v_fma_f32 v62, v61, v62, v25
	v_rcp_f32_e32 v63, v63
	v_fma_f32 v62, v61, v62, v26
	v_fma_f32 v62, v61, v62, v19
	v_mul_f32_e32 v62, v61, v62
	v_mul_f32_e32 v62, v62, v63
	v_fmac_f32_e32 v62, -0.5, v61
	v_add_f32_e32 v60, v60, v62
.LBB9_138:                              ;   in Loop: Header=BB9_4 Depth=1
	s_or_b64 exec, exec, s[30:31]
                                        ; implicit-def: $vgpr61
.LBB9_139:                              ;   in Loop: Header=BB9_4 Depth=1
	s_andn2_saveexec_b64 s[6:7], s[28:29]
	s_cbranch_execz .LBB9_141
; %bb.140:                              ;   in Loop: Header=BB9_4 Depth=1
	v_mul_f32_e32 v62, v61, v61
	v_mul_f32_e32 v63, v61, v62
	v_mov_b32_e32 v65, 0x3a66f867
	v_mov_b32_e32 v66, 0xba0d3085
	v_fmac_f32_e32 v65, 0xb9a3f927, v63
	v_fmac_f32_e32 v66, 0x39afe9f7, v63
	v_mov_b32_e32 v64, 0xbab7f476
	v_fma_f32 v65, v63, v65, v33
	v_fma_f32 v66, v63, v66, v36
	v_fmac_f32_e32 v64, 0x39a57b6b, v63
	v_fma_f32 v65, v63, v65, v34
	v_fma_f32 v66, v63, v66, v37
	;; [unrolled: 1-line block ×6, first 2 shown]
	v_fmac_f32_e32 v65, v61, v66
	v_fma_f32 v64, v63, v64, v32
	v_fma_f32 v61, v63, -v65, s48
	v_fma_f32 v61, v62, v64, -v61
	v_add_f32_e32 v61, 0xbdf8cdce, v61
	v_add_f32_e32 v60, v60, v61
.LBB9_141:                              ;   in Loop: Header=BB9_4 Depth=1
	s_or_b64 exec, exec, s[6:7]
                                        ; implicit-def: $vgpr62
                                        ; implicit-def: $vgpr61
.LBB9_142:                              ;   in Loop: Header=BB9_4 Depth=1
	s_andn2_saveexec_b64 s[26:27], s[26:27]
	s_cbranch_execz .LBB9_146
; %bb.143:                              ;   in Loop: Header=BB9_4 Depth=1
	v_cmp_eq_u32_e64 s[6:7], 0, v62
	s_and_saveexec_b64 s[28:29], s[6:7]
	s_cbranch_execz .LBB9_145
; %bb.144:                              ;   in Loop: Header=BB9_4 Depth=1
	v_mul_f32_e32 v62, v61, v61
	v_mov_b32_e32 v64, 0x38e28445
	v_mov_b32_e32 v63, 0x39679767
	v_fmac_f32_e32 v64, 0x383c2c75, v62
	v_fmac_f32_e32 v63, 0x37d383a2, v62
	v_fma_f32 v64, v62, v64, v43
	v_fma_f32 v63, v62, v63, v39
	;; [unrolled: 1-line block ×8, first 2 shown]
	v_mul_f32_e32 v62, v62, v64
	v_fmac_f32_e32 v62, v61, v63
	v_fmac_f32_e32 v62, -0.5, v61
	v_add_f32_e32 v60, v60, v62
.LBB9_145:                              ;   in Loop: Header=BB9_4 Depth=1
	s_or_b64 exec, exec, s[28:29]
.LBB9_146:                              ;   in Loop: Header=BB9_4 Depth=1
	s_or_b64 exec, exec, s[26:27]
.LBB9_147:                              ;   in Loop: Header=BB9_4 Depth=1
	s_or_b64 exec, exec, s[8:9]
.LBB9_148:                              ;   in Loop: Header=BB9_4 Depth=1
	s_andn2_saveexec_b64 s[10:11], s[10:11]
	s_cbranch_execz .LBB9_150
; %bb.149:                              ;   in Loop: Header=BB9_4 Depth=1
	v_cmp_lt_f32_e64 s[6:7], |v4|, s38
	v_cndmask_b32_e64 v60, 0, 32, s[6:7]
	v_ldexp_f32 v60, |v4|, v60
	v_log_f32_e32 v60, v60
	v_fma_f32 v61, |v4|, s49, v54
	v_fma_f32 v61, |v4|, v61, s50
	;; [unrolled: 1-line block ×3, first 2 shown]
	v_mul_f32_e32 v62, 0x3f317217, v60
	v_fma_f32 v63, v60, s39, -v62
	v_fmac_f32_e32 v63, 0x3377d1cf, v60
	v_add_f32_e32 v62, v62, v63
	v_cmp_lt_f32_e64 s[8:9], |v60|, s40
	v_cndmask_b32_e64 v60, v60, v62, s[8:9]
	v_cndmask_b32_e64 v62, 0, v53, s[6:7]
	v_sub_f32_e32 v60, v60, v62
	v_fma_f32 v60, |v4|, v61, -v60
.LBB9_150:                              ;   in Loop: Header=BB9_4 Depth=1
	s_or_b64 exec, exec, s[10:11]
	v_cmp_le_f32_e64 s[6:7], 0, v4
	v_cmp_nle_f32_e64 s[8:9], 0, v4
	s_and_saveexec_b64 s[10:11], s[8:9]
	s_xor_b64 s[26:27], exec, s[10:11]
	s_cbranch_execz .LBB9_154
; %bb.151:                              ;   in Loop: Header=BB9_4 Depth=1
	v_cmp_lt_f32_e64 s[8:9], |v4|, s52
	v_cmp_gt_f32_e64 s[10:11], |v4|, s53
	s_and_b64 s[8:9], s[8:9], s[10:11]
	s_and_saveexec_b64 s[28:29], s[8:9]
	s_cbranch_execz .LBB9_153
; %bb.152:                              ;   in Loop: Header=BB9_4 Depth=1
	v_mul_f32_e64 v61, |v4|, 0.5
	v_floor_f32_e32 v62, v61
	v_sub_f32_e32 v62, v61, v62
	v_min_f32_e32 v62, 0x3f7fffff, v62
	v_add_f32_e32 v62, v62, v62
	v_cmp_neq_f32_e64 s[8:9], s40, v61
	v_cndmask_b32_e64 v61, 0, v62, s[8:9]
	v_cmp_gt_f32_e64 s[8:9], |v4|, 1.0
	v_cndmask_b32_e64 v61, |v4|, v61, s[8:9]
	v_add_f32_e32 v62, v61, v61
	v_rndne_f32_e32 v62, v62
	v_fmac_f32_e32 v61, -0.5, v62
	v_mul_f32_e32 v63, v61, v61
	v_mov_b32_e32 v64, 0xbf1f24be
	v_fmac_f32_e32 v64, 0x3e75aa41, v63
	v_fma_f32 v64, v63, v64, v47
	v_fma_f32 v64, v63, v64, v48
	v_mul_f32_e32 v65, v61, v63
	v_mul_f32_e32 v64, v65, v64
	v_fmac_f32_e32 v64, 0x40490fdb, v61
	v_mov_b32_e32 v61, 0x3e642e9d
	v_cvt_i32_f32_e32 v62, v62
	v_fmac_f32_e32 v61, 0x3d4be544, v63
	v_fma_f32 v61, v63, v61, v49
	v_fma_f32 v61, v63, v61, v50
	;; [unrolled: 1-line block ×3, first 2 shown]
	v_fma_f32 v61, v63, v61, 1.0
	v_and_b32_e32 v63, 1, v62
	v_lshlrev_b32_e32 v62, 30, v62
	v_cmp_eq_u32_e64 s[8:9], 0, v63
	v_and_b32_e32 v62, 0x80000000, v62
	v_xor_b32_e32 v59, v59, v4
	v_cndmask_b32_e64 v61, v61, v64, s[8:9]
	v_xor_b32_e32 v59, v59, v62
	v_xor_b32_e32 v59, v59, v61
	v_mul_f32_e32 v59, v4, v59
	v_frexp_mant_f32_e64 v61, |v59|
	v_rcp_f32_e32 v61, v61
	v_frexp_exp_i32_f32_e32 v59, v59
	v_sub_u32_e32 v59, 2, v59
	v_mul_f32_e32 v61, 0x3f490fdb, v61
	v_ldexp_f32 v59, v61, v59
	v_cmp_gt_f32_e64 s[8:9], s38, v59
	v_cndmask_b32_e64 v61, 0, 32, s[8:9]
	v_ldexp_f32 v59, v59, v61
	v_log_f32_e32 v59, v59
	v_mul_f32_e32 v61, 0x3f317217, v59
	v_fma_f32 v62, v59, s39, -v61
	v_fmac_f32_e32 v62, 0x3377d1cf, v59
	v_add_f32_e32 v61, v61, v62
	v_cmp_lt_f32_e64 s[10:11], |v59|, s40
	v_cndmask_b32_e64 v59, v59, v61, s[10:11]
	v_cndmask_b32_e64 v61, 0, v53, s[8:9]
	v_sub_f32_e32 v59, v59, v61
	v_sub_f32_e32 v59, v59, v60
	v_floor_f32_e32 v60, v4
	v_sub_f32_e32 v60, v4, v60
	v_min_f32_e32 v60, 0x3f7fffff, v60
	v_cmp_neq_f32_e64 s[8:9], 0, v60
	v_cndmask_b32_e64 v60, v55, v59, s[8:9]
.LBB9_153:                              ;   in Loop: Header=BB9_4 Depth=1
	s_or_b64 exec, exec, s[28:29]
.LBB9_154:                              ;   in Loop: Header=BB9_4 Depth=1
	s_andn2_saveexec_b64 s[26:27], s[26:27]
	s_cbranch_execz .LBB9_3
; %bb.155:                              ;   in Loop: Header=BB9_4 Depth=1
	v_cmp_eq_f32_e64 s[8:9], 1.0, v4
	v_cmp_eq_f32_e64 s[10:11], 2.0, v4
	s_or_b64 s[8:9], s[8:9], s[10:11]
	v_cndmask_b32_e64 v60, v60, 0, s[8:9]
	s_branch .LBB9_3
.LBB9_156:
	s_or_b64 exec, exec, s[22:23]
	s_mov_b64 s[0:1], 0
.LBB9_157:
	s_andn2_b64 vcc, exec, s[0:1]
	s_cbranch_vccnz .LBB9_329
; %bb.158:
	v_cmp_lt_i64_e64 s[0:1], s[16:17], 1
	s_and_b64 vcc, exec, s[0:1]
	s_cbranch_vccnz .LBB9_329
; %bb.159:
	v_mov_b32_e32 v1, 0x10000
	s_load_dword s2, s[4:5], 0xc5c
	v_mov_b32_e32 v2, 0
	v_cmp_lt_i64_e32 vcc, s[16:17], v[1:2]
	v_mov_b32_e32 v10, 0
	s_and_b64 s[0:1], vcc, exec
	v_cmp_lt_u64_e32 vcc, s[16:17], v[1:2]
	s_cselect_b32 s21, s17, 0
	s_cselect_b32 s20, s16, 0x10000
	s_waitcnt lgkmcnt(0)
	s_and_b32 s2, s2, 0xffff
	v_lshlrev_b32_e32 v9, 2, v0
	s_and_b64 s[0:1], vcc, exec
	v_mov_b32_e32 v2, s15
	v_add_co_u32_e32 v1, vcc, s14, v9
	v_mad_u64_u32 v[7:8], s[0:1], s2, 12, v[9:10]
	v_addc_co_u32_e32 v2, vcc, 0, v2, vcc
	v_mov_b32_e32 v4, s13
	v_add_co_u32_e32 v3, vcc, s12, v9
	v_addc_co_u32_e32 v4, vcc, 0, v4, vcc
	v_mov_b32_e32 v6, s15
	v_add_co_u32_e32 v5, vcc, s14, v7
	;; [unrolled: 3-line block ×3, first 2 shown]
	s_cselect_b32 s23, s17, 0
	s_cselect_b32 s22, s16, 0x10000
	v_addc_co_u32_e32 v8, vcc, v10, v8, vcc
	s_lshl_b32 s0, s2, 3
	v_add_co_u32_e32 v11, vcc, s0, v9
	v_addc_co_u32_e64 v12, s[0:1], 0, 0, vcc
	v_mov_b32_e32 v10, s15
	v_add_co_u32_e32 v9, vcc, s14, v11
	v_addc_co_u32_e32 v10, vcc, v10, v12, vcc
	v_mov_b32_e32 v13, s13
	v_add_co_u32_e32 v11, vcc, s12, v11
	v_addc_co_u32_e32 v12, vcc, v13, v12, vcc
	v_add_co_u32_e32 v13, vcc, s2, v0
	v_lshlrev_b32_e32 v17, 2, v13
	v_addc_co_u32_e64 v14, s[0:1], 0, 0, vcc
	v_mov_b32_e32 v16, s15
	v_add_co_u32_e32 v15, vcc, s14, v17
	v_addc_co_u32_e32 v16, vcc, 0, v16, vcc
	v_mov_b32_e32 v18, s13
	v_add_co_u32_e32 v17, vcc, s12, v17
	s_mul_i32 s4, s2, 3
	v_addc_co_u32_e32 v18, vcc, 0, v18, vcc
	s_lshl_b32 s3, s2, 1
	v_add_co_u32_e32 v19, vcc, s4, v0
	v_addc_co_u32_e64 v20, s[0:1], 0, 0, vcc
	v_add_co_u32_e32 v21, vcc, s3, v0
	s_lshl_b32 s33, s2, 2
	s_lshl_b32 s34, s2, 4
	s_mov_b64 s[24:25], 0
	s_mov_b32 s35, 0x3c800000
	s_mov_b32 s36, 0x41000000
	;; [unrolled: 1-line block ×19, first 2 shown]
	v_addc_co_u32_e64 v22, s[0:1], 0, 0, vcc
	v_mov_b32_e32 v23, 0xba1c065c
	v_mov_b32_e32 v24, 0x3a500cfd
	;; [unrolled: 1-line block ×46, first 2 shown]
	s_branch .LBB9_161
.LBB9_160:                              ;   in Loop: Header=BB9_161 Depth=1
	s_or_b64 exec, exec, s[0:1]
	v_add_co_u32_e32 v1, vcc, s34, v1
	v_addc_co_u32_e32 v2, vcc, 0, v2, vcc
	v_add_co_u32_e32 v3, vcc, s34, v3
	v_addc_co_u32_e32 v4, vcc, 0, v4, vcc
	;; [unrolled: 2-line block ×6, first 2 shown]
	s_add_u32 s24, s24, s33
	v_add_co_u32_e32 v15, vcc, s34, v15
	v_mov_b32_e32 v70, s21
	s_addc_u32 s25, s25, 0
	v_addc_co_u32_e32 v16, vcc, 0, v16, vcc
	v_mov_b32_e32 v69, s20
	v_cmp_ge_i64_e32 vcc, s[24:25], v[69:70]
	v_add_co_u32_e64 v17, s[0:1], s34, v17
	v_addc_co_u32_e64 v18, s[0:1], 0, v18, s[0:1]
	s_cbranch_vccnz .LBB9_329
.LBB9_161:                              ; =>This Inner Loop Header: Depth=1
	v_mov_b32_e32 v70, s25
	v_add_co_u32_e32 v69, vcc, s24, v0
	v_addc_co_u32_e32 v70, vcc, 0, v70, vcc
	v_cmp_gt_u64_e32 vcc, s[22:23], v[69:70]
	v_mov_b32_e32 v70, 0
	s_and_saveexec_b64 s[2:3], vcc
	s_cbranch_execz .LBB9_163
; %bb.162:                              ;   in Loop: Header=BB9_161 Depth=1
	v_mov_b32_e32 v70, s19
	v_add_co_u32_e64 v69, s[0:1], s18, v1
	v_addc_co_u32_e64 v70, s[0:1], v2, v70, s[0:1]
	global_load_dword v70, v[69:70], off
.LBB9_163:                              ;   in Loop: Header=BB9_161 Depth=1
	s_or_b64 exec, exec, s[2:3]
	v_mov_b32_e32 v69, s25
	v_add_co_u32_e64 v71, s[0:1], s24, v13
	v_addc_co_u32_e64 v72, s[0:1], v14, v69, s[0:1]
	v_cmp_gt_u64_e64 s[0:1], s[22:23], v[71:72]
	v_mov_b32_e32 v69, 0
	v_mov_b32_e32 v71, 0
	s_and_saveexec_b64 s[4:5], s[0:1]
	s_cbranch_execz .LBB9_165
; %bb.164:                              ;   in Loop: Header=BB9_161 Depth=1
	v_mov_b32_e32 v72, s19
	v_add_co_u32_e64 v71, s[2:3], s18, v15
	v_addc_co_u32_e64 v72, s[2:3], v16, v72, s[2:3]
	global_load_dword v71, v[71:72], off
.LBB9_165:                              ;   in Loop: Header=BB9_161 Depth=1
	s_or_b64 exec, exec, s[4:5]
	v_mov_b32_e32 v73, s25
	v_add_co_u32_e64 v72, s[2:3], s24, v21
	v_addc_co_u32_e64 v73, s[2:3], v22, v73, s[2:3]
	v_cmp_gt_u64_e64 s[2:3], s[22:23], v[72:73]
	s_and_saveexec_b64 s[6:7], s[2:3]
	s_cbranch_execz .LBB9_167
; %bb.166:                              ;   in Loop: Header=BB9_161 Depth=1
	v_mov_b32_e32 v69, s19
	v_add_co_u32_e64 v72, s[4:5], s18, v9
	v_addc_co_u32_e64 v73, s[4:5], v10, v69, s[4:5]
	global_load_dword v69, v[72:73], off
.LBB9_167:                              ;   in Loop: Header=BB9_161 Depth=1
	s_or_b64 exec, exec, s[6:7]
	v_mov_b32_e32 v73, s25
	v_add_co_u32_e64 v72, s[4:5], s24, v19
	v_addc_co_u32_e64 v73, s[4:5], v20, v73, s[4:5]
	v_cmp_gt_u64_e64 s[4:5], s[22:23], v[72:73]
	v_mov_b32_e32 v72, 0
	s_and_saveexec_b64 s[8:9], s[4:5]
	s_cbranch_execz .LBB9_169
; %bb.168:                              ;   in Loop: Header=BB9_161 Depth=1
	v_mov_b32_e32 v73, s19
	v_add_co_u32_e64 v72, s[6:7], s18, v5
	v_addc_co_u32_e64 v73, s[6:7], v6, v73, s[6:7]
	global_load_dword v72, v[72:73], off
.LBB9_169:                              ;   in Loop: Header=BB9_161 Depth=1
	s_or_b64 exec, exec, s[8:9]
	s_waitcnt vmcnt(0)
	v_and_b32_e32 v74, 0x7fffffff, v70
	v_cmp_nlt_f32_e64 s[6:7], |v70|, s35
                                        ; implicit-def: $vgpr73
	s_and_saveexec_b64 s[8:9], s[6:7]
	s_xor_b64 s[10:11], exec, s[8:9]
	s_cbranch_execz .LBB9_199
; %bb.170:                              ;   in Loop: Header=BB9_161 Depth=1
	v_cmp_nlt_f32_e64 s[6:7], |v70|, 2.0
                                        ; implicit-def: $vgpr73
	s_and_saveexec_b64 s[8:9], s[6:7]
	s_xor_b64 s[12:13], exec, s[8:9]
	s_cbranch_execz .LBB9_180
; %bb.171:                              ;   in Loop: Header=BB9_161 Depth=1
	v_cmp_nlt_f32_e64 s[6:7], |v70|, s36
                                        ; implicit-def: $vgpr73
	s_and_saveexec_b64 s[8:9], s[6:7]
	s_xor_b64 s[14:15], exec, s[8:9]
	s_cbranch_execz .LBB9_177
; %bb.172:                              ;   in Loop: Header=BB9_161 Depth=1
	v_cmp_nlt_f32_e64 s[6:7], |v70|, s37
                                        ; implicit-def: $vgpr73
	s_and_saveexec_b64 s[8:9], s[6:7]
	s_xor_b64 s[16:17], exec, s[8:9]
	s_cbranch_execz .LBB9_174
; %bb.173:                              ;   in Loop: Header=BB9_161 Depth=1
	v_cmp_lt_f32_e64 s[6:7], |v70|, s38
	v_cndmask_b32_e64 v73, 0, 32, s[6:7]
	v_ldexp_f32 v73, |v70|, v73
	v_log_f32_e32 v73, v73
	v_mul_f32_e32 v75, 0x3f317217, v73
	v_fma_f32 v76, v73, s39, -v75
	v_fmac_f32_e32 v76, 0x3377d1cf, v73
	v_add_f32_e32 v75, v75, v76
	v_cmp_lt_f32_e64 s[8:9], |v73|, s40
	v_cndmask_b32_e64 v73, v73, v75, s[8:9]
	v_cndmask_b32_e64 v75, 0, v66, s[6:7]
	v_sub_f32_e32 v73, v73, v75
	v_fma_f32 v73, |v70|, v73, -|v70|
.LBB9_174:                              ;   in Loop: Header=BB9_161 Depth=1
	s_andn2_saveexec_b64 s[16:17], s[16:17]
	s_cbranch_execz .LBB9_176
; %bb.175:                              ;   in Loop: Header=BB9_161 Depth=1
	v_rcp_f32_e64 v73, |v70|
	v_cmp_lt_f32_e64 s[6:7], |v70|, s38
	v_cndmask_b32_e64 v76, 0, 32, s[6:7]
	v_mov_b32_e32 v75, 0x3a5b3dd2
	v_mul_f32_e32 v77, v73, v73
	v_ldexp_f32 v76, |v70|, v76
	v_fmac_f32_e32 v75, 0xbad5c4e8, v77
	v_log_f32_e32 v76, v76
	v_fma_f32 v75, v77, v75, v23
	v_fma_f32 v75, v77, v75, v24
	;; [unrolled: 1-line block ×4, first 2 shown]
	v_mul_f32_e32 v77, 0x3f317217, v76
	v_fma_f32 v78, v76, s39, -v77
	v_fmac_f32_e32 v78, 0x3377d1cf, v76
	v_add_f32_e32 v77, v77, v78
	v_cmp_lt_f32_e64 s[8:9], |v76|, s40
	v_cndmask_b32_e64 v76, v76, v77, s[8:9]
	v_cndmask_b32_e64 v77, 0, v66, s[6:7]
	v_sub_f32_e32 v76, v76, v77
	v_fma_f32 v73, v73, v75, v27
	v_add_f32_e64 v75, |v70|, -0.5
	v_add_f32_e32 v76, -1.0, v76
	v_fmac_f32_e32 v73, v75, v76
.LBB9_176:                              ;   in Loop: Header=BB9_161 Depth=1
	s_or_b64 exec, exec, s[16:17]
.LBB9_177:                              ;   in Loop: Header=BB9_161 Depth=1
	s_andn2_saveexec_b64 s[14:15], s[14:15]
	s_cbranch_execz .LBB9_179
; %bb.178:                              ;   in Loop: Header=BB9_161 Depth=1
	v_cvt_i32_f32_e32 v73, v74
	v_mov_b32_e32 v77, 0x3a4beed6
	v_mov_b32_e32 v76, 0x3af135b4
	v_cvt_f32_i32_e32 v75, v73
	v_cmp_lt_i32_e64 s[6:7], 2, v73
	v_sub_f32_e64 v75, |v70|, v75
	v_add_f32_e32 v78, 2.0, v75
	v_add_f32_e32 v79, 0x40400000, v75
	v_cndmask_b32_e64 v78, 1.0, v78, s[6:7]
	v_cmp_lt_i32_e64 s[6:7], 3, v73
	v_add_f32_e32 v80, 4.0, v75
	v_cndmask_b32_e64 v79, 1.0, v79, s[6:7]
	v_cmp_lt_i32_e64 s[6:7], 4, v73
	v_fmac_f32_e32 v77, 0x36f5d7bd, v75
	v_add_f32_e32 v81, 0x40a00000, v75
	v_mul_f32_e32 v78, v78, v79
	v_cndmask_b32_e64 v79, 1.0, v80, s[6:7]
	v_cmp_lt_i32_e64 s[6:7], 5, v73
	v_fma_f32 v77, v75, v77, v33
	v_add_f32_e32 v82, 0x40c00000, v75
	v_mul_f32_e32 v78, v79, v78
	v_cndmask_b32_e64 v79, 1.0, v81, s[6:7]
	v_cmp_lt_i32_e64 s[6:7], 6, v73
	v_fma_f32 v77, v75, v77, v34
	v_mul_f32_e32 v78, v79, v78
	v_cndmask_b32_e64 v73, 1.0, v82, s[6:7]
	v_fmac_f32_e32 v76, 0x3805ff67, v75
	v_fma_f32 v77, v75, v77, v35
	v_mul_f32_e32 v73, v73, v78
	v_fma_f32 v76, v75, v76, v28
	v_fma_f32 v77, v75, v77, v36
	v_cmp_gt_f32_e64 s[6:7], s38, v73
	v_fma_f32 v76, v75, v76, v29
	v_fma_f32 v77, v75, v77, 1.0
	v_cndmask_b32_e64 v78, 0, 32, s[6:7]
	v_fma_f32 v76, v75, v76, v30
	v_rcp_f32_e32 v77, v77
	v_ldexp_f32 v73, v73, v78
	v_fma_f32 v76, v75, v76, v31
	v_log_f32_e32 v73, v73
	v_fma_f32 v76, v75, v76, v32
	v_mul_f32_e32 v76, v75, v76
	v_mul_f32_e32 v76, v76, v77
	v_fmac_f32_e32 v76, 0.5, v75
	v_mul_f32_e32 v75, 0x3f317217, v73
	v_fma_f32 v77, v73, s39, -v75
	v_fmac_f32_e32 v77, 0x3377d1cf, v73
	v_add_f32_e32 v75, v75, v77
	v_cmp_lt_f32_e64 s[8:9], |v73|, s40
	v_cndmask_b32_e64 v73, v73, v75, s[8:9]
	v_cndmask_b32_e64 v75, 0, v66, s[6:7]
	v_sub_f32_e32 v73, v73, v75
	v_add_f32_e32 v73, v73, v76
.LBB9_179:                              ;   in Loop: Header=BB9_161 Depth=1
	s_or_b64 exec, exec, s[14:15]
.LBB9_180:                              ;   in Loop: Header=BB9_161 Depth=1
	s_andn2_saveexec_b64 s[8:9], s[12:13]
	s_cbranch_execz .LBB9_198
; %bb.181:                              ;   in Loop: Header=BB9_161 Depth=1
	v_cmp_le_f32_e64 s[6:7], |v70|, s41
                                        ; implicit-def: $vgpr73
                                        ; implicit-def: $vgpr76
                                        ; implicit-def: $vgpr75
	s_and_saveexec_b64 s[12:13], s[6:7]
	s_xor_b64 s[12:13], exec, s[12:13]
	s_cbranch_execz .LBB9_183
; %bb.182:                              ;   in Loop: Header=BB9_161 Depth=1
	v_cmp_lt_f32_e64 s[6:7], |v70|, s38
	v_cndmask_b32_e64 v73, 0, 32, s[6:7]
	v_ldexp_f32 v73, |v70|, v73
	v_log_f32_e32 v73, v73
	v_cndmask_b32_e64 v75, 0, v66, s[6:7]
	v_mul_f32_e32 v76, 0x3f317217, v73
	v_fma_f32 v77, v73, s39, -v76
	v_fmac_f32_e32 v77, 0x3377d1cf, v73
	v_add_f32_e32 v76, v76, v77
	v_cmp_lt_f32_e64 s[6:7], |v73|, s40
	v_cndmask_b32_e64 v73, v73, v76, s[6:7]
	v_sub_f32_e32 v73, v73, v75
	v_sub_f32_e64 v75, 1.0, |v70|
	v_add_f32_e64 v76, |v70|, s43
	v_cmp_lt_f32_e64 s[6:7], |v70|, s42
	v_cndmask_b32_e64 v75, v75, v76, s[6:7]
	v_cndmask_b32_e64 v76, 0, 1, s[6:7]
	v_cmp_lt_f32_e64 s[6:7], |v70|, s44
	v_xor_b32_e32 v73, 0x80000000, v73
	v_cndmask_b32_e64 v75, v75, |v70|, s[6:7]
	v_cndmask_b32_e64 v76, v76, 2, s[6:7]
.LBB9_183:                              ;   in Loop: Header=BB9_161 Depth=1
	s_andn2_saveexec_b64 s[12:13], s[12:13]
	s_cbranch_execz .LBB9_185
; %bb.184:                              ;   in Loop: Header=BB9_161 Depth=1
	v_sub_f32_e64 v73, 2.0, |v70|
	v_add_f32_e64 v75, |v70|, s46
	v_cmp_lt_f32_e64 s[6:7], |v70|, s45
	v_cndmask_b32_e64 v75, v73, v75, s[6:7]
	v_cndmask_b32_e64 v73, v73, 1.0, s[6:7]
	v_cvt_i32_f32_e32 v73, v73
	v_add_f32_e64 v76, |v70|, -1.0
	v_cmp_lt_f32_e64 s[6:7], |v70|, s47
	v_cndmask_b32_e64 v75, v75, v76, s[6:7]
	v_cndmask_b32_e64 v76, v73, 2, s[6:7]
	v_mov_b32_e32 v73, 0
.LBB9_185:                              ;   in Loop: Header=BB9_161 Depth=1
	s_or_b64 exec, exec, s[12:13]
	v_cmp_lt_i32_e64 s[6:7], 0, v76
	s_and_saveexec_b64 s[12:13], s[6:7]
	s_xor_b64 s[12:13], exec, s[12:13]
	s_cbranch_execz .LBB9_193
; %bb.186:                              ;   in Loop: Header=BB9_161 Depth=1
	v_cmp_lt_i32_e64 s[6:7], 1, v76
	s_and_saveexec_b64 s[14:15], s[6:7]
	s_xor_b64 s[14:15], exec, s[14:15]
	s_cbranch_execz .LBB9_190
; %bb.187:                              ;   in Loop: Header=BB9_161 Depth=1
	v_cmp_eq_u32_e64 s[6:7], 2, v76
	s_and_saveexec_b64 s[16:17], s[6:7]
	s_cbranch_execz .LBB9_189
; %bb.188:                              ;   in Loop: Header=BB9_161 Depth=1
	v_mov_b32_e32 v77, 0x3dd572af
	v_fmac_f32_e32 v77, 0x3b52d5db, v75
	v_fma_f32 v77, v75, v77, v40
	v_mov_b32_e32 v76, 0x3e6a7578
	v_fma_f32 v77, v75, v77, v41
	v_fmac_f32_e32 v76, 0x3c5b3c5e, v75
	v_fma_f32 v77, v75, v77, v42
	v_fma_f32 v76, v75, v76, v37
	v_fma_f32 v77, v75, v77, 1.0
	v_fma_f32 v76, v75, v76, v38
	v_rcp_f32_e32 v77, v77
	v_fma_f32 v76, v75, v76, v39
	v_fma_f32 v76, v75, v76, v32
	v_mul_f32_e32 v76, v75, v76
	v_mul_f32_e32 v76, v76, v77
	v_fmac_f32_e32 v76, -0.5, v75
	v_add_f32_e32 v73, v73, v76
.LBB9_189:                              ;   in Loop: Header=BB9_161 Depth=1
	s_or_b64 exec, exec, s[16:17]
                                        ; implicit-def: $vgpr75
.LBB9_190:                              ;   in Loop: Header=BB9_161 Depth=1
	s_andn2_saveexec_b64 s[6:7], s[14:15]
	s_cbranch_execz .LBB9_192
; %bb.191:                              ;   in Loop: Header=BB9_161 Depth=1
	v_mul_f32_e32 v76, v75, v75
	v_mul_f32_e32 v77, v75, v76
	v_mov_b32_e32 v79, 0x3a66f867
	v_mov_b32_e32 v80, 0xba0d3085
	v_fmac_f32_e32 v79, 0xb9a3f927, v77
	v_fmac_f32_e32 v80, 0x39afe9f7, v77
	v_mov_b32_e32 v78, 0xbab7f476
	v_fma_f32 v79, v77, v79, v46
	v_fma_f32 v80, v77, v80, v49
	v_fmac_f32_e32 v78, 0x39a57b6b, v77
	v_fma_f32 v79, v77, v79, v47
	v_fma_f32 v80, v77, v80, v50
	;; [unrolled: 1-line block ×6, first 2 shown]
	v_fmac_f32_e32 v79, v75, v80
	v_fma_f32 v78, v77, v78, v45
	v_fma_f32 v75, v77, -v79, s48
	v_fma_f32 v75, v76, v78, -v75
	v_add_f32_e32 v75, 0xbdf8cdce, v75
	v_add_f32_e32 v73, v73, v75
.LBB9_192:                              ;   in Loop: Header=BB9_161 Depth=1
	s_or_b64 exec, exec, s[6:7]
                                        ; implicit-def: $vgpr76
                                        ; implicit-def: $vgpr75
.LBB9_193:                              ;   in Loop: Header=BB9_161 Depth=1
	s_andn2_saveexec_b64 s[12:13], s[12:13]
	s_cbranch_execz .LBB9_197
; %bb.194:                              ;   in Loop: Header=BB9_161 Depth=1
	v_cmp_eq_u32_e64 s[6:7], 0, v76
	s_and_saveexec_b64 s[14:15], s[6:7]
	s_cbranch_execz .LBB9_196
; %bb.195:                              ;   in Loop: Header=BB9_161 Depth=1
	v_mul_f32_e32 v76, v75, v75
	v_mov_b32_e32 v78, 0x38e28445
	v_mov_b32_e32 v77, 0x39679767
	v_fmac_f32_e32 v78, 0x383c2c75, v76
	v_fmac_f32_e32 v77, 0x37d383a2, v76
	v_fma_f32 v78, v76, v78, v56
	v_fma_f32 v77, v76, v77, v52
	;; [unrolled: 1-line block ×8, first 2 shown]
	v_mul_f32_e32 v76, v76, v78
	v_fmac_f32_e32 v76, v75, v77
	v_fmac_f32_e32 v76, -0.5, v75
	v_add_f32_e32 v73, v73, v76
.LBB9_196:                              ;   in Loop: Header=BB9_161 Depth=1
	s_or_b64 exec, exec, s[14:15]
.LBB9_197:                              ;   in Loop: Header=BB9_161 Depth=1
	s_or_b64 exec, exec, s[12:13]
.LBB9_198:                              ;   in Loop: Header=BB9_161 Depth=1
	s_or_b64 exec, exec, s[8:9]
.LBB9_199:                              ;   in Loop: Header=BB9_161 Depth=1
	s_andn2_saveexec_b64 s[10:11], s[10:11]
	s_cbranch_execz .LBB9_201
; %bb.200:                              ;   in Loop: Header=BB9_161 Depth=1
	v_cmp_lt_f32_e64 s[6:7], |v70|, s38
	v_cndmask_b32_e64 v73, 0, 32, s[6:7]
	v_ldexp_f32 v73, |v70|, v73
	v_log_f32_e32 v73, v73
	v_fma_f32 v75, |v70|, s49, v67
	v_fma_f32 v75, |v70|, v75, s50
	;; [unrolled: 1-line block ×3, first 2 shown]
	v_mul_f32_e32 v76, 0x3f317217, v73
	v_fma_f32 v77, v73, s39, -v76
	v_fmac_f32_e32 v77, 0x3377d1cf, v73
	v_add_f32_e32 v76, v76, v77
	v_cmp_lt_f32_e64 s[8:9], |v73|, s40
	v_cndmask_b32_e64 v73, v73, v76, s[8:9]
	v_cndmask_b32_e64 v76, 0, v66, s[6:7]
	v_sub_f32_e32 v73, v73, v76
	v_fma_f32 v73, |v70|, v75, -v73
.LBB9_201:                              ;   in Loop: Header=BB9_161 Depth=1
	s_or_b64 exec, exec, s[10:11]
	v_cmp_le_f32_e64 s[6:7], 0, v70
	v_cmp_nle_f32_e64 s[8:9], 0, v70
	s_and_saveexec_b64 s[10:11], s[8:9]
	s_xor_b64 s[12:13], exec, s[10:11]
	s_cbranch_execz .LBB9_205
; %bb.202:                              ;   in Loop: Header=BB9_161 Depth=1
	v_cmp_lt_f32_e64 s[8:9], |v70|, s52
	v_cmp_gt_f32_e64 s[10:11], |v70|, s53
	s_and_b64 s[8:9], s[8:9], s[10:11]
	s_and_saveexec_b64 s[14:15], s[8:9]
	s_cbranch_execz .LBB9_204
; %bb.203:                              ;   in Loop: Header=BB9_161 Depth=1
	v_mul_f32_e64 v75, |v70|, 0.5
	v_floor_f32_e32 v76, v75
	v_sub_f32_e32 v76, v75, v76
	v_min_f32_e32 v76, 0x3f7fffff, v76
	v_add_f32_e32 v76, v76, v76
	v_cmp_neq_f32_e64 s[8:9], s40, v75
	v_cndmask_b32_e64 v75, 0, v76, s[8:9]
	v_cmp_gt_f32_e64 s[8:9], |v70|, 1.0
	v_cndmask_b32_e64 v75, |v70|, v75, s[8:9]
	v_add_f32_e32 v76, v75, v75
	v_rndne_f32_e32 v76, v76
	v_fmac_f32_e32 v75, -0.5, v76
	v_mul_f32_e32 v77, v75, v75
	v_mov_b32_e32 v78, 0xbf1f24be
	v_fmac_f32_e32 v78, 0x3e75aa41, v77
	v_fma_f32 v78, v77, v78, v60
	v_fma_f32 v78, v77, v78, v61
	v_mul_f32_e32 v79, v75, v77
	v_mul_f32_e32 v78, v79, v78
	v_fmac_f32_e32 v78, 0x40490fdb, v75
	v_mov_b32_e32 v75, 0x3e642e9d
	v_cvt_i32_f32_e32 v76, v76
	v_fmac_f32_e32 v75, 0x3d4be544, v77
	v_fma_f32 v75, v77, v75, v62
	v_fma_f32 v75, v77, v75, v63
	;; [unrolled: 1-line block ×3, first 2 shown]
	v_fma_f32 v75, v77, v75, 1.0
	v_and_b32_e32 v77, 1, v76
	v_lshlrev_b32_e32 v76, 30, v76
	v_cmp_eq_u32_e64 s[8:9], 0, v77
	v_and_b32_e32 v76, 0x80000000, v76
	v_xor_b32_e32 v74, v74, v70
	v_cndmask_b32_e64 v75, v75, v78, s[8:9]
	v_xor_b32_e32 v74, v74, v76
	v_xor_b32_e32 v74, v74, v75
	v_mul_f32_e32 v74, v70, v74
	v_frexp_mant_f32_e64 v75, |v74|
	v_rcp_f32_e32 v75, v75
	v_frexp_exp_i32_f32_e32 v74, v74
	v_sub_u32_e32 v74, 2, v74
	v_mul_f32_e32 v75, 0x3f490fdb, v75
	v_ldexp_f32 v74, v75, v74
	v_cmp_gt_f32_e64 s[8:9], s38, v74
	v_cndmask_b32_e64 v75, 0, 32, s[8:9]
	v_ldexp_f32 v74, v74, v75
	v_log_f32_e32 v74, v74
	v_mul_f32_e32 v75, 0x3f317217, v74
	v_fma_f32 v76, v74, s39, -v75
	v_fmac_f32_e32 v76, 0x3377d1cf, v74
	v_add_f32_e32 v75, v75, v76
	v_cmp_lt_f32_e64 s[10:11], |v74|, s40
	v_cndmask_b32_e64 v74, v74, v75, s[10:11]
	v_cndmask_b32_e64 v75, 0, v66, s[8:9]
	v_sub_f32_e32 v74, v74, v75
	v_sub_f32_e32 v73, v74, v73
	v_floor_f32_e32 v74, v70
	v_sub_f32_e32 v74, v70, v74
	v_min_f32_e32 v74, 0x3f7fffff, v74
	v_cmp_neq_f32_e64 s[8:9], 0, v74
	v_cndmask_b32_e64 v73, v68, v73, s[8:9]
.LBB9_204:                              ;   in Loop: Header=BB9_161 Depth=1
	s_or_b64 exec, exec, s[14:15]
.LBB9_205:                              ;   in Loop: Header=BB9_161 Depth=1
	s_andn2_saveexec_b64 s[12:13], s[12:13]
; %bb.206:                              ;   in Loop: Header=BB9_161 Depth=1
	v_cmp_eq_f32_e64 s[8:9], 1.0, v70
	v_cmp_eq_f32_e64 s[10:11], 2.0, v70
	s_or_b64 s[8:9], s[8:9], s[10:11]
	v_cndmask_b32_e64 v73, v73, 0, s[8:9]
; %bb.207:                              ;   in Loop: Header=BB9_161 Depth=1
	s_or_b64 exec, exec, s[12:13]
	v_and_b32_e32 v75, 0x7fffffff, v71
	v_cmp_nlt_f32_e64 s[8:9], |v71|, s35
                                        ; implicit-def: $vgpr74
	s_and_saveexec_b64 s[10:11], s[8:9]
	s_xor_b64 s[12:13], exec, s[10:11]
	s_cbranch_execz .LBB9_237
; %bb.208:                              ;   in Loop: Header=BB9_161 Depth=1
	v_cmp_nlt_f32_e64 s[8:9], |v71|, 2.0
                                        ; implicit-def: $vgpr74
	s_and_saveexec_b64 s[10:11], s[8:9]
	s_xor_b64 s[14:15], exec, s[10:11]
	s_cbranch_execz .LBB9_218
; %bb.209:                              ;   in Loop: Header=BB9_161 Depth=1
	v_cmp_nlt_f32_e64 s[8:9], |v71|, s36
                                        ; implicit-def: $vgpr74
	s_and_saveexec_b64 s[10:11], s[8:9]
	s_xor_b64 s[16:17], exec, s[10:11]
	s_cbranch_execz .LBB9_215
; %bb.210:                              ;   in Loop: Header=BB9_161 Depth=1
	v_cmp_nlt_f32_e64 s[8:9], |v71|, s37
                                        ; implicit-def: $vgpr74
	s_and_saveexec_b64 s[10:11], s[8:9]
	s_xor_b64 s[26:27], exec, s[10:11]
	s_cbranch_execz .LBB9_212
; %bb.211:                              ;   in Loop: Header=BB9_161 Depth=1
	v_cmp_lt_f32_e64 s[8:9], |v71|, s38
	v_cndmask_b32_e64 v74, 0, 32, s[8:9]
	v_ldexp_f32 v74, |v71|, v74
	v_log_f32_e32 v74, v74
	v_mul_f32_e32 v76, 0x3f317217, v74
	v_fma_f32 v77, v74, s39, -v76
	v_fmac_f32_e32 v77, 0x3377d1cf, v74
	v_add_f32_e32 v76, v76, v77
	v_cmp_lt_f32_e64 s[10:11], |v74|, s40
	v_cndmask_b32_e64 v74, v74, v76, s[10:11]
	v_cndmask_b32_e64 v76, 0, v66, s[8:9]
	v_sub_f32_e32 v74, v74, v76
	v_fma_f32 v74, |v71|, v74, -|v71|
.LBB9_212:                              ;   in Loop: Header=BB9_161 Depth=1
	s_andn2_saveexec_b64 s[26:27], s[26:27]
	s_cbranch_execz .LBB9_214
; %bb.213:                              ;   in Loop: Header=BB9_161 Depth=1
	v_rcp_f32_e64 v74, |v71|
	v_cmp_lt_f32_e64 s[8:9], |v71|, s38
	v_cndmask_b32_e64 v77, 0, 32, s[8:9]
	v_mov_b32_e32 v76, 0x3a5b3dd2
	v_mul_f32_e32 v78, v74, v74
	v_ldexp_f32 v77, |v71|, v77
	v_fmac_f32_e32 v76, 0xbad5c4e8, v78
	v_log_f32_e32 v77, v77
	v_fma_f32 v76, v78, v76, v23
	v_fma_f32 v76, v78, v76, v24
	v_fma_f32 v76, v78, v76, v25
	v_fma_f32 v76, v78, v76, v26
	v_mul_f32_e32 v78, 0x3f317217, v77
	v_fma_f32 v79, v77, s39, -v78
	v_fmac_f32_e32 v79, 0x3377d1cf, v77
	v_add_f32_e32 v78, v78, v79
	v_cmp_lt_f32_e64 s[10:11], |v77|, s40
	v_cndmask_b32_e64 v77, v77, v78, s[10:11]
	v_cndmask_b32_e64 v78, 0, v66, s[8:9]
	v_sub_f32_e32 v77, v77, v78
	v_fma_f32 v74, v74, v76, v27
	v_add_f32_e64 v76, |v71|, -0.5
	v_add_f32_e32 v77, -1.0, v77
	v_fmac_f32_e32 v74, v76, v77
.LBB9_214:                              ;   in Loop: Header=BB9_161 Depth=1
	s_or_b64 exec, exec, s[26:27]
.LBB9_215:                              ;   in Loop: Header=BB9_161 Depth=1
	s_andn2_saveexec_b64 s[16:17], s[16:17]
	s_cbranch_execz .LBB9_217
; %bb.216:                              ;   in Loop: Header=BB9_161 Depth=1
	v_cvt_i32_f32_e32 v74, v75
	v_mov_b32_e32 v78, 0x3a4beed6
	v_mov_b32_e32 v77, 0x3af135b4
	v_cvt_f32_i32_e32 v76, v74
	v_cmp_lt_i32_e64 s[8:9], 2, v74
	v_sub_f32_e64 v76, |v71|, v76
	v_fmac_f32_e32 v78, 0x36f5d7bd, v76
	v_fma_f32 v78, v76, v78, v33
	v_fma_f32 v78, v76, v78, v34
	v_fmac_f32_e32 v77, 0x3805ff67, v76
	v_fma_f32 v78, v76, v78, v35
	v_fma_f32 v77, v76, v77, v28
	;; [unrolled: 1-line block ×4, first 2 shown]
	v_fma_f32 v78, v76, v78, 1.0
	v_fma_f32 v77, v76, v77, v30
	v_rcp_f32_e32 v78, v78
	v_fma_f32 v77, v76, v77, v31
	v_fma_f32 v77, v76, v77, v32
	v_mul_f32_e32 v77, v76, v77
	v_mul_f32_e32 v77, v77, v78
	v_add_f32_e32 v78, 2.0, v76
	v_add_f32_e32 v79, 0x40400000, v76
	v_cndmask_b32_e64 v78, 1.0, v78, s[8:9]
	v_cmp_lt_i32_e64 s[8:9], 3, v74
	v_add_f32_e32 v80, 4.0, v76
	v_cndmask_b32_e64 v79, 1.0, v79, s[8:9]
	v_cmp_lt_i32_e64 s[8:9], 4, v74
	v_add_f32_e32 v81, 0x40a00000, v76
	v_mul_f32_e32 v78, v78, v79
	v_cndmask_b32_e64 v79, 1.0, v80, s[8:9]
	v_cmp_lt_i32_e64 s[8:9], 5, v74
	v_fmac_f32_e32 v77, 0.5, v76
	v_add_f32_e32 v76, 0x40c00000, v76
	v_mul_f32_e32 v78, v79, v78
	v_cndmask_b32_e64 v79, 1.0, v81, s[8:9]
	v_cmp_lt_i32_e64 s[8:9], 6, v74
	v_mul_f32_e32 v78, v79, v78
	v_cndmask_b32_e64 v74, 1.0, v76, s[8:9]
	v_mul_f32_e32 v74, v74, v78
	v_cmp_gt_f32_e64 s[8:9], s38, v74
	v_cndmask_b32_e64 v76, 0, 32, s[8:9]
	v_ldexp_f32 v74, v74, v76
	v_log_f32_e32 v74, v74
	v_mul_f32_e32 v76, 0x3f317217, v74
	v_fma_f32 v78, v74, s39, -v76
	v_fmac_f32_e32 v78, 0x3377d1cf, v74
	v_add_f32_e32 v76, v76, v78
	v_cmp_lt_f32_e64 s[10:11], |v74|, s40
	v_cndmask_b32_e64 v74, v74, v76, s[10:11]
	v_cndmask_b32_e64 v76, 0, v66, s[8:9]
	v_sub_f32_e32 v74, v74, v76
	v_add_f32_e32 v74, v74, v77
.LBB9_217:                              ;   in Loop: Header=BB9_161 Depth=1
	s_or_b64 exec, exec, s[16:17]
.LBB9_218:                              ;   in Loop: Header=BB9_161 Depth=1
	s_andn2_saveexec_b64 s[10:11], s[14:15]
	s_cbranch_execz .LBB9_236
; %bb.219:                              ;   in Loop: Header=BB9_161 Depth=1
	v_cmp_le_f32_e64 s[8:9], |v71|, s41
                                        ; implicit-def: $vgpr74
                                        ; implicit-def: $vgpr77
                                        ; implicit-def: $vgpr76
	s_and_saveexec_b64 s[14:15], s[8:9]
	s_xor_b64 s[14:15], exec, s[14:15]
	s_cbranch_execz .LBB9_221
; %bb.220:                              ;   in Loop: Header=BB9_161 Depth=1
	v_cmp_lt_f32_e64 s[8:9], |v71|, s38
	v_cndmask_b32_e64 v74, 0, 32, s[8:9]
	v_ldexp_f32 v74, |v71|, v74
	v_log_f32_e32 v74, v74
	v_cndmask_b32_e64 v76, 0, v66, s[8:9]
	v_mul_f32_e32 v77, 0x3f317217, v74
	v_fma_f32 v78, v74, s39, -v77
	v_fmac_f32_e32 v78, 0x3377d1cf, v74
	v_add_f32_e32 v77, v77, v78
	v_cmp_lt_f32_e64 s[8:9], |v74|, s40
	v_cndmask_b32_e64 v74, v74, v77, s[8:9]
	v_sub_f32_e32 v74, v74, v76
	v_sub_f32_e64 v76, 1.0, |v71|
	v_add_f32_e64 v77, |v71|, s43
	v_cmp_lt_f32_e64 s[8:9], |v71|, s42
	v_cndmask_b32_e64 v76, v76, v77, s[8:9]
	v_cndmask_b32_e64 v77, 0, 1, s[8:9]
	v_cmp_lt_f32_e64 s[8:9], |v71|, s44
	v_xor_b32_e32 v74, 0x80000000, v74
	v_cndmask_b32_e64 v76, v76, |v71|, s[8:9]
	v_cndmask_b32_e64 v77, v77, 2, s[8:9]
.LBB9_221:                              ;   in Loop: Header=BB9_161 Depth=1
	s_andn2_saveexec_b64 s[14:15], s[14:15]
	s_cbranch_execz .LBB9_223
; %bb.222:                              ;   in Loop: Header=BB9_161 Depth=1
	v_sub_f32_e64 v74, 2.0, |v71|
	v_add_f32_e64 v76, |v71|, s46
	v_cmp_lt_f32_e64 s[8:9], |v71|, s45
	v_cndmask_b32_e64 v76, v74, v76, s[8:9]
	v_cndmask_b32_e64 v74, v74, 1.0, s[8:9]
	v_cvt_i32_f32_e32 v74, v74
	v_add_f32_e64 v77, |v71|, -1.0
	v_cmp_lt_f32_e64 s[8:9], |v71|, s47
	v_cndmask_b32_e64 v76, v76, v77, s[8:9]
	v_cndmask_b32_e64 v77, v74, 2, s[8:9]
	v_mov_b32_e32 v74, 0
.LBB9_223:                              ;   in Loop: Header=BB9_161 Depth=1
	s_or_b64 exec, exec, s[14:15]
	v_cmp_lt_i32_e64 s[8:9], 0, v77
	s_and_saveexec_b64 s[14:15], s[8:9]
	s_xor_b64 s[14:15], exec, s[14:15]
	s_cbranch_execz .LBB9_231
; %bb.224:                              ;   in Loop: Header=BB9_161 Depth=1
	v_cmp_lt_i32_e64 s[8:9], 1, v77
	s_and_saveexec_b64 s[16:17], s[8:9]
	s_xor_b64 s[16:17], exec, s[16:17]
	s_cbranch_execz .LBB9_228
; %bb.225:                              ;   in Loop: Header=BB9_161 Depth=1
	v_cmp_eq_u32_e64 s[8:9], 2, v77
	s_and_saveexec_b64 s[26:27], s[8:9]
	s_cbranch_execz .LBB9_227
; %bb.226:                              ;   in Loop: Header=BB9_161 Depth=1
	v_mov_b32_e32 v78, 0x3dd572af
	v_fmac_f32_e32 v78, 0x3b52d5db, v76
	v_fma_f32 v78, v76, v78, v40
	v_mov_b32_e32 v77, 0x3e6a7578
	v_fma_f32 v78, v76, v78, v41
	v_fmac_f32_e32 v77, 0x3c5b3c5e, v76
	v_fma_f32 v78, v76, v78, v42
	v_fma_f32 v77, v76, v77, v37
	v_fma_f32 v78, v76, v78, 1.0
	v_fma_f32 v77, v76, v77, v38
	v_rcp_f32_e32 v78, v78
	v_fma_f32 v77, v76, v77, v39
	v_fma_f32 v77, v76, v77, v32
	v_mul_f32_e32 v77, v76, v77
	v_mul_f32_e32 v77, v77, v78
	v_fmac_f32_e32 v77, -0.5, v76
	v_add_f32_e32 v74, v74, v77
.LBB9_227:                              ;   in Loop: Header=BB9_161 Depth=1
	s_or_b64 exec, exec, s[26:27]
                                        ; implicit-def: $vgpr76
.LBB9_228:                              ;   in Loop: Header=BB9_161 Depth=1
	s_andn2_saveexec_b64 s[8:9], s[16:17]
	s_cbranch_execz .LBB9_230
; %bb.229:                              ;   in Loop: Header=BB9_161 Depth=1
	v_mul_f32_e32 v77, v76, v76
	v_mul_f32_e32 v78, v76, v77
	v_mov_b32_e32 v80, 0x3a66f867
	v_mov_b32_e32 v81, 0xba0d3085
	v_fmac_f32_e32 v80, 0xb9a3f927, v78
	v_fmac_f32_e32 v81, 0x39afe9f7, v78
	v_mov_b32_e32 v79, 0xbab7f476
	v_fma_f32 v80, v78, v80, v46
	v_fma_f32 v81, v78, v81, v49
	v_fmac_f32_e32 v79, 0x39a57b6b, v78
	v_fma_f32 v80, v78, v80, v47
	v_fma_f32 v81, v78, v81, v50
	;; [unrolled: 1-line block ×6, first 2 shown]
	v_fmac_f32_e32 v80, v76, v81
	v_fma_f32 v79, v78, v79, v45
	v_fma_f32 v76, v78, -v80, s48
	v_fma_f32 v76, v77, v79, -v76
	v_add_f32_e32 v76, 0xbdf8cdce, v76
	v_add_f32_e32 v74, v74, v76
.LBB9_230:                              ;   in Loop: Header=BB9_161 Depth=1
	s_or_b64 exec, exec, s[8:9]
                                        ; implicit-def: $vgpr77
                                        ; implicit-def: $vgpr76
.LBB9_231:                              ;   in Loop: Header=BB9_161 Depth=1
	s_andn2_saveexec_b64 s[14:15], s[14:15]
	s_cbranch_execz .LBB9_235
; %bb.232:                              ;   in Loop: Header=BB9_161 Depth=1
	v_cmp_eq_u32_e64 s[8:9], 0, v77
	s_and_saveexec_b64 s[16:17], s[8:9]
	s_cbranch_execz .LBB9_234
; %bb.233:                              ;   in Loop: Header=BB9_161 Depth=1
	v_mul_f32_e32 v77, v76, v76
	v_mov_b32_e32 v79, 0x38e28445
	v_mov_b32_e32 v78, 0x39679767
	v_fmac_f32_e32 v79, 0x383c2c75, v77
	v_fmac_f32_e32 v78, 0x37d383a2, v77
	v_fma_f32 v79, v77, v79, v56
	v_fma_f32 v78, v77, v78, v52
	;; [unrolled: 1-line block ×8, first 2 shown]
	v_mul_f32_e32 v77, v77, v79
	v_fmac_f32_e32 v77, v76, v78
	v_fmac_f32_e32 v77, -0.5, v76
	v_add_f32_e32 v74, v74, v77
.LBB9_234:                              ;   in Loop: Header=BB9_161 Depth=1
	s_or_b64 exec, exec, s[16:17]
.LBB9_235:                              ;   in Loop: Header=BB9_161 Depth=1
	s_or_b64 exec, exec, s[14:15]
.LBB9_236:                              ;   in Loop: Header=BB9_161 Depth=1
	s_or_b64 exec, exec, s[10:11]
.LBB9_237:                              ;   in Loop: Header=BB9_161 Depth=1
	s_andn2_saveexec_b64 s[12:13], s[12:13]
	s_cbranch_execz .LBB9_239
; %bb.238:                              ;   in Loop: Header=BB9_161 Depth=1
	v_cmp_lt_f32_e64 s[8:9], |v71|, s38
	v_cndmask_b32_e64 v74, 0, 32, s[8:9]
	v_ldexp_f32 v74, |v71|, v74
	v_log_f32_e32 v74, v74
	v_fma_f32 v76, |v71|, s49, v67
	v_fma_f32 v76, |v71|, v76, s50
	;; [unrolled: 1-line block ×3, first 2 shown]
	v_mul_f32_e32 v77, 0x3f317217, v74
	v_fma_f32 v78, v74, s39, -v77
	v_fmac_f32_e32 v78, 0x3377d1cf, v74
	v_add_f32_e32 v77, v77, v78
	v_cmp_lt_f32_e64 s[10:11], |v74|, s40
	v_cndmask_b32_e64 v74, v74, v77, s[10:11]
	v_cndmask_b32_e64 v77, 0, v66, s[8:9]
	v_sub_f32_e32 v74, v74, v77
	v_fma_f32 v74, |v71|, v76, -v74
.LBB9_239:                              ;   in Loop: Header=BB9_161 Depth=1
	s_or_b64 exec, exec, s[12:13]
	v_cmp_le_f32_e64 s[8:9], 0, v71
	v_cmp_nle_f32_e64 s[10:11], 0, v71
	s_and_saveexec_b64 s[12:13], s[10:11]
	s_xor_b64 s[14:15], exec, s[12:13]
	s_cbranch_execz .LBB9_243
; %bb.240:                              ;   in Loop: Header=BB9_161 Depth=1
	v_cmp_lt_f32_e64 s[10:11], |v71|, s52
	v_cmp_gt_f32_e64 s[12:13], |v71|, s53
	s_and_b64 s[10:11], s[10:11], s[12:13]
	s_and_saveexec_b64 s[16:17], s[10:11]
	s_cbranch_execz .LBB9_242
; %bb.241:                              ;   in Loop: Header=BB9_161 Depth=1
	v_mul_f32_e64 v76, |v71|, 0.5
	v_floor_f32_e32 v77, v76
	v_sub_f32_e32 v77, v76, v77
	v_min_f32_e32 v77, 0x3f7fffff, v77
	v_add_f32_e32 v77, v77, v77
	v_cmp_neq_f32_e64 s[10:11], s40, v76
	v_cndmask_b32_e64 v76, 0, v77, s[10:11]
	v_cmp_gt_f32_e64 s[10:11], |v71|, 1.0
	v_cndmask_b32_e64 v76, |v71|, v76, s[10:11]
	v_add_f32_e32 v77, v76, v76
	v_rndne_f32_e32 v77, v77
	v_fmac_f32_e32 v76, -0.5, v77
	v_mul_f32_e32 v78, v76, v76
	v_mov_b32_e32 v79, 0xbf1f24be
	v_fmac_f32_e32 v79, 0x3e75aa41, v78
	v_fma_f32 v79, v78, v79, v60
	v_fma_f32 v79, v78, v79, v61
	v_mul_f32_e32 v80, v76, v78
	v_mul_f32_e32 v79, v80, v79
	v_fmac_f32_e32 v79, 0x40490fdb, v76
	v_mov_b32_e32 v76, 0x3e642e9d
	v_cvt_i32_f32_e32 v77, v77
	v_fmac_f32_e32 v76, 0x3d4be544, v78
	v_fma_f32 v76, v78, v76, v62
	v_fma_f32 v76, v78, v76, v63
	;; [unrolled: 1-line block ×3, first 2 shown]
	v_fma_f32 v76, v78, v76, 1.0
	v_and_b32_e32 v78, 1, v77
	v_lshlrev_b32_e32 v77, 30, v77
	v_cmp_eq_u32_e64 s[10:11], 0, v78
	v_and_b32_e32 v77, 0x80000000, v77
	v_xor_b32_e32 v75, v75, v71
	v_cndmask_b32_e64 v76, v76, v79, s[10:11]
	v_xor_b32_e32 v75, v75, v77
	v_xor_b32_e32 v75, v75, v76
	v_mul_f32_e32 v75, v71, v75
	v_frexp_mant_f32_e64 v76, |v75|
	v_rcp_f32_e32 v76, v76
	v_frexp_exp_i32_f32_e32 v75, v75
	v_sub_u32_e32 v75, 2, v75
	v_mul_f32_e32 v76, 0x3f490fdb, v76
	v_ldexp_f32 v75, v76, v75
	v_cmp_gt_f32_e64 s[10:11], s38, v75
	v_cndmask_b32_e64 v76, 0, 32, s[10:11]
	v_ldexp_f32 v75, v75, v76
	v_log_f32_e32 v75, v75
	v_mul_f32_e32 v76, 0x3f317217, v75
	v_fma_f32 v77, v75, s39, -v76
	v_fmac_f32_e32 v77, 0x3377d1cf, v75
	v_add_f32_e32 v76, v76, v77
	v_cmp_lt_f32_e64 s[12:13], |v75|, s40
	v_cndmask_b32_e64 v75, v75, v76, s[12:13]
	v_cndmask_b32_e64 v76, 0, v66, s[10:11]
	v_sub_f32_e32 v75, v75, v76
	v_sub_f32_e32 v74, v75, v74
	v_floor_f32_e32 v75, v71
	v_sub_f32_e32 v75, v71, v75
	v_min_f32_e32 v75, 0x3f7fffff, v75
	v_cmp_neq_f32_e64 s[10:11], 0, v75
	v_cndmask_b32_e64 v74, v68, v74, s[10:11]
.LBB9_242:                              ;   in Loop: Header=BB9_161 Depth=1
	s_or_b64 exec, exec, s[16:17]
.LBB9_243:                              ;   in Loop: Header=BB9_161 Depth=1
	s_andn2_saveexec_b64 s[14:15], s[14:15]
; %bb.244:                              ;   in Loop: Header=BB9_161 Depth=1
	v_cmp_eq_f32_e64 s[10:11], 1.0, v71
	v_cmp_eq_f32_e64 s[12:13], 2.0, v71
	s_or_b64 s[10:11], s[10:11], s[12:13]
	v_cndmask_b32_e64 v74, v74, 0, s[10:11]
; %bb.245:                              ;   in Loop: Header=BB9_161 Depth=1
	s_or_b64 exec, exec, s[14:15]
	v_and_b32_e32 v76, 0x7fffffff, v69
	v_cmp_nlt_f32_e64 s[10:11], |v69|, s35
                                        ; implicit-def: $vgpr75
	s_and_saveexec_b64 s[12:13], s[10:11]
	s_xor_b64 s[14:15], exec, s[12:13]
	s_cbranch_execz .LBB9_275
; %bb.246:                              ;   in Loop: Header=BB9_161 Depth=1
	v_cmp_nlt_f32_e64 s[10:11], |v69|, 2.0
                                        ; implicit-def: $vgpr75
	s_and_saveexec_b64 s[12:13], s[10:11]
	s_xor_b64 s[16:17], exec, s[12:13]
	s_cbranch_execz .LBB9_256
; %bb.247:                              ;   in Loop: Header=BB9_161 Depth=1
	v_cmp_nlt_f32_e64 s[10:11], |v69|, s36
                                        ; implicit-def: $vgpr75
	s_and_saveexec_b64 s[12:13], s[10:11]
	s_xor_b64 s[26:27], exec, s[12:13]
	s_cbranch_execz .LBB9_253
; %bb.248:                              ;   in Loop: Header=BB9_161 Depth=1
	v_cmp_nlt_f32_e64 s[10:11], |v69|, s37
                                        ; implicit-def: $vgpr75
	s_and_saveexec_b64 s[12:13], s[10:11]
	s_xor_b64 s[28:29], exec, s[12:13]
	s_cbranch_execz .LBB9_250
; %bb.249:                              ;   in Loop: Header=BB9_161 Depth=1
	v_cmp_lt_f32_e64 s[10:11], |v69|, s38
	v_cndmask_b32_e64 v75, 0, 32, s[10:11]
	v_ldexp_f32 v75, |v69|, v75
	v_log_f32_e32 v75, v75
	v_mul_f32_e32 v77, 0x3f317217, v75
	v_fma_f32 v78, v75, s39, -v77
	v_fmac_f32_e32 v78, 0x3377d1cf, v75
	v_add_f32_e32 v77, v77, v78
	v_cmp_lt_f32_e64 s[12:13], |v75|, s40
	v_cndmask_b32_e64 v75, v75, v77, s[12:13]
	v_cndmask_b32_e64 v77, 0, v66, s[10:11]
	v_sub_f32_e32 v75, v75, v77
	v_fma_f32 v75, |v69|, v75, -|v69|
.LBB9_250:                              ;   in Loop: Header=BB9_161 Depth=1
	s_andn2_saveexec_b64 s[28:29], s[28:29]
	s_cbranch_execz .LBB9_252
; %bb.251:                              ;   in Loop: Header=BB9_161 Depth=1
	v_rcp_f32_e64 v75, |v69|
	v_cmp_lt_f32_e64 s[10:11], |v69|, s38
	v_cndmask_b32_e64 v78, 0, 32, s[10:11]
	v_mov_b32_e32 v77, 0x3a5b3dd2
	v_mul_f32_e32 v79, v75, v75
	v_ldexp_f32 v78, |v69|, v78
	v_fmac_f32_e32 v77, 0xbad5c4e8, v79
	v_log_f32_e32 v78, v78
	v_fma_f32 v77, v79, v77, v23
	v_fma_f32 v77, v79, v77, v24
	;; [unrolled: 1-line block ×4, first 2 shown]
	v_mul_f32_e32 v79, 0x3f317217, v78
	v_fma_f32 v80, v78, s39, -v79
	v_fmac_f32_e32 v80, 0x3377d1cf, v78
	v_add_f32_e32 v79, v79, v80
	v_cmp_lt_f32_e64 s[12:13], |v78|, s40
	v_cndmask_b32_e64 v78, v78, v79, s[12:13]
	v_cndmask_b32_e64 v79, 0, v66, s[10:11]
	v_sub_f32_e32 v78, v78, v79
	v_fma_f32 v75, v75, v77, v27
	v_add_f32_e64 v77, |v69|, -0.5
	v_add_f32_e32 v78, -1.0, v78
	v_fmac_f32_e32 v75, v77, v78
.LBB9_252:                              ;   in Loop: Header=BB9_161 Depth=1
	s_or_b64 exec, exec, s[28:29]
.LBB9_253:                              ;   in Loop: Header=BB9_161 Depth=1
	s_andn2_saveexec_b64 s[26:27], s[26:27]
	s_cbranch_execz .LBB9_255
; %bb.254:                              ;   in Loop: Header=BB9_161 Depth=1
	v_cvt_i32_f32_e32 v75, v76
	v_mov_b32_e32 v79, 0x3a4beed6
	v_mov_b32_e32 v78, 0x3af135b4
	v_cvt_f32_i32_e32 v77, v75
	v_cmp_lt_i32_e64 s[10:11], 2, v75
	v_sub_f32_e64 v77, |v69|, v77
	v_fmac_f32_e32 v79, 0x36f5d7bd, v77
	v_fma_f32 v79, v77, v79, v33
	v_fma_f32 v79, v77, v79, v34
	v_fmac_f32_e32 v78, 0x3805ff67, v77
	v_fma_f32 v79, v77, v79, v35
	v_fma_f32 v78, v77, v78, v28
	;; [unrolled: 1-line block ×4, first 2 shown]
	v_fma_f32 v79, v77, v79, 1.0
	v_fma_f32 v78, v77, v78, v30
	v_rcp_f32_e32 v79, v79
	v_fma_f32 v78, v77, v78, v31
	v_fma_f32 v78, v77, v78, v32
	v_mul_f32_e32 v78, v77, v78
	v_mul_f32_e32 v78, v78, v79
	v_add_f32_e32 v79, 2.0, v77
	v_add_f32_e32 v80, 0x40400000, v77
	v_cndmask_b32_e64 v79, 1.0, v79, s[10:11]
	v_cmp_lt_i32_e64 s[10:11], 3, v75
	v_add_f32_e32 v81, 4.0, v77
	v_cndmask_b32_e64 v80, 1.0, v80, s[10:11]
	v_cmp_lt_i32_e64 s[10:11], 4, v75
	v_add_f32_e32 v82, 0x40a00000, v77
	v_mul_f32_e32 v79, v79, v80
	v_cndmask_b32_e64 v80, 1.0, v81, s[10:11]
	v_cmp_lt_i32_e64 s[10:11], 5, v75
	v_fmac_f32_e32 v78, 0.5, v77
	v_add_f32_e32 v77, 0x40c00000, v77
	v_mul_f32_e32 v79, v80, v79
	v_cndmask_b32_e64 v80, 1.0, v82, s[10:11]
	v_cmp_lt_i32_e64 s[10:11], 6, v75
	v_mul_f32_e32 v79, v80, v79
	v_cndmask_b32_e64 v75, 1.0, v77, s[10:11]
	v_mul_f32_e32 v75, v75, v79
	v_cmp_gt_f32_e64 s[10:11], s38, v75
	v_cndmask_b32_e64 v77, 0, 32, s[10:11]
	v_ldexp_f32 v75, v75, v77
	v_log_f32_e32 v75, v75
	v_mul_f32_e32 v77, 0x3f317217, v75
	v_fma_f32 v79, v75, s39, -v77
	v_fmac_f32_e32 v79, 0x3377d1cf, v75
	v_add_f32_e32 v77, v77, v79
	v_cmp_lt_f32_e64 s[12:13], |v75|, s40
	v_cndmask_b32_e64 v75, v75, v77, s[12:13]
	v_cndmask_b32_e64 v77, 0, v66, s[10:11]
	v_sub_f32_e32 v75, v75, v77
	v_add_f32_e32 v75, v75, v78
.LBB9_255:                              ;   in Loop: Header=BB9_161 Depth=1
	s_or_b64 exec, exec, s[26:27]
.LBB9_256:                              ;   in Loop: Header=BB9_161 Depth=1
	s_andn2_saveexec_b64 s[12:13], s[16:17]
	s_cbranch_execz .LBB9_274
; %bb.257:                              ;   in Loop: Header=BB9_161 Depth=1
	v_cmp_le_f32_e64 s[10:11], |v69|, s41
                                        ; implicit-def: $vgpr75
                                        ; implicit-def: $vgpr78
                                        ; implicit-def: $vgpr77
	s_and_saveexec_b64 s[16:17], s[10:11]
	s_xor_b64 s[16:17], exec, s[16:17]
	s_cbranch_execz .LBB9_259
; %bb.258:                              ;   in Loop: Header=BB9_161 Depth=1
	v_cmp_lt_f32_e64 s[10:11], |v69|, s38
	v_cndmask_b32_e64 v75, 0, 32, s[10:11]
	v_ldexp_f32 v75, |v69|, v75
	v_log_f32_e32 v75, v75
	v_cndmask_b32_e64 v77, 0, v66, s[10:11]
	v_mul_f32_e32 v78, 0x3f317217, v75
	v_fma_f32 v79, v75, s39, -v78
	v_fmac_f32_e32 v79, 0x3377d1cf, v75
	v_add_f32_e32 v78, v78, v79
	v_cmp_lt_f32_e64 s[10:11], |v75|, s40
	v_cndmask_b32_e64 v75, v75, v78, s[10:11]
	v_sub_f32_e32 v75, v75, v77
	v_sub_f32_e64 v77, 1.0, |v69|
	v_add_f32_e64 v78, |v69|, s43
	v_cmp_lt_f32_e64 s[10:11], |v69|, s42
	v_cndmask_b32_e64 v77, v77, v78, s[10:11]
	v_cndmask_b32_e64 v78, 0, 1, s[10:11]
	v_cmp_lt_f32_e64 s[10:11], |v69|, s44
	v_xor_b32_e32 v75, 0x80000000, v75
	v_cndmask_b32_e64 v77, v77, |v69|, s[10:11]
	v_cndmask_b32_e64 v78, v78, 2, s[10:11]
.LBB9_259:                              ;   in Loop: Header=BB9_161 Depth=1
	s_andn2_saveexec_b64 s[16:17], s[16:17]
	s_cbranch_execz .LBB9_261
; %bb.260:                              ;   in Loop: Header=BB9_161 Depth=1
	v_sub_f32_e64 v75, 2.0, |v69|
	v_add_f32_e64 v77, |v69|, s46
	v_cmp_lt_f32_e64 s[10:11], |v69|, s45
	v_cndmask_b32_e64 v77, v75, v77, s[10:11]
	v_cndmask_b32_e64 v75, v75, 1.0, s[10:11]
	v_cvt_i32_f32_e32 v75, v75
	v_add_f32_e64 v78, |v69|, -1.0
	v_cmp_lt_f32_e64 s[10:11], |v69|, s47
	v_cndmask_b32_e64 v77, v77, v78, s[10:11]
	v_cndmask_b32_e64 v78, v75, 2, s[10:11]
	v_mov_b32_e32 v75, 0
.LBB9_261:                              ;   in Loop: Header=BB9_161 Depth=1
	s_or_b64 exec, exec, s[16:17]
	v_cmp_lt_i32_e64 s[10:11], 0, v78
	s_and_saveexec_b64 s[16:17], s[10:11]
	s_xor_b64 s[16:17], exec, s[16:17]
	s_cbranch_execz .LBB9_269
; %bb.262:                              ;   in Loop: Header=BB9_161 Depth=1
	v_cmp_lt_i32_e64 s[10:11], 1, v78
	s_and_saveexec_b64 s[26:27], s[10:11]
	s_xor_b64 s[26:27], exec, s[26:27]
	s_cbranch_execz .LBB9_266
; %bb.263:                              ;   in Loop: Header=BB9_161 Depth=1
	v_cmp_eq_u32_e64 s[10:11], 2, v78
	s_and_saveexec_b64 s[28:29], s[10:11]
	s_cbranch_execz .LBB9_265
; %bb.264:                              ;   in Loop: Header=BB9_161 Depth=1
	v_mov_b32_e32 v79, 0x3dd572af
	v_fmac_f32_e32 v79, 0x3b52d5db, v77
	v_fma_f32 v79, v77, v79, v40
	v_mov_b32_e32 v78, 0x3e6a7578
	v_fma_f32 v79, v77, v79, v41
	v_fmac_f32_e32 v78, 0x3c5b3c5e, v77
	v_fma_f32 v79, v77, v79, v42
	v_fma_f32 v78, v77, v78, v37
	v_fma_f32 v79, v77, v79, 1.0
	v_fma_f32 v78, v77, v78, v38
	v_rcp_f32_e32 v79, v79
	v_fma_f32 v78, v77, v78, v39
	v_fma_f32 v78, v77, v78, v32
	v_mul_f32_e32 v78, v77, v78
	v_mul_f32_e32 v78, v78, v79
	v_fmac_f32_e32 v78, -0.5, v77
	v_add_f32_e32 v75, v75, v78
.LBB9_265:                              ;   in Loop: Header=BB9_161 Depth=1
	s_or_b64 exec, exec, s[28:29]
                                        ; implicit-def: $vgpr77
.LBB9_266:                              ;   in Loop: Header=BB9_161 Depth=1
	s_andn2_saveexec_b64 s[10:11], s[26:27]
	s_cbranch_execz .LBB9_268
; %bb.267:                              ;   in Loop: Header=BB9_161 Depth=1
	v_mul_f32_e32 v78, v77, v77
	v_mul_f32_e32 v79, v77, v78
	v_mov_b32_e32 v81, 0x3a66f867
	v_mov_b32_e32 v82, 0xba0d3085
	v_fmac_f32_e32 v81, 0xb9a3f927, v79
	v_fmac_f32_e32 v82, 0x39afe9f7, v79
	v_mov_b32_e32 v80, 0xbab7f476
	v_fma_f32 v81, v79, v81, v46
	v_fma_f32 v82, v79, v82, v49
	v_fmac_f32_e32 v80, 0x39a57b6b, v79
	v_fma_f32 v81, v79, v81, v47
	v_fma_f32 v82, v79, v82, v50
	;; [unrolled: 1-line block ×6, first 2 shown]
	v_fmac_f32_e32 v81, v77, v82
	v_fma_f32 v80, v79, v80, v45
	v_fma_f32 v77, v79, -v81, s48
	v_fma_f32 v77, v78, v80, -v77
	v_add_f32_e32 v77, 0xbdf8cdce, v77
	v_add_f32_e32 v75, v75, v77
.LBB9_268:                              ;   in Loop: Header=BB9_161 Depth=1
	s_or_b64 exec, exec, s[10:11]
                                        ; implicit-def: $vgpr78
                                        ; implicit-def: $vgpr77
.LBB9_269:                              ;   in Loop: Header=BB9_161 Depth=1
	s_andn2_saveexec_b64 s[16:17], s[16:17]
	s_cbranch_execz .LBB9_273
; %bb.270:                              ;   in Loop: Header=BB9_161 Depth=1
	v_cmp_eq_u32_e64 s[10:11], 0, v78
	s_and_saveexec_b64 s[26:27], s[10:11]
	s_cbranch_execz .LBB9_272
; %bb.271:                              ;   in Loop: Header=BB9_161 Depth=1
	v_mul_f32_e32 v78, v77, v77
	v_mov_b32_e32 v80, 0x38e28445
	v_mov_b32_e32 v79, 0x39679767
	v_fmac_f32_e32 v80, 0x383c2c75, v78
	v_fmac_f32_e32 v79, 0x37d383a2, v78
	v_fma_f32 v80, v78, v80, v56
	v_fma_f32 v79, v78, v79, v52
	;; [unrolled: 1-line block ×8, first 2 shown]
	v_mul_f32_e32 v78, v78, v80
	v_fmac_f32_e32 v78, v77, v79
	v_fmac_f32_e32 v78, -0.5, v77
	v_add_f32_e32 v75, v75, v78
.LBB9_272:                              ;   in Loop: Header=BB9_161 Depth=1
	s_or_b64 exec, exec, s[26:27]
.LBB9_273:                              ;   in Loop: Header=BB9_161 Depth=1
	s_or_b64 exec, exec, s[16:17]
.LBB9_274:                              ;   in Loop: Header=BB9_161 Depth=1
	s_or_b64 exec, exec, s[12:13]
.LBB9_275:                              ;   in Loop: Header=BB9_161 Depth=1
	s_andn2_saveexec_b64 s[14:15], s[14:15]
	s_cbranch_execz .LBB9_277
; %bb.276:                              ;   in Loop: Header=BB9_161 Depth=1
	v_cmp_lt_f32_e64 s[10:11], |v69|, s38
	v_cndmask_b32_e64 v75, 0, 32, s[10:11]
	v_ldexp_f32 v75, |v69|, v75
	v_log_f32_e32 v75, v75
	v_fma_f32 v77, |v69|, s49, v67
	v_fma_f32 v77, |v69|, v77, s50
	;; [unrolled: 1-line block ×3, first 2 shown]
	v_mul_f32_e32 v78, 0x3f317217, v75
	v_fma_f32 v79, v75, s39, -v78
	v_fmac_f32_e32 v79, 0x3377d1cf, v75
	v_add_f32_e32 v78, v78, v79
	v_cmp_lt_f32_e64 s[12:13], |v75|, s40
	v_cndmask_b32_e64 v75, v75, v78, s[12:13]
	v_cndmask_b32_e64 v78, 0, v66, s[10:11]
	v_sub_f32_e32 v75, v75, v78
	v_fma_f32 v75, |v69|, v77, -v75
.LBB9_277:                              ;   in Loop: Header=BB9_161 Depth=1
	s_or_b64 exec, exec, s[14:15]
	v_cmp_le_f32_e64 s[10:11], 0, v69
	v_cmp_nle_f32_e64 s[12:13], 0, v69
	s_and_saveexec_b64 s[14:15], s[12:13]
	s_xor_b64 s[16:17], exec, s[14:15]
	s_cbranch_execz .LBB9_281
; %bb.278:                              ;   in Loop: Header=BB9_161 Depth=1
	v_cmp_lt_f32_e64 s[12:13], |v69|, s52
	v_cmp_gt_f32_e64 s[14:15], |v69|, s53
	s_and_b64 s[12:13], s[12:13], s[14:15]
	s_and_saveexec_b64 s[26:27], s[12:13]
	s_cbranch_execz .LBB9_280
; %bb.279:                              ;   in Loop: Header=BB9_161 Depth=1
	v_mul_f32_e64 v77, |v69|, 0.5
	v_floor_f32_e32 v78, v77
	v_sub_f32_e32 v78, v77, v78
	v_min_f32_e32 v78, 0x3f7fffff, v78
	v_add_f32_e32 v78, v78, v78
	v_cmp_neq_f32_e64 s[12:13], s40, v77
	v_cndmask_b32_e64 v77, 0, v78, s[12:13]
	v_cmp_gt_f32_e64 s[12:13], |v69|, 1.0
	v_cndmask_b32_e64 v77, |v69|, v77, s[12:13]
	v_add_f32_e32 v78, v77, v77
	v_rndne_f32_e32 v78, v78
	v_fmac_f32_e32 v77, -0.5, v78
	v_mul_f32_e32 v79, v77, v77
	v_mov_b32_e32 v80, 0xbf1f24be
	v_fmac_f32_e32 v80, 0x3e75aa41, v79
	v_fma_f32 v80, v79, v80, v60
	v_fma_f32 v80, v79, v80, v61
	v_mul_f32_e32 v81, v77, v79
	v_mul_f32_e32 v80, v81, v80
	v_fmac_f32_e32 v80, 0x40490fdb, v77
	v_mov_b32_e32 v77, 0x3e642e9d
	v_cvt_i32_f32_e32 v78, v78
	v_fmac_f32_e32 v77, 0x3d4be544, v79
	v_fma_f32 v77, v79, v77, v62
	v_fma_f32 v77, v79, v77, v63
	;; [unrolled: 1-line block ×3, first 2 shown]
	v_fma_f32 v77, v79, v77, 1.0
	v_and_b32_e32 v79, 1, v78
	v_lshlrev_b32_e32 v78, 30, v78
	v_cmp_eq_u32_e64 s[12:13], 0, v79
	v_and_b32_e32 v78, 0x80000000, v78
	v_xor_b32_e32 v76, v76, v69
	v_cndmask_b32_e64 v77, v77, v80, s[12:13]
	v_xor_b32_e32 v76, v76, v78
	v_xor_b32_e32 v76, v76, v77
	v_mul_f32_e32 v76, v69, v76
	v_frexp_mant_f32_e64 v77, |v76|
	v_rcp_f32_e32 v77, v77
	v_frexp_exp_i32_f32_e32 v76, v76
	v_sub_u32_e32 v76, 2, v76
	v_mul_f32_e32 v77, 0x3f490fdb, v77
	v_ldexp_f32 v76, v77, v76
	v_cmp_gt_f32_e64 s[12:13], s38, v76
	v_cndmask_b32_e64 v77, 0, 32, s[12:13]
	v_ldexp_f32 v76, v76, v77
	v_log_f32_e32 v76, v76
	v_mul_f32_e32 v77, 0x3f317217, v76
	v_fma_f32 v78, v76, s39, -v77
	v_fmac_f32_e32 v78, 0x3377d1cf, v76
	v_add_f32_e32 v77, v77, v78
	v_cmp_lt_f32_e64 s[14:15], |v76|, s40
	v_cndmask_b32_e64 v76, v76, v77, s[14:15]
	v_cndmask_b32_e64 v77, 0, v66, s[12:13]
	v_sub_f32_e32 v76, v76, v77
	v_sub_f32_e32 v75, v76, v75
	v_floor_f32_e32 v76, v69
	v_sub_f32_e32 v76, v69, v76
	v_min_f32_e32 v76, 0x3f7fffff, v76
	v_cmp_neq_f32_e64 s[12:13], 0, v76
	v_cndmask_b32_e64 v75, v68, v75, s[12:13]
.LBB9_280:                              ;   in Loop: Header=BB9_161 Depth=1
	s_or_b64 exec, exec, s[26:27]
.LBB9_281:                              ;   in Loop: Header=BB9_161 Depth=1
	s_andn2_saveexec_b64 s[16:17], s[16:17]
; %bb.282:                              ;   in Loop: Header=BB9_161 Depth=1
	v_cmp_eq_f32_e64 s[12:13], 1.0, v69
	v_cmp_eq_f32_e64 s[14:15], 2.0, v69
	s_or_b64 s[12:13], s[12:13], s[14:15]
	v_cndmask_b32_e64 v75, v75, 0, s[12:13]
; %bb.283:                              ;   in Loop: Header=BB9_161 Depth=1
	s_or_b64 exec, exec, s[16:17]
	v_and_b32_e32 v76, 0x7fffffff, v72
	v_cmp_nlt_f32_e64 s[12:13], |v72|, s35
                                        ; implicit-def: $vgpr77
	s_and_saveexec_b64 s[14:15], s[12:13]
	s_xor_b64 s[16:17], exec, s[14:15]
	s_cbranch_execz .LBB9_313
; %bb.284:                              ;   in Loop: Header=BB9_161 Depth=1
	v_cmp_nlt_f32_e64 s[12:13], |v72|, 2.0
                                        ; implicit-def: $vgpr77
	s_and_saveexec_b64 s[14:15], s[12:13]
	s_xor_b64 s[26:27], exec, s[14:15]
	s_cbranch_execz .LBB9_294
; %bb.285:                              ;   in Loop: Header=BB9_161 Depth=1
	v_cmp_nlt_f32_e64 s[12:13], |v72|, s36
                                        ; implicit-def: $vgpr77
	s_and_saveexec_b64 s[14:15], s[12:13]
	s_xor_b64 s[28:29], exec, s[14:15]
	s_cbranch_execz .LBB9_291
; %bb.286:                              ;   in Loop: Header=BB9_161 Depth=1
	v_cmp_nlt_f32_e64 s[12:13], |v72|, s37
                                        ; implicit-def: $vgpr77
	s_and_saveexec_b64 s[14:15], s[12:13]
	s_xor_b64 s[30:31], exec, s[14:15]
	s_cbranch_execz .LBB9_288
; %bb.287:                              ;   in Loop: Header=BB9_161 Depth=1
	v_cmp_lt_f32_e64 s[12:13], |v72|, s38
	v_cndmask_b32_e64 v77, 0, 32, s[12:13]
	v_ldexp_f32 v77, |v72|, v77
	v_log_f32_e32 v77, v77
	v_mul_f32_e32 v78, 0x3f317217, v77
	v_fma_f32 v79, v77, s39, -v78
	v_fmac_f32_e32 v79, 0x3377d1cf, v77
	v_add_f32_e32 v78, v78, v79
	v_cmp_lt_f32_e64 s[14:15], |v77|, s40
	v_cndmask_b32_e64 v77, v77, v78, s[14:15]
	v_cndmask_b32_e64 v78, 0, v66, s[12:13]
	v_sub_f32_e32 v77, v77, v78
	v_fma_f32 v77, |v72|, v77, -|v72|
.LBB9_288:                              ;   in Loop: Header=BB9_161 Depth=1
	s_andn2_saveexec_b64 s[30:31], s[30:31]
	s_cbranch_execz .LBB9_290
; %bb.289:                              ;   in Loop: Header=BB9_161 Depth=1
	v_rcp_f32_e64 v77, |v72|
	v_cmp_lt_f32_e64 s[12:13], |v72|, s38
	v_cndmask_b32_e64 v79, 0, 32, s[12:13]
	v_mov_b32_e32 v78, 0x3a5b3dd2
	v_mul_f32_e32 v80, v77, v77
	v_ldexp_f32 v79, |v72|, v79
	v_fmac_f32_e32 v78, 0xbad5c4e8, v80
	v_log_f32_e32 v79, v79
	v_fma_f32 v78, v80, v78, v23
	v_fma_f32 v78, v80, v78, v24
	v_fma_f32 v78, v80, v78, v25
	v_fma_f32 v78, v80, v78, v26
	v_mul_f32_e32 v80, 0x3f317217, v79
	v_fma_f32 v81, v79, s39, -v80
	v_fmac_f32_e32 v81, 0x3377d1cf, v79
	v_add_f32_e32 v80, v80, v81
	v_cmp_lt_f32_e64 s[14:15], |v79|, s40
	v_cndmask_b32_e64 v79, v79, v80, s[14:15]
	v_cndmask_b32_e64 v80, 0, v66, s[12:13]
	v_sub_f32_e32 v79, v79, v80
	v_fma_f32 v77, v77, v78, v27
	v_add_f32_e64 v78, |v72|, -0.5
	v_add_f32_e32 v79, -1.0, v79
	v_fmac_f32_e32 v77, v78, v79
.LBB9_290:                              ;   in Loop: Header=BB9_161 Depth=1
	s_or_b64 exec, exec, s[30:31]
.LBB9_291:                              ;   in Loop: Header=BB9_161 Depth=1
	s_andn2_saveexec_b64 s[28:29], s[28:29]
	s_cbranch_execz .LBB9_293
; %bb.292:                              ;   in Loop: Header=BB9_161 Depth=1
	v_cvt_i32_f32_e32 v77, v76
	v_mov_b32_e32 v80, 0x3a4beed6
	v_mov_b32_e32 v79, 0x3af135b4
	v_cvt_f32_i32_e32 v78, v77
	v_cmp_lt_i32_e64 s[12:13], 2, v77
	v_sub_f32_e64 v78, |v72|, v78
	v_add_f32_e32 v81, 2.0, v78
	v_add_f32_e32 v82, 0x40400000, v78
	v_cndmask_b32_e64 v81, 1.0, v81, s[12:13]
	v_cmp_lt_i32_e64 s[12:13], 3, v77
	v_add_f32_e32 v83, 4.0, v78
	v_cndmask_b32_e64 v82, 1.0, v82, s[12:13]
	v_cmp_lt_i32_e64 s[12:13], 4, v77
	v_fmac_f32_e32 v80, 0x36f5d7bd, v78
	v_add_f32_e32 v84, 0x40a00000, v78
	v_mul_f32_e32 v81, v81, v82
	v_cndmask_b32_e64 v82, 1.0, v83, s[12:13]
	v_cmp_lt_i32_e64 s[12:13], 5, v77
	v_fma_f32 v80, v78, v80, v33
	v_add_f32_e32 v85, 0x40c00000, v78
	v_mul_f32_e32 v81, v82, v81
	v_cndmask_b32_e64 v82, 1.0, v84, s[12:13]
	v_cmp_lt_i32_e64 s[12:13], 6, v77
	v_fma_f32 v80, v78, v80, v34
	v_mul_f32_e32 v81, v82, v81
	v_cndmask_b32_e64 v77, 1.0, v85, s[12:13]
	v_fmac_f32_e32 v79, 0x3805ff67, v78
	v_fma_f32 v80, v78, v80, v35
	v_mul_f32_e32 v77, v77, v81
	v_fma_f32 v79, v78, v79, v28
	v_fma_f32 v80, v78, v80, v36
	v_cmp_gt_f32_e64 s[12:13], s38, v77
	v_fma_f32 v79, v78, v79, v29
	v_fma_f32 v80, v78, v80, 1.0
	v_cndmask_b32_e64 v81, 0, 32, s[12:13]
	v_fma_f32 v79, v78, v79, v30
	v_rcp_f32_e32 v80, v80
	v_ldexp_f32 v77, v77, v81
	v_fma_f32 v79, v78, v79, v31
	v_log_f32_e32 v77, v77
	v_fma_f32 v79, v78, v79, v32
	v_mul_f32_e32 v79, v78, v79
	v_mul_f32_e32 v79, v79, v80
	v_fmac_f32_e32 v79, 0.5, v78
	v_mul_f32_e32 v78, 0x3f317217, v77
	v_fma_f32 v80, v77, s39, -v78
	v_fmac_f32_e32 v80, 0x3377d1cf, v77
	v_add_f32_e32 v78, v78, v80
	v_cmp_lt_f32_e64 s[14:15], |v77|, s40
	v_cndmask_b32_e64 v77, v77, v78, s[14:15]
	v_cndmask_b32_e64 v78, 0, v66, s[12:13]
	v_sub_f32_e32 v77, v77, v78
	v_add_f32_e32 v77, v77, v79
.LBB9_293:                              ;   in Loop: Header=BB9_161 Depth=1
	s_or_b64 exec, exec, s[28:29]
.LBB9_294:                              ;   in Loop: Header=BB9_161 Depth=1
	s_andn2_saveexec_b64 s[14:15], s[26:27]
	s_cbranch_execz .LBB9_312
; %bb.295:                              ;   in Loop: Header=BB9_161 Depth=1
	v_cmp_le_f32_e64 s[12:13], |v72|, s41
                                        ; implicit-def: $vgpr77
                                        ; implicit-def: $vgpr79
                                        ; implicit-def: $vgpr78
	s_and_saveexec_b64 s[26:27], s[12:13]
	s_xor_b64 s[26:27], exec, s[26:27]
	s_cbranch_execz .LBB9_297
; %bb.296:                              ;   in Loop: Header=BB9_161 Depth=1
	v_cmp_lt_f32_e64 s[12:13], |v72|, s38
	v_cndmask_b32_e64 v77, 0, 32, s[12:13]
	v_ldexp_f32 v77, |v72|, v77
	v_log_f32_e32 v77, v77
	v_cndmask_b32_e64 v78, 0, v66, s[12:13]
	v_mul_f32_e32 v79, 0x3f317217, v77
	v_fma_f32 v80, v77, s39, -v79
	v_fmac_f32_e32 v80, 0x3377d1cf, v77
	v_add_f32_e32 v79, v79, v80
	v_cmp_lt_f32_e64 s[12:13], |v77|, s40
	v_cndmask_b32_e64 v77, v77, v79, s[12:13]
	v_sub_f32_e32 v77, v77, v78
	v_sub_f32_e64 v78, 1.0, |v72|
	v_add_f32_e64 v79, |v72|, s43
	v_cmp_lt_f32_e64 s[12:13], |v72|, s42
	v_cndmask_b32_e64 v78, v78, v79, s[12:13]
	v_cndmask_b32_e64 v79, 0, 1, s[12:13]
	v_cmp_lt_f32_e64 s[12:13], |v72|, s44
	v_xor_b32_e32 v77, 0x80000000, v77
	v_cndmask_b32_e64 v78, v78, |v72|, s[12:13]
	v_cndmask_b32_e64 v79, v79, 2, s[12:13]
.LBB9_297:                              ;   in Loop: Header=BB9_161 Depth=1
	s_andn2_saveexec_b64 s[26:27], s[26:27]
	s_cbranch_execz .LBB9_299
; %bb.298:                              ;   in Loop: Header=BB9_161 Depth=1
	v_sub_f32_e64 v77, 2.0, |v72|
	v_add_f32_e64 v78, |v72|, s46
	v_cmp_lt_f32_e64 s[12:13], |v72|, s45
	v_cndmask_b32_e64 v78, v77, v78, s[12:13]
	v_cndmask_b32_e64 v77, v77, 1.0, s[12:13]
	v_cvt_i32_f32_e32 v77, v77
	v_add_f32_e64 v79, |v72|, -1.0
	v_cmp_lt_f32_e64 s[12:13], |v72|, s47
	v_cndmask_b32_e64 v78, v78, v79, s[12:13]
	v_cndmask_b32_e64 v79, v77, 2, s[12:13]
	v_mov_b32_e32 v77, 0
.LBB9_299:                              ;   in Loop: Header=BB9_161 Depth=1
	s_or_b64 exec, exec, s[26:27]
	v_cmp_lt_i32_e64 s[12:13], 0, v79
	s_and_saveexec_b64 s[26:27], s[12:13]
	s_xor_b64 s[26:27], exec, s[26:27]
	s_cbranch_execz .LBB9_307
; %bb.300:                              ;   in Loop: Header=BB9_161 Depth=1
	v_cmp_lt_i32_e64 s[12:13], 1, v79
	s_and_saveexec_b64 s[28:29], s[12:13]
	s_xor_b64 s[28:29], exec, s[28:29]
	s_cbranch_execz .LBB9_304
; %bb.301:                              ;   in Loop: Header=BB9_161 Depth=1
	v_cmp_eq_u32_e64 s[12:13], 2, v79
	s_and_saveexec_b64 s[30:31], s[12:13]
	s_cbranch_execz .LBB9_303
; %bb.302:                              ;   in Loop: Header=BB9_161 Depth=1
	v_mov_b32_e32 v80, 0x3dd572af
	v_fmac_f32_e32 v80, 0x3b52d5db, v78
	v_fma_f32 v80, v78, v80, v40
	v_mov_b32_e32 v79, 0x3e6a7578
	v_fma_f32 v80, v78, v80, v41
	v_fmac_f32_e32 v79, 0x3c5b3c5e, v78
	v_fma_f32 v80, v78, v80, v42
	v_fma_f32 v79, v78, v79, v37
	v_fma_f32 v80, v78, v80, 1.0
	v_fma_f32 v79, v78, v79, v38
	v_rcp_f32_e32 v80, v80
	v_fma_f32 v79, v78, v79, v39
	v_fma_f32 v79, v78, v79, v32
	v_mul_f32_e32 v79, v78, v79
	v_mul_f32_e32 v79, v79, v80
	v_fmac_f32_e32 v79, -0.5, v78
	v_add_f32_e32 v77, v77, v79
.LBB9_303:                              ;   in Loop: Header=BB9_161 Depth=1
	s_or_b64 exec, exec, s[30:31]
                                        ; implicit-def: $vgpr78
.LBB9_304:                              ;   in Loop: Header=BB9_161 Depth=1
	s_andn2_saveexec_b64 s[12:13], s[28:29]
	s_cbranch_execz .LBB9_306
; %bb.305:                              ;   in Loop: Header=BB9_161 Depth=1
	v_mul_f32_e32 v79, v78, v78
	v_mul_f32_e32 v80, v78, v79
	v_mov_b32_e32 v82, 0x3a66f867
	v_mov_b32_e32 v83, 0xba0d3085
	v_fmac_f32_e32 v82, 0xb9a3f927, v80
	v_fmac_f32_e32 v83, 0x39afe9f7, v80
	v_mov_b32_e32 v81, 0xbab7f476
	v_fma_f32 v82, v80, v82, v46
	v_fma_f32 v83, v80, v83, v49
	v_fmac_f32_e32 v81, 0x39a57b6b, v80
	v_fma_f32 v82, v80, v82, v47
	v_fma_f32 v83, v80, v83, v50
	;; [unrolled: 1-line block ×6, first 2 shown]
	v_fmac_f32_e32 v82, v78, v83
	v_fma_f32 v81, v80, v81, v45
	v_fma_f32 v78, v80, -v82, s48
	v_fma_f32 v78, v79, v81, -v78
	v_add_f32_e32 v78, 0xbdf8cdce, v78
	v_add_f32_e32 v77, v77, v78
.LBB9_306:                              ;   in Loop: Header=BB9_161 Depth=1
	s_or_b64 exec, exec, s[12:13]
                                        ; implicit-def: $vgpr79
                                        ; implicit-def: $vgpr78
.LBB9_307:                              ;   in Loop: Header=BB9_161 Depth=1
	s_andn2_saveexec_b64 s[26:27], s[26:27]
	s_cbranch_execz .LBB9_311
; %bb.308:                              ;   in Loop: Header=BB9_161 Depth=1
	v_cmp_eq_u32_e64 s[12:13], 0, v79
	s_and_saveexec_b64 s[28:29], s[12:13]
	s_cbranch_execz .LBB9_310
; %bb.309:                              ;   in Loop: Header=BB9_161 Depth=1
	v_mul_f32_e32 v79, v78, v78
	v_mov_b32_e32 v81, 0x38e28445
	v_mov_b32_e32 v80, 0x39679767
	v_fmac_f32_e32 v81, 0x383c2c75, v79
	v_fmac_f32_e32 v80, 0x37d383a2, v79
	v_fma_f32 v81, v79, v81, v56
	v_fma_f32 v80, v79, v80, v52
	;; [unrolled: 1-line block ×8, first 2 shown]
	v_mul_f32_e32 v79, v79, v81
	v_fmac_f32_e32 v79, v78, v80
	v_fmac_f32_e32 v79, -0.5, v78
	v_add_f32_e32 v77, v77, v79
.LBB9_310:                              ;   in Loop: Header=BB9_161 Depth=1
	s_or_b64 exec, exec, s[28:29]
.LBB9_311:                              ;   in Loop: Header=BB9_161 Depth=1
	s_or_b64 exec, exec, s[26:27]
.LBB9_312:                              ;   in Loop: Header=BB9_161 Depth=1
	s_or_b64 exec, exec, s[14:15]
.LBB9_313:                              ;   in Loop: Header=BB9_161 Depth=1
	s_andn2_saveexec_b64 s[16:17], s[16:17]
	s_cbranch_execz .LBB9_315
; %bb.314:                              ;   in Loop: Header=BB9_161 Depth=1
	v_cmp_lt_f32_e64 s[12:13], |v72|, s38
	v_cndmask_b32_e64 v77, 0, 32, s[12:13]
	v_ldexp_f32 v77, |v72|, v77
	v_log_f32_e32 v77, v77
	v_fma_f32 v78, |v72|, s49, v67
	v_fma_f32 v78, |v72|, v78, s50
	;; [unrolled: 1-line block ×3, first 2 shown]
	v_mul_f32_e32 v79, 0x3f317217, v77
	v_fma_f32 v80, v77, s39, -v79
	v_fmac_f32_e32 v80, 0x3377d1cf, v77
	v_add_f32_e32 v79, v79, v80
	v_cmp_lt_f32_e64 s[14:15], |v77|, s40
	v_cndmask_b32_e64 v77, v77, v79, s[14:15]
	v_cndmask_b32_e64 v79, 0, v66, s[12:13]
	v_sub_f32_e32 v77, v77, v79
	v_fma_f32 v77, |v72|, v78, -v77
.LBB9_315:                              ;   in Loop: Header=BB9_161 Depth=1
	s_or_b64 exec, exec, s[16:17]
	v_cmp_le_f32_e64 s[12:13], 0, v72
	v_cmp_nle_f32_e64 s[14:15], 0, v72
	s_and_saveexec_b64 s[16:17], s[14:15]
	s_xor_b64 s[26:27], exec, s[16:17]
	s_cbranch_execnz .LBB9_321
; %bb.316:                              ;   in Loop: Header=BB9_161 Depth=1
	s_andn2_saveexec_b64 s[26:27], s[26:27]
	s_cbranch_execnz .LBB9_324
.LBB9_317:                              ;   in Loop: Header=BB9_161 Depth=1
	s_or_b64 exec, exec, s[26:27]
	s_and_saveexec_b64 s[14:15], vcc
	s_xor_b64 s[14:15], exec, s[14:15]
	s_cbranch_execnz .LBB9_325
.LBB9_318:                              ;   in Loop: Header=BB9_161 Depth=1
	s_or_b64 exec, exec, s[14:15]
	s_and_saveexec_b64 s[6:7], s[0:1]
	s_cbranch_execnz .LBB9_326
.LBB9_319:                              ;   in Loop: Header=BB9_161 Depth=1
	s_or_b64 exec, exec, s[6:7]
	s_and_saveexec_b64 s[0:1], s[2:3]
	s_cbranch_execnz .LBB9_327
.LBB9_320:                              ;   in Loop: Header=BB9_161 Depth=1
	s_or_b64 exec, exec, s[0:1]
	s_and_saveexec_b64 s[0:1], s[4:5]
	s_cbranch_execz .LBB9_160
	s_branch .LBB9_328
.LBB9_321:                              ;   in Loop: Header=BB9_161 Depth=1
	v_cmp_lt_f32_e64 s[14:15], |v72|, s52
	v_cmp_gt_f32_e64 s[16:17], |v72|, s53
	s_and_b64 s[14:15], s[14:15], s[16:17]
	s_and_saveexec_b64 s[28:29], s[14:15]
	s_cbranch_execz .LBB9_323
; %bb.322:                              ;   in Loop: Header=BB9_161 Depth=1
	v_mul_f32_e64 v78, |v72|, 0.5
	v_floor_f32_e32 v79, v78
	v_sub_f32_e32 v79, v78, v79
	v_min_f32_e32 v79, 0x3f7fffff, v79
	v_add_f32_e32 v79, v79, v79
	v_cmp_neq_f32_e64 s[14:15], s40, v78
	v_cndmask_b32_e64 v78, 0, v79, s[14:15]
	v_cmp_gt_f32_e64 s[14:15], |v72|, 1.0
	v_cndmask_b32_e64 v78, |v72|, v78, s[14:15]
	v_add_f32_e32 v79, v78, v78
	v_rndne_f32_e32 v79, v79
	v_fmac_f32_e32 v78, -0.5, v79
	v_mul_f32_e32 v80, v78, v78
	v_mov_b32_e32 v81, 0xbf1f24be
	v_fmac_f32_e32 v81, 0x3e75aa41, v80
	v_fma_f32 v81, v80, v81, v60
	v_fma_f32 v81, v80, v81, v61
	v_mul_f32_e32 v82, v78, v80
	v_mul_f32_e32 v81, v82, v81
	v_fmac_f32_e32 v81, 0x40490fdb, v78
	v_mov_b32_e32 v78, 0x3e642e9d
	v_cvt_i32_f32_e32 v79, v79
	v_fmac_f32_e32 v78, 0x3d4be544, v80
	v_fma_f32 v78, v80, v78, v62
	v_fma_f32 v78, v80, v78, v63
	;; [unrolled: 1-line block ×3, first 2 shown]
	v_fma_f32 v78, v80, v78, 1.0
	v_and_b32_e32 v80, 1, v79
	v_lshlrev_b32_e32 v79, 30, v79
	v_cmp_eq_u32_e64 s[14:15], 0, v80
	v_and_b32_e32 v79, 0x80000000, v79
	v_xor_b32_e32 v76, v76, v72
	v_cndmask_b32_e64 v78, v78, v81, s[14:15]
	v_xor_b32_e32 v76, v76, v79
	v_xor_b32_e32 v76, v76, v78
	v_mul_f32_e32 v76, v72, v76
	v_frexp_mant_f32_e64 v78, |v76|
	v_rcp_f32_e32 v78, v78
	v_frexp_exp_i32_f32_e32 v76, v76
	v_sub_u32_e32 v76, 2, v76
	v_mul_f32_e32 v78, 0x3f490fdb, v78
	v_ldexp_f32 v76, v78, v76
	v_cmp_gt_f32_e64 s[14:15], s38, v76
	v_cndmask_b32_e64 v78, 0, 32, s[14:15]
	v_ldexp_f32 v76, v76, v78
	v_log_f32_e32 v76, v76
	v_mul_f32_e32 v78, 0x3f317217, v76
	v_fma_f32 v79, v76, s39, -v78
	v_fmac_f32_e32 v79, 0x3377d1cf, v76
	v_add_f32_e32 v78, v78, v79
	v_cmp_lt_f32_e64 s[16:17], |v76|, s40
	v_cndmask_b32_e64 v76, v76, v78, s[16:17]
	v_cndmask_b32_e64 v78, 0, v66, s[14:15]
	v_sub_f32_e32 v76, v76, v78
	v_sub_f32_e32 v76, v76, v77
	v_floor_f32_e32 v77, v72
	v_sub_f32_e32 v77, v72, v77
	v_min_f32_e32 v77, 0x3f7fffff, v77
	v_cmp_neq_f32_e64 s[14:15], 0, v77
	v_cndmask_b32_e64 v77, v68, v76, s[14:15]
.LBB9_323:                              ;   in Loop: Header=BB9_161 Depth=1
	s_or_b64 exec, exec, s[28:29]
	s_andn2_saveexec_b64 s[26:27], s[26:27]
	s_cbranch_execz .LBB9_317
.LBB9_324:                              ;   in Loop: Header=BB9_161 Depth=1
	v_cmp_eq_f32_e64 s[14:15], 1.0, v72
	v_cmp_eq_f32_e64 s[16:17], 2.0, v72
	s_or_b64 s[14:15], s[14:15], s[16:17]
	v_cndmask_b32_e64 v77, v77, 0, s[14:15]
	s_or_b64 exec, exec, s[26:27]
	s_and_saveexec_b64 s[14:15], vcc
	s_xor_b64 s[14:15], exec, s[14:15]
	s_cbranch_execz .LBB9_318
.LBB9_325:                              ;   in Loop: Header=BB9_161 Depth=1
	v_cmp_lt_f32_e64 s[16:17], |v70|, s52
	s_or_b64 vcc, s[6:7], s[16:17]
	v_cndmask_b32_e32 v73, v68, v73, vcc
	v_cmp_class_f32_e32 vcc, v70, v65
	v_cndmask_b32_e32 v73, v73, v68, vcc
	v_cmp_u_f32_e32 vcc, v70, v70
	v_cndmask_b32_e32 v70, v73, v70, vcc
	v_mov_b32_e32 v73, s19
	v_add_co_u32_e32 v78, vcc, s18, v3
	v_addc_co_u32_e32 v79, vcc, v4, v73, vcc
	global_store_dword v[78:79], v70, off
	s_or_b64 exec, exec, s[14:15]
	s_and_saveexec_b64 s[6:7], s[0:1]
	s_cbranch_execz .LBB9_319
.LBB9_326:                              ;   in Loop: Header=BB9_161 Depth=1
	v_cmp_lt_f32_e64 s[0:1], |v71|, s52
	s_or_b64 vcc, s[8:9], s[0:1]
	v_cndmask_b32_e32 v70, v68, v74, vcc
	v_cmp_class_f32_e32 vcc, v71, v65
	v_cndmask_b32_e32 v70, v70, v68, vcc
	v_cmp_u_f32_e32 vcc, v71, v71
	v_cndmask_b32_e32 v73, v70, v71, vcc
	v_mov_b32_e32 v71, s19
	v_add_co_u32_e32 v70, vcc, s18, v17
	v_addc_co_u32_e32 v71, vcc, v18, v71, vcc
	global_store_dword v[70:71], v73, off
	s_or_b64 exec, exec, s[6:7]
	s_and_saveexec_b64 s[0:1], s[2:3]
	s_cbranch_execz .LBB9_320
.LBB9_327:                              ;   in Loop: Header=BB9_161 Depth=1
	v_cmp_lt_f32_e64 s[2:3], |v69|, s52
	s_or_b64 vcc, s[10:11], s[2:3]
	v_cndmask_b32_e32 v70, v68, v75, vcc
	v_cmp_class_f32_e32 vcc, v69, v65
	v_cndmask_b32_e32 v70, v70, v68, vcc
	v_cmp_u_f32_e32 vcc, v69, v69
	v_cndmask_b32_e32 v71, v70, v69, vcc
	v_mov_b32_e32 v70, s19
	v_add_co_u32_e32 v69, vcc, s18, v11
	v_addc_co_u32_e32 v70, vcc, v12, v70, vcc
	global_store_dword v[69:70], v71, off
	s_or_b64 exec, exec, s[0:1]
	s_and_saveexec_b64 s[0:1], s[4:5]
	s_cbranch_execz .LBB9_160
.LBB9_328:                              ;   in Loop: Header=BB9_161 Depth=1
	v_cmp_lt_f32_e64 s[2:3], |v72|, s52
	s_or_b64 vcc, s[12:13], s[2:3]
	v_cndmask_b32_e32 v69, v68, v77, vcc
	v_cmp_class_f32_e32 vcc, v72, v65
	v_cndmask_b32_e32 v69, v69, v68, vcc
	v_cmp_u_f32_e32 vcc, v72, v72
	v_cndmask_b32_e32 v71, v69, v72, vcc
	v_mov_b32_e32 v70, s19
	v_add_co_u32_e32 v69, vcc, s18, v7
	v_addc_co_u32_e32 v70, vcc, v8, v70, vcc
	global_store_dword v[69:70], v71, off
	s_branch .LBB9_160
.LBB9_329:
	s_endpgm
	.section	.rodata,"a",@progbits
	.p2align	6, 0x0
	.amdhsa_kernel _ZN2at6native12_GLOBAL__N_125multi_tensor_apply_kernelINS1_18TensorListMetadataILi2EEENS1_14UnaryOpFunctorIfLi2ELi1ELi1EEEJNS0_6LgammaIfEEEEEvT_T0_DpT1_
		.amdhsa_group_segment_fixed_size 0
		.amdhsa_private_segment_fixed_size 0
		.amdhsa_kernarg_size 3408
		.amdhsa_user_sgpr_count 6
		.amdhsa_user_sgpr_private_segment_buffer 1
		.amdhsa_user_sgpr_dispatch_ptr 0
		.amdhsa_user_sgpr_queue_ptr 0
		.amdhsa_user_sgpr_kernarg_segment_ptr 1
		.amdhsa_user_sgpr_dispatch_id 0
		.amdhsa_user_sgpr_flat_scratch_init 0
		.amdhsa_user_sgpr_private_segment_size 0
		.amdhsa_uses_dynamic_stack 0
		.amdhsa_system_sgpr_private_segment_wavefront_offset 0
		.amdhsa_system_sgpr_workgroup_id_x 1
		.amdhsa_system_sgpr_workgroup_id_y 0
		.amdhsa_system_sgpr_workgroup_id_z 0
		.amdhsa_system_sgpr_workgroup_info 0
		.amdhsa_system_vgpr_workitem_id 0
		.amdhsa_next_free_vgpr 86
		.amdhsa_next_free_sgpr 54
		.amdhsa_reserve_vcc 1
		.amdhsa_reserve_flat_scratch 0
		.amdhsa_float_round_mode_32 0
		.amdhsa_float_round_mode_16_64 0
		.amdhsa_float_denorm_mode_32 3
		.amdhsa_float_denorm_mode_16_64 3
		.amdhsa_dx10_clamp 1
		.amdhsa_ieee_mode 1
		.amdhsa_fp16_overflow 0
		.amdhsa_exception_fp_ieee_invalid_op 0
		.amdhsa_exception_fp_denorm_src 0
		.amdhsa_exception_fp_ieee_div_zero 0
		.amdhsa_exception_fp_ieee_overflow 0
		.amdhsa_exception_fp_ieee_underflow 0
		.amdhsa_exception_fp_ieee_inexact 0
		.amdhsa_exception_int_div_zero 0
	.end_amdhsa_kernel
	.section	.text._ZN2at6native12_GLOBAL__N_125multi_tensor_apply_kernelINS1_18TensorListMetadataILi2EEENS1_14UnaryOpFunctorIfLi2ELi1ELi1EEEJNS0_6LgammaIfEEEEEvT_T0_DpT1_,"axG",@progbits,_ZN2at6native12_GLOBAL__N_125multi_tensor_apply_kernelINS1_18TensorListMetadataILi2EEENS1_14UnaryOpFunctorIfLi2ELi1ELi1EEEJNS0_6LgammaIfEEEEEvT_T0_DpT1_,comdat
.Lfunc_end9:
	.size	_ZN2at6native12_GLOBAL__N_125multi_tensor_apply_kernelINS1_18TensorListMetadataILi2EEENS1_14UnaryOpFunctorIfLi2ELi1ELi1EEEJNS0_6LgammaIfEEEEEvT_T0_DpT1_, .Lfunc_end9-_ZN2at6native12_GLOBAL__N_125multi_tensor_apply_kernelINS1_18TensorListMetadataILi2EEENS1_14UnaryOpFunctorIfLi2ELi1ELi1EEEJNS0_6LgammaIfEEEEEvT_T0_DpT1_
                                        ; -- End function
	.set _ZN2at6native12_GLOBAL__N_125multi_tensor_apply_kernelINS1_18TensorListMetadataILi2EEENS1_14UnaryOpFunctorIfLi2ELi1ELi1EEEJNS0_6LgammaIfEEEEEvT_T0_DpT1_.num_vgpr, 86
	.set _ZN2at6native12_GLOBAL__N_125multi_tensor_apply_kernelINS1_18TensorListMetadataILi2EEENS1_14UnaryOpFunctorIfLi2ELi1ELi1EEEJNS0_6LgammaIfEEEEEvT_T0_DpT1_.num_agpr, 0
	.set _ZN2at6native12_GLOBAL__N_125multi_tensor_apply_kernelINS1_18TensorListMetadataILi2EEENS1_14UnaryOpFunctorIfLi2ELi1ELi1EEEJNS0_6LgammaIfEEEEEvT_T0_DpT1_.numbered_sgpr, 54
	.set _ZN2at6native12_GLOBAL__N_125multi_tensor_apply_kernelINS1_18TensorListMetadataILi2EEENS1_14UnaryOpFunctorIfLi2ELi1ELi1EEEJNS0_6LgammaIfEEEEEvT_T0_DpT1_.num_named_barrier, 0
	.set _ZN2at6native12_GLOBAL__N_125multi_tensor_apply_kernelINS1_18TensorListMetadataILi2EEENS1_14UnaryOpFunctorIfLi2ELi1ELi1EEEJNS0_6LgammaIfEEEEEvT_T0_DpT1_.private_seg_size, 0
	.set _ZN2at6native12_GLOBAL__N_125multi_tensor_apply_kernelINS1_18TensorListMetadataILi2EEENS1_14UnaryOpFunctorIfLi2ELi1ELi1EEEJNS0_6LgammaIfEEEEEvT_T0_DpT1_.uses_vcc, 1
	.set _ZN2at6native12_GLOBAL__N_125multi_tensor_apply_kernelINS1_18TensorListMetadataILi2EEENS1_14UnaryOpFunctorIfLi2ELi1ELi1EEEJNS0_6LgammaIfEEEEEvT_T0_DpT1_.uses_flat_scratch, 0
	.set _ZN2at6native12_GLOBAL__N_125multi_tensor_apply_kernelINS1_18TensorListMetadataILi2EEENS1_14UnaryOpFunctorIfLi2ELi1ELi1EEEJNS0_6LgammaIfEEEEEvT_T0_DpT1_.has_dyn_sized_stack, 0
	.set _ZN2at6native12_GLOBAL__N_125multi_tensor_apply_kernelINS1_18TensorListMetadataILi2EEENS1_14UnaryOpFunctorIfLi2ELi1ELi1EEEJNS0_6LgammaIfEEEEEvT_T0_DpT1_.has_recursion, 0
	.set _ZN2at6native12_GLOBAL__N_125multi_tensor_apply_kernelINS1_18TensorListMetadataILi2EEENS1_14UnaryOpFunctorIfLi2ELi1ELi1EEEJNS0_6LgammaIfEEEEEvT_T0_DpT1_.has_indirect_call, 0
	.section	.AMDGPU.csdata,"",@progbits
; Kernel info:
; codeLenInByte = 19372
; TotalNumSgprs: 58
; NumVgprs: 86
; ScratchSize: 0
; MemoryBound: 0
; FloatMode: 240
; IeeeMode: 1
; LDSByteSize: 0 bytes/workgroup (compile time only)
; SGPRBlocks: 7
; VGPRBlocks: 21
; NumSGPRsForWavesPerEU: 58
; NumVGPRsForWavesPerEU: 86
; Occupancy: 2
; WaveLimiterHint : 0
; COMPUTE_PGM_RSRC2:SCRATCH_EN: 0
; COMPUTE_PGM_RSRC2:USER_SGPR: 6
; COMPUTE_PGM_RSRC2:TRAP_HANDLER: 0
; COMPUTE_PGM_RSRC2:TGID_X_EN: 1
; COMPUTE_PGM_RSRC2:TGID_Y_EN: 0
; COMPUTE_PGM_RSRC2:TGID_Z_EN: 0
; COMPUTE_PGM_RSRC2:TIDIG_COMP_CNT: 0
	.section	.text._ZN2at6native12_GLOBAL__N_125multi_tensor_apply_kernelINS1_18TensorListMetadataILi2EEENS1_14UnaryOpFunctorIN3c104HalfELi2ELi1ELi1EEEJNS0_6LgammaIfEEEEEvT_T0_DpT1_,"axG",@progbits,_ZN2at6native12_GLOBAL__N_125multi_tensor_apply_kernelINS1_18TensorListMetadataILi2EEENS1_14UnaryOpFunctorIN3c104HalfELi2ELi1ELi1EEEJNS0_6LgammaIfEEEEEvT_T0_DpT1_,comdat
	.globl	_ZN2at6native12_GLOBAL__N_125multi_tensor_apply_kernelINS1_18TensorListMetadataILi2EEENS1_14UnaryOpFunctorIN3c104HalfELi2ELi1ELi1EEEJNS0_6LgammaIfEEEEEvT_T0_DpT1_ ; -- Begin function _ZN2at6native12_GLOBAL__N_125multi_tensor_apply_kernelINS1_18TensorListMetadataILi2EEENS1_14UnaryOpFunctorIN3c104HalfELi2ELi1ELi1EEEJNS0_6LgammaIfEEEEEvT_T0_DpT1_
	.p2align	8
	.type	_ZN2at6native12_GLOBAL__N_125multi_tensor_apply_kernelINS1_18TensorListMetadataILi2EEENS1_14UnaryOpFunctorIN3c104HalfELi2ELi1ELi1EEEJNS0_6LgammaIfEEEEEvT_T0_DpT1_,@function
_ZN2at6native12_GLOBAL__N_125multi_tensor_apply_kernelINS1_18TensorListMetadataILi2EEENS1_14UnaryOpFunctorIN3c104HalfELi2ELi1ELi1EEEJNS0_6LgammaIfEEEEEvT_T0_DpT1_: ; @_ZN2at6native12_GLOBAL__N_125multi_tensor_apply_kernelINS1_18TensorListMetadataILi2EEENS1_14UnaryOpFunctorIN3c104HalfELi2ELi1ELi1EEEJNS0_6LgammaIfEEEEEvT_T0_DpT1_
; %bb.0:
	v_mov_b32_e32 v1, s6
	global_load_ubyte v1, v1, s[4:5] offset:1536
	s_add_u32 s0, s4, s6
	s_mul_hi_u32 s2, s6, 3
	s_mul_i32 s6, s6, 3
	s_addc_u32 s7, s5, 0
	s_add_u32 s6, s0, s6
	s_addc_u32 s7, s7, s2
	s_load_dword s6, s[6:7], 0x740
	s_mov_b32 s1, 0
	s_mov_b32 s3, s1
	s_waitcnt lgkmcnt(0)
	s_ashr_i32 s7, s6, 31
	s_lshl_b64 s[18:19], s[6:7], 17
	s_lshl_b64 s[6:7], s[6:7], 16
	s_waitcnt vmcnt(0)
	v_readfirstlane_b32 s0, v1
	s_lshl_b32 s0, s0, 3
	s_load_dwordx2 s[8:9], s[4:5], s0 offset:0x400
	s_load_dwordx2 s[14:15], s[4:5], s0 offset:0x0
	s_load_dwordx2 s[12:13], s[4:5], s0 offset:0x200
	s_waitcnt lgkmcnt(0)
	s_add_u32 s0, s14, s18
	s_and_b32 s2, s12, 7
	s_and_b32 s0, s0, 7
	s_sub_u32 s16, s8, s6
	s_subb_u32 s17, s9, s7
	s_and_b32 s6, s8, 3
	s_mov_b32 s7, s1
	s_or_b64 s[2:3], s[2:3], s[6:7]
	s_or_b64 s[0:1], s[2:3], s[0:1]
	s_cmp_eq_u64 s[0:1], 0
	s_mov_b64 s[0:1], -1
	s_cbranch_scc0 .LBB10_157
; %bb.1:
	v_mov_b32_e32 v1, 0x10000
	v_mov_b32_e32 v2, 0
	v_cmp_lt_i64_e32 vcc, s[16:17], v[1:2]
	v_mov_b32_e32 v2, 0
	s_and_b64 s[0:1], vcc, exec
	s_cselect_b32 s21, s17, 0
	s_cselect_b32 s20, s16, 0x10000
	v_lshlrev_b32_e32 v1, 2, v0
	v_cmp_gt_i64_e32 vcc, s[20:21], v[1:2]
	s_and_saveexec_b64 s[22:23], vcc
	s_cbranch_execz .LBB10_156
; %bb.2:
	s_load_dword s0, s[4:5], 0xc5c
	v_mov_b32_e32 v1, v2
	v_lshlrev_b32_e32 v2, 3, v0
	v_mov_b32_e32 v3, s19
	v_add_co_u32_e32 v5, vcc, s18, v2
	s_waitcnt lgkmcnt(0)
	s_and_b32 s33, s0, 0xffff
	v_mov_b32_e32 v2, v1
	v_addc_co_u32_e32 v6, vcc, 0, v3, vcc
	s_lshl_b32 s34, s33, 3
	s_mov_b64 s[24:25], 0
	v_mov_b32_e32 v7, s15
	s_mov_b32 s35, 0x3c800000
	s_mov_b32 s36, 0x41000000
	;; [unrolled: 1-line block ×6, first 2 shown]
	v_mov_b32_e32 v8, 0xba1c065c
	v_mov_b32_e32 v9, 0x3a500cfd
	;; [unrolled: 1-line block ×14, first 2 shown]
	s_mov_b32 s41, 0x3f666666
	s_mov_b32 s42, 0x3f3b4a23
	;; [unrolled: 1-line block ×7, first 2 shown]
	v_mov_b32_e32 v22, 0x3f7a4bb2
	v_mov_b32_e32 v23, 0x3fba3ae7
	v_mov_b32_e32 v24, 0x3f2200f4
	v_mov_b32_e32 v25, 0x3f44efdf
	v_mov_b32_e32 v26, 0x4008392d
	v_mov_b32_e32 v27, 0x401d2ebe
	v_mov_b32_e32 v28, 0x3bc7e707
	v_mov_b32_e32 v29, 0xbd064d47
	v_mov_b32_e32 v30, 0x3ef7b95e
	v_mov_b32_e32 v31, 0xbb7177fe
	v_mov_b32_e32 v32, 0x3c93373d
	v_mov_b32_e32 v33, 0xbe17213c
	v_mov_b32_e32 v34, 0x3b141699
	v_mov_b32_e32 v35, 0xbc28fcfe
	v_mov_b32_e32 v36, 0x3d845a15
	s_mov_b32 s48, 0xa2863e55
	v_mov_b32_e32 v37, 0x3a9c54a1
	v_mov_b32_e32 v38, 0x3bf2027e
	;; [unrolled: 1-line block ×8, first 2 shown]
	s_mov_b32 s49, 0x3e8a8991
	s_mov_b32 s50, 0x3f528d33
	;; [unrolled: 1-line block ×5, first 2 shown]
	v_mov_b32_e32 v45, 0x40234736
	v_mov_b32_e32 v46, 0xc0a55e0e
	v_mov_b32_e32 v47, 0xbfaad1da
	v_mov_b32_e32 v48, 0x4081e0d3
	v_mov_b32_e32 v49, 0xc09de9e6
	v_mov_b32_e32 v50, 0x264
	s_mov_b32 s54, 0x5040100
	v_mov_b32_e32 v51, 0x41b17218
	v_mov_b32_e32 v52, 0xbecd26ab
	;; [unrolled: 1-line block ×5, first 2 shown]
	s_branch .LBB10_4
.LBB10_3:                               ;   in Loop: Header=BB10_4 Depth=1
	s_or_b64 exec, exec, s[26:27]
	v_cvt_f16_f32_e32 v61, v61
	v_cmp_lt_f32_e64 s[8:9], |v60|, s52
	s_or_b64 s[2:3], s[2:3], s[8:9]
	v_cvt_f16_f32_e32 v59, v59
	v_cndmask_b32_e64 v61, v54, v61, s[2:3]
	v_cmp_class_f32_e64 s[2:3], v60, v50
	v_cndmask_b32_e64 v60, v61, v54, s[2:3]
	v_cmp_u_f16_e64 s[2:3], v4, v4
	v_cndmask_b32_e64 v60, v60, v4, s[2:3]
	v_cmp_lt_f32_e64 s[2:3], |v58|, s52
	s_or_b64 s[0:1], s[0:1], s[2:3]
	v_cndmask_b32_e64 v4, v54, v59, s[0:1]
	v_cmp_class_f32_e64 s[0:1], v58, v50
	v_cvt_f16_f32_e32 v56, v56
	v_cndmask_b32_e64 v4, v4, v54, s[0:1]
	v_cmp_u_f16_e64 s[0:1], v57, v57
	v_cndmask_b32_e64 v59, v4, v57, s[0:1]
	v_cmp_lt_f32_e64 s[0:1], |v55|, s52
	s_or_b64 vcc, vcc, s[0:1]
	v_cndmask_b32_e32 v4, v54, v56, vcc
	v_cmp_class_f32_e32 vcc, v55, v50
	v_cvt_f16_f32_e32 v55, v65
	v_cndmask_b32_e32 v4, v4, v54, vcc
	v_cmp_u_f16_e32 vcc, v3, v3
	v_cmp_lt_f32_e64 s[0:1], |v63|, s52
	v_cndmask_b32_e32 v61, v4, v3, vcc
	s_or_b64 vcc, s[6:7], s[0:1]
	v_cndmask_b32_e32 v3, v54, v55, vcc
	v_cmp_class_f32_e32 vcc, v63, v50
	v_cndmask_b32_e32 v3, v3, v54, vcc
	v_cmp_u_f16_e32 vcc, v62, v62
	v_cndmask_b32_e32 v55, v3, v62, vcc
	v_mov_b32_e32 v4, s13
	v_add_co_u32_e32 v3, vcc, s12, v5
	v_addc_co_u32_e32 v4, vcc, v4, v6, vcc
	v_add_co_u32_e32 v1, vcc, s33, v1
	v_addc_co_u32_e32 v2, vcc, 0, v2, vcc
	v_lshlrev_b64 v[57:58], 2, v[1:2]
	v_perm_b32 v56, v55, v60, s54
	v_cmp_le_i64_e32 vcc, s[20:21], v[57:58]
	v_perm_b32 v55, v59, v61, s54
	s_or_b64 s[24:25], vcc, s[24:25]
	v_add_co_u32_e32 v5, vcc, s34, v5
	v_addc_co_u32_e32 v6, vcc, 0, v6, vcc
	global_store_dwordx2 v[3:4], v[55:56], off
	s_andn2_b64 exec, exec, s[24:25]
	s_cbranch_execz .LBB10_156
.LBB10_4:                               ; =>This Inner Loop Header: Depth=1
	v_add_co_u32_e32 v3, vcc, s14, v5
	v_addc_co_u32_e32 v4, vcc, v7, v6, vcc
	global_load_dwordx2 v[3:4], v[3:4], off
                                        ; implicit-def: $vgpr56
	s_waitcnt vmcnt(0)
	v_cvt_f32_f16_e32 v55, v3
	v_and_b32_e32 v57, 0x7fffffff, v55
	v_cmp_nlt_f32_e64 s[0:1], |v55|, s35
	s_and_saveexec_b64 s[2:3], s[0:1]
	s_xor_b64 s[2:3], exec, s[2:3]
	s_cbranch_execz .LBB10_34
; %bb.5:                                ;   in Loop: Header=BB10_4 Depth=1
	v_cmp_nlt_f32_e64 s[0:1], |v55|, 2.0
                                        ; implicit-def: $vgpr56
	s_and_saveexec_b64 s[6:7], s[0:1]
	s_xor_b64 s[6:7], exec, s[6:7]
	s_cbranch_execz .LBB10_15
; %bb.6:                                ;   in Loop: Header=BB10_4 Depth=1
	v_cmp_nlt_f32_e64 s[0:1], |v55|, s36
                                        ; implicit-def: $vgpr56
	s_and_saveexec_b64 s[8:9], s[0:1]
	s_xor_b64 s[8:9], exec, s[8:9]
	s_cbranch_execz .LBB10_12
; %bb.7:                                ;   in Loop: Header=BB10_4 Depth=1
	v_cmp_nlt_f32_e64 s[0:1], |v55|, s37
                                        ; implicit-def: $vgpr56
	s_and_saveexec_b64 s[10:11], s[0:1]
	s_xor_b64 s[10:11], exec, s[10:11]
	s_cbranch_execz .LBB10_9
; %bb.8:                                ;   in Loop: Header=BB10_4 Depth=1
	v_cmp_lt_f32_e64 vcc, |v55|, s38
	v_cndmask_b32_e64 v56, 0, 32, vcc
	v_ldexp_f32 v56, |v55|, v56
	v_log_f32_e32 v56, v56
	v_mul_f32_e32 v58, 0x3f317217, v56
	v_fma_f32 v59, v56, s39, -v58
	v_fmac_f32_e32 v59, 0x3377d1cf, v56
	v_add_f32_e32 v58, v58, v59
	v_cmp_lt_f32_e64 s[0:1], |v56|, s40
	v_cndmask_b32_e64 v56, v56, v58, s[0:1]
	v_cndmask_b32_e32 v58, 0, v51, vcc
	v_sub_f32_e32 v56, v56, v58
	v_fma_f32 v56, |v55|, v56, -|v55|
.LBB10_9:                               ;   in Loop: Header=BB10_4 Depth=1
	s_andn2_saveexec_b64 s[10:11], s[10:11]
	s_cbranch_execz .LBB10_11
; %bb.10:                               ;   in Loop: Header=BB10_4 Depth=1
	v_rcp_f32_e64 v56, |v55|
	v_cmp_lt_f32_e64 vcc, |v55|, s38
	v_cndmask_b32_e64 v59, 0, 32, vcc
	v_mov_b32_e32 v58, 0x3a5b3dd2
	v_mul_f32_e32 v60, v56, v56
	v_ldexp_f32 v59, |v55|, v59
	v_fmac_f32_e32 v58, 0xbad5c4e8, v60
	v_log_f32_e32 v59, v59
	v_fma_f32 v58, v60, v58, v8
	v_fma_f32 v58, v60, v58, v9
	;; [unrolled: 1-line block ×4, first 2 shown]
	v_mul_f32_e32 v60, 0x3f317217, v59
	v_fma_f32 v61, v59, s39, -v60
	v_fmac_f32_e32 v61, 0x3377d1cf, v59
	v_add_f32_e32 v60, v60, v61
	v_cmp_lt_f32_e64 s[0:1], |v59|, s40
	v_cndmask_b32_e64 v59, v59, v60, s[0:1]
	v_cndmask_b32_e32 v60, 0, v51, vcc
	v_sub_f32_e32 v59, v59, v60
	v_fma_f32 v56, v56, v58, v12
	v_add_f32_e64 v58, |v55|, -0.5
	v_add_f32_e32 v59, -1.0, v59
	v_fmac_f32_e32 v56, v58, v59
.LBB10_11:                              ;   in Loop: Header=BB10_4 Depth=1
	s_or_b64 exec, exec, s[10:11]
.LBB10_12:                              ;   in Loop: Header=BB10_4 Depth=1
	s_andn2_saveexec_b64 s[8:9], s[8:9]
	s_cbranch_execz .LBB10_14
; %bb.13:                               ;   in Loop: Header=BB10_4 Depth=1
	v_cvt_i32_f32_e32 v56, v57
	v_mov_b32_e32 v60, 0x3a4beed6
	v_mov_b32_e32 v59, 0x3af135b4
	v_cvt_f32_i32_e32 v58, v56
	v_cmp_lt_i32_e32 vcc, 2, v56
	v_sub_f32_e64 v58, |v55|, v58
	v_add_f32_e32 v61, 2.0, v58
	v_add_f32_e32 v62, 0x40400000, v58
	v_cndmask_b32_e32 v61, 1.0, v61, vcc
	v_cmp_lt_i32_e32 vcc, 3, v56
	v_add_f32_e32 v63, 4.0, v58
	v_cndmask_b32_e32 v62, 1.0, v62, vcc
	v_cmp_lt_i32_e32 vcc, 4, v56
	v_fmac_f32_e32 v60, 0x36f5d7bd, v58
	v_add_f32_e32 v64, 0x40a00000, v58
	v_mul_f32_e32 v61, v61, v62
	v_cndmask_b32_e32 v62, 1.0, v63, vcc
	v_cmp_lt_i32_e32 vcc, 5, v56
	v_fma_f32 v60, v58, v60, v18
	v_add_f32_e32 v65, 0x40c00000, v58
	v_mul_f32_e32 v61, v62, v61
	v_cndmask_b32_e32 v62, 1.0, v64, vcc
	v_cmp_lt_i32_e32 vcc, 6, v56
	v_fma_f32 v60, v58, v60, v19
	v_mul_f32_e32 v61, v62, v61
	v_cndmask_b32_e32 v56, 1.0, v65, vcc
	v_fmac_f32_e32 v59, 0x3805ff67, v58
	v_fma_f32 v60, v58, v60, v20
	v_mul_f32_e32 v56, v56, v61
	v_fma_f32 v59, v58, v59, v13
	v_fma_f32 v60, v58, v60, v21
	v_cmp_gt_f32_e32 vcc, s38, v56
	v_fma_f32 v59, v58, v59, v14
	v_fma_f32 v60, v58, v60, 1.0
	v_cndmask_b32_e64 v61, 0, 32, vcc
	v_fma_f32 v59, v58, v59, v15
	v_rcp_f32_e32 v60, v60
	v_ldexp_f32 v56, v56, v61
	v_fma_f32 v59, v58, v59, v16
	v_log_f32_e32 v56, v56
	v_fma_f32 v59, v58, v59, v17
	v_mul_f32_e32 v59, v58, v59
	v_mul_f32_e32 v59, v59, v60
	v_fmac_f32_e32 v59, 0.5, v58
	v_mul_f32_e32 v58, 0x3f317217, v56
	v_fma_f32 v60, v56, s39, -v58
	v_fmac_f32_e32 v60, 0x3377d1cf, v56
	v_add_f32_e32 v58, v58, v60
	v_cmp_lt_f32_e64 s[0:1], |v56|, s40
	v_cndmask_b32_e64 v56, v56, v58, s[0:1]
	v_cndmask_b32_e32 v58, 0, v51, vcc
	v_sub_f32_e32 v56, v56, v58
	v_add_f32_e32 v56, v56, v59
.LBB10_14:                              ;   in Loop: Header=BB10_4 Depth=1
	s_or_b64 exec, exec, s[8:9]
.LBB10_15:                              ;   in Loop: Header=BB10_4 Depth=1
	s_andn2_saveexec_b64 s[0:1], s[6:7]
	s_cbranch_execz .LBB10_33
; %bb.16:                               ;   in Loop: Header=BB10_4 Depth=1
	v_cmp_le_f32_e64 s[6:7], |v55|, s41
                                        ; implicit-def: $vgpr56
                                        ; implicit-def: $vgpr59
                                        ; implicit-def: $vgpr58
	s_and_saveexec_b64 s[8:9], s[6:7]
	s_xor_b64 s[6:7], exec, s[8:9]
	s_cbranch_execz .LBB10_18
; %bb.17:                               ;   in Loop: Header=BB10_4 Depth=1
	v_cmp_lt_f32_e64 vcc, |v55|, s38
	v_cndmask_b32_e64 v56, 0, 32, vcc
	v_ldexp_f32 v56, |v55|, v56
	v_log_f32_e32 v56, v56
	v_cndmask_b32_e32 v58, 0, v51, vcc
	v_cmp_lt_f32_e64 s[8:9], |v55|, s44
	v_mul_f32_e32 v59, 0x3f317217, v56
	v_fma_f32 v60, v56, s39, -v59
	v_fmac_f32_e32 v60, 0x3377d1cf, v56
	v_add_f32_e32 v59, v59, v60
	v_cmp_lt_f32_e64 vcc, |v56|, s40
	v_cndmask_b32_e32 v56, v56, v59, vcc
	v_sub_f32_e32 v56, v56, v58
	v_sub_f32_e64 v58, 1.0, |v55|
	v_add_f32_e64 v59, |v55|, s43
	v_cmp_lt_f32_e64 vcc, |v55|, s42
	v_cndmask_b32_e32 v58, v58, v59, vcc
	v_cndmask_b32_e64 v59, 0, 1, vcc
	v_xor_b32_e32 v56, 0x80000000, v56
	v_cndmask_b32_e64 v58, v58, |v55|, s[8:9]
	v_cndmask_b32_e64 v59, v59, 2, s[8:9]
.LBB10_18:                              ;   in Loop: Header=BB10_4 Depth=1
	s_andn2_saveexec_b64 s[6:7], s[6:7]
	s_cbranch_execz .LBB10_20
; %bb.19:                               ;   in Loop: Header=BB10_4 Depth=1
	v_sub_f32_e64 v56, 2.0, |v55|
	v_add_f32_e64 v58, |v55|, s46
	v_cmp_lt_f32_e64 vcc, |v55|, s45
	v_cndmask_b32_e32 v58, v56, v58, vcc
	v_cndmask_b32_e64 v56, v56, 1.0, vcc
	v_cvt_i32_f32_e32 v56, v56
	v_add_f32_e64 v59, |v55|, -1.0
	v_cmp_lt_f32_e64 vcc, |v55|, s47
	v_cndmask_b32_e32 v58, v58, v59, vcc
	v_cndmask_b32_e64 v59, v56, 2, vcc
	v_mov_b32_e32 v56, 0
.LBB10_20:                              ;   in Loop: Header=BB10_4 Depth=1
	s_or_b64 exec, exec, s[6:7]
	v_cmp_lt_i32_e32 vcc, 0, v59
	s_and_saveexec_b64 s[6:7], vcc
	s_xor_b64 s[6:7], exec, s[6:7]
	s_cbranch_execz .LBB10_28
; %bb.21:                               ;   in Loop: Header=BB10_4 Depth=1
	v_cmp_lt_i32_e32 vcc, 1, v59
	s_and_saveexec_b64 s[8:9], vcc
	s_xor_b64 s[8:9], exec, s[8:9]
	s_cbranch_execz .LBB10_25
; %bb.22:                               ;   in Loop: Header=BB10_4 Depth=1
	v_cmp_eq_u32_e32 vcc, 2, v59
	s_and_saveexec_b64 s[10:11], vcc
	s_cbranch_execz .LBB10_24
; %bb.23:                               ;   in Loop: Header=BB10_4 Depth=1
	v_mov_b32_e32 v60, 0x3dd572af
	v_fmac_f32_e32 v60, 0x3b52d5db, v58
	v_fma_f32 v60, v58, v60, v25
	v_mov_b32_e32 v59, 0x3e6a7578
	v_fma_f32 v60, v58, v60, v26
	v_fmac_f32_e32 v59, 0x3c5b3c5e, v58
	v_fma_f32 v60, v58, v60, v27
	v_fma_f32 v59, v58, v59, v22
	v_fma_f32 v60, v58, v60, 1.0
	v_fma_f32 v59, v58, v59, v23
	v_rcp_f32_e32 v60, v60
	v_fma_f32 v59, v58, v59, v24
	v_fma_f32 v59, v58, v59, v17
	v_mul_f32_e32 v59, v58, v59
	v_mul_f32_e32 v59, v59, v60
	v_fmac_f32_e32 v59, -0.5, v58
	v_add_f32_e32 v56, v56, v59
.LBB10_24:                              ;   in Loop: Header=BB10_4 Depth=1
	s_or_b64 exec, exec, s[10:11]
                                        ; implicit-def: $vgpr58
.LBB10_25:                              ;   in Loop: Header=BB10_4 Depth=1
	s_andn2_saveexec_b64 s[8:9], s[8:9]
	s_cbranch_execz .LBB10_27
; %bb.26:                               ;   in Loop: Header=BB10_4 Depth=1
	v_mul_f32_e32 v59, v58, v58
	v_mul_f32_e32 v60, v58, v59
	v_mov_b32_e32 v62, 0x3a66f867
	v_mov_b32_e32 v63, 0xba0d3085
	v_fmac_f32_e32 v62, 0xb9a3f927, v60
	v_fmac_f32_e32 v63, 0x39afe9f7, v60
	v_mov_b32_e32 v61, 0xbab7f476
	v_fma_f32 v62, v60, v62, v31
	v_fma_f32 v63, v60, v63, v34
	v_fmac_f32_e32 v61, 0x39a57b6b, v60
	v_fma_f32 v62, v60, v62, v32
	v_fma_f32 v63, v60, v63, v35
	;; [unrolled: 1-line block ×6, first 2 shown]
	v_fmac_f32_e32 v62, v58, v63
	v_fma_f32 v61, v60, v61, v30
	v_fma_f32 v58, v60, -v62, s48
	v_fma_f32 v58, v59, v61, -v58
	v_add_f32_e32 v58, 0xbdf8cdce, v58
	v_add_f32_e32 v56, v56, v58
.LBB10_27:                              ;   in Loop: Header=BB10_4 Depth=1
	s_or_b64 exec, exec, s[8:9]
                                        ; implicit-def: $vgpr59
                                        ; implicit-def: $vgpr58
.LBB10_28:                              ;   in Loop: Header=BB10_4 Depth=1
	s_andn2_saveexec_b64 s[6:7], s[6:7]
	s_cbranch_execz .LBB10_32
; %bb.29:                               ;   in Loop: Header=BB10_4 Depth=1
	v_cmp_eq_u32_e32 vcc, 0, v59
	s_and_saveexec_b64 s[8:9], vcc
	s_cbranch_execz .LBB10_31
; %bb.30:                               ;   in Loop: Header=BB10_4 Depth=1
	v_mul_f32_e32 v59, v58, v58
	v_mov_b32_e32 v61, 0x38e28445
	v_mov_b32_e32 v60, 0x39679767
	v_fmac_f32_e32 v61, 0x383c2c75, v59
	v_fmac_f32_e32 v60, 0x37d383a2, v59
	v_fma_f32 v61, v59, v61, v41
	v_fma_f32 v60, v59, v60, v37
	v_fma_f32 v61, v59, v61, v42
	v_fma_f32 v60, v59, v60, v38
	v_fma_f32 v61, v59, v61, v43
	v_fma_f32 v60, v59, v60, v39
	v_fma_f32 v61, v59, v61, v44
	v_fma_f32 v60, v59, v60, v40
	v_mul_f32_e32 v59, v59, v61
	v_fmac_f32_e32 v59, v58, v60
	v_fmac_f32_e32 v59, -0.5, v58
	v_add_f32_e32 v56, v56, v59
.LBB10_31:                              ;   in Loop: Header=BB10_4 Depth=1
	s_or_b64 exec, exec, s[8:9]
.LBB10_32:                              ;   in Loop: Header=BB10_4 Depth=1
	s_or_b64 exec, exec, s[6:7]
.LBB10_33:                              ;   in Loop: Header=BB10_4 Depth=1
	s_or_b64 exec, exec, s[0:1]
.LBB10_34:                              ;   in Loop: Header=BB10_4 Depth=1
	s_andn2_saveexec_b64 s[2:3], s[2:3]
	s_cbranch_execz .LBB10_36
; %bb.35:                               ;   in Loop: Header=BB10_4 Depth=1
	v_cmp_lt_f32_e64 vcc, |v55|, s38
	v_cndmask_b32_e64 v56, 0, 32, vcc
	v_ldexp_f32 v56, |v55|, v56
	v_log_f32_e32 v56, v56
	v_fma_f32 v58, |v55|, s49, v52
	v_fma_f32 v58, |v55|, v58, s50
	;; [unrolled: 1-line block ×3, first 2 shown]
	v_mul_f32_e32 v59, 0x3f317217, v56
	v_fma_f32 v60, v56, s39, -v59
	v_fmac_f32_e32 v60, 0x3377d1cf, v56
	v_add_f32_e32 v59, v59, v60
	v_cmp_lt_f32_e64 s[0:1], |v56|, s40
	v_cndmask_b32_e64 v56, v56, v59, s[0:1]
	v_cndmask_b32_e32 v59, 0, v51, vcc
	v_sub_f32_e32 v56, v56, v59
	v_fma_f32 v56, |v55|, v58, -v56
.LBB10_36:                              ;   in Loop: Header=BB10_4 Depth=1
	s_or_b64 exec, exec, s[2:3]
	v_cmp_le_f16_e32 vcc, 0, v3
	v_cmp_nle_f16_e64 s[0:1], 0, v3
	s_and_saveexec_b64 s[2:3], s[0:1]
	s_xor_b64 s[6:7], exec, s[2:3]
	s_cbranch_execz .LBB10_40
; %bb.37:                               ;   in Loop: Header=BB10_4 Depth=1
	v_cmp_lt_f32_e64 s[0:1], |v55|, s52
	v_cmp_gt_f32_e64 s[2:3], |v55|, s53
	s_and_b64 s[0:1], s[0:1], s[2:3]
	s_and_saveexec_b64 s[8:9], s[0:1]
	s_cbranch_execz .LBB10_39
; %bb.38:                               ;   in Loop: Header=BB10_4 Depth=1
	v_mul_f32_e64 v58, |v55|, 0.5
	v_floor_f32_e32 v59, v58
	v_sub_f32_e32 v59, v58, v59
	v_min_f32_e32 v59, 0x3f7fffff, v59
	v_add_f32_e32 v59, v59, v59
	v_cmp_neq_f32_e64 s[0:1], s40, v58
	v_cndmask_b32_e64 v58, 0, v59, s[0:1]
	v_cmp_gt_f32_e64 s[0:1], |v55|, 1.0
	v_cndmask_b32_e64 v58, |v55|, v58, s[0:1]
	v_add_f32_e32 v59, v58, v58
	v_rndne_f32_e32 v59, v59
	v_fmac_f32_e32 v58, -0.5, v59
	v_mul_f32_e32 v60, v58, v58
	v_mov_b32_e32 v61, 0xbf1f24be
	v_fmac_f32_e32 v61, 0x3e75aa41, v60
	v_fma_f32 v61, v60, v61, v45
	v_fma_f32 v61, v60, v61, v46
	v_mul_f32_e32 v62, v58, v60
	v_mul_f32_e32 v61, v62, v61
	v_fmac_f32_e32 v61, 0x40490fdb, v58
	v_mov_b32_e32 v58, 0x3e642e9d
	v_cvt_i32_f32_e32 v59, v59
	v_fmac_f32_e32 v58, 0x3d4be544, v60
	v_fma_f32 v58, v60, v58, v47
	v_fma_f32 v58, v60, v58, v48
	;; [unrolled: 1-line block ×3, first 2 shown]
	v_fma_f32 v58, v60, v58, 1.0
	v_and_b32_e32 v60, 1, v59
	v_lshlrev_b32_e32 v59, 30, v59
	v_cmp_eq_u32_e64 s[0:1], 0, v60
	v_and_b32_e32 v59, 0x80000000, v59
	v_xor_b32_e32 v57, v57, v55
	v_cndmask_b32_e64 v58, v58, v61, s[0:1]
	v_xor_b32_e32 v57, v57, v59
	v_xor_b32_e32 v57, v57, v58
	v_mul_f32_e32 v57, v55, v57
	v_frexp_mant_f32_e64 v58, |v57|
	v_rcp_f32_e32 v58, v58
	v_frexp_exp_i32_f32_e32 v57, v57
	v_sub_u32_e32 v57, 2, v57
	v_mul_f32_e32 v58, 0x3f490fdb, v58
	v_ldexp_f32 v57, v58, v57
	v_cmp_gt_f32_e64 s[0:1], s38, v57
	v_cndmask_b32_e64 v58, 0, 32, s[0:1]
	v_ldexp_f32 v57, v57, v58
	v_log_f32_e32 v57, v57
	v_mul_f32_e32 v58, 0x3f317217, v57
	v_fma_f32 v59, v57, s39, -v58
	v_fmac_f32_e32 v59, 0x3377d1cf, v57
	v_add_f32_e32 v58, v58, v59
	v_cmp_lt_f32_e64 s[2:3], |v57|, s40
	v_cndmask_b32_e64 v57, v57, v58, s[2:3]
	v_cndmask_b32_e64 v58, 0, v51, s[0:1]
	v_sub_f32_e32 v57, v57, v58
	v_sub_f32_e32 v56, v57, v56
	v_floor_f32_e32 v57, v55
	v_sub_f32_e32 v57, v55, v57
	v_min_f32_e32 v57, 0x3f7fffff, v57
	v_cmp_neq_f32_e64 s[0:1], 0, v57
	v_cndmask_b32_e64 v56, v53, v56, s[0:1]
.LBB10_39:                              ;   in Loop: Header=BB10_4 Depth=1
	s_or_b64 exec, exec, s[8:9]
.LBB10_40:                              ;   in Loop: Header=BB10_4 Depth=1
	s_andn2_saveexec_b64 s[6:7], s[6:7]
; %bb.41:                               ;   in Loop: Header=BB10_4 Depth=1
	v_cmp_eq_f16_e64 s[0:1], 1.0, v3
	v_cmp_eq_f16_e64 s[2:3], 2.0, v3
	s_or_b64 s[0:1], s[0:1], s[2:3]
	v_cndmask_b32_e64 v56, v56, 0, s[0:1]
; %bb.42:                               ;   in Loop: Header=BB10_4 Depth=1
	s_or_b64 exec, exec, s[6:7]
	v_lshrrev_b32_e32 v57, 16, v3
	v_cvt_f32_f16_e32 v58, v57
                                        ; implicit-def: $vgpr59
	v_and_b32_e32 v60, 0x7fffffff, v58
	v_cmp_nlt_f32_e64 s[0:1], |v58|, s35
	s_and_saveexec_b64 s[2:3], s[0:1]
	s_xor_b64 s[6:7], exec, s[2:3]
	s_cbranch_execz .LBB10_72
; %bb.43:                               ;   in Loop: Header=BB10_4 Depth=1
	v_cmp_nlt_f32_e64 s[0:1], |v58|, 2.0
                                        ; implicit-def: $vgpr59
	s_and_saveexec_b64 s[2:3], s[0:1]
	s_xor_b64 s[8:9], exec, s[2:3]
	s_cbranch_execz .LBB10_53
; %bb.44:                               ;   in Loop: Header=BB10_4 Depth=1
	v_cmp_nlt_f32_e64 s[0:1], |v58|, s36
                                        ; implicit-def: $vgpr59
	s_and_saveexec_b64 s[2:3], s[0:1]
	s_xor_b64 s[10:11], exec, s[2:3]
	s_cbranch_execz .LBB10_50
; %bb.45:                               ;   in Loop: Header=BB10_4 Depth=1
	v_cmp_nlt_f32_e64 s[0:1], |v58|, s37
                                        ; implicit-def: $vgpr59
	s_and_saveexec_b64 s[2:3], s[0:1]
	s_xor_b64 s[26:27], exec, s[2:3]
	s_cbranch_execz .LBB10_47
; %bb.46:                               ;   in Loop: Header=BB10_4 Depth=1
	v_cmp_lt_f32_e64 s[0:1], |v58|, s38
	v_cndmask_b32_e64 v59, 0, 32, s[0:1]
	v_ldexp_f32 v59, |v58|, v59
	v_log_f32_e32 v59, v59
	v_mul_f32_e32 v61, 0x3f317217, v59
	v_fma_f32 v62, v59, s39, -v61
	v_fmac_f32_e32 v62, 0x3377d1cf, v59
	v_add_f32_e32 v61, v61, v62
	v_cmp_lt_f32_e64 s[2:3], |v59|, s40
	v_cndmask_b32_e64 v59, v59, v61, s[2:3]
	v_cndmask_b32_e64 v61, 0, v51, s[0:1]
	v_sub_f32_e32 v59, v59, v61
	v_fma_f32 v59, |v58|, v59, -|v58|
.LBB10_47:                              ;   in Loop: Header=BB10_4 Depth=1
	s_andn2_saveexec_b64 s[26:27], s[26:27]
	s_cbranch_execz .LBB10_49
; %bb.48:                               ;   in Loop: Header=BB10_4 Depth=1
	v_rcp_f32_e64 v59, |v58|
	v_cmp_lt_f32_e64 s[0:1], |v58|, s38
	v_cndmask_b32_e64 v62, 0, 32, s[0:1]
	v_mov_b32_e32 v61, 0x3a5b3dd2
	v_mul_f32_e32 v63, v59, v59
	v_ldexp_f32 v62, |v58|, v62
	v_fmac_f32_e32 v61, 0xbad5c4e8, v63
	v_log_f32_e32 v62, v62
	v_fma_f32 v61, v63, v61, v8
	v_fma_f32 v61, v63, v61, v9
	;; [unrolled: 1-line block ×4, first 2 shown]
	v_mul_f32_e32 v63, 0x3f317217, v62
	v_fma_f32 v64, v62, s39, -v63
	v_fmac_f32_e32 v64, 0x3377d1cf, v62
	v_add_f32_e32 v63, v63, v64
	v_cmp_lt_f32_e64 s[2:3], |v62|, s40
	v_cndmask_b32_e64 v62, v62, v63, s[2:3]
	v_cndmask_b32_e64 v63, 0, v51, s[0:1]
	v_sub_f32_e32 v62, v62, v63
	v_fma_f32 v59, v59, v61, v12
	v_add_f32_e64 v61, |v58|, -0.5
	v_add_f32_e32 v62, -1.0, v62
	v_fmac_f32_e32 v59, v61, v62
.LBB10_49:                              ;   in Loop: Header=BB10_4 Depth=1
	s_or_b64 exec, exec, s[26:27]
.LBB10_50:                              ;   in Loop: Header=BB10_4 Depth=1
	s_andn2_saveexec_b64 s[10:11], s[10:11]
	s_cbranch_execz .LBB10_52
; %bb.51:                               ;   in Loop: Header=BB10_4 Depth=1
	v_cvt_i32_f32_e32 v59, v60
	v_mov_b32_e32 v63, 0x3a4beed6
	v_mov_b32_e32 v62, 0x3af135b4
	v_cvt_f32_i32_e32 v61, v59
	v_cmp_lt_i32_e64 s[0:1], 2, v59
	v_sub_f32_e64 v61, |v58|, v61
	v_add_f32_e32 v64, 2.0, v61
	v_add_f32_e32 v65, 0x40400000, v61
	v_cndmask_b32_e64 v64, 1.0, v64, s[0:1]
	v_cmp_lt_i32_e64 s[0:1], 3, v59
	v_add_f32_e32 v66, 4.0, v61
	v_cndmask_b32_e64 v65, 1.0, v65, s[0:1]
	v_cmp_lt_i32_e64 s[0:1], 4, v59
	v_fmac_f32_e32 v63, 0x36f5d7bd, v61
	v_add_f32_e32 v67, 0x40a00000, v61
	v_mul_f32_e32 v64, v64, v65
	v_cndmask_b32_e64 v65, 1.0, v66, s[0:1]
	v_cmp_lt_i32_e64 s[0:1], 5, v59
	v_fma_f32 v63, v61, v63, v18
	v_add_f32_e32 v68, 0x40c00000, v61
	v_mul_f32_e32 v64, v65, v64
	v_cndmask_b32_e64 v65, 1.0, v67, s[0:1]
	v_cmp_lt_i32_e64 s[0:1], 6, v59
	v_fma_f32 v63, v61, v63, v19
	v_mul_f32_e32 v64, v65, v64
	v_cndmask_b32_e64 v59, 1.0, v68, s[0:1]
	v_fmac_f32_e32 v62, 0x3805ff67, v61
	v_fma_f32 v63, v61, v63, v20
	v_mul_f32_e32 v59, v59, v64
	v_fma_f32 v62, v61, v62, v13
	v_fma_f32 v63, v61, v63, v21
	v_cmp_gt_f32_e64 s[0:1], s38, v59
	v_fma_f32 v62, v61, v62, v14
	v_fma_f32 v63, v61, v63, 1.0
	v_cndmask_b32_e64 v64, 0, 32, s[0:1]
	v_fma_f32 v62, v61, v62, v15
	v_rcp_f32_e32 v63, v63
	v_ldexp_f32 v59, v59, v64
	v_fma_f32 v62, v61, v62, v16
	v_log_f32_e32 v59, v59
	v_fma_f32 v62, v61, v62, v17
	v_mul_f32_e32 v62, v61, v62
	v_mul_f32_e32 v62, v62, v63
	v_fmac_f32_e32 v62, 0.5, v61
	v_mul_f32_e32 v61, 0x3f317217, v59
	v_fma_f32 v63, v59, s39, -v61
	v_fmac_f32_e32 v63, 0x3377d1cf, v59
	v_add_f32_e32 v61, v61, v63
	v_cmp_lt_f32_e64 s[2:3], |v59|, s40
	v_cndmask_b32_e64 v59, v59, v61, s[2:3]
	v_cndmask_b32_e64 v61, 0, v51, s[0:1]
	v_sub_f32_e32 v59, v59, v61
	v_add_f32_e32 v59, v59, v62
.LBB10_52:                              ;   in Loop: Header=BB10_4 Depth=1
	s_or_b64 exec, exec, s[10:11]
.LBB10_53:                              ;   in Loop: Header=BB10_4 Depth=1
	s_andn2_saveexec_b64 s[2:3], s[8:9]
	s_cbranch_execz .LBB10_71
; %bb.54:                               ;   in Loop: Header=BB10_4 Depth=1
	v_cmp_le_f32_e64 s[0:1], |v58|, s41
                                        ; implicit-def: $vgpr59
                                        ; implicit-def: $vgpr62
                                        ; implicit-def: $vgpr61
	s_and_saveexec_b64 s[8:9], s[0:1]
	s_xor_b64 s[8:9], exec, s[8:9]
	s_cbranch_execz .LBB10_56
; %bb.55:                               ;   in Loop: Header=BB10_4 Depth=1
	v_cmp_lt_f32_e64 s[0:1], |v58|, s38
	v_cndmask_b32_e64 v59, 0, 32, s[0:1]
	v_ldexp_f32 v59, |v58|, v59
	v_log_f32_e32 v59, v59
	v_cndmask_b32_e64 v61, 0, v51, s[0:1]
	v_mul_f32_e32 v62, 0x3f317217, v59
	v_fma_f32 v63, v59, s39, -v62
	v_fmac_f32_e32 v63, 0x3377d1cf, v59
	v_add_f32_e32 v62, v62, v63
	v_cmp_lt_f32_e64 s[0:1], |v59|, s40
	v_cndmask_b32_e64 v59, v59, v62, s[0:1]
	v_sub_f32_e32 v59, v59, v61
	v_sub_f32_e64 v61, 1.0, |v58|
	v_add_f32_e64 v62, |v58|, s43
	v_cmp_lt_f32_e64 s[0:1], |v58|, s42
	v_cndmask_b32_e64 v61, v61, v62, s[0:1]
	v_cndmask_b32_e64 v62, 0, 1, s[0:1]
	v_cmp_lt_f32_e64 s[0:1], |v58|, s44
	v_xor_b32_e32 v59, 0x80000000, v59
	v_cndmask_b32_e64 v61, v61, |v58|, s[0:1]
	v_cndmask_b32_e64 v62, v62, 2, s[0:1]
.LBB10_56:                              ;   in Loop: Header=BB10_4 Depth=1
	s_andn2_saveexec_b64 s[8:9], s[8:9]
	s_cbranch_execz .LBB10_58
; %bb.57:                               ;   in Loop: Header=BB10_4 Depth=1
	v_sub_f32_e64 v59, 2.0, |v58|
	v_add_f32_e64 v61, |v58|, s46
	v_cmp_lt_f32_e64 s[0:1], |v58|, s45
	v_cndmask_b32_e64 v61, v59, v61, s[0:1]
	v_cndmask_b32_e64 v59, v59, 1.0, s[0:1]
	v_cvt_i32_f32_e32 v59, v59
	v_add_f32_e64 v62, |v58|, -1.0
	v_cmp_lt_f32_e64 s[0:1], |v58|, s47
	v_cndmask_b32_e64 v61, v61, v62, s[0:1]
	v_cndmask_b32_e64 v62, v59, 2, s[0:1]
	v_mov_b32_e32 v59, 0
.LBB10_58:                              ;   in Loop: Header=BB10_4 Depth=1
	s_or_b64 exec, exec, s[8:9]
	v_cmp_lt_i32_e64 s[0:1], 0, v62
	s_and_saveexec_b64 s[8:9], s[0:1]
	s_xor_b64 s[8:9], exec, s[8:9]
	s_cbranch_execz .LBB10_66
; %bb.59:                               ;   in Loop: Header=BB10_4 Depth=1
	v_cmp_lt_i32_e64 s[0:1], 1, v62
	s_and_saveexec_b64 s[10:11], s[0:1]
	s_xor_b64 s[10:11], exec, s[10:11]
	s_cbranch_execz .LBB10_63
; %bb.60:                               ;   in Loop: Header=BB10_4 Depth=1
	v_cmp_eq_u32_e64 s[0:1], 2, v62
	s_and_saveexec_b64 s[26:27], s[0:1]
	s_cbranch_execz .LBB10_62
; %bb.61:                               ;   in Loop: Header=BB10_4 Depth=1
	v_mov_b32_e32 v63, 0x3dd572af
	v_fmac_f32_e32 v63, 0x3b52d5db, v61
	v_fma_f32 v63, v61, v63, v25
	v_mov_b32_e32 v62, 0x3e6a7578
	v_fma_f32 v63, v61, v63, v26
	v_fmac_f32_e32 v62, 0x3c5b3c5e, v61
	v_fma_f32 v63, v61, v63, v27
	v_fma_f32 v62, v61, v62, v22
	v_fma_f32 v63, v61, v63, 1.0
	v_fma_f32 v62, v61, v62, v23
	v_rcp_f32_e32 v63, v63
	v_fma_f32 v62, v61, v62, v24
	v_fma_f32 v62, v61, v62, v17
	v_mul_f32_e32 v62, v61, v62
	v_mul_f32_e32 v62, v62, v63
	v_fmac_f32_e32 v62, -0.5, v61
	v_add_f32_e32 v59, v59, v62
.LBB10_62:                              ;   in Loop: Header=BB10_4 Depth=1
	s_or_b64 exec, exec, s[26:27]
                                        ; implicit-def: $vgpr61
.LBB10_63:                              ;   in Loop: Header=BB10_4 Depth=1
	s_andn2_saveexec_b64 s[0:1], s[10:11]
	s_cbranch_execz .LBB10_65
; %bb.64:                               ;   in Loop: Header=BB10_4 Depth=1
	v_mul_f32_e32 v62, v61, v61
	v_mul_f32_e32 v63, v61, v62
	v_mov_b32_e32 v65, 0x3a66f867
	v_mov_b32_e32 v66, 0xba0d3085
	v_fmac_f32_e32 v65, 0xb9a3f927, v63
	v_fmac_f32_e32 v66, 0x39afe9f7, v63
	v_mov_b32_e32 v64, 0xbab7f476
	v_fma_f32 v65, v63, v65, v31
	v_fma_f32 v66, v63, v66, v34
	v_fmac_f32_e32 v64, 0x39a57b6b, v63
	v_fma_f32 v65, v63, v65, v32
	v_fma_f32 v66, v63, v66, v35
	;; [unrolled: 1-line block ×6, first 2 shown]
	v_fmac_f32_e32 v65, v61, v66
	v_fma_f32 v64, v63, v64, v30
	v_fma_f32 v61, v63, -v65, s48
	v_fma_f32 v61, v62, v64, -v61
	v_add_f32_e32 v61, 0xbdf8cdce, v61
	v_add_f32_e32 v59, v59, v61
.LBB10_65:                              ;   in Loop: Header=BB10_4 Depth=1
	s_or_b64 exec, exec, s[0:1]
                                        ; implicit-def: $vgpr62
                                        ; implicit-def: $vgpr61
.LBB10_66:                              ;   in Loop: Header=BB10_4 Depth=1
	s_andn2_saveexec_b64 s[8:9], s[8:9]
	s_cbranch_execz .LBB10_70
; %bb.67:                               ;   in Loop: Header=BB10_4 Depth=1
	v_cmp_eq_u32_e64 s[0:1], 0, v62
	s_and_saveexec_b64 s[10:11], s[0:1]
	s_cbranch_execz .LBB10_69
; %bb.68:                               ;   in Loop: Header=BB10_4 Depth=1
	v_mul_f32_e32 v62, v61, v61
	v_mov_b32_e32 v64, 0x38e28445
	v_mov_b32_e32 v63, 0x39679767
	v_fmac_f32_e32 v64, 0x383c2c75, v62
	v_fmac_f32_e32 v63, 0x37d383a2, v62
	v_fma_f32 v64, v62, v64, v41
	v_fma_f32 v63, v62, v63, v37
	v_fma_f32 v64, v62, v64, v42
	v_fma_f32 v63, v62, v63, v38
	v_fma_f32 v64, v62, v64, v43
	v_fma_f32 v63, v62, v63, v39
	v_fma_f32 v64, v62, v64, v44
	v_fma_f32 v63, v62, v63, v40
	v_mul_f32_e32 v62, v62, v64
	v_fmac_f32_e32 v62, v61, v63
	v_fmac_f32_e32 v62, -0.5, v61
	v_add_f32_e32 v59, v59, v62
.LBB10_69:                              ;   in Loop: Header=BB10_4 Depth=1
	s_or_b64 exec, exec, s[10:11]
.LBB10_70:                              ;   in Loop: Header=BB10_4 Depth=1
	s_or_b64 exec, exec, s[8:9]
.LBB10_71:                              ;   in Loop: Header=BB10_4 Depth=1
	s_or_b64 exec, exec, s[2:3]
.LBB10_72:                              ;   in Loop: Header=BB10_4 Depth=1
	s_andn2_saveexec_b64 s[6:7], s[6:7]
	s_cbranch_execz .LBB10_74
; %bb.73:                               ;   in Loop: Header=BB10_4 Depth=1
	v_cmp_lt_f32_e64 s[0:1], |v58|, s38
	v_cndmask_b32_e64 v59, 0, 32, s[0:1]
	v_ldexp_f32 v59, |v58|, v59
	v_log_f32_e32 v59, v59
	v_fma_f32 v61, |v58|, s49, v52
	v_fma_f32 v61, |v58|, v61, s50
	;; [unrolled: 1-line block ×3, first 2 shown]
	v_mul_f32_e32 v62, 0x3f317217, v59
	v_fma_f32 v63, v59, s39, -v62
	v_fmac_f32_e32 v63, 0x3377d1cf, v59
	v_add_f32_e32 v62, v62, v63
	v_cmp_lt_f32_e64 s[2:3], |v59|, s40
	v_cndmask_b32_e64 v59, v59, v62, s[2:3]
	v_cndmask_b32_e64 v62, 0, v51, s[0:1]
	v_sub_f32_e32 v59, v59, v62
	v_fma_f32 v59, |v58|, v61, -v59
.LBB10_74:                              ;   in Loop: Header=BB10_4 Depth=1
	s_or_b64 exec, exec, s[6:7]
	v_cmp_le_f16_e64 s[0:1], 0, v57
	v_cmp_nle_f16_e64 s[2:3], 0, v57
	s_and_saveexec_b64 s[6:7], s[2:3]
	s_xor_b64 s[8:9], exec, s[6:7]
	s_cbranch_execz .LBB10_78
; %bb.75:                               ;   in Loop: Header=BB10_4 Depth=1
	v_cmp_lt_f32_e64 s[2:3], |v58|, s52
	v_cmp_gt_f32_e64 s[6:7], |v58|, s53
	s_and_b64 s[2:3], s[2:3], s[6:7]
	s_and_saveexec_b64 s[10:11], s[2:3]
	s_cbranch_execz .LBB10_77
; %bb.76:                               ;   in Loop: Header=BB10_4 Depth=1
	v_mul_f32_e64 v61, |v58|, 0.5
	v_floor_f32_e32 v62, v61
	v_sub_f32_e32 v62, v61, v62
	v_min_f32_e32 v62, 0x3f7fffff, v62
	v_add_f32_e32 v62, v62, v62
	v_cmp_neq_f32_e64 s[2:3], s40, v61
	v_cndmask_b32_e64 v61, 0, v62, s[2:3]
	v_cmp_gt_f32_e64 s[2:3], |v58|, 1.0
	v_cndmask_b32_e64 v61, |v58|, v61, s[2:3]
	v_add_f32_e32 v62, v61, v61
	v_rndne_f32_e32 v62, v62
	v_fmac_f32_e32 v61, -0.5, v62
	v_mul_f32_e32 v63, v61, v61
	v_mov_b32_e32 v64, 0xbf1f24be
	v_fmac_f32_e32 v64, 0x3e75aa41, v63
	v_fma_f32 v64, v63, v64, v45
	v_fma_f32 v64, v63, v64, v46
	v_mul_f32_e32 v65, v61, v63
	v_mul_f32_e32 v64, v65, v64
	v_fmac_f32_e32 v64, 0x40490fdb, v61
	v_mov_b32_e32 v61, 0x3e642e9d
	v_cvt_i32_f32_e32 v62, v62
	v_fmac_f32_e32 v61, 0x3d4be544, v63
	v_fma_f32 v61, v63, v61, v47
	v_fma_f32 v61, v63, v61, v48
	;; [unrolled: 1-line block ×3, first 2 shown]
	v_fma_f32 v61, v63, v61, 1.0
	v_and_b32_e32 v63, 1, v62
	v_lshlrev_b32_e32 v62, 30, v62
	v_cmp_eq_u32_e64 s[2:3], 0, v63
	v_and_b32_e32 v62, 0x80000000, v62
	v_xor_b32_e32 v60, v60, v58
	v_cndmask_b32_e64 v61, v61, v64, s[2:3]
	v_xor_b32_e32 v60, v60, v62
	v_xor_b32_e32 v60, v60, v61
	v_mul_f32_e32 v60, v58, v60
	v_frexp_mant_f32_e64 v61, |v60|
	v_rcp_f32_e32 v61, v61
	v_frexp_exp_i32_f32_e32 v60, v60
	v_sub_u32_e32 v60, 2, v60
	v_mul_f32_e32 v61, 0x3f490fdb, v61
	v_ldexp_f32 v60, v61, v60
	v_cmp_gt_f32_e64 s[2:3], s38, v60
	v_cndmask_b32_e64 v61, 0, 32, s[2:3]
	v_ldexp_f32 v60, v60, v61
	v_log_f32_e32 v60, v60
	v_mul_f32_e32 v61, 0x3f317217, v60
	v_fma_f32 v62, v60, s39, -v61
	v_fmac_f32_e32 v62, 0x3377d1cf, v60
	v_add_f32_e32 v61, v61, v62
	v_cmp_lt_f32_e64 s[6:7], |v60|, s40
	v_cndmask_b32_e64 v60, v60, v61, s[6:7]
	v_cndmask_b32_e64 v61, 0, v51, s[2:3]
	v_sub_f32_e32 v60, v60, v61
	v_sub_f32_e32 v59, v60, v59
	v_floor_f32_e32 v60, v58
	v_sub_f32_e32 v60, v58, v60
	v_min_f32_e32 v60, 0x3f7fffff, v60
	v_cmp_neq_f32_e64 s[2:3], 0, v60
	v_cndmask_b32_e64 v59, v53, v59, s[2:3]
.LBB10_77:                              ;   in Loop: Header=BB10_4 Depth=1
	s_or_b64 exec, exec, s[10:11]
.LBB10_78:                              ;   in Loop: Header=BB10_4 Depth=1
	s_andn2_saveexec_b64 s[8:9], s[8:9]
; %bb.79:                               ;   in Loop: Header=BB10_4 Depth=1
	v_cmp_eq_f16_e64 s[2:3], 1.0, v57
	v_cmp_eq_f16_e64 s[6:7], 2.0, v57
	s_or_b64 s[2:3], s[2:3], s[6:7]
	v_cndmask_b32_e64 v59, v59, 0, s[2:3]
; %bb.80:                               ;   in Loop: Header=BB10_4 Depth=1
	s_or_b64 exec, exec, s[8:9]
	v_cvt_f32_f16_e32 v60, v4
                                        ; implicit-def: $vgpr61
	v_and_b32_e32 v62, 0x7fffffff, v60
	v_cmp_nlt_f32_e64 s[2:3], |v60|, s35
	s_and_saveexec_b64 s[6:7], s[2:3]
	s_xor_b64 s[8:9], exec, s[6:7]
	s_cbranch_execz .LBB10_110
; %bb.81:                               ;   in Loop: Header=BB10_4 Depth=1
	v_cmp_nlt_f32_e64 s[2:3], |v60|, 2.0
                                        ; implicit-def: $vgpr61
	s_and_saveexec_b64 s[6:7], s[2:3]
	s_xor_b64 s[10:11], exec, s[6:7]
	s_cbranch_execz .LBB10_91
; %bb.82:                               ;   in Loop: Header=BB10_4 Depth=1
	v_cmp_nlt_f32_e64 s[2:3], |v60|, s36
                                        ; implicit-def: $vgpr61
	s_and_saveexec_b64 s[6:7], s[2:3]
	s_xor_b64 s[26:27], exec, s[6:7]
	s_cbranch_execz .LBB10_88
; %bb.83:                               ;   in Loop: Header=BB10_4 Depth=1
	v_cmp_nlt_f32_e64 s[2:3], |v60|, s37
                                        ; implicit-def: $vgpr61
	s_and_saveexec_b64 s[6:7], s[2:3]
	s_xor_b64 s[28:29], exec, s[6:7]
	s_cbranch_execz .LBB10_85
; %bb.84:                               ;   in Loop: Header=BB10_4 Depth=1
	v_cmp_lt_f32_e64 s[2:3], |v60|, s38
	v_cndmask_b32_e64 v61, 0, 32, s[2:3]
	v_ldexp_f32 v61, |v60|, v61
	v_log_f32_e32 v61, v61
	v_mul_f32_e32 v63, 0x3f317217, v61
	v_fma_f32 v64, v61, s39, -v63
	v_fmac_f32_e32 v64, 0x3377d1cf, v61
	v_add_f32_e32 v63, v63, v64
	v_cmp_lt_f32_e64 s[6:7], |v61|, s40
	v_cndmask_b32_e64 v61, v61, v63, s[6:7]
	v_cndmask_b32_e64 v63, 0, v51, s[2:3]
	v_sub_f32_e32 v61, v61, v63
	v_fma_f32 v61, |v60|, v61, -|v60|
.LBB10_85:                              ;   in Loop: Header=BB10_4 Depth=1
	s_andn2_saveexec_b64 s[28:29], s[28:29]
	s_cbranch_execz .LBB10_87
; %bb.86:                               ;   in Loop: Header=BB10_4 Depth=1
	v_rcp_f32_e64 v61, |v60|
	v_cmp_lt_f32_e64 s[2:3], |v60|, s38
	v_cndmask_b32_e64 v64, 0, 32, s[2:3]
	v_mov_b32_e32 v63, 0x3a5b3dd2
	v_mul_f32_e32 v65, v61, v61
	v_ldexp_f32 v64, |v60|, v64
	v_fmac_f32_e32 v63, 0xbad5c4e8, v65
	v_log_f32_e32 v64, v64
	v_fma_f32 v63, v65, v63, v8
	v_fma_f32 v63, v65, v63, v9
	;; [unrolled: 1-line block ×4, first 2 shown]
	v_mul_f32_e32 v65, 0x3f317217, v64
	v_fma_f32 v66, v64, s39, -v65
	v_fmac_f32_e32 v66, 0x3377d1cf, v64
	v_add_f32_e32 v65, v65, v66
	v_cmp_lt_f32_e64 s[6:7], |v64|, s40
	v_cndmask_b32_e64 v64, v64, v65, s[6:7]
	v_cndmask_b32_e64 v65, 0, v51, s[2:3]
	v_sub_f32_e32 v64, v64, v65
	v_fma_f32 v61, v61, v63, v12
	v_add_f32_e64 v63, |v60|, -0.5
	v_add_f32_e32 v64, -1.0, v64
	v_fmac_f32_e32 v61, v63, v64
.LBB10_87:                              ;   in Loop: Header=BB10_4 Depth=1
	s_or_b64 exec, exec, s[28:29]
.LBB10_88:                              ;   in Loop: Header=BB10_4 Depth=1
	s_andn2_saveexec_b64 s[26:27], s[26:27]
	s_cbranch_execz .LBB10_90
; %bb.89:                               ;   in Loop: Header=BB10_4 Depth=1
	v_cvt_i32_f32_e32 v61, v62
	v_mov_b32_e32 v65, 0x3a4beed6
	v_mov_b32_e32 v64, 0x3af135b4
	v_cvt_f32_i32_e32 v63, v61
	v_cmp_lt_i32_e64 s[2:3], 2, v61
	v_sub_f32_e64 v63, |v60|, v63
	v_add_f32_e32 v66, 2.0, v63
	v_add_f32_e32 v67, 0x40400000, v63
	v_cndmask_b32_e64 v66, 1.0, v66, s[2:3]
	v_cmp_lt_i32_e64 s[2:3], 3, v61
	v_add_f32_e32 v68, 4.0, v63
	v_cndmask_b32_e64 v67, 1.0, v67, s[2:3]
	v_cmp_lt_i32_e64 s[2:3], 4, v61
	v_fmac_f32_e32 v65, 0x36f5d7bd, v63
	v_add_f32_e32 v69, 0x40a00000, v63
	v_mul_f32_e32 v66, v66, v67
	v_cndmask_b32_e64 v67, 1.0, v68, s[2:3]
	v_cmp_lt_i32_e64 s[2:3], 5, v61
	v_fma_f32 v65, v63, v65, v18
	v_add_f32_e32 v70, 0x40c00000, v63
	v_mul_f32_e32 v66, v67, v66
	v_cndmask_b32_e64 v67, 1.0, v69, s[2:3]
	v_cmp_lt_i32_e64 s[2:3], 6, v61
	v_fma_f32 v65, v63, v65, v19
	v_mul_f32_e32 v66, v67, v66
	v_cndmask_b32_e64 v61, 1.0, v70, s[2:3]
	v_fmac_f32_e32 v64, 0x3805ff67, v63
	v_fma_f32 v65, v63, v65, v20
	v_mul_f32_e32 v61, v61, v66
	v_fma_f32 v64, v63, v64, v13
	v_fma_f32 v65, v63, v65, v21
	v_cmp_gt_f32_e64 s[2:3], s38, v61
	v_fma_f32 v64, v63, v64, v14
	v_fma_f32 v65, v63, v65, 1.0
	v_cndmask_b32_e64 v66, 0, 32, s[2:3]
	v_fma_f32 v64, v63, v64, v15
	v_rcp_f32_e32 v65, v65
	v_ldexp_f32 v61, v61, v66
	v_fma_f32 v64, v63, v64, v16
	v_log_f32_e32 v61, v61
	v_fma_f32 v64, v63, v64, v17
	v_mul_f32_e32 v64, v63, v64
	v_mul_f32_e32 v64, v64, v65
	v_fmac_f32_e32 v64, 0.5, v63
	v_mul_f32_e32 v63, 0x3f317217, v61
	v_fma_f32 v65, v61, s39, -v63
	v_fmac_f32_e32 v65, 0x3377d1cf, v61
	v_add_f32_e32 v63, v63, v65
	v_cmp_lt_f32_e64 s[6:7], |v61|, s40
	v_cndmask_b32_e64 v61, v61, v63, s[6:7]
	v_cndmask_b32_e64 v63, 0, v51, s[2:3]
	v_sub_f32_e32 v61, v61, v63
	v_add_f32_e32 v61, v61, v64
.LBB10_90:                              ;   in Loop: Header=BB10_4 Depth=1
	s_or_b64 exec, exec, s[26:27]
.LBB10_91:                              ;   in Loop: Header=BB10_4 Depth=1
	s_andn2_saveexec_b64 s[6:7], s[10:11]
	s_cbranch_execz .LBB10_109
; %bb.92:                               ;   in Loop: Header=BB10_4 Depth=1
	v_cmp_le_f32_e64 s[2:3], |v60|, s41
                                        ; implicit-def: $vgpr61
                                        ; implicit-def: $vgpr64
                                        ; implicit-def: $vgpr63
	s_and_saveexec_b64 s[10:11], s[2:3]
	s_xor_b64 s[10:11], exec, s[10:11]
	s_cbranch_execz .LBB10_94
; %bb.93:                               ;   in Loop: Header=BB10_4 Depth=1
	v_cmp_lt_f32_e64 s[2:3], |v60|, s38
	v_cndmask_b32_e64 v61, 0, 32, s[2:3]
	v_ldexp_f32 v61, |v60|, v61
	v_log_f32_e32 v61, v61
	v_cndmask_b32_e64 v63, 0, v51, s[2:3]
	v_mul_f32_e32 v64, 0x3f317217, v61
	v_fma_f32 v65, v61, s39, -v64
	v_fmac_f32_e32 v65, 0x3377d1cf, v61
	v_add_f32_e32 v64, v64, v65
	v_cmp_lt_f32_e64 s[2:3], |v61|, s40
	v_cndmask_b32_e64 v61, v61, v64, s[2:3]
	v_sub_f32_e32 v61, v61, v63
	v_sub_f32_e64 v63, 1.0, |v60|
	v_add_f32_e64 v64, |v60|, s43
	v_cmp_lt_f32_e64 s[2:3], |v60|, s42
	v_cndmask_b32_e64 v63, v63, v64, s[2:3]
	v_cndmask_b32_e64 v64, 0, 1, s[2:3]
	v_cmp_lt_f32_e64 s[2:3], |v60|, s44
	v_xor_b32_e32 v61, 0x80000000, v61
	v_cndmask_b32_e64 v63, v63, |v60|, s[2:3]
	v_cndmask_b32_e64 v64, v64, 2, s[2:3]
.LBB10_94:                              ;   in Loop: Header=BB10_4 Depth=1
	s_andn2_saveexec_b64 s[10:11], s[10:11]
	s_cbranch_execz .LBB10_96
; %bb.95:                               ;   in Loop: Header=BB10_4 Depth=1
	v_sub_f32_e64 v61, 2.0, |v60|
	v_add_f32_e64 v63, |v60|, s46
	v_cmp_lt_f32_e64 s[2:3], |v60|, s45
	v_cndmask_b32_e64 v63, v61, v63, s[2:3]
	v_cndmask_b32_e64 v61, v61, 1.0, s[2:3]
	v_cvt_i32_f32_e32 v61, v61
	v_add_f32_e64 v64, |v60|, -1.0
	v_cmp_lt_f32_e64 s[2:3], |v60|, s47
	v_cndmask_b32_e64 v63, v63, v64, s[2:3]
	v_cndmask_b32_e64 v64, v61, 2, s[2:3]
	v_mov_b32_e32 v61, 0
.LBB10_96:                              ;   in Loop: Header=BB10_4 Depth=1
	s_or_b64 exec, exec, s[10:11]
	v_cmp_lt_i32_e64 s[2:3], 0, v64
	s_and_saveexec_b64 s[10:11], s[2:3]
	s_xor_b64 s[10:11], exec, s[10:11]
	s_cbranch_execz .LBB10_104
; %bb.97:                               ;   in Loop: Header=BB10_4 Depth=1
	v_cmp_lt_i32_e64 s[2:3], 1, v64
	s_and_saveexec_b64 s[26:27], s[2:3]
	s_xor_b64 s[26:27], exec, s[26:27]
	s_cbranch_execz .LBB10_101
; %bb.98:                               ;   in Loop: Header=BB10_4 Depth=1
	v_cmp_eq_u32_e64 s[2:3], 2, v64
	s_and_saveexec_b64 s[28:29], s[2:3]
	s_cbranch_execz .LBB10_100
; %bb.99:                               ;   in Loop: Header=BB10_4 Depth=1
	v_mov_b32_e32 v65, 0x3dd572af
	v_fmac_f32_e32 v65, 0x3b52d5db, v63
	v_fma_f32 v65, v63, v65, v25
	v_mov_b32_e32 v64, 0x3e6a7578
	v_fma_f32 v65, v63, v65, v26
	v_fmac_f32_e32 v64, 0x3c5b3c5e, v63
	v_fma_f32 v65, v63, v65, v27
	v_fma_f32 v64, v63, v64, v22
	v_fma_f32 v65, v63, v65, 1.0
	v_fma_f32 v64, v63, v64, v23
	v_rcp_f32_e32 v65, v65
	v_fma_f32 v64, v63, v64, v24
	v_fma_f32 v64, v63, v64, v17
	v_mul_f32_e32 v64, v63, v64
	v_mul_f32_e32 v64, v64, v65
	v_fmac_f32_e32 v64, -0.5, v63
	v_add_f32_e32 v61, v61, v64
.LBB10_100:                             ;   in Loop: Header=BB10_4 Depth=1
	s_or_b64 exec, exec, s[28:29]
                                        ; implicit-def: $vgpr63
.LBB10_101:                             ;   in Loop: Header=BB10_4 Depth=1
	s_andn2_saveexec_b64 s[2:3], s[26:27]
	s_cbranch_execz .LBB10_103
; %bb.102:                              ;   in Loop: Header=BB10_4 Depth=1
	v_mul_f32_e32 v64, v63, v63
	v_mul_f32_e32 v65, v63, v64
	v_mov_b32_e32 v67, 0x3a66f867
	v_mov_b32_e32 v68, 0xba0d3085
	v_fmac_f32_e32 v67, 0xb9a3f927, v65
	v_fmac_f32_e32 v68, 0x39afe9f7, v65
	v_mov_b32_e32 v66, 0xbab7f476
	v_fma_f32 v67, v65, v67, v31
	v_fma_f32 v68, v65, v68, v34
	v_fmac_f32_e32 v66, 0x39a57b6b, v65
	v_fma_f32 v67, v65, v67, v32
	v_fma_f32 v68, v65, v68, v35
	;; [unrolled: 1-line block ×6, first 2 shown]
	v_fmac_f32_e32 v67, v63, v68
	v_fma_f32 v66, v65, v66, v30
	v_fma_f32 v63, v65, -v67, s48
	v_fma_f32 v63, v64, v66, -v63
	v_add_f32_e32 v63, 0xbdf8cdce, v63
	v_add_f32_e32 v61, v61, v63
.LBB10_103:                             ;   in Loop: Header=BB10_4 Depth=1
	s_or_b64 exec, exec, s[2:3]
                                        ; implicit-def: $vgpr64
                                        ; implicit-def: $vgpr63
.LBB10_104:                             ;   in Loop: Header=BB10_4 Depth=1
	s_andn2_saveexec_b64 s[10:11], s[10:11]
	s_cbranch_execz .LBB10_108
; %bb.105:                              ;   in Loop: Header=BB10_4 Depth=1
	v_cmp_eq_u32_e64 s[2:3], 0, v64
	s_and_saveexec_b64 s[26:27], s[2:3]
	s_cbranch_execz .LBB10_107
; %bb.106:                              ;   in Loop: Header=BB10_4 Depth=1
	v_mul_f32_e32 v64, v63, v63
	v_mov_b32_e32 v66, 0x38e28445
	v_mov_b32_e32 v65, 0x39679767
	v_fmac_f32_e32 v66, 0x383c2c75, v64
	v_fmac_f32_e32 v65, 0x37d383a2, v64
	v_fma_f32 v66, v64, v66, v41
	v_fma_f32 v65, v64, v65, v37
	;; [unrolled: 1-line block ×8, first 2 shown]
	v_mul_f32_e32 v64, v64, v66
	v_fmac_f32_e32 v64, v63, v65
	v_fmac_f32_e32 v64, -0.5, v63
	v_add_f32_e32 v61, v61, v64
.LBB10_107:                             ;   in Loop: Header=BB10_4 Depth=1
	s_or_b64 exec, exec, s[26:27]
.LBB10_108:                             ;   in Loop: Header=BB10_4 Depth=1
	s_or_b64 exec, exec, s[10:11]
.LBB10_109:                             ;   in Loop: Header=BB10_4 Depth=1
	s_or_b64 exec, exec, s[6:7]
.LBB10_110:                             ;   in Loop: Header=BB10_4 Depth=1
	s_andn2_saveexec_b64 s[8:9], s[8:9]
	s_cbranch_execz .LBB10_112
; %bb.111:                              ;   in Loop: Header=BB10_4 Depth=1
	v_cmp_lt_f32_e64 s[2:3], |v60|, s38
	v_cndmask_b32_e64 v61, 0, 32, s[2:3]
	v_ldexp_f32 v61, |v60|, v61
	v_log_f32_e32 v61, v61
	v_fma_f32 v63, |v60|, s49, v52
	v_fma_f32 v63, |v60|, v63, s50
	;; [unrolled: 1-line block ×3, first 2 shown]
	v_mul_f32_e32 v64, 0x3f317217, v61
	v_fma_f32 v65, v61, s39, -v64
	v_fmac_f32_e32 v65, 0x3377d1cf, v61
	v_add_f32_e32 v64, v64, v65
	v_cmp_lt_f32_e64 s[6:7], |v61|, s40
	v_cndmask_b32_e64 v61, v61, v64, s[6:7]
	v_cndmask_b32_e64 v64, 0, v51, s[2:3]
	v_sub_f32_e32 v61, v61, v64
	v_fma_f32 v61, |v60|, v63, -v61
.LBB10_112:                             ;   in Loop: Header=BB10_4 Depth=1
	s_or_b64 exec, exec, s[8:9]
	v_cmp_le_f16_e64 s[2:3], 0, v4
	v_cmp_nle_f16_e64 s[6:7], 0, v4
	s_and_saveexec_b64 s[8:9], s[6:7]
	s_xor_b64 s[10:11], exec, s[8:9]
	s_cbranch_execz .LBB10_116
; %bb.113:                              ;   in Loop: Header=BB10_4 Depth=1
	v_cmp_lt_f32_e64 s[6:7], |v60|, s52
	v_cmp_gt_f32_e64 s[8:9], |v60|, s53
	s_and_b64 s[6:7], s[6:7], s[8:9]
	s_and_saveexec_b64 s[26:27], s[6:7]
	s_cbranch_execz .LBB10_115
; %bb.114:                              ;   in Loop: Header=BB10_4 Depth=1
	v_mul_f32_e64 v63, |v60|, 0.5
	v_floor_f32_e32 v64, v63
	v_sub_f32_e32 v64, v63, v64
	v_min_f32_e32 v64, 0x3f7fffff, v64
	v_add_f32_e32 v64, v64, v64
	v_cmp_neq_f32_e64 s[6:7], s40, v63
	v_cndmask_b32_e64 v63, 0, v64, s[6:7]
	v_cmp_gt_f32_e64 s[6:7], |v60|, 1.0
	v_cndmask_b32_e64 v63, |v60|, v63, s[6:7]
	v_add_f32_e32 v64, v63, v63
	v_rndne_f32_e32 v64, v64
	v_fmac_f32_e32 v63, -0.5, v64
	v_mul_f32_e32 v65, v63, v63
	v_mov_b32_e32 v66, 0xbf1f24be
	v_fmac_f32_e32 v66, 0x3e75aa41, v65
	v_fma_f32 v66, v65, v66, v45
	v_fma_f32 v66, v65, v66, v46
	v_mul_f32_e32 v67, v63, v65
	v_mul_f32_e32 v66, v67, v66
	v_fmac_f32_e32 v66, 0x40490fdb, v63
	v_mov_b32_e32 v63, 0x3e642e9d
	v_cvt_i32_f32_e32 v64, v64
	v_fmac_f32_e32 v63, 0x3d4be544, v65
	v_fma_f32 v63, v65, v63, v47
	v_fma_f32 v63, v65, v63, v48
	;; [unrolled: 1-line block ×3, first 2 shown]
	v_fma_f32 v63, v65, v63, 1.0
	v_and_b32_e32 v65, 1, v64
	v_lshlrev_b32_e32 v64, 30, v64
	v_cmp_eq_u32_e64 s[6:7], 0, v65
	v_and_b32_e32 v64, 0x80000000, v64
	v_xor_b32_e32 v62, v62, v60
	v_cndmask_b32_e64 v63, v63, v66, s[6:7]
	v_xor_b32_e32 v62, v62, v64
	v_xor_b32_e32 v62, v62, v63
	v_mul_f32_e32 v62, v60, v62
	v_frexp_mant_f32_e64 v63, |v62|
	v_rcp_f32_e32 v63, v63
	v_frexp_exp_i32_f32_e32 v62, v62
	v_sub_u32_e32 v62, 2, v62
	v_mul_f32_e32 v63, 0x3f490fdb, v63
	v_ldexp_f32 v62, v63, v62
	v_cmp_gt_f32_e64 s[6:7], s38, v62
	v_cndmask_b32_e64 v63, 0, 32, s[6:7]
	v_ldexp_f32 v62, v62, v63
	v_log_f32_e32 v62, v62
	v_mul_f32_e32 v63, 0x3f317217, v62
	v_fma_f32 v64, v62, s39, -v63
	v_fmac_f32_e32 v64, 0x3377d1cf, v62
	v_add_f32_e32 v63, v63, v64
	v_cmp_lt_f32_e64 s[8:9], |v62|, s40
	v_cndmask_b32_e64 v62, v62, v63, s[8:9]
	v_cndmask_b32_e64 v63, 0, v51, s[6:7]
	v_sub_f32_e32 v62, v62, v63
	v_sub_f32_e32 v61, v62, v61
	v_floor_f32_e32 v62, v60
	v_sub_f32_e32 v62, v60, v62
	v_min_f32_e32 v62, 0x3f7fffff, v62
	v_cmp_neq_f32_e64 s[6:7], 0, v62
	v_cndmask_b32_e64 v61, v53, v61, s[6:7]
.LBB10_115:                             ;   in Loop: Header=BB10_4 Depth=1
	s_or_b64 exec, exec, s[26:27]
.LBB10_116:                             ;   in Loop: Header=BB10_4 Depth=1
	s_andn2_saveexec_b64 s[10:11], s[10:11]
; %bb.117:                              ;   in Loop: Header=BB10_4 Depth=1
	v_cmp_eq_f16_e64 s[6:7], 1.0, v4
	v_cmp_eq_f16_e64 s[8:9], 2.0, v4
	s_or_b64 s[6:7], s[6:7], s[8:9]
	v_cndmask_b32_e64 v61, v61, 0, s[6:7]
; %bb.118:                              ;   in Loop: Header=BB10_4 Depth=1
	s_or_b64 exec, exec, s[10:11]
	v_lshrrev_b32_e32 v62, 16, v4
	v_cvt_f32_f16_e32 v63, v62
                                        ; implicit-def: $vgpr65
	v_and_b32_e32 v64, 0x7fffffff, v63
	v_cmp_nlt_f32_e64 s[6:7], |v63|, s35
	s_and_saveexec_b64 s[8:9], s[6:7]
	s_xor_b64 s[10:11], exec, s[8:9]
	s_cbranch_execz .LBB10_148
; %bb.119:                              ;   in Loop: Header=BB10_4 Depth=1
	v_cmp_nlt_f32_e64 s[6:7], |v63|, 2.0
                                        ; implicit-def: $vgpr65
	s_and_saveexec_b64 s[8:9], s[6:7]
	s_xor_b64 s[26:27], exec, s[8:9]
	s_cbranch_execz .LBB10_129
; %bb.120:                              ;   in Loop: Header=BB10_4 Depth=1
	v_cmp_nlt_f32_e64 s[6:7], |v63|, s36
                                        ; implicit-def: $vgpr65
	s_and_saveexec_b64 s[8:9], s[6:7]
	s_xor_b64 s[28:29], exec, s[8:9]
	s_cbranch_execz .LBB10_126
; %bb.121:                              ;   in Loop: Header=BB10_4 Depth=1
	v_cmp_nlt_f32_e64 s[6:7], |v63|, s37
                                        ; implicit-def: $vgpr65
	s_and_saveexec_b64 s[8:9], s[6:7]
	s_xor_b64 s[30:31], exec, s[8:9]
	s_cbranch_execz .LBB10_123
; %bb.122:                              ;   in Loop: Header=BB10_4 Depth=1
	v_cmp_lt_f32_e64 s[6:7], |v63|, s38
	v_cndmask_b32_e64 v65, 0, 32, s[6:7]
	v_ldexp_f32 v65, |v63|, v65
	v_log_f32_e32 v65, v65
	v_mul_f32_e32 v66, 0x3f317217, v65
	v_fma_f32 v67, v65, s39, -v66
	v_fmac_f32_e32 v67, 0x3377d1cf, v65
	v_add_f32_e32 v66, v66, v67
	v_cmp_lt_f32_e64 s[8:9], |v65|, s40
	v_cndmask_b32_e64 v65, v65, v66, s[8:9]
	v_cndmask_b32_e64 v66, 0, v51, s[6:7]
	v_sub_f32_e32 v65, v65, v66
	v_fma_f32 v65, |v63|, v65, -|v63|
.LBB10_123:                             ;   in Loop: Header=BB10_4 Depth=1
	s_andn2_saveexec_b64 s[30:31], s[30:31]
	s_cbranch_execz .LBB10_125
; %bb.124:                              ;   in Loop: Header=BB10_4 Depth=1
	v_rcp_f32_e64 v65, |v63|
	v_cmp_lt_f32_e64 s[6:7], |v63|, s38
	v_cndmask_b32_e64 v67, 0, 32, s[6:7]
	v_mov_b32_e32 v66, 0x3a5b3dd2
	v_mul_f32_e32 v68, v65, v65
	v_ldexp_f32 v67, |v63|, v67
	v_fmac_f32_e32 v66, 0xbad5c4e8, v68
	v_log_f32_e32 v67, v67
	v_fma_f32 v66, v68, v66, v8
	v_fma_f32 v66, v68, v66, v9
	;; [unrolled: 1-line block ×4, first 2 shown]
	v_mul_f32_e32 v68, 0x3f317217, v67
	v_fma_f32 v69, v67, s39, -v68
	v_fmac_f32_e32 v69, 0x3377d1cf, v67
	v_add_f32_e32 v68, v68, v69
	v_cmp_lt_f32_e64 s[8:9], |v67|, s40
	v_cndmask_b32_e64 v67, v67, v68, s[8:9]
	v_cndmask_b32_e64 v68, 0, v51, s[6:7]
	v_sub_f32_e32 v67, v67, v68
	v_fma_f32 v65, v65, v66, v12
	v_add_f32_e64 v66, |v63|, -0.5
	v_add_f32_e32 v67, -1.0, v67
	v_fmac_f32_e32 v65, v66, v67
.LBB10_125:                             ;   in Loop: Header=BB10_4 Depth=1
	s_or_b64 exec, exec, s[30:31]
.LBB10_126:                             ;   in Loop: Header=BB10_4 Depth=1
	s_andn2_saveexec_b64 s[28:29], s[28:29]
	s_cbranch_execz .LBB10_128
; %bb.127:                              ;   in Loop: Header=BB10_4 Depth=1
	v_cvt_i32_f32_e32 v65, v64
	v_mov_b32_e32 v68, 0x3a4beed6
	v_mov_b32_e32 v67, 0x3af135b4
	v_cvt_f32_i32_e32 v66, v65
	v_cmp_lt_i32_e64 s[6:7], 2, v65
	v_sub_f32_e64 v66, |v63|, v66
	v_add_f32_e32 v69, 2.0, v66
	v_add_f32_e32 v70, 0x40400000, v66
	v_cndmask_b32_e64 v69, 1.0, v69, s[6:7]
	v_cmp_lt_i32_e64 s[6:7], 3, v65
	v_add_f32_e32 v71, 4.0, v66
	v_cndmask_b32_e64 v70, 1.0, v70, s[6:7]
	v_cmp_lt_i32_e64 s[6:7], 4, v65
	v_fmac_f32_e32 v68, 0x36f5d7bd, v66
	v_add_f32_e32 v72, 0x40a00000, v66
	v_mul_f32_e32 v69, v69, v70
	v_cndmask_b32_e64 v70, 1.0, v71, s[6:7]
	v_cmp_lt_i32_e64 s[6:7], 5, v65
	v_fma_f32 v68, v66, v68, v18
	v_add_f32_e32 v73, 0x40c00000, v66
	v_mul_f32_e32 v69, v70, v69
	v_cndmask_b32_e64 v70, 1.0, v72, s[6:7]
	v_cmp_lt_i32_e64 s[6:7], 6, v65
	v_fma_f32 v68, v66, v68, v19
	v_mul_f32_e32 v69, v70, v69
	v_cndmask_b32_e64 v65, 1.0, v73, s[6:7]
	v_fmac_f32_e32 v67, 0x3805ff67, v66
	v_fma_f32 v68, v66, v68, v20
	v_mul_f32_e32 v65, v65, v69
	v_fma_f32 v67, v66, v67, v13
	v_fma_f32 v68, v66, v68, v21
	v_cmp_gt_f32_e64 s[6:7], s38, v65
	v_fma_f32 v67, v66, v67, v14
	v_fma_f32 v68, v66, v68, 1.0
	v_cndmask_b32_e64 v69, 0, 32, s[6:7]
	v_fma_f32 v67, v66, v67, v15
	v_rcp_f32_e32 v68, v68
	v_ldexp_f32 v65, v65, v69
	v_fma_f32 v67, v66, v67, v16
	v_log_f32_e32 v65, v65
	v_fma_f32 v67, v66, v67, v17
	v_mul_f32_e32 v67, v66, v67
	v_mul_f32_e32 v67, v67, v68
	v_fmac_f32_e32 v67, 0.5, v66
	v_mul_f32_e32 v66, 0x3f317217, v65
	v_fma_f32 v68, v65, s39, -v66
	v_fmac_f32_e32 v68, 0x3377d1cf, v65
	v_add_f32_e32 v66, v66, v68
	v_cmp_lt_f32_e64 s[8:9], |v65|, s40
	v_cndmask_b32_e64 v65, v65, v66, s[8:9]
	v_cndmask_b32_e64 v66, 0, v51, s[6:7]
	v_sub_f32_e32 v65, v65, v66
	v_add_f32_e32 v65, v65, v67
.LBB10_128:                             ;   in Loop: Header=BB10_4 Depth=1
	s_or_b64 exec, exec, s[28:29]
.LBB10_129:                             ;   in Loop: Header=BB10_4 Depth=1
	s_andn2_saveexec_b64 s[8:9], s[26:27]
	s_cbranch_execz .LBB10_147
; %bb.130:                              ;   in Loop: Header=BB10_4 Depth=1
	v_cmp_le_f32_e64 s[6:7], |v63|, s41
                                        ; implicit-def: $vgpr65
                                        ; implicit-def: $vgpr67
                                        ; implicit-def: $vgpr66
	s_and_saveexec_b64 s[26:27], s[6:7]
	s_xor_b64 s[26:27], exec, s[26:27]
	s_cbranch_execz .LBB10_132
; %bb.131:                              ;   in Loop: Header=BB10_4 Depth=1
	v_cmp_lt_f32_e64 s[6:7], |v63|, s38
	v_cndmask_b32_e64 v65, 0, 32, s[6:7]
	v_ldexp_f32 v65, |v63|, v65
	v_log_f32_e32 v65, v65
	v_cndmask_b32_e64 v66, 0, v51, s[6:7]
	v_mul_f32_e32 v67, 0x3f317217, v65
	v_fma_f32 v68, v65, s39, -v67
	v_fmac_f32_e32 v68, 0x3377d1cf, v65
	v_add_f32_e32 v67, v67, v68
	v_cmp_lt_f32_e64 s[6:7], |v65|, s40
	v_cndmask_b32_e64 v65, v65, v67, s[6:7]
	v_sub_f32_e32 v65, v65, v66
	v_sub_f32_e64 v66, 1.0, |v63|
	v_add_f32_e64 v67, |v63|, s43
	v_cmp_lt_f32_e64 s[6:7], |v63|, s42
	v_cndmask_b32_e64 v66, v66, v67, s[6:7]
	v_cndmask_b32_e64 v67, 0, 1, s[6:7]
	v_cmp_lt_f32_e64 s[6:7], |v63|, s44
	v_xor_b32_e32 v65, 0x80000000, v65
	v_cndmask_b32_e64 v66, v66, |v63|, s[6:7]
	v_cndmask_b32_e64 v67, v67, 2, s[6:7]
.LBB10_132:                             ;   in Loop: Header=BB10_4 Depth=1
	s_andn2_saveexec_b64 s[26:27], s[26:27]
	s_cbranch_execz .LBB10_134
; %bb.133:                              ;   in Loop: Header=BB10_4 Depth=1
	v_sub_f32_e64 v65, 2.0, |v63|
	v_add_f32_e64 v66, |v63|, s46
	v_cmp_lt_f32_e64 s[6:7], |v63|, s45
	v_cndmask_b32_e64 v66, v65, v66, s[6:7]
	v_cndmask_b32_e64 v65, v65, 1.0, s[6:7]
	v_cvt_i32_f32_e32 v65, v65
	v_add_f32_e64 v67, |v63|, -1.0
	v_cmp_lt_f32_e64 s[6:7], |v63|, s47
	v_cndmask_b32_e64 v66, v66, v67, s[6:7]
	v_cndmask_b32_e64 v67, v65, 2, s[6:7]
	v_mov_b32_e32 v65, 0
.LBB10_134:                             ;   in Loop: Header=BB10_4 Depth=1
	s_or_b64 exec, exec, s[26:27]
	v_cmp_lt_i32_e64 s[6:7], 0, v67
	s_and_saveexec_b64 s[26:27], s[6:7]
	s_xor_b64 s[26:27], exec, s[26:27]
	s_cbranch_execz .LBB10_142
; %bb.135:                              ;   in Loop: Header=BB10_4 Depth=1
	v_cmp_lt_i32_e64 s[6:7], 1, v67
	s_and_saveexec_b64 s[28:29], s[6:7]
	s_xor_b64 s[28:29], exec, s[28:29]
	s_cbranch_execz .LBB10_139
; %bb.136:                              ;   in Loop: Header=BB10_4 Depth=1
	v_cmp_eq_u32_e64 s[6:7], 2, v67
	s_and_saveexec_b64 s[30:31], s[6:7]
	s_cbranch_execz .LBB10_138
; %bb.137:                              ;   in Loop: Header=BB10_4 Depth=1
	v_mov_b32_e32 v68, 0x3dd572af
	v_fmac_f32_e32 v68, 0x3b52d5db, v66
	v_fma_f32 v68, v66, v68, v25
	v_mov_b32_e32 v67, 0x3e6a7578
	v_fma_f32 v68, v66, v68, v26
	v_fmac_f32_e32 v67, 0x3c5b3c5e, v66
	v_fma_f32 v68, v66, v68, v27
	v_fma_f32 v67, v66, v67, v22
	v_fma_f32 v68, v66, v68, 1.0
	v_fma_f32 v67, v66, v67, v23
	v_rcp_f32_e32 v68, v68
	v_fma_f32 v67, v66, v67, v24
	v_fma_f32 v67, v66, v67, v17
	v_mul_f32_e32 v67, v66, v67
	v_mul_f32_e32 v67, v67, v68
	v_fmac_f32_e32 v67, -0.5, v66
	v_add_f32_e32 v65, v65, v67
.LBB10_138:                             ;   in Loop: Header=BB10_4 Depth=1
	s_or_b64 exec, exec, s[30:31]
                                        ; implicit-def: $vgpr66
.LBB10_139:                             ;   in Loop: Header=BB10_4 Depth=1
	s_andn2_saveexec_b64 s[6:7], s[28:29]
	s_cbranch_execz .LBB10_141
; %bb.140:                              ;   in Loop: Header=BB10_4 Depth=1
	v_mul_f32_e32 v67, v66, v66
	v_mul_f32_e32 v68, v66, v67
	v_mov_b32_e32 v70, 0x3a66f867
	v_mov_b32_e32 v71, 0xba0d3085
	v_fmac_f32_e32 v70, 0xb9a3f927, v68
	v_fmac_f32_e32 v71, 0x39afe9f7, v68
	v_mov_b32_e32 v69, 0xbab7f476
	v_fma_f32 v70, v68, v70, v31
	v_fma_f32 v71, v68, v71, v34
	v_fmac_f32_e32 v69, 0x39a57b6b, v68
	v_fma_f32 v70, v68, v70, v32
	v_fma_f32 v71, v68, v71, v35
	;; [unrolled: 1-line block ×6, first 2 shown]
	v_fmac_f32_e32 v70, v66, v71
	v_fma_f32 v69, v68, v69, v30
	v_fma_f32 v66, v68, -v70, s48
	v_fma_f32 v66, v67, v69, -v66
	v_add_f32_e32 v66, 0xbdf8cdce, v66
	v_add_f32_e32 v65, v65, v66
.LBB10_141:                             ;   in Loop: Header=BB10_4 Depth=1
	s_or_b64 exec, exec, s[6:7]
                                        ; implicit-def: $vgpr67
                                        ; implicit-def: $vgpr66
.LBB10_142:                             ;   in Loop: Header=BB10_4 Depth=1
	s_andn2_saveexec_b64 s[26:27], s[26:27]
	s_cbranch_execz .LBB10_146
; %bb.143:                              ;   in Loop: Header=BB10_4 Depth=1
	v_cmp_eq_u32_e64 s[6:7], 0, v67
	s_and_saveexec_b64 s[28:29], s[6:7]
	s_cbranch_execz .LBB10_145
; %bb.144:                              ;   in Loop: Header=BB10_4 Depth=1
	v_mul_f32_e32 v67, v66, v66
	v_mov_b32_e32 v69, 0x38e28445
	v_mov_b32_e32 v68, 0x39679767
	v_fmac_f32_e32 v69, 0x383c2c75, v67
	v_fmac_f32_e32 v68, 0x37d383a2, v67
	v_fma_f32 v69, v67, v69, v41
	v_fma_f32 v68, v67, v68, v37
	v_fma_f32 v69, v67, v69, v42
	v_fma_f32 v68, v67, v68, v38
	v_fma_f32 v69, v67, v69, v43
	v_fma_f32 v68, v67, v68, v39
	v_fma_f32 v69, v67, v69, v44
	v_fma_f32 v68, v67, v68, v40
	v_mul_f32_e32 v67, v67, v69
	v_fmac_f32_e32 v67, v66, v68
	v_fmac_f32_e32 v67, -0.5, v66
	v_add_f32_e32 v65, v65, v67
.LBB10_145:                             ;   in Loop: Header=BB10_4 Depth=1
	s_or_b64 exec, exec, s[28:29]
.LBB10_146:                             ;   in Loop: Header=BB10_4 Depth=1
	s_or_b64 exec, exec, s[26:27]
.LBB10_147:                             ;   in Loop: Header=BB10_4 Depth=1
	s_or_b64 exec, exec, s[8:9]
.LBB10_148:                             ;   in Loop: Header=BB10_4 Depth=1
	s_andn2_saveexec_b64 s[10:11], s[10:11]
	s_cbranch_execz .LBB10_150
; %bb.149:                              ;   in Loop: Header=BB10_4 Depth=1
	v_cmp_lt_f32_e64 s[6:7], |v63|, s38
	v_cndmask_b32_e64 v65, 0, 32, s[6:7]
	v_ldexp_f32 v65, |v63|, v65
	v_log_f32_e32 v65, v65
	v_fma_f32 v66, |v63|, s49, v52
	v_fma_f32 v66, |v63|, v66, s50
	;; [unrolled: 1-line block ×3, first 2 shown]
	v_mul_f32_e32 v67, 0x3f317217, v65
	v_fma_f32 v68, v65, s39, -v67
	v_fmac_f32_e32 v68, 0x3377d1cf, v65
	v_add_f32_e32 v67, v67, v68
	v_cmp_lt_f32_e64 s[8:9], |v65|, s40
	v_cndmask_b32_e64 v65, v65, v67, s[8:9]
	v_cndmask_b32_e64 v67, 0, v51, s[6:7]
	v_sub_f32_e32 v65, v65, v67
	v_fma_f32 v65, |v63|, v66, -v65
.LBB10_150:                             ;   in Loop: Header=BB10_4 Depth=1
	s_or_b64 exec, exec, s[10:11]
	v_cmp_le_f16_e64 s[6:7], 0, v62
	v_cmp_nle_f16_e64 s[8:9], 0, v62
	s_and_saveexec_b64 s[10:11], s[8:9]
	s_xor_b64 s[26:27], exec, s[10:11]
	s_cbranch_execz .LBB10_154
; %bb.151:                              ;   in Loop: Header=BB10_4 Depth=1
	v_cmp_lt_f32_e64 s[8:9], |v63|, s52
	v_cmp_gt_f32_e64 s[10:11], |v63|, s53
	s_and_b64 s[8:9], s[8:9], s[10:11]
	s_and_saveexec_b64 s[28:29], s[8:9]
	s_cbranch_execz .LBB10_153
; %bb.152:                              ;   in Loop: Header=BB10_4 Depth=1
	v_mul_f32_e64 v66, |v63|, 0.5
	v_floor_f32_e32 v67, v66
	v_sub_f32_e32 v67, v66, v67
	v_min_f32_e32 v67, 0x3f7fffff, v67
	v_add_f32_e32 v67, v67, v67
	v_cmp_neq_f32_e64 s[8:9], s40, v66
	v_cndmask_b32_e64 v66, 0, v67, s[8:9]
	v_cmp_gt_f32_e64 s[8:9], |v63|, 1.0
	v_cndmask_b32_e64 v66, |v63|, v66, s[8:9]
	v_add_f32_e32 v67, v66, v66
	v_rndne_f32_e32 v67, v67
	v_fmac_f32_e32 v66, -0.5, v67
	v_mul_f32_e32 v68, v66, v66
	v_mov_b32_e32 v69, 0xbf1f24be
	v_fmac_f32_e32 v69, 0x3e75aa41, v68
	v_fma_f32 v69, v68, v69, v45
	v_fma_f32 v69, v68, v69, v46
	v_mul_f32_e32 v70, v66, v68
	v_mul_f32_e32 v69, v70, v69
	v_fmac_f32_e32 v69, 0x40490fdb, v66
	v_mov_b32_e32 v66, 0x3e642e9d
	v_cvt_i32_f32_e32 v67, v67
	v_fmac_f32_e32 v66, 0x3d4be544, v68
	v_fma_f32 v66, v68, v66, v47
	v_fma_f32 v66, v68, v66, v48
	;; [unrolled: 1-line block ×3, first 2 shown]
	v_fma_f32 v66, v68, v66, 1.0
	v_and_b32_e32 v68, 1, v67
	v_lshlrev_b32_e32 v67, 30, v67
	v_cmp_eq_u32_e64 s[8:9], 0, v68
	v_and_b32_e32 v67, 0x80000000, v67
	v_xor_b32_e32 v64, v64, v63
	v_cndmask_b32_e64 v66, v66, v69, s[8:9]
	v_xor_b32_e32 v64, v64, v67
	v_xor_b32_e32 v64, v64, v66
	v_mul_f32_e32 v64, v63, v64
	v_frexp_mant_f32_e64 v66, |v64|
	v_rcp_f32_e32 v66, v66
	v_frexp_exp_i32_f32_e32 v64, v64
	v_sub_u32_e32 v64, 2, v64
	v_mul_f32_e32 v66, 0x3f490fdb, v66
	v_ldexp_f32 v64, v66, v64
	v_cmp_gt_f32_e64 s[8:9], s38, v64
	v_cndmask_b32_e64 v66, 0, 32, s[8:9]
	v_ldexp_f32 v64, v64, v66
	v_log_f32_e32 v64, v64
	v_mul_f32_e32 v66, 0x3f317217, v64
	v_fma_f32 v67, v64, s39, -v66
	v_fmac_f32_e32 v67, 0x3377d1cf, v64
	v_add_f32_e32 v66, v66, v67
	v_cmp_lt_f32_e64 s[10:11], |v64|, s40
	v_cndmask_b32_e64 v64, v64, v66, s[10:11]
	v_cndmask_b32_e64 v66, 0, v51, s[8:9]
	v_sub_f32_e32 v64, v64, v66
	v_sub_f32_e32 v64, v64, v65
	v_floor_f32_e32 v65, v63
	v_sub_f32_e32 v65, v63, v65
	v_min_f32_e32 v65, 0x3f7fffff, v65
	v_cmp_neq_f32_e64 s[8:9], 0, v65
	v_cndmask_b32_e64 v65, v53, v64, s[8:9]
.LBB10_153:                             ;   in Loop: Header=BB10_4 Depth=1
	s_or_b64 exec, exec, s[28:29]
.LBB10_154:                             ;   in Loop: Header=BB10_4 Depth=1
	s_andn2_saveexec_b64 s[26:27], s[26:27]
	s_cbranch_execz .LBB10_3
; %bb.155:                              ;   in Loop: Header=BB10_4 Depth=1
	v_cmp_eq_f16_e64 s[8:9], 1.0, v62
	v_cmp_eq_f16_e64 s[10:11], 2.0, v62
	s_or_b64 s[8:9], s[8:9], s[10:11]
	v_cndmask_b32_e64 v65, v65, 0, s[8:9]
	s_branch .LBB10_3
.LBB10_156:
	s_or_b64 exec, exec, s[22:23]
	s_mov_b64 s[0:1], 0
.LBB10_157:
	s_andn2_b64 vcc, exec, s[0:1]
	s_cbranch_vccnz .LBB10_329
; %bb.158:
	v_cmp_lt_i64_e64 s[0:1], s[16:17], 1
	s_and_b64 vcc, exec, s[0:1]
	s_cbranch_vccnz .LBB10_329
; %bb.159:
	v_mov_b32_e32 v1, 0x10000
	s_load_dword s2, s[4:5], 0xc5c
	v_mov_b32_e32 v2, 0
	v_cmp_lt_i64_e32 vcc, s[16:17], v[1:2]
	v_mov_b32_e32 v10, 0
	s_and_b64 s[0:1], vcc, exec
	v_cmp_lt_u64_e32 vcc, s[16:17], v[1:2]
	s_cselect_b32 s21, s17, 0
	s_cselect_b32 s20, s16, 0x10000
	s_waitcnt lgkmcnt(0)
	s_and_b32 s2, s2, 0xffff
	v_lshlrev_b32_e32 v9, 1, v0
	s_and_b64 s[0:1], vcc, exec
	v_mov_b32_e32 v2, s15
	v_add_co_u32_e32 v1, vcc, s14, v9
	v_mad_u64_u32 v[7:8], s[0:1], s2, 6, v[9:10]
	v_addc_co_u32_e32 v2, vcc, 0, v2, vcc
	v_mov_b32_e32 v4, s13
	v_add_co_u32_e32 v3, vcc, s12, v9
	v_addc_co_u32_e32 v4, vcc, 0, v4, vcc
	v_mov_b32_e32 v6, s15
	v_add_co_u32_e32 v5, vcc, s14, v7
	;; [unrolled: 3-line block ×3, first 2 shown]
	s_cselect_b32 s23, s17, 0
	s_cselect_b32 s22, s16, 0x10000
	s_lshl_b32 s33, s2, 2
	v_addc_co_u32_e32 v8, vcc, v10, v8, vcc
	v_add_co_u32_e32 v11, vcc, s33, v9
	v_addc_co_u32_e64 v12, s[0:1], 0, 0, vcc
	v_mov_b32_e32 v10, s15
	v_add_co_u32_e32 v9, vcc, s14, v11
	v_addc_co_u32_e32 v10, vcc, v10, v12, vcc
	v_mov_b32_e32 v13, s13
	v_add_co_u32_e32 v11, vcc, s12, v11
	v_addc_co_u32_e32 v12, vcc, v13, v12, vcc
	v_add_co_u32_e32 v13, vcc, s2, v0
	v_lshlrev_b32_e32 v17, 1, v13
	v_addc_co_u32_e64 v14, s[0:1], 0, 0, vcc
	v_mov_b32_e32 v16, s15
	v_add_co_u32_e32 v15, vcc, s14, v17
	v_addc_co_u32_e32 v16, vcc, 0, v16, vcc
	v_mov_b32_e32 v18, s13
	v_add_co_u32_e32 v17, vcc, s12, v17
	s_mul_i32 s4, s2, 3
	v_addc_co_u32_e32 v18, vcc, 0, v18, vcc
	s_lshl_b32 s3, s2, 1
	v_add_co_u32_e32 v19, vcc, s4, v0
	v_addc_co_u32_e64 v20, s[0:1], 0, 0, vcc
	v_add_co_u32_e32 v21, vcc, s3, v0
	s_lshl_b32 s34, s2, 3
	s_mov_b64 s[24:25], 0
	s_mov_b32 s35, 0x3c800000
	s_mov_b32 s36, 0x41000000
	;; [unrolled: 1-line block ×19, first 2 shown]
	v_addc_co_u32_e64 v22, s[0:1], 0, 0, vcc
	v_mov_b32_e32 v23, 0xba1c065c
	v_mov_b32_e32 v24, 0x3a500cfd
	;; [unrolled: 1-line block ×47, first 2 shown]
	s_branch .LBB10_161
.LBB10_160:                             ;   in Loop: Header=BB10_161 Depth=1
	s_or_b64 exec, exec, s[0:1]
	v_add_co_u32_e32 v1, vcc, s34, v1
	v_addc_co_u32_e32 v2, vcc, 0, v2, vcc
	v_add_co_u32_e32 v3, vcc, s34, v3
	v_addc_co_u32_e32 v4, vcc, 0, v4, vcc
	;; [unrolled: 2-line block ×6, first 2 shown]
	s_add_u32 s24, s24, s33
	v_add_co_u32_e32 v15, vcc, s34, v15
	v_mov_b32_e32 v71, s21
	s_addc_u32 s25, s25, 0
	v_addc_co_u32_e32 v16, vcc, 0, v16, vcc
	v_mov_b32_e32 v70, s20
	v_cmp_ge_i64_e32 vcc, s[24:25], v[70:71]
	v_add_co_u32_e64 v17, s[0:1], s34, v17
	v_addc_co_u32_e64 v18, s[0:1], 0, v18, s[0:1]
	s_cbranch_vccnz .LBB10_329
.LBB10_161:                             ; =>This Inner Loop Header: Depth=1
	v_mov_b32_e32 v71, s25
	v_add_co_u32_e32 v70, vcc, s24, v0
	v_addc_co_u32_e32 v71, vcc, 0, v71, vcc
	v_cmp_gt_u64_e64 s[4:5], s[22:23], v[70:71]
	v_mov_b32_e32 v73, 0
	s_and_saveexec_b64 s[0:1], s[4:5]
	s_cbranch_execz .LBB10_163
; %bb.162:                              ;   in Loop: Header=BB10_161 Depth=1
	v_mov_b32_e32 v71, s19
	v_add_co_u32_e32 v70, vcc, s18, v1
	v_addc_co_u32_e32 v71, vcc, v2, v71, vcc
	global_load_ushort v73, v[70:71], off
.LBB10_163:                             ;   in Loop: Header=BB10_161 Depth=1
	s_or_b64 exec, exec, s[0:1]
	v_mov_b32_e32 v71, s25
	v_add_co_u32_e32 v70, vcc, s24, v13
	v_addc_co_u32_e32 v71, vcc, v14, v71, vcc
	v_cmp_gt_u64_e64 s[2:3], s[22:23], v[70:71]
	v_mov_b32_e32 v70, 0
	v_mov_b32_e32 v72, 0
	s_and_saveexec_b64 s[0:1], s[2:3]
	s_cbranch_execz .LBB10_165
; %bb.164:                              ;   in Loop: Header=BB10_161 Depth=1
	v_mov_b32_e32 v72, s19
	v_add_co_u32_e32 v71, vcc, s18, v15
	v_addc_co_u32_e32 v72, vcc, v16, v72, vcc
	global_load_ushort v72, v[71:72], off
.LBB10_165:                             ;   in Loop: Header=BB10_161 Depth=1
	s_or_b64 exec, exec, s[0:1]
	v_mov_b32_e32 v71, s25
	v_add_co_u32_e32 v74, vcc, s24, v21
	v_addc_co_u32_e32 v75, vcc, v22, v71, vcc
	v_cmp_gt_u64_e64 s[0:1], s[22:23], v[74:75]
	s_and_saveexec_b64 s[6:7], s[0:1]
	s_cbranch_execz .LBB10_167
; %bb.166:                              ;   in Loop: Header=BB10_161 Depth=1
	v_mov_b32_e32 v71, s19
	v_add_co_u32_e32 v70, vcc, s18, v9
	v_addc_co_u32_e32 v71, vcc, v10, v71, vcc
	global_load_ushort v70, v[70:71], off
.LBB10_167:                             ;   in Loop: Header=BB10_161 Depth=1
	s_or_b64 exec, exec, s[6:7]
	v_mov_b32_e32 v71, s25
	v_add_co_u32_e32 v74, vcc, s24, v19
	v_addc_co_u32_e32 v75, vcc, v20, v71, vcc
	v_cmp_gt_u64_e32 vcc, s[22:23], v[74:75]
	v_mov_b32_e32 v71, 0
	s_and_saveexec_b64 s[8:9], vcc
	s_cbranch_execz .LBB10_169
; %bb.168:                              ;   in Loop: Header=BB10_161 Depth=1
	v_mov_b32_e32 v71, s19
	v_add_co_u32_e64 v74, s[6:7], s18, v5
	v_addc_co_u32_e64 v75, s[6:7], v6, v71, s[6:7]
	global_load_ushort v71, v[74:75], off
.LBB10_169:                             ;   in Loop: Header=BB10_161 Depth=1
	s_or_b64 exec, exec, s[8:9]
	s_waitcnt vmcnt(0)
	v_cvt_f32_f16_e32 v74, v73
                                        ; implicit-def: $vgpr75
	v_and_b32_e32 v76, 0x7fffffff, v74
	v_cmp_nlt_f32_e64 s[6:7], |v74|, s35
	s_and_saveexec_b64 s[8:9], s[6:7]
	s_xor_b64 s[10:11], exec, s[8:9]
	s_cbranch_execz .LBB10_199
; %bb.170:                              ;   in Loop: Header=BB10_161 Depth=1
	v_cmp_nlt_f32_e64 s[6:7], |v74|, 2.0
                                        ; implicit-def: $vgpr75
	s_and_saveexec_b64 s[8:9], s[6:7]
	s_xor_b64 s[12:13], exec, s[8:9]
	s_cbranch_execz .LBB10_180
; %bb.171:                              ;   in Loop: Header=BB10_161 Depth=1
	v_cmp_nlt_f32_e64 s[6:7], |v74|, s36
                                        ; implicit-def: $vgpr75
	s_and_saveexec_b64 s[8:9], s[6:7]
	s_xor_b64 s[14:15], exec, s[8:9]
	s_cbranch_execz .LBB10_177
; %bb.172:                              ;   in Loop: Header=BB10_161 Depth=1
	v_cmp_nlt_f32_e64 s[6:7], |v74|, s37
                                        ; implicit-def: $vgpr75
	s_and_saveexec_b64 s[8:9], s[6:7]
	s_xor_b64 s[16:17], exec, s[8:9]
	s_cbranch_execz .LBB10_174
; %bb.173:                              ;   in Loop: Header=BB10_161 Depth=1
	v_cmp_lt_f32_e64 s[6:7], |v74|, s38
	v_cndmask_b32_e64 v75, 0, 32, s[6:7]
	v_ldexp_f32 v75, |v74|, v75
	v_log_f32_e32 v75, v75
	v_mul_f32_e32 v77, 0x3f317217, v75
	v_fma_f32 v78, v75, s39, -v77
	v_fmac_f32_e32 v78, 0x3377d1cf, v75
	v_add_f32_e32 v77, v77, v78
	v_cmp_lt_f32_e64 s[8:9], |v75|, s40
	v_cndmask_b32_e64 v75, v75, v77, s[8:9]
	v_cndmask_b32_e64 v77, 0, v66, s[6:7]
	v_sub_f32_e32 v75, v75, v77
	v_fma_f32 v75, |v74|, v75, -|v74|
.LBB10_174:                             ;   in Loop: Header=BB10_161 Depth=1
	s_andn2_saveexec_b64 s[16:17], s[16:17]
	s_cbranch_execz .LBB10_176
; %bb.175:                              ;   in Loop: Header=BB10_161 Depth=1
	v_rcp_f32_e64 v75, |v74|
	v_cmp_lt_f32_e64 s[6:7], |v74|, s38
	v_cndmask_b32_e64 v78, 0, 32, s[6:7]
	v_mov_b32_e32 v77, 0x3a5b3dd2
	v_mul_f32_e32 v79, v75, v75
	v_ldexp_f32 v78, |v74|, v78
	v_fmac_f32_e32 v77, 0xbad5c4e8, v79
	v_log_f32_e32 v78, v78
	v_fma_f32 v77, v79, v77, v23
	v_fma_f32 v77, v79, v77, v24
	;; [unrolled: 1-line block ×4, first 2 shown]
	v_mul_f32_e32 v79, 0x3f317217, v78
	v_fma_f32 v80, v78, s39, -v79
	v_fmac_f32_e32 v80, 0x3377d1cf, v78
	v_add_f32_e32 v79, v79, v80
	v_cmp_lt_f32_e64 s[8:9], |v78|, s40
	v_cndmask_b32_e64 v78, v78, v79, s[8:9]
	v_cndmask_b32_e64 v79, 0, v66, s[6:7]
	v_sub_f32_e32 v78, v78, v79
	v_fma_f32 v75, v75, v77, v27
	v_add_f32_e64 v77, |v74|, -0.5
	v_add_f32_e32 v78, -1.0, v78
	v_fmac_f32_e32 v75, v77, v78
.LBB10_176:                             ;   in Loop: Header=BB10_161 Depth=1
	s_or_b64 exec, exec, s[16:17]
.LBB10_177:                             ;   in Loop: Header=BB10_161 Depth=1
	s_andn2_saveexec_b64 s[14:15], s[14:15]
	s_cbranch_execz .LBB10_179
; %bb.178:                              ;   in Loop: Header=BB10_161 Depth=1
	v_cvt_i32_f32_e32 v75, v76
	v_mov_b32_e32 v79, 0x3a4beed6
	v_mov_b32_e32 v78, 0x3af135b4
	v_cvt_f32_i32_e32 v77, v75
	v_cmp_lt_i32_e64 s[6:7], 2, v75
	v_sub_f32_e64 v77, |v74|, v77
	v_fmac_f32_e32 v79, 0x36f5d7bd, v77
	v_fma_f32 v79, v77, v79, v33
	v_fma_f32 v79, v77, v79, v34
	v_fmac_f32_e32 v78, 0x3805ff67, v77
	v_fma_f32 v79, v77, v79, v35
	v_fma_f32 v78, v77, v78, v28
	;; [unrolled: 1-line block ×4, first 2 shown]
	v_fma_f32 v79, v77, v79, 1.0
	v_fma_f32 v78, v77, v78, v30
	v_rcp_f32_e32 v79, v79
	v_fma_f32 v78, v77, v78, v31
	v_fma_f32 v78, v77, v78, v32
	v_mul_f32_e32 v78, v77, v78
	v_mul_f32_e32 v78, v78, v79
	v_add_f32_e32 v79, 2.0, v77
	v_add_f32_e32 v80, 0x40400000, v77
	v_cndmask_b32_e64 v79, 1.0, v79, s[6:7]
	v_cmp_lt_i32_e64 s[6:7], 3, v75
	v_add_f32_e32 v81, 4.0, v77
	v_cndmask_b32_e64 v80, 1.0, v80, s[6:7]
	v_cmp_lt_i32_e64 s[6:7], 4, v75
	v_add_f32_e32 v82, 0x40a00000, v77
	v_mul_f32_e32 v79, v79, v80
	v_cndmask_b32_e64 v80, 1.0, v81, s[6:7]
	v_cmp_lt_i32_e64 s[6:7], 5, v75
	v_fmac_f32_e32 v78, 0.5, v77
	v_add_f32_e32 v77, 0x40c00000, v77
	v_mul_f32_e32 v79, v80, v79
	v_cndmask_b32_e64 v80, 1.0, v82, s[6:7]
	v_cmp_lt_i32_e64 s[6:7], 6, v75
	v_mul_f32_e32 v79, v80, v79
	v_cndmask_b32_e64 v75, 1.0, v77, s[6:7]
	v_mul_f32_e32 v75, v75, v79
	v_cmp_gt_f32_e64 s[6:7], s38, v75
	v_cndmask_b32_e64 v77, 0, 32, s[6:7]
	v_ldexp_f32 v75, v75, v77
	v_log_f32_e32 v75, v75
	v_mul_f32_e32 v77, 0x3f317217, v75
	v_fma_f32 v79, v75, s39, -v77
	v_fmac_f32_e32 v79, 0x3377d1cf, v75
	v_add_f32_e32 v77, v77, v79
	v_cmp_lt_f32_e64 s[8:9], |v75|, s40
	v_cndmask_b32_e64 v75, v75, v77, s[8:9]
	v_cndmask_b32_e64 v77, 0, v66, s[6:7]
	v_sub_f32_e32 v75, v75, v77
	v_add_f32_e32 v75, v75, v78
.LBB10_179:                             ;   in Loop: Header=BB10_161 Depth=1
	s_or_b64 exec, exec, s[14:15]
.LBB10_180:                             ;   in Loop: Header=BB10_161 Depth=1
	s_andn2_saveexec_b64 s[8:9], s[12:13]
	s_cbranch_execz .LBB10_198
; %bb.181:                              ;   in Loop: Header=BB10_161 Depth=1
	v_cmp_le_f32_e64 s[6:7], |v74|, s41
                                        ; implicit-def: $vgpr75
                                        ; implicit-def: $vgpr78
                                        ; implicit-def: $vgpr77
	s_and_saveexec_b64 s[12:13], s[6:7]
	s_xor_b64 s[12:13], exec, s[12:13]
	s_cbranch_execz .LBB10_183
; %bb.182:                              ;   in Loop: Header=BB10_161 Depth=1
	v_cmp_lt_f32_e64 s[6:7], |v74|, s38
	v_cndmask_b32_e64 v75, 0, 32, s[6:7]
	v_ldexp_f32 v75, |v74|, v75
	v_log_f32_e32 v75, v75
	v_cndmask_b32_e64 v77, 0, v66, s[6:7]
	v_mul_f32_e32 v78, 0x3f317217, v75
	v_fma_f32 v79, v75, s39, -v78
	v_fmac_f32_e32 v79, 0x3377d1cf, v75
	v_add_f32_e32 v78, v78, v79
	v_cmp_lt_f32_e64 s[6:7], |v75|, s40
	v_cndmask_b32_e64 v75, v75, v78, s[6:7]
	v_sub_f32_e32 v75, v75, v77
	v_sub_f32_e64 v77, 1.0, |v74|
	v_add_f32_e64 v78, |v74|, s43
	v_cmp_lt_f32_e64 s[6:7], |v74|, s42
	v_cndmask_b32_e64 v77, v77, v78, s[6:7]
	v_cndmask_b32_e64 v78, 0, 1, s[6:7]
	v_cmp_lt_f32_e64 s[6:7], |v74|, s44
	v_xor_b32_e32 v75, 0x80000000, v75
	v_cndmask_b32_e64 v77, v77, |v74|, s[6:7]
	v_cndmask_b32_e64 v78, v78, 2, s[6:7]
.LBB10_183:                             ;   in Loop: Header=BB10_161 Depth=1
	s_andn2_saveexec_b64 s[12:13], s[12:13]
	s_cbranch_execz .LBB10_185
; %bb.184:                              ;   in Loop: Header=BB10_161 Depth=1
	v_sub_f32_e64 v75, 2.0, |v74|
	v_add_f32_e64 v77, |v74|, s46
	v_cmp_lt_f32_e64 s[6:7], |v74|, s45
	v_cndmask_b32_e64 v77, v75, v77, s[6:7]
	v_cndmask_b32_e64 v75, v75, 1.0, s[6:7]
	v_cvt_i32_f32_e32 v75, v75
	v_add_f32_e64 v78, |v74|, -1.0
	v_cmp_lt_f32_e64 s[6:7], |v74|, s47
	v_cndmask_b32_e64 v77, v77, v78, s[6:7]
	v_cndmask_b32_e64 v78, v75, 2, s[6:7]
	v_mov_b32_e32 v75, 0
.LBB10_185:                             ;   in Loop: Header=BB10_161 Depth=1
	s_or_b64 exec, exec, s[12:13]
	v_cmp_lt_i32_e64 s[6:7], 0, v78
	s_and_saveexec_b64 s[12:13], s[6:7]
	s_xor_b64 s[12:13], exec, s[12:13]
	s_cbranch_execz .LBB10_193
; %bb.186:                              ;   in Loop: Header=BB10_161 Depth=1
	v_cmp_lt_i32_e64 s[6:7], 1, v78
	s_and_saveexec_b64 s[14:15], s[6:7]
	s_xor_b64 s[14:15], exec, s[14:15]
	s_cbranch_execz .LBB10_190
; %bb.187:                              ;   in Loop: Header=BB10_161 Depth=1
	v_cmp_eq_u32_e64 s[6:7], 2, v78
	s_and_saveexec_b64 s[16:17], s[6:7]
	s_cbranch_execz .LBB10_189
; %bb.188:                              ;   in Loop: Header=BB10_161 Depth=1
	v_mov_b32_e32 v79, 0x3dd572af
	v_fmac_f32_e32 v79, 0x3b52d5db, v77
	v_fma_f32 v79, v77, v79, v40
	v_mov_b32_e32 v78, 0x3e6a7578
	v_fma_f32 v79, v77, v79, v41
	v_fmac_f32_e32 v78, 0x3c5b3c5e, v77
	v_fma_f32 v79, v77, v79, v42
	v_fma_f32 v78, v77, v78, v37
	v_fma_f32 v79, v77, v79, 1.0
	v_fma_f32 v78, v77, v78, v38
	v_rcp_f32_e32 v79, v79
	v_fma_f32 v78, v77, v78, v39
	v_fma_f32 v78, v77, v78, v32
	v_mul_f32_e32 v78, v77, v78
	v_mul_f32_e32 v78, v78, v79
	v_fmac_f32_e32 v78, -0.5, v77
	v_add_f32_e32 v75, v75, v78
.LBB10_189:                             ;   in Loop: Header=BB10_161 Depth=1
	s_or_b64 exec, exec, s[16:17]
                                        ; implicit-def: $vgpr77
.LBB10_190:                             ;   in Loop: Header=BB10_161 Depth=1
	s_andn2_saveexec_b64 s[6:7], s[14:15]
	s_cbranch_execz .LBB10_192
; %bb.191:                              ;   in Loop: Header=BB10_161 Depth=1
	v_mul_f32_e32 v78, v77, v77
	v_mul_f32_e32 v79, v77, v78
	v_mov_b32_e32 v81, 0x3a66f867
	v_mov_b32_e32 v82, 0xba0d3085
	v_fmac_f32_e32 v81, 0xb9a3f927, v79
	v_fmac_f32_e32 v82, 0x39afe9f7, v79
	v_mov_b32_e32 v80, 0xbab7f476
	v_fma_f32 v81, v79, v81, v46
	v_fma_f32 v82, v79, v82, v49
	v_fmac_f32_e32 v80, 0x39a57b6b, v79
	v_fma_f32 v81, v79, v81, v47
	v_fma_f32 v82, v79, v82, v50
	;; [unrolled: 1-line block ×6, first 2 shown]
	v_fmac_f32_e32 v81, v77, v82
	v_fma_f32 v80, v79, v80, v45
	v_fma_f32 v77, v79, -v81, s48
	v_fma_f32 v77, v78, v80, -v77
	v_add_f32_e32 v77, 0xbdf8cdce, v77
	v_add_f32_e32 v75, v75, v77
.LBB10_192:                             ;   in Loop: Header=BB10_161 Depth=1
	s_or_b64 exec, exec, s[6:7]
                                        ; implicit-def: $vgpr78
                                        ; implicit-def: $vgpr77
.LBB10_193:                             ;   in Loop: Header=BB10_161 Depth=1
	s_andn2_saveexec_b64 s[12:13], s[12:13]
	s_cbranch_execz .LBB10_197
; %bb.194:                              ;   in Loop: Header=BB10_161 Depth=1
	v_cmp_eq_u32_e64 s[6:7], 0, v78
	s_and_saveexec_b64 s[14:15], s[6:7]
	s_cbranch_execz .LBB10_196
; %bb.195:                              ;   in Loop: Header=BB10_161 Depth=1
	v_mul_f32_e32 v78, v77, v77
	v_mov_b32_e32 v80, 0x38e28445
	v_mov_b32_e32 v79, 0x39679767
	v_fmac_f32_e32 v80, 0x383c2c75, v78
	v_fmac_f32_e32 v79, 0x37d383a2, v78
	v_fma_f32 v80, v78, v80, v56
	v_fma_f32 v79, v78, v79, v52
	;; [unrolled: 1-line block ×8, first 2 shown]
	v_mul_f32_e32 v78, v78, v80
	v_fmac_f32_e32 v78, v77, v79
	v_fmac_f32_e32 v78, -0.5, v77
	v_add_f32_e32 v75, v75, v78
.LBB10_196:                             ;   in Loop: Header=BB10_161 Depth=1
	s_or_b64 exec, exec, s[14:15]
.LBB10_197:                             ;   in Loop: Header=BB10_161 Depth=1
	s_or_b64 exec, exec, s[12:13]
.LBB10_198:                             ;   in Loop: Header=BB10_161 Depth=1
	s_or_b64 exec, exec, s[8:9]
.LBB10_199:                             ;   in Loop: Header=BB10_161 Depth=1
	s_andn2_saveexec_b64 s[10:11], s[10:11]
	s_cbranch_execz .LBB10_201
; %bb.200:                              ;   in Loop: Header=BB10_161 Depth=1
	v_cmp_lt_f32_e64 s[6:7], |v74|, s38
	v_cndmask_b32_e64 v75, 0, 32, s[6:7]
	v_ldexp_f32 v75, |v74|, v75
	v_log_f32_e32 v75, v75
	v_fma_f32 v77, |v74|, s49, v67
	v_fma_f32 v77, |v74|, v77, s50
	;; [unrolled: 1-line block ×3, first 2 shown]
	v_mul_f32_e32 v78, 0x3f317217, v75
	v_fma_f32 v79, v75, s39, -v78
	v_fmac_f32_e32 v79, 0x3377d1cf, v75
	v_add_f32_e32 v78, v78, v79
	v_cmp_lt_f32_e64 s[8:9], |v75|, s40
	v_cndmask_b32_e64 v75, v75, v78, s[8:9]
	v_cndmask_b32_e64 v78, 0, v66, s[6:7]
	v_sub_f32_e32 v75, v75, v78
	v_fma_f32 v75, |v74|, v77, -v75
.LBB10_201:                             ;   in Loop: Header=BB10_161 Depth=1
	s_or_b64 exec, exec, s[10:11]
	v_cmp_le_f16_e64 s[6:7], 0, v73
	v_cmp_nle_f16_e64 s[8:9], 0, v73
	s_and_saveexec_b64 s[10:11], s[8:9]
	s_xor_b64 s[12:13], exec, s[10:11]
	s_cbranch_execz .LBB10_205
; %bb.202:                              ;   in Loop: Header=BB10_161 Depth=1
	v_cmp_lt_f32_e64 s[8:9], |v74|, s52
	v_cmp_gt_f32_e64 s[10:11], |v74|, s53
	s_and_b64 s[8:9], s[8:9], s[10:11]
	s_and_saveexec_b64 s[14:15], s[8:9]
	s_cbranch_execz .LBB10_204
; %bb.203:                              ;   in Loop: Header=BB10_161 Depth=1
	v_mul_f32_e64 v77, |v74|, 0.5
	v_floor_f32_e32 v78, v77
	v_sub_f32_e32 v78, v77, v78
	v_min_f32_e32 v78, 0x3f7fffff, v78
	v_add_f32_e32 v78, v78, v78
	v_cmp_neq_f32_e64 s[8:9], s40, v77
	v_cndmask_b32_e64 v77, 0, v78, s[8:9]
	v_cmp_gt_f32_e64 s[8:9], |v74|, 1.0
	v_cndmask_b32_e64 v77, |v74|, v77, s[8:9]
	v_add_f32_e32 v78, v77, v77
	v_rndne_f32_e32 v78, v78
	v_fmac_f32_e32 v77, -0.5, v78
	v_mul_f32_e32 v79, v77, v77
	v_mov_b32_e32 v80, 0xbf1f24be
	v_fmac_f32_e32 v80, 0x3e75aa41, v79
	v_fma_f32 v80, v79, v80, v60
	v_fma_f32 v80, v79, v80, v61
	v_mul_f32_e32 v81, v77, v79
	v_mul_f32_e32 v80, v81, v80
	v_fmac_f32_e32 v80, 0x40490fdb, v77
	v_mov_b32_e32 v77, 0x3e642e9d
	v_cvt_i32_f32_e32 v78, v78
	v_fmac_f32_e32 v77, 0x3d4be544, v79
	v_fma_f32 v77, v79, v77, v62
	v_fma_f32 v77, v79, v77, v63
	;; [unrolled: 1-line block ×3, first 2 shown]
	v_fma_f32 v77, v79, v77, 1.0
	v_and_b32_e32 v79, 1, v78
	v_lshlrev_b32_e32 v78, 30, v78
	v_cmp_eq_u32_e64 s[8:9], 0, v79
	v_and_b32_e32 v78, 0x80000000, v78
	v_xor_b32_e32 v76, v76, v74
	v_cndmask_b32_e64 v77, v77, v80, s[8:9]
	v_xor_b32_e32 v76, v76, v78
	v_xor_b32_e32 v76, v76, v77
	v_mul_f32_e32 v76, v74, v76
	v_frexp_mant_f32_e64 v77, |v76|
	v_rcp_f32_e32 v77, v77
	v_frexp_exp_i32_f32_e32 v76, v76
	v_sub_u32_e32 v76, 2, v76
	v_mul_f32_e32 v77, 0x3f490fdb, v77
	v_ldexp_f32 v76, v77, v76
	v_cmp_gt_f32_e64 s[8:9], s38, v76
	v_cndmask_b32_e64 v77, 0, 32, s[8:9]
	v_ldexp_f32 v76, v76, v77
	v_log_f32_e32 v76, v76
	v_mul_f32_e32 v77, 0x3f317217, v76
	v_fma_f32 v78, v76, s39, -v77
	v_fmac_f32_e32 v78, 0x3377d1cf, v76
	v_add_f32_e32 v77, v77, v78
	v_cmp_lt_f32_e64 s[10:11], |v76|, s40
	v_cndmask_b32_e64 v76, v76, v77, s[10:11]
	v_cndmask_b32_e64 v77, 0, v66, s[8:9]
	v_sub_f32_e32 v76, v76, v77
	v_sub_f32_e32 v75, v76, v75
	v_floor_f32_e32 v76, v74
	v_sub_f32_e32 v76, v74, v76
	v_min_f32_e32 v76, 0x3f7fffff, v76
	v_cmp_neq_f32_e64 s[8:9], 0, v76
	v_cndmask_b32_e64 v75, v68, v75, s[8:9]
.LBB10_204:                             ;   in Loop: Header=BB10_161 Depth=1
	s_or_b64 exec, exec, s[14:15]
.LBB10_205:                             ;   in Loop: Header=BB10_161 Depth=1
	s_andn2_saveexec_b64 s[12:13], s[12:13]
; %bb.206:                              ;   in Loop: Header=BB10_161 Depth=1
	v_cmp_eq_f16_e64 s[8:9], 1.0, v73
	v_cmp_eq_f16_e64 s[10:11], 2.0, v73
	s_or_b64 s[8:9], s[8:9], s[10:11]
	v_cndmask_b32_e64 v75, v75, 0, s[8:9]
; %bb.207:                              ;   in Loop: Header=BB10_161 Depth=1
	s_or_b64 exec, exec, s[12:13]
	v_cvt_f32_f16_e32 v76, v72
                                        ; implicit-def: $vgpr77
	v_and_b32_e32 v78, 0x7fffffff, v76
	v_cmp_nlt_f32_e64 s[8:9], |v76|, s35
	s_and_saveexec_b64 s[10:11], s[8:9]
	s_xor_b64 s[12:13], exec, s[10:11]
	s_cbranch_execz .LBB10_237
; %bb.208:                              ;   in Loop: Header=BB10_161 Depth=1
	v_cmp_nlt_f32_e64 s[8:9], |v76|, 2.0
                                        ; implicit-def: $vgpr77
	s_and_saveexec_b64 s[10:11], s[8:9]
	s_xor_b64 s[14:15], exec, s[10:11]
	s_cbranch_execz .LBB10_218
; %bb.209:                              ;   in Loop: Header=BB10_161 Depth=1
	v_cmp_nlt_f32_e64 s[8:9], |v76|, s36
                                        ; implicit-def: $vgpr77
	s_and_saveexec_b64 s[10:11], s[8:9]
	s_xor_b64 s[16:17], exec, s[10:11]
	s_cbranch_execz .LBB10_215
; %bb.210:                              ;   in Loop: Header=BB10_161 Depth=1
	v_cmp_nlt_f32_e64 s[8:9], |v76|, s37
                                        ; implicit-def: $vgpr77
	s_and_saveexec_b64 s[10:11], s[8:9]
	s_xor_b64 s[26:27], exec, s[10:11]
	s_cbranch_execz .LBB10_212
; %bb.211:                              ;   in Loop: Header=BB10_161 Depth=1
	v_cmp_lt_f32_e64 s[8:9], |v76|, s38
	v_cndmask_b32_e64 v77, 0, 32, s[8:9]
	v_ldexp_f32 v77, |v76|, v77
	v_log_f32_e32 v77, v77
	v_mul_f32_e32 v79, 0x3f317217, v77
	v_fma_f32 v80, v77, s39, -v79
	v_fmac_f32_e32 v80, 0x3377d1cf, v77
	v_add_f32_e32 v79, v79, v80
	v_cmp_lt_f32_e64 s[10:11], |v77|, s40
	v_cndmask_b32_e64 v77, v77, v79, s[10:11]
	v_cndmask_b32_e64 v79, 0, v66, s[8:9]
	v_sub_f32_e32 v77, v77, v79
	v_fma_f32 v77, |v76|, v77, -|v76|
.LBB10_212:                             ;   in Loop: Header=BB10_161 Depth=1
	s_andn2_saveexec_b64 s[26:27], s[26:27]
	s_cbranch_execz .LBB10_214
; %bb.213:                              ;   in Loop: Header=BB10_161 Depth=1
	v_rcp_f32_e64 v77, |v76|
	v_cmp_lt_f32_e64 s[8:9], |v76|, s38
	v_cndmask_b32_e64 v80, 0, 32, s[8:9]
	v_mov_b32_e32 v79, 0x3a5b3dd2
	v_mul_f32_e32 v81, v77, v77
	v_ldexp_f32 v80, |v76|, v80
	v_fmac_f32_e32 v79, 0xbad5c4e8, v81
	v_log_f32_e32 v80, v80
	v_fma_f32 v79, v81, v79, v23
	v_fma_f32 v79, v81, v79, v24
	;; [unrolled: 1-line block ×4, first 2 shown]
	v_mul_f32_e32 v81, 0x3f317217, v80
	v_fma_f32 v82, v80, s39, -v81
	v_fmac_f32_e32 v82, 0x3377d1cf, v80
	v_add_f32_e32 v81, v81, v82
	v_cmp_lt_f32_e64 s[10:11], |v80|, s40
	v_cndmask_b32_e64 v80, v80, v81, s[10:11]
	v_cndmask_b32_e64 v81, 0, v66, s[8:9]
	v_sub_f32_e32 v80, v80, v81
	v_fma_f32 v77, v77, v79, v27
	v_add_f32_e64 v79, |v76|, -0.5
	v_add_f32_e32 v80, -1.0, v80
	v_fmac_f32_e32 v77, v79, v80
.LBB10_214:                             ;   in Loop: Header=BB10_161 Depth=1
	s_or_b64 exec, exec, s[26:27]
.LBB10_215:                             ;   in Loop: Header=BB10_161 Depth=1
	s_andn2_saveexec_b64 s[16:17], s[16:17]
	s_cbranch_execz .LBB10_217
; %bb.216:                              ;   in Loop: Header=BB10_161 Depth=1
	v_cvt_i32_f32_e32 v77, v78
	v_mov_b32_e32 v81, 0x3a4beed6
	v_mov_b32_e32 v80, 0x3af135b4
	v_cvt_f32_i32_e32 v79, v77
	v_cmp_lt_i32_e64 s[8:9], 2, v77
	v_sub_f32_e64 v79, |v76|, v79
	v_add_f32_e32 v82, 2.0, v79
	v_add_f32_e32 v83, 0x40400000, v79
	v_cndmask_b32_e64 v82, 1.0, v82, s[8:9]
	v_cmp_lt_i32_e64 s[8:9], 3, v77
	v_add_f32_e32 v84, 4.0, v79
	v_cndmask_b32_e64 v83, 1.0, v83, s[8:9]
	v_cmp_lt_i32_e64 s[8:9], 4, v77
	v_fmac_f32_e32 v81, 0x36f5d7bd, v79
	v_add_f32_e32 v85, 0x40a00000, v79
	v_mul_f32_e32 v82, v82, v83
	v_cndmask_b32_e64 v83, 1.0, v84, s[8:9]
	v_cmp_lt_i32_e64 s[8:9], 5, v77
	v_fma_f32 v81, v79, v81, v33
	v_add_f32_e32 v86, 0x40c00000, v79
	v_mul_f32_e32 v82, v83, v82
	v_cndmask_b32_e64 v83, 1.0, v85, s[8:9]
	v_cmp_lt_i32_e64 s[8:9], 6, v77
	v_fma_f32 v81, v79, v81, v34
	v_mul_f32_e32 v82, v83, v82
	v_cndmask_b32_e64 v77, 1.0, v86, s[8:9]
	v_fmac_f32_e32 v80, 0x3805ff67, v79
	v_fma_f32 v81, v79, v81, v35
	v_mul_f32_e32 v77, v77, v82
	v_fma_f32 v80, v79, v80, v28
	v_fma_f32 v81, v79, v81, v36
	v_cmp_gt_f32_e64 s[8:9], s38, v77
	v_fma_f32 v80, v79, v80, v29
	v_fma_f32 v81, v79, v81, 1.0
	v_cndmask_b32_e64 v82, 0, 32, s[8:9]
	v_fma_f32 v80, v79, v80, v30
	v_rcp_f32_e32 v81, v81
	v_ldexp_f32 v77, v77, v82
	v_fma_f32 v80, v79, v80, v31
	v_log_f32_e32 v77, v77
	v_fma_f32 v80, v79, v80, v32
	v_mul_f32_e32 v80, v79, v80
	v_mul_f32_e32 v80, v80, v81
	v_fmac_f32_e32 v80, 0.5, v79
	v_mul_f32_e32 v79, 0x3f317217, v77
	v_fma_f32 v81, v77, s39, -v79
	v_fmac_f32_e32 v81, 0x3377d1cf, v77
	v_add_f32_e32 v79, v79, v81
	v_cmp_lt_f32_e64 s[10:11], |v77|, s40
	v_cndmask_b32_e64 v77, v77, v79, s[10:11]
	v_cndmask_b32_e64 v79, 0, v66, s[8:9]
	v_sub_f32_e32 v77, v77, v79
	v_add_f32_e32 v77, v77, v80
.LBB10_217:                             ;   in Loop: Header=BB10_161 Depth=1
	s_or_b64 exec, exec, s[16:17]
.LBB10_218:                             ;   in Loop: Header=BB10_161 Depth=1
	s_andn2_saveexec_b64 s[10:11], s[14:15]
	s_cbranch_execz .LBB10_236
; %bb.219:                              ;   in Loop: Header=BB10_161 Depth=1
	v_cmp_le_f32_e64 s[8:9], |v76|, s41
                                        ; implicit-def: $vgpr77
                                        ; implicit-def: $vgpr80
                                        ; implicit-def: $vgpr79
	s_and_saveexec_b64 s[14:15], s[8:9]
	s_xor_b64 s[14:15], exec, s[14:15]
	s_cbranch_execz .LBB10_221
; %bb.220:                              ;   in Loop: Header=BB10_161 Depth=1
	v_cmp_lt_f32_e64 s[8:9], |v76|, s38
	v_cndmask_b32_e64 v77, 0, 32, s[8:9]
	v_ldexp_f32 v77, |v76|, v77
	v_log_f32_e32 v77, v77
	v_cndmask_b32_e64 v79, 0, v66, s[8:9]
	v_mul_f32_e32 v80, 0x3f317217, v77
	v_fma_f32 v81, v77, s39, -v80
	v_fmac_f32_e32 v81, 0x3377d1cf, v77
	v_add_f32_e32 v80, v80, v81
	v_cmp_lt_f32_e64 s[8:9], |v77|, s40
	v_cndmask_b32_e64 v77, v77, v80, s[8:9]
	v_sub_f32_e32 v77, v77, v79
	v_sub_f32_e64 v79, 1.0, |v76|
	v_add_f32_e64 v80, |v76|, s43
	v_cmp_lt_f32_e64 s[8:9], |v76|, s42
	v_cndmask_b32_e64 v79, v79, v80, s[8:9]
	v_cndmask_b32_e64 v80, 0, 1, s[8:9]
	v_cmp_lt_f32_e64 s[8:9], |v76|, s44
	v_xor_b32_e32 v77, 0x80000000, v77
	v_cndmask_b32_e64 v79, v79, |v76|, s[8:9]
	v_cndmask_b32_e64 v80, v80, 2, s[8:9]
.LBB10_221:                             ;   in Loop: Header=BB10_161 Depth=1
	s_andn2_saveexec_b64 s[14:15], s[14:15]
	s_cbranch_execz .LBB10_223
; %bb.222:                              ;   in Loop: Header=BB10_161 Depth=1
	v_sub_f32_e64 v77, 2.0, |v76|
	v_add_f32_e64 v79, |v76|, s46
	v_cmp_lt_f32_e64 s[8:9], |v76|, s45
	v_cndmask_b32_e64 v79, v77, v79, s[8:9]
	v_cndmask_b32_e64 v77, v77, 1.0, s[8:9]
	v_cvt_i32_f32_e32 v77, v77
	v_add_f32_e64 v80, |v76|, -1.0
	v_cmp_lt_f32_e64 s[8:9], |v76|, s47
	v_cndmask_b32_e64 v79, v79, v80, s[8:9]
	v_cndmask_b32_e64 v80, v77, 2, s[8:9]
	v_mov_b32_e32 v77, 0
.LBB10_223:                             ;   in Loop: Header=BB10_161 Depth=1
	s_or_b64 exec, exec, s[14:15]
	v_cmp_lt_i32_e64 s[8:9], 0, v80
	s_and_saveexec_b64 s[14:15], s[8:9]
	s_xor_b64 s[14:15], exec, s[14:15]
	s_cbranch_execz .LBB10_231
; %bb.224:                              ;   in Loop: Header=BB10_161 Depth=1
	v_cmp_lt_i32_e64 s[8:9], 1, v80
	s_and_saveexec_b64 s[16:17], s[8:9]
	s_xor_b64 s[16:17], exec, s[16:17]
	s_cbranch_execz .LBB10_228
; %bb.225:                              ;   in Loop: Header=BB10_161 Depth=1
	v_cmp_eq_u32_e64 s[8:9], 2, v80
	s_and_saveexec_b64 s[26:27], s[8:9]
	s_cbranch_execz .LBB10_227
; %bb.226:                              ;   in Loop: Header=BB10_161 Depth=1
	v_mov_b32_e32 v81, 0x3dd572af
	v_fmac_f32_e32 v81, 0x3b52d5db, v79
	v_fma_f32 v81, v79, v81, v40
	v_mov_b32_e32 v80, 0x3e6a7578
	v_fma_f32 v81, v79, v81, v41
	v_fmac_f32_e32 v80, 0x3c5b3c5e, v79
	v_fma_f32 v81, v79, v81, v42
	v_fma_f32 v80, v79, v80, v37
	v_fma_f32 v81, v79, v81, 1.0
	v_fma_f32 v80, v79, v80, v38
	v_rcp_f32_e32 v81, v81
	v_fma_f32 v80, v79, v80, v39
	v_fma_f32 v80, v79, v80, v32
	v_mul_f32_e32 v80, v79, v80
	v_mul_f32_e32 v80, v80, v81
	v_fmac_f32_e32 v80, -0.5, v79
	v_add_f32_e32 v77, v77, v80
.LBB10_227:                             ;   in Loop: Header=BB10_161 Depth=1
	s_or_b64 exec, exec, s[26:27]
                                        ; implicit-def: $vgpr79
.LBB10_228:                             ;   in Loop: Header=BB10_161 Depth=1
	s_andn2_saveexec_b64 s[8:9], s[16:17]
	s_cbranch_execz .LBB10_230
; %bb.229:                              ;   in Loop: Header=BB10_161 Depth=1
	v_mul_f32_e32 v80, v79, v79
	v_mul_f32_e32 v81, v79, v80
	v_mov_b32_e32 v83, 0x3a66f867
	v_mov_b32_e32 v84, 0xba0d3085
	v_fmac_f32_e32 v83, 0xb9a3f927, v81
	v_fmac_f32_e32 v84, 0x39afe9f7, v81
	v_mov_b32_e32 v82, 0xbab7f476
	v_fma_f32 v83, v81, v83, v46
	v_fma_f32 v84, v81, v84, v49
	v_fmac_f32_e32 v82, 0x39a57b6b, v81
	v_fma_f32 v83, v81, v83, v47
	v_fma_f32 v84, v81, v84, v50
	;; [unrolled: 1-line block ×6, first 2 shown]
	v_fmac_f32_e32 v83, v79, v84
	v_fma_f32 v82, v81, v82, v45
	v_fma_f32 v79, v81, -v83, s48
	v_fma_f32 v79, v80, v82, -v79
	v_add_f32_e32 v79, 0xbdf8cdce, v79
	v_add_f32_e32 v77, v77, v79
.LBB10_230:                             ;   in Loop: Header=BB10_161 Depth=1
	s_or_b64 exec, exec, s[8:9]
                                        ; implicit-def: $vgpr80
                                        ; implicit-def: $vgpr79
.LBB10_231:                             ;   in Loop: Header=BB10_161 Depth=1
	s_andn2_saveexec_b64 s[14:15], s[14:15]
	s_cbranch_execz .LBB10_235
; %bb.232:                              ;   in Loop: Header=BB10_161 Depth=1
	v_cmp_eq_u32_e64 s[8:9], 0, v80
	s_and_saveexec_b64 s[16:17], s[8:9]
	s_cbranch_execz .LBB10_234
; %bb.233:                              ;   in Loop: Header=BB10_161 Depth=1
	v_mul_f32_e32 v80, v79, v79
	v_mov_b32_e32 v82, 0x38e28445
	v_mov_b32_e32 v81, 0x39679767
	v_fmac_f32_e32 v82, 0x383c2c75, v80
	v_fmac_f32_e32 v81, 0x37d383a2, v80
	v_fma_f32 v82, v80, v82, v56
	v_fma_f32 v81, v80, v81, v52
	v_fma_f32 v82, v80, v82, v57
	v_fma_f32 v81, v80, v81, v53
	v_fma_f32 v82, v80, v82, v58
	v_fma_f32 v81, v80, v81, v54
	v_fma_f32 v82, v80, v82, v59
	v_fma_f32 v81, v80, v81, v55
	v_mul_f32_e32 v80, v80, v82
	v_fmac_f32_e32 v80, v79, v81
	v_fmac_f32_e32 v80, -0.5, v79
	v_add_f32_e32 v77, v77, v80
.LBB10_234:                             ;   in Loop: Header=BB10_161 Depth=1
	s_or_b64 exec, exec, s[16:17]
.LBB10_235:                             ;   in Loop: Header=BB10_161 Depth=1
	s_or_b64 exec, exec, s[14:15]
.LBB10_236:                             ;   in Loop: Header=BB10_161 Depth=1
	s_or_b64 exec, exec, s[10:11]
.LBB10_237:                             ;   in Loop: Header=BB10_161 Depth=1
	s_andn2_saveexec_b64 s[12:13], s[12:13]
	s_cbranch_execz .LBB10_239
; %bb.238:                              ;   in Loop: Header=BB10_161 Depth=1
	v_cmp_lt_f32_e64 s[8:9], |v76|, s38
	v_cndmask_b32_e64 v77, 0, 32, s[8:9]
	v_ldexp_f32 v77, |v76|, v77
	v_log_f32_e32 v77, v77
	v_fma_f32 v79, |v76|, s49, v67
	v_fma_f32 v79, |v76|, v79, s50
	;; [unrolled: 1-line block ×3, first 2 shown]
	v_mul_f32_e32 v80, 0x3f317217, v77
	v_fma_f32 v81, v77, s39, -v80
	v_fmac_f32_e32 v81, 0x3377d1cf, v77
	v_add_f32_e32 v80, v80, v81
	v_cmp_lt_f32_e64 s[10:11], |v77|, s40
	v_cndmask_b32_e64 v77, v77, v80, s[10:11]
	v_cndmask_b32_e64 v80, 0, v66, s[8:9]
	v_sub_f32_e32 v77, v77, v80
	v_fma_f32 v77, |v76|, v79, -v77
.LBB10_239:                             ;   in Loop: Header=BB10_161 Depth=1
	s_or_b64 exec, exec, s[12:13]
	v_cmp_le_f16_e64 s[8:9], 0, v72
	v_cmp_nle_f16_e64 s[10:11], 0, v72
	s_and_saveexec_b64 s[12:13], s[10:11]
	s_xor_b64 s[14:15], exec, s[12:13]
	s_cbranch_execz .LBB10_243
; %bb.240:                              ;   in Loop: Header=BB10_161 Depth=1
	v_cmp_lt_f32_e64 s[10:11], |v76|, s52
	v_cmp_gt_f32_e64 s[12:13], |v76|, s53
	s_and_b64 s[10:11], s[10:11], s[12:13]
	s_and_saveexec_b64 s[16:17], s[10:11]
	s_cbranch_execz .LBB10_242
; %bb.241:                              ;   in Loop: Header=BB10_161 Depth=1
	v_mul_f32_e64 v79, |v76|, 0.5
	v_floor_f32_e32 v80, v79
	v_sub_f32_e32 v80, v79, v80
	v_min_f32_e32 v80, 0x3f7fffff, v80
	v_add_f32_e32 v80, v80, v80
	v_cmp_neq_f32_e64 s[10:11], s40, v79
	v_cndmask_b32_e64 v79, 0, v80, s[10:11]
	v_cmp_gt_f32_e64 s[10:11], |v76|, 1.0
	v_cndmask_b32_e64 v79, |v76|, v79, s[10:11]
	v_add_f32_e32 v80, v79, v79
	v_rndne_f32_e32 v80, v80
	v_fmac_f32_e32 v79, -0.5, v80
	v_mul_f32_e32 v81, v79, v79
	v_mov_b32_e32 v82, 0xbf1f24be
	v_fmac_f32_e32 v82, 0x3e75aa41, v81
	v_fma_f32 v82, v81, v82, v60
	v_fma_f32 v82, v81, v82, v61
	v_mul_f32_e32 v83, v79, v81
	v_mul_f32_e32 v82, v83, v82
	v_fmac_f32_e32 v82, 0x40490fdb, v79
	v_mov_b32_e32 v79, 0x3e642e9d
	v_cvt_i32_f32_e32 v80, v80
	v_fmac_f32_e32 v79, 0x3d4be544, v81
	v_fma_f32 v79, v81, v79, v62
	v_fma_f32 v79, v81, v79, v63
	;; [unrolled: 1-line block ×3, first 2 shown]
	v_fma_f32 v79, v81, v79, 1.0
	v_and_b32_e32 v81, 1, v80
	v_lshlrev_b32_e32 v80, 30, v80
	v_cmp_eq_u32_e64 s[10:11], 0, v81
	v_and_b32_e32 v80, 0x80000000, v80
	v_xor_b32_e32 v78, v78, v76
	v_cndmask_b32_e64 v79, v79, v82, s[10:11]
	v_xor_b32_e32 v78, v78, v80
	v_xor_b32_e32 v78, v78, v79
	v_mul_f32_e32 v78, v76, v78
	v_frexp_mant_f32_e64 v79, |v78|
	v_rcp_f32_e32 v79, v79
	v_frexp_exp_i32_f32_e32 v78, v78
	v_sub_u32_e32 v78, 2, v78
	v_mul_f32_e32 v79, 0x3f490fdb, v79
	v_ldexp_f32 v78, v79, v78
	v_cmp_gt_f32_e64 s[10:11], s38, v78
	v_cndmask_b32_e64 v79, 0, 32, s[10:11]
	v_ldexp_f32 v78, v78, v79
	v_log_f32_e32 v78, v78
	v_mul_f32_e32 v79, 0x3f317217, v78
	v_fma_f32 v80, v78, s39, -v79
	v_fmac_f32_e32 v80, 0x3377d1cf, v78
	v_add_f32_e32 v79, v79, v80
	v_cmp_lt_f32_e64 s[12:13], |v78|, s40
	v_cndmask_b32_e64 v78, v78, v79, s[12:13]
	v_cndmask_b32_e64 v79, 0, v66, s[10:11]
	v_sub_f32_e32 v78, v78, v79
	v_sub_f32_e32 v77, v78, v77
	v_floor_f32_e32 v78, v76
	v_sub_f32_e32 v78, v76, v78
	v_min_f32_e32 v78, 0x3f7fffff, v78
	v_cmp_neq_f32_e64 s[10:11], 0, v78
	v_cndmask_b32_e64 v77, v68, v77, s[10:11]
.LBB10_242:                             ;   in Loop: Header=BB10_161 Depth=1
	s_or_b64 exec, exec, s[16:17]
.LBB10_243:                             ;   in Loop: Header=BB10_161 Depth=1
	s_andn2_saveexec_b64 s[14:15], s[14:15]
; %bb.244:                              ;   in Loop: Header=BB10_161 Depth=1
	v_cmp_eq_f16_e64 s[10:11], 1.0, v72
	v_cmp_eq_f16_e64 s[12:13], 2.0, v72
	s_or_b64 s[10:11], s[10:11], s[12:13]
	v_cndmask_b32_e64 v77, v77, 0, s[10:11]
; %bb.245:                              ;   in Loop: Header=BB10_161 Depth=1
	s_or_b64 exec, exec, s[14:15]
	v_cvt_f32_f16_e32 v78, v70
                                        ; implicit-def: $vgpr79
	v_and_b32_e32 v80, 0x7fffffff, v78
	v_cmp_nlt_f32_e64 s[10:11], |v78|, s35
	s_and_saveexec_b64 s[12:13], s[10:11]
	s_xor_b64 s[14:15], exec, s[12:13]
	s_cbranch_execz .LBB10_275
; %bb.246:                              ;   in Loop: Header=BB10_161 Depth=1
	v_cmp_nlt_f32_e64 s[10:11], |v78|, 2.0
                                        ; implicit-def: $vgpr79
	s_and_saveexec_b64 s[12:13], s[10:11]
	s_xor_b64 s[16:17], exec, s[12:13]
	s_cbranch_execz .LBB10_256
; %bb.247:                              ;   in Loop: Header=BB10_161 Depth=1
	v_cmp_nlt_f32_e64 s[10:11], |v78|, s36
                                        ; implicit-def: $vgpr79
	s_and_saveexec_b64 s[12:13], s[10:11]
	s_xor_b64 s[26:27], exec, s[12:13]
	s_cbranch_execz .LBB10_253
; %bb.248:                              ;   in Loop: Header=BB10_161 Depth=1
	v_cmp_nlt_f32_e64 s[10:11], |v78|, s37
                                        ; implicit-def: $vgpr79
	s_and_saveexec_b64 s[12:13], s[10:11]
	s_xor_b64 s[28:29], exec, s[12:13]
	s_cbranch_execz .LBB10_250
; %bb.249:                              ;   in Loop: Header=BB10_161 Depth=1
	v_cmp_lt_f32_e64 s[10:11], |v78|, s38
	v_cndmask_b32_e64 v79, 0, 32, s[10:11]
	v_ldexp_f32 v79, |v78|, v79
	v_log_f32_e32 v79, v79
	v_mul_f32_e32 v81, 0x3f317217, v79
	v_fma_f32 v82, v79, s39, -v81
	v_fmac_f32_e32 v82, 0x3377d1cf, v79
	v_add_f32_e32 v81, v81, v82
	v_cmp_lt_f32_e64 s[12:13], |v79|, s40
	v_cndmask_b32_e64 v79, v79, v81, s[12:13]
	v_cndmask_b32_e64 v81, 0, v66, s[10:11]
	v_sub_f32_e32 v79, v79, v81
	v_fma_f32 v79, |v78|, v79, -|v78|
.LBB10_250:                             ;   in Loop: Header=BB10_161 Depth=1
	s_andn2_saveexec_b64 s[28:29], s[28:29]
	s_cbranch_execz .LBB10_252
; %bb.251:                              ;   in Loop: Header=BB10_161 Depth=1
	v_rcp_f32_e64 v79, |v78|
	v_cmp_lt_f32_e64 s[10:11], |v78|, s38
	v_cndmask_b32_e64 v82, 0, 32, s[10:11]
	v_mov_b32_e32 v81, 0x3a5b3dd2
	v_mul_f32_e32 v83, v79, v79
	v_ldexp_f32 v82, |v78|, v82
	v_fmac_f32_e32 v81, 0xbad5c4e8, v83
	v_log_f32_e32 v82, v82
	v_fma_f32 v81, v83, v81, v23
	v_fma_f32 v81, v83, v81, v24
	;; [unrolled: 1-line block ×4, first 2 shown]
	v_mul_f32_e32 v83, 0x3f317217, v82
	v_fma_f32 v84, v82, s39, -v83
	v_fmac_f32_e32 v84, 0x3377d1cf, v82
	v_add_f32_e32 v83, v83, v84
	v_cmp_lt_f32_e64 s[12:13], |v82|, s40
	v_cndmask_b32_e64 v82, v82, v83, s[12:13]
	v_cndmask_b32_e64 v83, 0, v66, s[10:11]
	v_sub_f32_e32 v82, v82, v83
	v_fma_f32 v79, v79, v81, v27
	v_add_f32_e64 v81, |v78|, -0.5
	v_add_f32_e32 v82, -1.0, v82
	v_fmac_f32_e32 v79, v81, v82
.LBB10_252:                             ;   in Loop: Header=BB10_161 Depth=1
	s_or_b64 exec, exec, s[28:29]
.LBB10_253:                             ;   in Loop: Header=BB10_161 Depth=1
	s_andn2_saveexec_b64 s[26:27], s[26:27]
	s_cbranch_execz .LBB10_255
; %bb.254:                              ;   in Loop: Header=BB10_161 Depth=1
	v_cvt_i32_f32_e32 v79, v80
	v_mov_b32_e32 v83, 0x3a4beed6
	v_mov_b32_e32 v82, 0x3af135b4
	v_cvt_f32_i32_e32 v81, v79
	v_cmp_lt_i32_e64 s[10:11], 2, v79
	v_sub_f32_e64 v81, |v78|, v81
	v_add_f32_e32 v84, 2.0, v81
	v_add_f32_e32 v85, 0x40400000, v81
	v_cndmask_b32_e64 v84, 1.0, v84, s[10:11]
	v_cmp_lt_i32_e64 s[10:11], 3, v79
	v_add_f32_e32 v86, 4.0, v81
	v_cndmask_b32_e64 v85, 1.0, v85, s[10:11]
	v_cmp_lt_i32_e64 s[10:11], 4, v79
	v_fmac_f32_e32 v83, 0x36f5d7bd, v81
	v_add_f32_e32 v87, 0x40a00000, v81
	v_mul_f32_e32 v84, v84, v85
	v_cndmask_b32_e64 v85, 1.0, v86, s[10:11]
	v_cmp_lt_i32_e64 s[10:11], 5, v79
	v_fma_f32 v83, v81, v83, v33
	v_add_f32_e32 v88, 0x40c00000, v81
	v_mul_f32_e32 v84, v85, v84
	v_cndmask_b32_e64 v85, 1.0, v87, s[10:11]
	v_cmp_lt_i32_e64 s[10:11], 6, v79
	v_fma_f32 v83, v81, v83, v34
	v_mul_f32_e32 v84, v85, v84
	v_cndmask_b32_e64 v79, 1.0, v88, s[10:11]
	v_fmac_f32_e32 v82, 0x3805ff67, v81
	v_fma_f32 v83, v81, v83, v35
	v_mul_f32_e32 v79, v79, v84
	v_fma_f32 v82, v81, v82, v28
	v_fma_f32 v83, v81, v83, v36
	v_cmp_gt_f32_e64 s[10:11], s38, v79
	v_fma_f32 v82, v81, v82, v29
	v_fma_f32 v83, v81, v83, 1.0
	v_cndmask_b32_e64 v84, 0, 32, s[10:11]
	v_fma_f32 v82, v81, v82, v30
	v_rcp_f32_e32 v83, v83
	v_ldexp_f32 v79, v79, v84
	v_fma_f32 v82, v81, v82, v31
	v_log_f32_e32 v79, v79
	v_fma_f32 v82, v81, v82, v32
	v_mul_f32_e32 v82, v81, v82
	v_mul_f32_e32 v82, v82, v83
	v_fmac_f32_e32 v82, 0.5, v81
	v_mul_f32_e32 v81, 0x3f317217, v79
	v_fma_f32 v83, v79, s39, -v81
	v_fmac_f32_e32 v83, 0x3377d1cf, v79
	v_add_f32_e32 v81, v81, v83
	v_cmp_lt_f32_e64 s[12:13], |v79|, s40
	v_cndmask_b32_e64 v79, v79, v81, s[12:13]
	v_cndmask_b32_e64 v81, 0, v66, s[10:11]
	v_sub_f32_e32 v79, v79, v81
	v_add_f32_e32 v79, v79, v82
.LBB10_255:                             ;   in Loop: Header=BB10_161 Depth=1
	s_or_b64 exec, exec, s[26:27]
.LBB10_256:                             ;   in Loop: Header=BB10_161 Depth=1
	s_andn2_saveexec_b64 s[12:13], s[16:17]
	s_cbranch_execz .LBB10_274
; %bb.257:                              ;   in Loop: Header=BB10_161 Depth=1
	v_cmp_le_f32_e64 s[10:11], |v78|, s41
                                        ; implicit-def: $vgpr79
                                        ; implicit-def: $vgpr82
                                        ; implicit-def: $vgpr81
	s_and_saveexec_b64 s[16:17], s[10:11]
	s_xor_b64 s[16:17], exec, s[16:17]
	s_cbranch_execz .LBB10_259
; %bb.258:                              ;   in Loop: Header=BB10_161 Depth=1
	v_cmp_lt_f32_e64 s[10:11], |v78|, s38
	v_cndmask_b32_e64 v79, 0, 32, s[10:11]
	v_ldexp_f32 v79, |v78|, v79
	v_log_f32_e32 v79, v79
	v_cndmask_b32_e64 v81, 0, v66, s[10:11]
	v_mul_f32_e32 v82, 0x3f317217, v79
	v_fma_f32 v83, v79, s39, -v82
	v_fmac_f32_e32 v83, 0x3377d1cf, v79
	v_add_f32_e32 v82, v82, v83
	v_cmp_lt_f32_e64 s[10:11], |v79|, s40
	v_cndmask_b32_e64 v79, v79, v82, s[10:11]
	v_sub_f32_e32 v79, v79, v81
	v_sub_f32_e64 v81, 1.0, |v78|
	v_add_f32_e64 v82, |v78|, s43
	v_cmp_lt_f32_e64 s[10:11], |v78|, s42
	v_cndmask_b32_e64 v81, v81, v82, s[10:11]
	v_cndmask_b32_e64 v82, 0, 1, s[10:11]
	v_cmp_lt_f32_e64 s[10:11], |v78|, s44
	v_xor_b32_e32 v79, 0x80000000, v79
	v_cndmask_b32_e64 v81, v81, |v78|, s[10:11]
	v_cndmask_b32_e64 v82, v82, 2, s[10:11]
.LBB10_259:                             ;   in Loop: Header=BB10_161 Depth=1
	s_andn2_saveexec_b64 s[16:17], s[16:17]
	s_cbranch_execz .LBB10_261
; %bb.260:                              ;   in Loop: Header=BB10_161 Depth=1
	v_sub_f32_e64 v79, 2.0, |v78|
	v_add_f32_e64 v81, |v78|, s46
	v_cmp_lt_f32_e64 s[10:11], |v78|, s45
	v_cndmask_b32_e64 v81, v79, v81, s[10:11]
	v_cndmask_b32_e64 v79, v79, 1.0, s[10:11]
	v_cvt_i32_f32_e32 v79, v79
	v_add_f32_e64 v82, |v78|, -1.0
	v_cmp_lt_f32_e64 s[10:11], |v78|, s47
	v_cndmask_b32_e64 v81, v81, v82, s[10:11]
	v_cndmask_b32_e64 v82, v79, 2, s[10:11]
	v_mov_b32_e32 v79, 0
.LBB10_261:                             ;   in Loop: Header=BB10_161 Depth=1
	s_or_b64 exec, exec, s[16:17]
	v_cmp_lt_i32_e64 s[10:11], 0, v82
	s_and_saveexec_b64 s[16:17], s[10:11]
	s_xor_b64 s[16:17], exec, s[16:17]
	s_cbranch_execz .LBB10_269
; %bb.262:                              ;   in Loop: Header=BB10_161 Depth=1
	v_cmp_lt_i32_e64 s[10:11], 1, v82
	s_and_saveexec_b64 s[26:27], s[10:11]
	s_xor_b64 s[26:27], exec, s[26:27]
	s_cbranch_execz .LBB10_266
; %bb.263:                              ;   in Loop: Header=BB10_161 Depth=1
	v_cmp_eq_u32_e64 s[10:11], 2, v82
	s_and_saveexec_b64 s[28:29], s[10:11]
	s_cbranch_execz .LBB10_265
; %bb.264:                              ;   in Loop: Header=BB10_161 Depth=1
	v_mov_b32_e32 v83, 0x3dd572af
	v_fmac_f32_e32 v83, 0x3b52d5db, v81
	v_fma_f32 v83, v81, v83, v40
	v_mov_b32_e32 v82, 0x3e6a7578
	v_fma_f32 v83, v81, v83, v41
	v_fmac_f32_e32 v82, 0x3c5b3c5e, v81
	v_fma_f32 v83, v81, v83, v42
	v_fma_f32 v82, v81, v82, v37
	v_fma_f32 v83, v81, v83, 1.0
	v_fma_f32 v82, v81, v82, v38
	v_rcp_f32_e32 v83, v83
	v_fma_f32 v82, v81, v82, v39
	v_fma_f32 v82, v81, v82, v32
	v_mul_f32_e32 v82, v81, v82
	v_mul_f32_e32 v82, v82, v83
	v_fmac_f32_e32 v82, -0.5, v81
	v_add_f32_e32 v79, v79, v82
.LBB10_265:                             ;   in Loop: Header=BB10_161 Depth=1
	s_or_b64 exec, exec, s[28:29]
                                        ; implicit-def: $vgpr81
.LBB10_266:                             ;   in Loop: Header=BB10_161 Depth=1
	s_andn2_saveexec_b64 s[10:11], s[26:27]
	s_cbranch_execz .LBB10_268
; %bb.267:                              ;   in Loop: Header=BB10_161 Depth=1
	v_mul_f32_e32 v82, v81, v81
	v_mul_f32_e32 v83, v81, v82
	v_mov_b32_e32 v85, 0x3a66f867
	v_mov_b32_e32 v86, 0xba0d3085
	v_fmac_f32_e32 v85, 0xb9a3f927, v83
	v_fmac_f32_e32 v86, 0x39afe9f7, v83
	v_mov_b32_e32 v84, 0xbab7f476
	v_fma_f32 v85, v83, v85, v46
	v_fma_f32 v86, v83, v86, v49
	v_fmac_f32_e32 v84, 0x39a57b6b, v83
	v_fma_f32 v85, v83, v85, v47
	v_fma_f32 v86, v83, v86, v50
	;; [unrolled: 1-line block ×6, first 2 shown]
	v_fmac_f32_e32 v85, v81, v86
	v_fma_f32 v84, v83, v84, v45
	v_fma_f32 v81, v83, -v85, s48
	v_fma_f32 v81, v82, v84, -v81
	v_add_f32_e32 v81, 0xbdf8cdce, v81
	v_add_f32_e32 v79, v79, v81
.LBB10_268:                             ;   in Loop: Header=BB10_161 Depth=1
	s_or_b64 exec, exec, s[10:11]
                                        ; implicit-def: $vgpr82
                                        ; implicit-def: $vgpr81
.LBB10_269:                             ;   in Loop: Header=BB10_161 Depth=1
	s_andn2_saveexec_b64 s[16:17], s[16:17]
	s_cbranch_execz .LBB10_273
; %bb.270:                              ;   in Loop: Header=BB10_161 Depth=1
	v_cmp_eq_u32_e64 s[10:11], 0, v82
	s_and_saveexec_b64 s[26:27], s[10:11]
	s_cbranch_execz .LBB10_272
; %bb.271:                              ;   in Loop: Header=BB10_161 Depth=1
	v_mul_f32_e32 v82, v81, v81
	v_mov_b32_e32 v84, 0x38e28445
	v_mov_b32_e32 v83, 0x39679767
	v_fmac_f32_e32 v84, 0x383c2c75, v82
	v_fmac_f32_e32 v83, 0x37d383a2, v82
	v_fma_f32 v84, v82, v84, v56
	v_fma_f32 v83, v82, v83, v52
	;; [unrolled: 1-line block ×8, first 2 shown]
	v_mul_f32_e32 v82, v82, v84
	v_fmac_f32_e32 v82, v81, v83
	v_fmac_f32_e32 v82, -0.5, v81
	v_add_f32_e32 v79, v79, v82
.LBB10_272:                             ;   in Loop: Header=BB10_161 Depth=1
	s_or_b64 exec, exec, s[26:27]
.LBB10_273:                             ;   in Loop: Header=BB10_161 Depth=1
	s_or_b64 exec, exec, s[16:17]
.LBB10_274:                             ;   in Loop: Header=BB10_161 Depth=1
	s_or_b64 exec, exec, s[12:13]
.LBB10_275:                             ;   in Loop: Header=BB10_161 Depth=1
	s_andn2_saveexec_b64 s[14:15], s[14:15]
	s_cbranch_execz .LBB10_277
; %bb.276:                              ;   in Loop: Header=BB10_161 Depth=1
	v_cmp_lt_f32_e64 s[10:11], |v78|, s38
	v_cndmask_b32_e64 v79, 0, 32, s[10:11]
	v_ldexp_f32 v79, |v78|, v79
	v_log_f32_e32 v79, v79
	v_fma_f32 v81, |v78|, s49, v67
	v_fma_f32 v81, |v78|, v81, s50
	;; [unrolled: 1-line block ×3, first 2 shown]
	v_mul_f32_e32 v82, 0x3f317217, v79
	v_fma_f32 v83, v79, s39, -v82
	v_fmac_f32_e32 v83, 0x3377d1cf, v79
	v_add_f32_e32 v82, v82, v83
	v_cmp_lt_f32_e64 s[12:13], |v79|, s40
	v_cndmask_b32_e64 v79, v79, v82, s[12:13]
	v_cndmask_b32_e64 v82, 0, v66, s[10:11]
	v_sub_f32_e32 v79, v79, v82
	v_fma_f32 v79, |v78|, v81, -v79
.LBB10_277:                             ;   in Loop: Header=BB10_161 Depth=1
	s_or_b64 exec, exec, s[14:15]
	v_cmp_le_f16_e64 s[10:11], 0, v70
	v_cmp_nle_f16_e64 s[12:13], 0, v70
	s_and_saveexec_b64 s[14:15], s[12:13]
	s_xor_b64 s[16:17], exec, s[14:15]
	s_cbranch_execz .LBB10_281
; %bb.278:                              ;   in Loop: Header=BB10_161 Depth=1
	v_cmp_lt_f32_e64 s[12:13], |v78|, s52
	v_cmp_gt_f32_e64 s[14:15], |v78|, s53
	s_and_b64 s[12:13], s[12:13], s[14:15]
	s_and_saveexec_b64 s[26:27], s[12:13]
	s_cbranch_execz .LBB10_280
; %bb.279:                              ;   in Loop: Header=BB10_161 Depth=1
	v_mul_f32_e64 v81, |v78|, 0.5
	v_floor_f32_e32 v82, v81
	v_sub_f32_e32 v82, v81, v82
	v_min_f32_e32 v82, 0x3f7fffff, v82
	v_add_f32_e32 v82, v82, v82
	v_cmp_neq_f32_e64 s[12:13], s40, v81
	v_cndmask_b32_e64 v81, 0, v82, s[12:13]
	v_cmp_gt_f32_e64 s[12:13], |v78|, 1.0
	v_cndmask_b32_e64 v81, |v78|, v81, s[12:13]
	v_add_f32_e32 v82, v81, v81
	v_rndne_f32_e32 v82, v82
	v_fmac_f32_e32 v81, -0.5, v82
	v_mul_f32_e32 v83, v81, v81
	v_mov_b32_e32 v84, 0xbf1f24be
	v_fmac_f32_e32 v84, 0x3e75aa41, v83
	v_fma_f32 v84, v83, v84, v60
	v_fma_f32 v84, v83, v84, v61
	v_mul_f32_e32 v85, v81, v83
	v_mul_f32_e32 v84, v85, v84
	v_fmac_f32_e32 v84, 0x40490fdb, v81
	v_mov_b32_e32 v81, 0x3e642e9d
	v_cvt_i32_f32_e32 v82, v82
	v_fmac_f32_e32 v81, 0x3d4be544, v83
	v_fma_f32 v81, v83, v81, v62
	v_fma_f32 v81, v83, v81, v63
	;; [unrolled: 1-line block ×3, first 2 shown]
	v_fma_f32 v81, v83, v81, 1.0
	v_and_b32_e32 v83, 1, v82
	v_lshlrev_b32_e32 v82, 30, v82
	v_cmp_eq_u32_e64 s[12:13], 0, v83
	v_and_b32_e32 v82, 0x80000000, v82
	v_xor_b32_e32 v80, v80, v78
	v_cndmask_b32_e64 v81, v81, v84, s[12:13]
	v_xor_b32_e32 v80, v80, v82
	v_xor_b32_e32 v80, v80, v81
	v_mul_f32_e32 v80, v78, v80
	v_frexp_mant_f32_e64 v81, |v80|
	v_rcp_f32_e32 v81, v81
	v_frexp_exp_i32_f32_e32 v80, v80
	v_sub_u32_e32 v80, 2, v80
	v_mul_f32_e32 v81, 0x3f490fdb, v81
	v_ldexp_f32 v80, v81, v80
	v_cmp_gt_f32_e64 s[12:13], s38, v80
	v_cndmask_b32_e64 v81, 0, 32, s[12:13]
	v_ldexp_f32 v80, v80, v81
	v_log_f32_e32 v80, v80
	v_mul_f32_e32 v81, 0x3f317217, v80
	v_fma_f32 v82, v80, s39, -v81
	v_fmac_f32_e32 v82, 0x3377d1cf, v80
	v_add_f32_e32 v81, v81, v82
	v_cmp_lt_f32_e64 s[14:15], |v80|, s40
	v_cndmask_b32_e64 v80, v80, v81, s[14:15]
	v_cndmask_b32_e64 v81, 0, v66, s[12:13]
	v_sub_f32_e32 v80, v80, v81
	v_sub_f32_e32 v79, v80, v79
	v_floor_f32_e32 v80, v78
	v_sub_f32_e32 v80, v78, v80
	v_min_f32_e32 v80, 0x3f7fffff, v80
	v_cmp_neq_f32_e64 s[12:13], 0, v80
	v_cndmask_b32_e64 v79, v68, v79, s[12:13]
.LBB10_280:                             ;   in Loop: Header=BB10_161 Depth=1
	s_or_b64 exec, exec, s[26:27]
.LBB10_281:                             ;   in Loop: Header=BB10_161 Depth=1
	s_andn2_saveexec_b64 s[16:17], s[16:17]
; %bb.282:                              ;   in Loop: Header=BB10_161 Depth=1
	v_cmp_eq_f16_e64 s[12:13], 1.0, v70
	v_cmp_eq_f16_e64 s[14:15], 2.0, v70
	s_or_b64 s[12:13], s[12:13], s[14:15]
	v_cndmask_b32_e64 v79, v79, 0, s[12:13]
; %bb.283:                              ;   in Loop: Header=BB10_161 Depth=1
	s_or_b64 exec, exec, s[16:17]
	v_cvt_f32_f16_e32 v80, v71
                                        ; implicit-def: $vgpr82
	v_and_b32_e32 v81, 0x7fffffff, v80
	v_cmp_nlt_f32_e64 s[12:13], |v80|, s35
	s_and_saveexec_b64 s[14:15], s[12:13]
	s_xor_b64 s[16:17], exec, s[14:15]
	s_cbranch_execz .LBB10_313
; %bb.284:                              ;   in Loop: Header=BB10_161 Depth=1
	v_cmp_nlt_f32_e64 s[12:13], |v80|, 2.0
                                        ; implicit-def: $vgpr82
	s_and_saveexec_b64 s[14:15], s[12:13]
	s_xor_b64 s[26:27], exec, s[14:15]
	s_cbranch_execz .LBB10_294
; %bb.285:                              ;   in Loop: Header=BB10_161 Depth=1
	v_cmp_nlt_f32_e64 s[12:13], |v80|, s36
                                        ; implicit-def: $vgpr82
	s_and_saveexec_b64 s[14:15], s[12:13]
	s_xor_b64 s[28:29], exec, s[14:15]
	s_cbranch_execz .LBB10_291
; %bb.286:                              ;   in Loop: Header=BB10_161 Depth=1
	v_cmp_nlt_f32_e64 s[12:13], |v80|, s37
                                        ; implicit-def: $vgpr82
	s_and_saveexec_b64 s[14:15], s[12:13]
	s_xor_b64 s[30:31], exec, s[14:15]
	s_cbranch_execz .LBB10_288
; %bb.287:                              ;   in Loop: Header=BB10_161 Depth=1
	v_cmp_lt_f32_e64 s[12:13], |v80|, s38
	v_cndmask_b32_e64 v82, 0, 32, s[12:13]
	v_ldexp_f32 v82, |v80|, v82
	v_log_f32_e32 v82, v82
	v_mul_f32_e32 v83, 0x3f317217, v82
	v_fma_f32 v84, v82, s39, -v83
	v_fmac_f32_e32 v84, 0x3377d1cf, v82
	v_add_f32_e32 v83, v83, v84
	v_cmp_lt_f32_e64 s[14:15], |v82|, s40
	v_cndmask_b32_e64 v82, v82, v83, s[14:15]
	v_cndmask_b32_e64 v83, 0, v66, s[12:13]
	v_sub_f32_e32 v82, v82, v83
	v_fma_f32 v82, |v80|, v82, -|v80|
.LBB10_288:                             ;   in Loop: Header=BB10_161 Depth=1
	s_andn2_saveexec_b64 s[30:31], s[30:31]
	s_cbranch_execz .LBB10_290
; %bb.289:                              ;   in Loop: Header=BB10_161 Depth=1
	v_rcp_f32_e64 v82, |v80|
	v_cmp_lt_f32_e64 s[12:13], |v80|, s38
	v_cndmask_b32_e64 v84, 0, 32, s[12:13]
	v_mov_b32_e32 v83, 0x3a5b3dd2
	v_mul_f32_e32 v85, v82, v82
	v_ldexp_f32 v84, |v80|, v84
	v_fmac_f32_e32 v83, 0xbad5c4e8, v85
	v_log_f32_e32 v84, v84
	v_fma_f32 v83, v85, v83, v23
	v_fma_f32 v83, v85, v83, v24
	;; [unrolled: 1-line block ×4, first 2 shown]
	v_mul_f32_e32 v85, 0x3f317217, v84
	v_fma_f32 v86, v84, s39, -v85
	v_fmac_f32_e32 v86, 0x3377d1cf, v84
	v_add_f32_e32 v85, v85, v86
	v_cmp_lt_f32_e64 s[14:15], |v84|, s40
	v_cndmask_b32_e64 v84, v84, v85, s[14:15]
	v_cndmask_b32_e64 v85, 0, v66, s[12:13]
	v_sub_f32_e32 v84, v84, v85
	v_fma_f32 v82, v82, v83, v27
	v_add_f32_e64 v83, |v80|, -0.5
	v_add_f32_e32 v84, -1.0, v84
	v_fmac_f32_e32 v82, v83, v84
.LBB10_290:                             ;   in Loop: Header=BB10_161 Depth=1
	s_or_b64 exec, exec, s[30:31]
.LBB10_291:                             ;   in Loop: Header=BB10_161 Depth=1
	s_andn2_saveexec_b64 s[28:29], s[28:29]
	s_cbranch_execz .LBB10_293
; %bb.292:                              ;   in Loop: Header=BB10_161 Depth=1
	v_cvt_i32_f32_e32 v82, v81
	v_mov_b32_e32 v85, 0x3a4beed6
	v_mov_b32_e32 v84, 0x3af135b4
	v_cvt_f32_i32_e32 v83, v82
	v_cmp_lt_i32_e64 s[12:13], 2, v82
	v_sub_f32_e64 v83, |v80|, v83
	v_add_f32_e32 v86, 2.0, v83
	v_add_f32_e32 v87, 0x40400000, v83
	v_cndmask_b32_e64 v86, 1.0, v86, s[12:13]
	v_cmp_lt_i32_e64 s[12:13], 3, v82
	v_add_f32_e32 v88, 4.0, v83
	v_cndmask_b32_e64 v87, 1.0, v87, s[12:13]
	v_cmp_lt_i32_e64 s[12:13], 4, v82
	v_fmac_f32_e32 v85, 0x36f5d7bd, v83
	v_add_f32_e32 v89, 0x40a00000, v83
	v_mul_f32_e32 v86, v86, v87
	v_cndmask_b32_e64 v87, 1.0, v88, s[12:13]
	v_cmp_lt_i32_e64 s[12:13], 5, v82
	v_fma_f32 v85, v83, v85, v33
	v_add_f32_e32 v90, 0x40c00000, v83
	v_mul_f32_e32 v86, v87, v86
	v_cndmask_b32_e64 v87, 1.0, v89, s[12:13]
	v_cmp_lt_i32_e64 s[12:13], 6, v82
	v_fma_f32 v85, v83, v85, v34
	v_mul_f32_e32 v86, v87, v86
	v_cndmask_b32_e64 v82, 1.0, v90, s[12:13]
	v_fmac_f32_e32 v84, 0x3805ff67, v83
	v_fma_f32 v85, v83, v85, v35
	v_mul_f32_e32 v82, v82, v86
	v_fma_f32 v84, v83, v84, v28
	v_fma_f32 v85, v83, v85, v36
	v_cmp_gt_f32_e64 s[12:13], s38, v82
	v_fma_f32 v84, v83, v84, v29
	v_fma_f32 v85, v83, v85, 1.0
	v_cndmask_b32_e64 v86, 0, 32, s[12:13]
	v_fma_f32 v84, v83, v84, v30
	v_rcp_f32_e32 v85, v85
	v_ldexp_f32 v82, v82, v86
	v_fma_f32 v84, v83, v84, v31
	v_log_f32_e32 v82, v82
	v_fma_f32 v84, v83, v84, v32
	v_mul_f32_e32 v84, v83, v84
	v_mul_f32_e32 v84, v84, v85
	v_fmac_f32_e32 v84, 0.5, v83
	v_mul_f32_e32 v83, 0x3f317217, v82
	v_fma_f32 v85, v82, s39, -v83
	v_fmac_f32_e32 v85, 0x3377d1cf, v82
	v_add_f32_e32 v83, v83, v85
	v_cmp_lt_f32_e64 s[14:15], |v82|, s40
	v_cndmask_b32_e64 v82, v82, v83, s[14:15]
	v_cndmask_b32_e64 v83, 0, v66, s[12:13]
	v_sub_f32_e32 v82, v82, v83
	v_add_f32_e32 v82, v82, v84
.LBB10_293:                             ;   in Loop: Header=BB10_161 Depth=1
	s_or_b64 exec, exec, s[28:29]
.LBB10_294:                             ;   in Loop: Header=BB10_161 Depth=1
	s_andn2_saveexec_b64 s[14:15], s[26:27]
	s_cbranch_execz .LBB10_312
; %bb.295:                              ;   in Loop: Header=BB10_161 Depth=1
	v_cmp_le_f32_e64 s[12:13], |v80|, s41
                                        ; implicit-def: $vgpr82
                                        ; implicit-def: $vgpr84
                                        ; implicit-def: $vgpr83
	s_and_saveexec_b64 s[26:27], s[12:13]
	s_xor_b64 s[26:27], exec, s[26:27]
	s_cbranch_execz .LBB10_297
; %bb.296:                              ;   in Loop: Header=BB10_161 Depth=1
	v_cmp_lt_f32_e64 s[12:13], |v80|, s38
	v_cndmask_b32_e64 v82, 0, 32, s[12:13]
	v_ldexp_f32 v82, |v80|, v82
	v_log_f32_e32 v82, v82
	v_cndmask_b32_e64 v83, 0, v66, s[12:13]
	v_mul_f32_e32 v84, 0x3f317217, v82
	v_fma_f32 v85, v82, s39, -v84
	v_fmac_f32_e32 v85, 0x3377d1cf, v82
	v_add_f32_e32 v84, v84, v85
	v_cmp_lt_f32_e64 s[12:13], |v82|, s40
	v_cndmask_b32_e64 v82, v82, v84, s[12:13]
	v_sub_f32_e32 v82, v82, v83
	v_sub_f32_e64 v83, 1.0, |v80|
	v_add_f32_e64 v84, |v80|, s43
	v_cmp_lt_f32_e64 s[12:13], |v80|, s42
	v_cndmask_b32_e64 v83, v83, v84, s[12:13]
	v_cndmask_b32_e64 v84, 0, 1, s[12:13]
	v_cmp_lt_f32_e64 s[12:13], |v80|, s44
	v_xor_b32_e32 v82, 0x80000000, v82
	v_cndmask_b32_e64 v83, v83, |v80|, s[12:13]
	v_cndmask_b32_e64 v84, v84, 2, s[12:13]
.LBB10_297:                             ;   in Loop: Header=BB10_161 Depth=1
	s_andn2_saveexec_b64 s[26:27], s[26:27]
	s_cbranch_execz .LBB10_299
; %bb.298:                              ;   in Loop: Header=BB10_161 Depth=1
	v_sub_f32_e64 v82, 2.0, |v80|
	v_add_f32_e64 v83, |v80|, s46
	v_cmp_lt_f32_e64 s[12:13], |v80|, s45
	v_cndmask_b32_e64 v83, v82, v83, s[12:13]
	v_cndmask_b32_e64 v82, v82, 1.0, s[12:13]
	v_cvt_i32_f32_e32 v82, v82
	v_add_f32_e64 v84, |v80|, -1.0
	v_cmp_lt_f32_e64 s[12:13], |v80|, s47
	v_cndmask_b32_e64 v83, v83, v84, s[12:13]
	v_cndmask_b32_e64 v84, v82, 2, s[12:13]
	v_mov_b32_e32 v82, 0
.LBB10_299:                             ;   in Loop: Header=BB10_161 Depth=1
	s_or_b64 exec, exec, s[26:27]
	v_cmp_lt_i32_e64 s[12:13], 0, v84
	s_and_saveexec_b64 s[26:27], s[12:13]
	s_xor_b64 s[26:27], exec, s[26:27]
	s_cbranch_execz .LBB10_307
; %bb.300:                              ;   in Loop: Header=BB10_161 Depth=1
	v_cmp_lt_i32_e64 s[12:13], 1, v84
	s_and_saveexec_b64 s[28:29], s[12:13]
	s_xor_b64 s[28:29], exec, s[28:29]
	s_cbranch_execz .LBB10_304
; %bb.301:                              ;   in Loop: Header=BB10_161 Depth=1
	v_cmp_eq_u32_e64 s[12:13], 2, v84
	s_and_saveexec_b64 s[30:31], s[12:13]
	s_cbranch_execz .LBB10_303
; %bb.302:                              ;   in Loop: Header=BB10_161 Depth=1
	v_mov_b32_e32 v85, 0x3dd572af
	v_fmac_f32_e32 v85, 0x3b52d5db, v83
	v_fma_f32 v85, v83, v85, v40
	v_mov_b32_e32 v84, 0x3e6a7578
	v_fma_f32 v85, v83, v85, v41
	v_fmac_f32_e32 v84, 0x3c5b3c5e, v83
	v_fma_f32 v85, v83, v85, v42
	v_fma_f32 v84, v83, v84, v37
	v_fma_f32 v85, v83, v85, 1.0
	v_fma_f32 v84, v83, v84, v38
	v_rcp_f32_e32 v85, v85
	v_fma_f32 v84, v83, v84, v39
	v_fma_f32 v84, v83, v84, v32
	v_mul_f32_e32 v84, v83, v84
	v_mul_f32_e32 v84, v84, v85
	v_fmac_f32_e32 v84, -0.5, v83
	v_add_f32_e32 v82, v82, v84
.LBB10_303:                             ;   in Loop: Header=BB10_161 Depth=1
	s_or_b64 exec, exec, s[30:31]
                                        ; implicit-def: $vgpr83
.LBB10_304:                             ;   in Loop: Header=BB10_161 Depth=1
	s_andn2_saveexec_b64 s[12:13], s[28:29]
	s_cbranch_execz .LBB10_306
; %bb.305:                              ;   in Loop: Header=BB10_161 Depth=1
	v_mul_f32_e32 v84, v83, v83
	v_mul_f32_e32 v85, v83, v84
	v_mov_b32_e32 v87, 0x3a66f867
	v_mov_b32_e32 v88, 0xba0d3085
	v_fmac_f32_e32 v87, 0xb9a3f927, v85
	v_fmac_f32_e32 v88, 0x39afe9f7, v85
	v_mov_b32_e32 v86, 0xbab7f476
	v_fma_f32 v87, v85, v87, v46
	v_fma_f32 v88, v85, v88, v49
	v_fmac_f32_e32 v86, 0x39a57b6b, v85
	v_fma_f32 v87, v85, v87, v47
	v_fma_f32 v88, v85, v88, v50
	;; [unrolled: 1-line block ×6, first 2 shown]
	v_fmac_f32_e32 v87, v83, v88
	v_fma_f32 v86, v85, v86, v45
	v_fma_f32 v83, v85, -v87, s48
	v_fma_f32 v83, v84, v86, -v83
	v_add_f32_e32 v83, 0xbdf8cdce, v83
	v_add_f32_e32 v82, v82, v83
.LBB10_306:                             ;   in Loop: Header=BB10_161 Depth=1
	s_or_b64 exec, exec, s[12:13]
                                        ; implicit-def: $vgpr84
                                        ; implicit-def: $vgpr83
.LBB10_307:                             ;   in Loop: Header=BB10_161 Depth=1
	s_andn2_saveexec_b64 s[26:27], s[26:27]
	s_cbranch_execz .LBB10_311
; %bb.308:                              ;   in Loop: Header=BB10_161 Depth=1
	v_cmp_eq_u32_e64 s[12:13], 0, v84
	s_and_saveexec_b64 s[28:29], s[12:13]
	s_cbranch_execz .LBB10_310
; %bb.309:                              ;   in Loop: Header=BB10_161 Depth=1
	v_mul_f32_e32 v84, v83, v83
	v_mov_b32_e32 v86, 0x38e28445
	v_mov_b32_e32 v85, 0x39679767
	v_fmac_f32_e32 v86, 0x383c2c75, v84
	v_fmac_f32_e32 v85, 0x37d383a2, v84
	v_fma_f32 v86, v84, v86, v56
	v_fma_f32 v85, v84, v85, v52
	;; [unrolled: 1-line block ×8, first 2 shown]
	v_mul_f32_e32 v84, v84, v86
	v_fmac_f32_e32 v84, v83, v85
	v_fmac_f32_e32 v84, -0.5, v83
	v_add_f32_e32 v82, v82, v84
.LBB10_310:                             ;   in Loop: Header=BB10_161 Depth=1
	s_or_b64 exec, exec, s[28:29]
.LBB10_311:                             ;   in Loop: Header=BB10_161 Depth=1
	s_or_b64 exec, exec, s[26:27]
.LBB10_312:                             ;   in Loop: Header=BB10_161 Depth=1
	s_or_b64 exec, exec, s[14:15]
.LBB10_313:                             ;   in Loop: Header=BB10_161 Depth=1
	s_andn2_saveexec_b64 s[16:17], s[16:17]
	s_cbranch_execz .LBB10_315
; %bb.314:                              ;   in Loop: Header=BB10_161 Depth=1
	v_cmp_lt_f32_e64 s[12:13], |v80|, s38
	v_cndmask_b32_e64 v82, 0, 32, s[12:13]
	v_ldexp_f32 v82, |v80|, v82
	v_log_f32_e32 v82, v82
	v_fma_f32 v83, |v80|, s49, v67
	v_fma_f32 v83, |v80|, v83, s50
	;; [unrolled: 1-line block ×3, first 2 shown]
	v_mul_f32_e32 v84, 0x3f317217, v82
	v_fma_f32 v85, v82, s39, -v84
	v_fmac_f32_e32 v85, 0x3377d1cf, v82
	v_add_f32_e32 v84, v84, v85
	v_cmp_lt_f32_e64 s[14:15], |v82|, s40
	v_cndmask_b32_e64 v82, v82, v84, s[14:15]
	v_cndmask_b32_e64 v84, 0, v66, s[12:13]
	v_sub_f32_e32 v82, v82, v84
	v_fma_f32 v82, |v80|, v83, -v82
.LBB10_315:                             ;   in Loop: Header=BB10_161 Depth=1
	s_or_b64 exec, exec, s[16:17]
	v_cmp_le_f16_e64 s[12:13], 0, v71
	v_cmp_nle_f16_e64 s[14:15], 0, v71
	s_and_saveexec_b64 s[16:17], s[14:15]
	s_xor_b64 s[26:27], exec, s[16:17]
	s_cbranch_execnz .LBB10_321
; %bb.316:                              ;   in Loop: Header=BB10_161 Depth=1
	s_andn2_saveexec_b64 s[26:27], s[26:27]
	s_cbranch_execnz .LBB10_324
.LBB10_317:                             ;   in Loop: Header=BB10_161 Depth=1
	s_or_b64 exec, exec, s[26:27]
	s_and_saveexec_b64 s[14:15], s[4:5]
	s_xor_b64 s[14:15], exec, s[14:15]
	s_cbranch_execnz .LBB10_325
.LBB10_318:                             ;   in Loop: Header=BB10_161 Depth=1
	s_or_b64 exec, exec, s[14:15]
	s_and_saveexec_b64 s[4:5], s[2:3]
	s_cbranch_execnz .LBB10_326
.LBB10_319:                             ;   in Loop: Header=BB10_161 Depth=1
	s_or_b64 exec, exec, s[4:5]
	s_and_saveexec_b64 s[2:3], s[0:1]
	s_cbranch_execnz .LBB10_327
.LBB10_320:                             ;   in Loop: Header=BB10_161 Depth=1
	s_or_b64 exec, exec, s[2:3]
	s_and_saveexec_b64 s[0:1], vcc
	s_cbranch_execz .LBB10_160
	s_branch .LBB10_328
.LBB10_321:                             ;   in Loop: Header=BB10_161 Depth=1
	v_cmp_lt_f32_e64 s[14:15], |v80|, s52
	v_cmp_gt_f32_e64 s[16:17], |v80|, s53
	s_and_b64 s[14:15], s[14:15], s[16:17]
	s_and_saveexec_b64 s[28:29], s[14:15]
	s_cbranch_execz .LBB10_323
; %bb.322:                              ;   in Loop: Header=BB10_161 Depth=1
	v_mul_f32_e64 v83, |v80|, 0.5
	v_floor_f32_e32 v84, v83
	v_sub_f32_e32 v84, v83, v84
	v_min_f32_e32 v84, 0x3f7fffff, v84
	v_add_f32_e32 v84, v84, v84
	v_cmp_neq_f32_e64 s[14:15], s40, v83
	v_cndmask_b32_e64 v83, 0, v84, s[14:15]
	v_cmp_gt_f32_e64 s[14:15], |v80|, 1.0
	v_cndmask_b32_e64 v83, |v80|, v83, s[14:15]
	v_add_f32_e32 v84, v83, v83
	v_rndne_f32_e32 v84, v84
	v_fmac_f32_e32 v83, -0.5, v84
	v_mul_f32_e32 v85, v83, v83
	v_mov_b32_e32 v86, 0xbf1f24be
	v_fmac_f32_e32 v86, 0x3e75aa41, v85
	v_fma_f32 v86, v85, v86, v60
	v_fma_f32 v86, v85, v86, v61
	v_mul_f32_e32 v87, v83, v85
	v_mul_f32_e32 v86, v87, v86
	v_fmac_f32_e32 v86, 0x40490fdb, v83
	v_mov_b32_e32 v83, 0x3e642e9d
	v_cvt_i32_f32_e32 v84, v84
	v_fmac_f32_e32 v83, 0x3d4be544, v85
	v_fma_f32 v83, v85, v83, v62
	v_fma_f32 v83, v85, v83, v63
	;; [unrolled: 1-line block ×3, first 2 shown]
	v_fma_f32 v83, v85, v83, 1.0
	v_and_b32_e32 v85, 1, v84
	v_lshlrev_b32_e32 v84, 30, v84
	v_cmp_eq_u32_e64 s[14:15], 0, v85
	v_and_b32_e32 v84, 0x80000000, v84
	v_xor_b32_e32 v81, v81, v80
	v_cndmask_b32_e64 v83, v83, v86, s[14:15]
	v_xor_b32_e32 v81, v81, v84
	v_xor_b32_e32 v81, v81, v83
	v_mul_f32_e32 v81, v80, v81
	v_frexp_mant_f32_e64 v83, |v81|
	v_rcp_f32_e32 v83, v83
	v_frexp_exp_i32_f32_e32 v81, v81
	v_sub_u32_e32 v81, 2, v81
	v_mul_f32_e32 v83, 0x3f490fdb, v83
	v_ldexp_f32 v81, v83, v81
	v_cmp_gt_f32_e64 s[14:15], s38, v81
	v_cndmask_b32_e64 v83, 0, 32, s[14:15]
	v_ldexp_f32 v81, v81, v83
	v_log_f32_e32 v81, v81
	v_mul_f32_e32 v83, 0x3f317217, v81
	v_fma_f32 v84, v81, s39, -v83
	v_fmac_f32_e32 v84, 0x3377d1cf, v81
	v_add_f32_e32 v83, v83, v84
	v_cmp_lt_f32_e64 s[16:17], |v81|, s40
	v_cndmask_b32_e64 v81, v81, v83, s[16:17]
	v_cndmask_b32_e64 v83, 0, v66, s[14:15]
	v_sub_f32_e32 v81, v81, v83
	v_sub_f32_e32 v81, v81, v82
	v_floor_f32_e32 v82, v80
	v_sub_f32_e32 v82, v80, v82
	v_min_f32_e32 v82, 0x3f7fffff, v82
	v_cmp_neq_f32_e64 s[14:15], 0, v82
	v_cndmask_b32_e64 v82, v68, v81, s[14:15]
.LBB10_323:                             ;   in Loop: Header=BB10_161 Depth=1
	s_or_b64 exec, exec, s[28:29]
	s_andn2_saveexec_b64 s[26:27], s[26:27]
	s_cbranch_execz .LBB10_317
.LBB10_324:                             ;   in Loop: Header=BB10_161 Depth=1
	v_cmp_eq_f16_e64 s[14:15], 1.0, v71
	v_cmp_eq_f16_e64 s[16:17], 2.0, v71
	s_or_b64 s[14:15], s[14:15], s[16:17]
	v_cndmask_b32_e64 v82, v82, 0, s[14:15]
	s_or_b64 exec, exec, s[26:27]
	s_and_saveexec_b64 s[14:15], s[4:5]
	s_xor_b64 s[14:15], exec, s[14:15]
	s_cbranch_execz .LBB10_318
.LBB10_325:                             ;   in Loop: Header=BB10_161 Depth=1
	v_cvt_f16_f32_e32 v75, v75
	v_cmp_lt_f32_e64 s[4:5], |v74|, s52
	s_or_b64 s[4:5], s[6:7], s[4:5]
	v_cndmask_b32_e64 v75, v69, v75, s[4:5]
	v_cmp_class_f32_e64 s[4:5], v74, v65
	v_cndmask_b32_e64 v74, v75, v69, s[4:5]
	v_cmp_u_f16_e64 s[4:5], v73, v73
	v_cndmask_b32_e64 v75, v74, v73, s[4:5]
	v_mov_b32_e32 v74, s19
	v_add_co_u32_e64 v73, s[4:5], s18, v3
	v_addc_co_u32_e64 v74, s[4:5], v4, v74, s[4:5]
	global_store_short v[73:74], v75, off
	s_or_b64 exec, exec, s[14:15]
	s_and_saveexec_b64 s[4:5], s[2:3]
	s_cbranch_execz .LBB10_319
.LBB10_326:                             ;   in Loop: Header=BB10_161 Depth=1
	v_cvt_f16_f32_e32 v73, v77
	v_cmp_lt_f32_e64 s[2:3], |v76|, s52
	s_or_b64 s[2:3], s[8:9], s[2:3]
	v_cndmask_b32_e64 v73, v69, v73, s[2:3]
	v_cmp_class_f32_e64 s[2:3], v76, v65
	v_cndmask_b32_e64 v73, v73, v69, s[2:3]
	v_cmp_u_f16_e64 s[2:3], v72, v72
	v_cndmask_b32_e64 v74, v73, v72, s[2:3]
	v_mov_b32_e32 v73, s19
	v_add_co_u32_e64 v72, s[2:3], s18, v17
	v_addc_co_u32_e64 v73, s[2:3], v18, v73, s[2:3]
	global_store_short v[72:73], v74, off
	s_or_b64 exec, exec, s[4:5]
	s_and_saveexec_b64 s[2:3], s[0:1]
	s_cbranch_execz .LBB10_320
.LBB10_327:                             ;   in Loop: Header=BB10_161 Depth=1
	v_cvt_f16_f32_e32 v72, v79
	v_cmp_lt_f32_e64 s[0:1], |v78|, s52
	s_or_b64 s[0:1], s[10:11], s[0:1]
	v_mov_b32_e32 v73, s19
	v_cndmask_b32_e64 v72, v69, v72, s[0:1]
	v_cmp_class_f32_e64 s[0:1], v78, v65
	v_cndmask_b32_e64 v72, v72, v69, s[0:1]
	v_cmp_u_f16_e64 s[0:1], v70, v70
	v_cndmask_b32_e64 v70, v72, v70, s[0:1]
	v_add_co_u32_e64 v72, s[0:1], s18, v11
	v_addc_co_u32_e64 v73, s[0:1], v12, v73, s[0:1]
	global_store_short v[72:73], v70, off
	s_or_b64 exec, exec, s[2:3]
	s_and_saveexec_b64 s[0:1], vcc
	s_cbranch_execz .LBB10_160
.LBB10_328:                             ;   in Loop: Header=BB10_161 Depth=1
	v_cvt_f16_f32_e32 v70, v82
	v_cmp_lt_f32_e64 s[2:3], |v80|, s52
	s_or_b64 vcc, s[12:13], s[2:3]
	v_cndmask_b32_e32 v70, v69, v70, vcc
	v_cmp_class_f32_e32 vcc, v80, v65
	v_cndmask_b32_e32 v70, v70, v69, vcc
	v_cmp_u_f16_e32 vcc, v71, v71
	v_cndmask_b32_e32 v72, v70, v71, vcc
	v_mov_b32_e32 v71, s19
	v_add_co_u32_e32 v70, vcc, s18, v7
	v_addc_co_u32_e32 v71, vcc, v8, v71, vcc
	global_store_short v[70:71], v72, off
	s_branch .LBB10_160
.LBB10_329:
	s_endpgm
	.section	.rodata,"a",@progbits
	.p2align	6, 0x0
	.amdhsa_kernel _ZN2at6native12_GLOBAL__N_125multi_tensor_apply_kernelINS1_18TensorListMetadataILi2EEENS1_14UnaryOpFunctorIN3c104HalfELi2ELi1ELi1EEEJNS0_6LgammaIfEEEEEvT_T0_DpT1_
		.amdhsa_group_segment_fixed_size 0
		.amdhsa_private_segment_fixed_size 0
		.amdhsa_kernarg_size 3408
		.amdhsa_user_sgpr_count 6
		.amdhsa_user_sgpr_private_segment_buffer 1
		.amdhsa_user_sgpr_dispatch_ptr 0
		.amdhsa_user_sgpr_queue_ptr 0
		.amdhsa_user_sgpr_kernarg_segment_ptr 1
		.amdhsa_user_sgpr_dispatch_id 0
		.amdhsa_user_sgpr_flat_scratch_init 0
		.amdhsa_user_sgpr_private_segment_size 0
		.amdhsa_uses_dynamic_stack 0
		.amdhsa_system_sgpr_private_segment_wavefront_offset 0
		.amdhsa_system_sgpr_workgroup_id_x 1
		.amdhsa_system_sgpr_workgroup_id_y 0
		.amdhsa_system_sgpr_workgroup_id_z 0
		.amdhsa_system_sgpr_workgroup_info 0
		.amdhsa_system_vgpr_workitem_id 0
		.amdhsa_next_free_vgpr 91
		.amdhsa_next_free_sgpr 55
		.amdhsa_reserve_vcc 1
		.amdhsa_reserve_flat_scratch 0
		.amdhsa_float_round_mode_32 0
		.amdhsa_float_round_mode_16_64 0
		.amdhsa_float_denorm_mode_32 3
		.amdhsa_float_denorm_mode_16_64 3
		.amdhsa_dx10_clamp 1
		.amdhsa_ieee_mode 1
		.amdhsa_fp16_overflow 0
		.amdhsa_exception_fp_ieee_invalid_op 0
		.amdhsa_exception_fp_denorm_src 0
		.amdhsa_exception_fp_ieee_div_zero 0
		.amdhsa_exception_fp_ieee_overflow 0
		.amdhsa_exception_fp_ieee_underflow 0
		.amdhsa_exception_fp_ieee_inexact 0
		.amdhsa_exception_int_div_zero 0
	.end_amdhsa_kernel
	.section	.text._ZN2at6native12_GLOBAL__N_125multi_tensor_apply_kernelINS1_18TensorListMetadataILi2EEENS1_14UnaryOpFunctorIN3c104HalfELi2ELi1ELi1EEEJNS0_6LgammaIfEEEEEvT_T0_DpT1_,"axG",@progbits,_ZN2at6native12_GLOBAL__N_125multi_tensor_apply_kernelINS1_18TensorListMetadataILi2EEENS1_14UnaryOpFunctorIN3c104HalfELi2ELi1ELi1EEEJNS0_6LgammaIfEEEEEvT_T0_DpT1_,comdat
.Lfunc_end10:
	.size	_ZN2at6native12_GLOBAL__N_125multi_tensor_apply_kernelINS1_18TensorListMetadataILi2EEENS1_14UnaryOpFunctorIN3c104HalfELi2ELi1ELi1EEEJNS0_6LgammaIfEEEEEvT_T0_DpT1_, .Lfunc_end10-_ZN2at6native12_GLOBAL__N_125multi_tensor_apply_kernelINS1_18TensorListMetadataILi2EEENS1_14UnaryOpFunctorIN3c104HalfELi2ELi1ELi1EEEJNS0_6LgammaIfEEEEEvT_T0_DpT1_
                                        ; -- End function
	.set _ZN2at6native12_GLOBAL__N_125multi_tensor_apply_kernelINS1_18TensorListMetadataILi2EEENS1_14UnaryOpFunctorIN3c104HalfELi2ELi1ELi1EEEJNS0_6LgammaIfEEEEEvT_T0_DpT1_.num_vgpr, 91
	.set _ZN2at6native12_GLOBAL__N_125multi_tensor_apply_kernelINS1_18TensorListMetadataILi2EEENS1_14UnaryOpFunctorIN3c104HalfELi2ELi1ELi1EEEJNS0_6LgammaIfEEEEEvT_T0_DpT1_.num_agpr, 0
	.set _ZN2at6native12_GLOBAL__N_125multi_tensor_apply_kernelINS1_18TensorListMetadataILi2EEENS1_14UnaryOpFunctorIN3c104HalfELi2ELi1ELi1EEEJNS0_6LgammaIfEEEEEvT_T0_DpT1_.numbered_sgpr, 55
	.set _ZN2at6native12_GLOBAL__N_125multi_tensor_apply_kernelINS1_18TensorListMetadataILi2EEENS1_14UnaryOpFunctorIN3c104HalfELi2ELi1ELi1EEEJNS0_6LgammaIfEEEEEvT_T0_DpT1_.num_named_barrier, 0
	.set _ZN2at6native12_GLOBAL__N_125multi_tensor_apply_kernelINS1_18TensorListMetadataILi2EEENS1_14UnaryOpFunctorIN3c104HalfELi2ELi1ELi1EEEJNS0_6LgammaIfEEEEEvT_T0_DpT1_.private_seg_size, 0
	.set _ZN2at6native12_GLOBAL__N_125multi_tensor_apply_kernelINS1_18TensorListMetadataILi2EEENS1_14UnaryOpFunctorIN3c104HalfELi2ELi1ELi1EEEJNS0_6LgammaIfEEEEEvT_T0_DpT1_.uses_vcc, 1
	.set _ZN2at6native12_GLOBAL__N_125multi_tensor_apply_kernelINS1_18TensorListMetadataILi2EEENS1_14UnaryOpFunctorIN3c104HalfELi2ELi1ELi1EEEJNS0_6LgammaIfEEEEEvT_T0_DpT1_.uses_flat_scratch, 0
	.set _ZN2at6native12_GLOBAL__N_125multi_tensor_apply_kernelINS1_18TensorListMetadataILi2EEENS1_14UnaryOpFunctorIN3c104HalfELi2ELi1ELi1EEEJNS0_6LgammaIfEEEEEvT_T0_DpT1_.has_dyn_sized_stack, 0
	.set _ZN2at6native12_GLOBAL__N_125multi_tensor_apply_kernelINS1_18TensorListMetadataILi2EEENS1_14UnaryOpFunctorIN3c104HalfELi2ELi1ELi1EEEJNS0_6LgammaIfEEEEEvT_T0_DpT1_.has_recursion, 0
	.set _ZN2at6native12_GLOBAL__N_125multi_tensor_apply_kernelINS1_18TensorListMetadataILi2EEENS1_14UnaryOpFunctorIN3c104HalfELi2ELi1ELi1EEEJNS0_6LgammaIfEEEEEvT_T0_DpT1_.has_indirect_call, 0
	.section	.AMDGPU.csdata,"",@progbits
; Kernel info:
; codeLenInByte = 19516
; TotalNumSgprs: 59
; NumVgprs: 91
; ScratchSize: 0
; MemoryBound: 0
; FloatMode: 240
; IeeeMode: 1
; LDSByteSize: 0 bytes/workgroup (compile time only)
; SGPRBlocks: 7
; VGPRBlocks: 22
; NumSGPRsForWavesPerEU: 59
; NumVGPRsForWavesPerEU: 91
; Occupancy: 2
; WaveLimiterHint : 0
; COMPUTE_PGM_RSRC2:SCRATCH_EN: 0
; COMPUTE_PGM_RSRC2:USER_SGPR: 6
; COMPUTE_PGM_RSRC2:TRAP_HANDLER: 0
; COMPUTE_PGM_RSRC2:TGID_X_EN: 1
; COMPUTE_PGM_RSRC2:TGID_Y_EN: 0
; COMPUTE_PGM_RSRC2:TGID_Z_EN: 0
; COMPUTE_PGM_RSRC2:TIDIG_COMP_CNT: 0
	.section	.text._ZN2at6native12_GLOBAL__N_125multi_tensor_apply_kernelINS1_18TensorListMetadataILi2EEENS1_14UnaryOpFunctorIN3c108BFloat16ELi2ELi1ELi1EEEJNS0_6LgammaIfEEEEEvT_T0_DpT1_,"axG",@progbits,_ZN2at6native12_GLOBAL__N_125multi_tensor_apply_kernelINS1_18TensorListMetadataILi2EEENS1_14UnaryOpFunctorIN3c108BFloat16ELi2ELi1ELi1EEEJNS0_6LgammaIfEEEEEvT_T0_DpT1_,comdat
	.globl	_ZN2at6native12_GLOBAL__N_125multi_tensor_apply_kernelINS1_18TensorListMetadataILi2EEENS1_14UnaryOpFunctorIN3c108BFloat16ELi2ELi1ELi1EEEJNS0_6LgammaIfEEEEEvT_T0_DpT1_ ; -- Begin function _ZN2at6native12_GLOBAL__N_125multi_tensor_apply_kernelINS1_18TensorListMetadataILi2EEENS1_14UnaryOpFunctorIN3c108BFloat16ELi2ELi1ELi1EEEJNS0_6LgammaIfEEEEEvT_T0_DpT1_
	.p2align	8
	.type	_ZN2at6native12_GLOBAL__N_125multi_tensor_apply_kernelINS1_18TensorListMetadataILi2EEENS1_14UnaryOpFunctorIN3c108BFloat16ELi2ELi1ELi1EEEJNS0_6LgammaIfEEEEEvT_T0_DpT1_,@function
_ZN2at6native12_GLOBAL__N_125multi_tensor_apply_kernelINS1_18TensorListMetadataILi2EEENS1_14UnaryOpFunctorIN3c108BFloat16ELi2ELi1ELi1EEEJNS0_6LgammaIfEEEEEvT_T0_DpT1_: ; @_ZN2at6native12_GLOBAL__N_125multi_tensor_apply_kernelINS1_18TensorListMetadataILi2EEENS1_14UnaryOpFunctorIN3c108BFloat16ELi2ELi1ELi1EEEJNS0_6LgammaIfEEEEEvT_T0_DpT1_
; %bb.0:
	v_mov_b32_e32 v1, s6
	global_load_ubyte v1, v1, s[4:5] offset:1536
	s_add_u32 s0, s4, s6
	s_mul_hi_u32 s2, s6, 3
	s_mul_i32 s6, s6, 3
	s_addc_u32 s7, s5, 0
	s_add_u32 s6, s0, s6
	s_addc_u32 s7, s7, s2
	s_load_dword s6, s[6:7], 0x740
	s_mov_b32 s1, 0
	s_mov_b32 s3, s1
	s_waitcnt lgkmcnt(0)
	s_ashr_i32 s7, s6, 31
	s_lshl_b64 s[18:19], s[6:7], 17
	s_lshl_b64 s[6:7], s[6:7], 16
	s_waitcnt vmcnt(0)
	v_readfirstlane_b32 s0, v1
	s_lshl_b32 s0, s0, 3
	s_load_dwordx2 s[8:9], s[4:5], s0 offset:0x400
	s_load_dwordx2 s[14:15], s[4:5], s0 offset:0x0
	;; [unrolled: 1-line block ×3, first 2 shown]
	s_waitcnt lgkmcnt(0)
	s_add_u32 s0, s14, s18
	s_and_b32 s2, s12, 7
	s_and_b32 s0, s0, 7
	s_sub_u32 s16, s8, s6
	s_subb_u32 s17, s9, s7
	s_and_b32 s6, s8, 3
	s_mov_b32 s7, s1
	s_or_b64 s[2:3], s[2:3], s[6:7]
	s_or_b64 s[0:1], s[2:3], s[0:1]
	s_cmp_eq_u64 s[0:1], 0
	s_mov_b64 s[0:1], -1
	s_cbranch_scc0 .LBB11_157
; %bb.1:
	v_mov_b32_e32 v1, 0x10000
	v_mov_b32_e32 v2, 0
	v_cmp_lt_i64_e32 vcc, s[16:17], v[1:2]
	v_mov_b32_e32 v2, 0
	s_and_b64 s[0:1], vcc, exec
	s_cselect_b32 s21, s17, 0
	s_cselect_b32 s20, s16, 0x10000
	v_lshlrev_b32_e32 v1, 2, v0
	v_cmp_gt_i64_e32 vcc, s[20:21], v[1:2]
	s_and_saveexec_b64 s[22:23], vcc
	s_cbranch_execz .LBB11_156
; %bb.2:
	s_load_dword s0, s[4:5], 0xc5c
	v_mov_b32_e32 v1, v2
	v_lshlrev_b32_e32 v2, 3, v0
	v_mov_b32_e32 v3, s19
	v_add_co_u32_e32 v5, vcc, s18, v2
	s_waitcnt lgkmcnt(0)
	s_and_b32 s33, s0, 0xffff
	v_mov_b32_e32 v2, v1
	v_addc_co_u32_e32 v6, vcc, 0, v3, vcc
	s_lshl_b32 s34, s33, 3
	s_mov_b64 s[24:25], 0
	v_mov_b32_e32 v7, s15
	s_mov_b32 s35, 0x3c800000
	s_mov_b32 s36, 0x41000000
	;; [unrolled: 1-line block ×6, first 2 shown]
	v_mov_b32_e32 v8, 0xba1c065c
	v_mov_b32_e32 v9, 0x3a500cfd
	;; [unrolled: 1-line block ×14, first 2 shown]
	s_mov_b32 s41, 0x3f666666
	s_brev_b32 s42, 1
	s_mov_b32 s43, 0x3f3b4a23
	s_mov_b32 s44, 0xbeec5b0c
	;; [unrolled: 1-line block ×6, first 2 shown]
	v_mov_b32_e32 v22, 0x3f7a4bb2
	v_mov_b32_e32 v23, 0x3fba3ae7
	;; [unrolled: 1-line block ×15, first 2 shown]
	s_mov_b32 s49, 0xa2863e55
	v_mov_b32_e32 v37, 0x3a9c54a1
	v_mov_b32_e32 v38, 0x3bf2027e
	;; [unrolled: 1-line block ×8, first 2 shown]
	s_mov_b32 s50, 0x3e8a8991
	s_mov_b32 s51, 0x3f528d33
	;; [unrolled: 1-line block ×5, first 2 shown]
	v_mov_b32_e32 v45, 0x40234736
	v_mov_b32_e32 v46, 0xc0a55e0e
	;; [unrolled: 1-line block ×6, first 2 shown]
	s_movk_i32 s55, 0x7fff
	v_mov_b32_e32 v51, 0x41b17218
	v_mov_b32_e32 v52, 0xbecd26ab
	;; [unrolled: 1-line block ×6, first 2 shown]
	s_branch .LBB11_4
.LBB11_3:                               ;   in Loop: Header=BB11_4 Depth=1
	s_or_b64 exec, exec, s[26:27]
	v_cmp_lt_f32_e64 s[8:9], |v3|, s53
	s_or_b64 s[2:3], s[2:3], s[8:9]
	v_cndmask_b32_e64 v60, v53, v60, s[2:3]
	v_cmp_class_f32_e64 s[2:3], v3, v50
	v_cndmask_b32_e64 v60, v60, v53, s[2:3]
	v_cmp_u_f32_e64 s[2:3], v3, v3
	v_cndmask_b32_e64 v60, v60, v3, s[2:3]
	v_bfe_u32 v3, v60, 16, 1
	v_cmp_lt_f32_e64 s[2:3], |v58|, s53
	v_add3_u32 v3, v60, v3, s55
	s_or_b64 s[0:1], s[0:1], s[2:3]
	v_lshrrev_b32_e32 v61, 16, v3
	v_cndmask_b32_e64 v3, v53, v59, s[0:1]
	v_cmp_class_f32_e64 s[0:1], v58, v50
	v_cndmask_b32_e64 v3, v3, v53, s[0:1]
	v_cmp_u_f32_e64 s[0:1], v58, v58
	v_cndmask_b32_e64 v58, v3, v58, s[0:1]
	v_bfe_u32 v3, v58, 16, 1
	v_cmp_lt_f32_e64 s[0:1], |v56|, s53
	v_add3_u32 v3, v58, v3, s55
	s_or_b64 vcc, vcc, s[0:1]
	v_and_b32_e32 v59, 0xffff0000, v3
	v_cndmask_b32_e32 v3, v53, v57, vcc
	v_cmp_class_f32_e32 vcc, v56, v50
	v_cndmask_b32_e32 v3, v3, v53, vcc
	v_cmp_u_f32_e32 vcc, v56, v56
	v_cndmask_b32_e32 v56, v3, v56, vcc
	v_bfe_u32 v3, v56, 16, 1
	v_cmp_lt_f32_e64 s[0:1], |v4|, s53
	v_add3_u32 v3, v56, v3, s55
	s_or_b64 vcc, s[6:7], s[0:1]
	v_lshrrev_b32_e32 v57, 16, v3
	v_cndmask_b32_e32 v3, v53, v62, vcc
	v_cmp_class_f32_e32 vcc, v4, v50
	v_cndmask_b32_e32 v3, v3, v53, vcc
	v_cmp_u_f32_e32 vcc, v4, v4
	v_cndmask_b32_e32 v62, v3, v4, vcc
	v_bfe_u32 v3, v62, 16, 1
	v_add3_u32 v63, v62, v3, s55
	v_mov_b32_e32 v4, s13
	v_add_co_u32_e32 v3, vcc, s12, v5
	v_addc_co_u32_e32 v4, vcc, v4, v6, vcc
	v_and_b32_e32 v63, 0xffff0000, v63
	v_cmp_o_f32_e32 vcc, v62, v62
	v_cndmask_b32_e32 v62, v54, v63, vcc
	v_cmp_o_f32_e32 vcc, v60, v60
	v_cndmask_b32_e32 v60, v55, v61, vcc
	;; [unrolled: 2-line block ×4, first 2 shown]
	v_add_co_u32_e32 v1, vcc, s33, v1
	v_addc_co_u32_e32 v2, vcc, 0, v2, vcc
	v_or_b32_e32 v56, v58, v56
	v_lshlrev_b64 v[58:59], 2, v[1:2]
	v_or3_b32 v57, 0, v60, v62
	v_cmp_le_i64_e32 vcc, s[20:21], v[58:59]
	v_or3_b32 v56, v56, 0, 0
	s_or_b64 s[24:25], vcc, s[24:25]
	v_add_co_u32_e32 v5, vcc, s34, v5
	v_addc_co_u32_e32 v6, vcc, 0, v6, vcc
	global_store_dwordx2 v[3:4], v[56:57], off
	s_andn2_b64 exec, exec, s[24:25]
	s_cbranch_execz .LBB11_156
.LBB11_4:                               ; =>This Inner Loop Header: Depth=1
	v_add_co_u32_e32 v3, vcc, s14, v5
	v_addc_co_u32_e32 v4, vcc, v7, v6, vcc
	global_load_dwordx2 v[3:4], v[3:4], off
                                        ; implicit-def: $vgpr57
	s_waitcnt vmcnt(0)
	v_lshlrev_b32_e32 v56, 16, v3
	v_and_b32_e32 v58, 0x7fffffff, v56
	v_cmp_nlt_f32_e64 s[0:1], |v56|, s35
	s_and_saveexec_b64 s[2:3], s[0:1]
	s_xor_b64 s[2:3], exec, s[2:3]
	s_cbranch_execz .LBB11_34
; %bb.5:                                ;   in Loop: Header=BB11_4 Depth=1
	v_cmp_nlt_f32_e64 s[0:1], |v56|, 2.0
                                        ; implicit-def: $vgpr57
	s_and_saveexec_b64 s[6:7], s[0:1]
	s_xor_b64 s[6:7], exec, s[6:7]
	s_cbranch_execz .LBB11_15
; %bb.6:                                ;   in Loop: Header=BB11_4 Depth=1
	v_cmp_nlt_f32_e64 s[0:1], |v56|, s36
                                        ; implicit-def: $vgpr57
	s_and_saveexec_b64 s[8:9], s[0:1]
	s_xor_b64 s[8:9], exec, s[8:9]
	s_cbranch_execz .LBB11_12
; %bb.7:                                ;   in Loop: Header=BB11_4 Depth=1
	v_cmp_nlt_f32_e64 s[0:1], |v56|, s37
                                        ; implicit-def: $vgpr57
	s_and_saveexec_b64 s[10:11], s[0:1]
	s_xor_b64 s[10:11], exec, s[10:11]
	s_cbranch_execz .LBB11_9
; %bb.8:                                ;   in Loop: Header=BB11_4 Depth=1
	v_cmp_lt_f32_e64 vcc, |v56|, s38
	v_cndmask_b32_e64 v57, 0, 32, vcc
	v_ldexp_f32 v57, |v56|, v57
	v_log_f32_e32 v57, v57
	v_mul_f32_e32 v59, 0x3f317217, v57
	v_fma_f32 v60, v57, s39, -v59
	v_fmac_f32_e32 v60, 0x3377d1cf, v57
	v_add_f32_e32 v59, v59, v60
	v_cmp_lt_f32_e64 s[0:1], |v57|, s40
	v_cndmask_b32_e64 v57, v57, v59, s[0:1]
	v_cndmask_b32_e32 v59, 0, v51, vcc
	v_sub_f32_e32 v57, v57, v59
	v_fma_f32 v57, |v56|, v57, -|v56|
.LBB11_9:                               ;   in Loop: Header=BB11_4 Depth=1
	s_andn2_saveexec_b64 s[10:11], s[10:11]
	s_cbranch_execz .LBB11_11
; %bb.10:                               ;   in Loop: Header=BB11_4 Depth=1
	v_rcp_f32_e64 v57, |v56|
	v_cmp_lt_f32_e64 vcc, |v56|, s38
	v_cndmask_b32_e64 v60, 0, 32, vcc
	v_mov_b32_e32 v59, 0x3a5b3dd2
	v_mul_f32_e32 v61, v57, v57
	v_ldexp_f32 v60, |v56|, v60
	v_fmac_f32_e32 v59, 0xbad5c4e8, v61
	v_log_f32_e32 v60, v60
	v_fma_f32 v59, v61, v59, v8
	v_fma_f32 v59, v61, v59, v9
	;; [unrolled: 1-line block ×4, first 2 shown]
	v_mul_f32_e32 v61, 0x3f317217, v60
	v_fma_f32 v62, v60, s39, -v61
	v_fmac_f32_e32 v62, 0x3377d1cf, v60
	v_add_f32_e32 v61, v61, v62
	v_cmp_lt_f32_e64 s[0:1], |v60|, s40
	v_cndmask_b32_e64 v60, v60, v61, s[0:1]
	v_cndmask_b32_e32 v61, 0, v51, vcc
	v_sub_f32_e32 v60, v60, v61
	v_fma_f32 v57, v57, v59, v12
	v_add_f32_e64 v59, |v56|, -0.5
	v_add_f32_e32 v60, -1.0, v60
	v_fmac_f32_e32 v57, v59, v60
.LBB11_11:                              ;   in Loop: Header=BB11_4 Depth=1
	s_or_b64 exec, exec, s[10:11]
.LBB11_12:                              ;   in Loop: Header=BB11_4 Depth=1
	s_andn2_saveexec_b64 s[8:9], s[8:9]
	s_cbranch_execz .LBB11_14
; %bb.13:                               ;   in Loop: Header=BB11_4 Depth=1
	v_cvt_i32_f32_e32 v57, v58
	v_mov_b32_e32 v61, 0x3a4beed6
	v_mov_b32_e32 v60, 0x3af135b4
	v_cvt_f32_i32_e32 v59, v57
	v_cmp_lt_i32_e32 vcc, 2, v57
	v_sub_f32_e64 v59, |v56|, v59
	v_add_f32_e32 v62, 2.0, v59
	v_add_f32_e32 v63, 0x40400000, v59
	v_cndmask_b32_e32 v62, 1.0, v62, vcc
	v_cmp_lt_i32_e32 vcc, 3, v57
	v_add_f32_e32 v64, 4.0, v59
	v_cndmask_b32_e32 v63, 1.0, v63, vcc
	v_cmp_lt_i32_e32 vcc, 4, v57
	v_fmac_f32_e32 v61, 0x36f5d7bd, v59
	v_add_f32_e32 v65, 0x40a00000, v59
	v_mul_f32_e32 v62, v62, v63
	v_cndmask_b32_e32 v63, 1.0, v64, vcc
	v_cmp_lt_i32_e32 vcc, 5, v57
	v_fma_f32 v61, v59, v61, v18
	v_add_f32_e32 v66, 0x40c00000, v59
	v_mul_f32_e32 v62, v63, v62
	v_cndmask_b32_e32 v63, 1.0, v65, vcc
	v_cmp_lt_i32_e32 vcc, 6, v57
	v_fma_f32 v61, v59, v61, v19
	v_mul_f32_e32 v62, v63, v62
	v_cndmask_b32_e32 v57, 1.0, v66, vcc
	v_fmac_f32_e32 v60, 0x3805ff67, v59
	v_fma_f32 v61, v59, v61, v20
	v_mul_f32_e32 v57, v57, v62
	v_fma_f32 v60, v59, v60, v13
	v_fma_f32 v61, v59, v61, v21
	v_cmp_gt_f32_e32 vcc, s38, v57
	v_fma_f32 v60, v59, v60, v14
	v_fma_f32 v61, v59, v61, 1.0
	v_cndmask_b32_e64 v62, 0, 32, vcc
	v_fma_f32 v60, v59, v60, v15
	v_rcp_f32_e32 v61, v61
	v_ldexp_f32 v57, v57, v62
	v_fma_f32 v60, v59, v60, v16
	v_log_f32_e32 v57, v57
	v_fma_f32 v60, v59, v60, v17
	v_mul_f32_e32 v60, v59, v60
	v_mul_f32_e32 v60, v60, v61
	v_fmac_f32_e32 v60, 0.5, v59
	v_mul_f32_e32 v59, 0x3f317217, v57
	v_fma_f32 v61, v57, s39, -v59
	v_fmac_f32_e32 v61, 0x3377d1cf, v57
	v_add_f32_e32 v59, v59, v61
	v_cmp_lt_f32_e64 s[0:1], |v57|, s40
	v_cndmask_b32_e64 v57, v57, v59, s[0:1]
	v_cndmask_b32_e32 v59, 0, v51, vcc
	v_sub_f32_e32 v57, v57, v59
	v_add_f32_e32 v57, v57, v60
.LBB11_14:                              ;   in Loop: Header=BB11_4 Depth=1
	s_or_b64 exec, exec, s[8:9]
.LBB11_15:                              ;   in Loop: Header=BB11_4 Depth=1
	s_andn2_saveexec_b64 s[0:1], s[6:7]
	s_cbranch_execz .LBB11_33
; %bb.16:                               ;   in Loop: Header=BB11_4 Depth=1
	v_cmp_le_f32_e64 s[6:7], |v56|, s41
                                        ; implicit-def: $vgpr57
                                        ; implicit-def: $vgpr60
                                        ; implicit-def: $vgpr59
	s_and_saveexec_b64 s[8:9], s[6:7]
	s_xor_b64 s[6:7], exec, s[8:9]
	s_cbranch_execz .LBB11_18
; %bb.17:                               ;   in Loop: Header=BB11_4 Depth=1
	v_cmp_lt_f32_e64 vcc, |v56|, s38
	v_cndmask_b32_e64 v57, 0, 32, vcc
	v_ldexp_f32 v57, |v56|, v57
	v_log_f32_e32 v57, v57
	v_cndmask_b32_e32 v59, 0, v51, vcc
	v_cmp_lt_f32_e64 s[8:9], |v56|, s45
	v_mul_f32_e32 v60, 0x3f317217, v57
	v_fma_f32 v61, v57, s39, -v60
	v_fmac_f32_e32 v61, 0x3377d1cf, v57
	v_add_f32_e32 v60, v60, v61
	v_cmp_lt_f32_e64 vcc, |v57|, s40
	v_cndmask_b32_e32 v57, v57, v60, vcc
	v_sub_f32_e32 v57, v57, v59
	v_sub_f32_e64 v59, 1.0, |v56|
	v_add_f32_e64 v60, |v56|, s44
	v_cmp_lt_f32_e64 vcc, |v56|, s43
	v_cndmask_b32_e32 v59, v59, v60, vcc
	v_cndmask_b32_e64 v60, 0, 1, vcc
	v_xor_b32_e32 v57, 0x80000000, v57
	v_cndmask_b32_e64 v59, v59, |v56|, s[8:9]
	v_cndmask_b32_e64 v60, v60, 2, s[8:9]
.LBB11_18:                              ;   in Loop: Header=BB11_4 Depth=1
	s_andn2_saveexec_b64 s[6:7], s[6:7]
	s_cbranch_execz .LBB11_20
; %bb.19:                               ;   in Loop: Header=BB11_4 Depth=1
	v_sub_f32_e64 v57, 2.0, |v56|
	v_add_f32_e64 v59, |v56|, s47
	v_cmp_lt_f32_e64 vcc, |v56|, s46
	v_cndmask_b32_e32 v59, v57, v59, vcc
	v_cndmask_b32_e64 v57, v57, 1.0, vcc
	v_cvt_i32_f32_e32 v57, v57
	v_add_f32_e64 v60, |v56|, -1.0
	v_cmp_lt_f32_e64 vcc, |v56|, s48
	v_cndmask_b32_e32 v59, v59, v60, vcc
	v_cndmask_b32_e64 v60, v57, 2, vcc
	v_mov_b32_e32 v57, 0
.LBB11_20:                              ;   in Loop: Header=BB11_4 Depth=1
	s_or_b64 exec, exec, s[6:7]
	v_cmp_lt_i32_e32 vcc, 0, v60
	s_and_saveexec_b64 s[6:7], vcc
	s_xor_b64 s[6:7], exec, s[6:7]
	s_cbranch_execz .LBB11_28
; %bb.21:                               ;   in Loop: Header=BB11_4 Depth=1
	v_cmp_lt_i32_e32 vcc, 1, v60
	s_and_saveexec_b64 s[8:9], vcc
	s_xor_b64 s[8:9], exec, s[8:9]
	s_cbranch_execz .LBB11_25
; %bb.22:                               ;   in Loop: Header=BB11_4 Depth=1
	v_cmp_eq_u32_e32 vcc, 2, v60
	s_and_saveexec_b64 s[10:11], vcc
	s_cbranch_execz .LBB11_24
; %bb.23:                               ;   in Loop: Header=BB11_4 Depth=1
	v_mov_b32_e32 v61, 0x3dd572af
	v_fmac_f32_e32 v61, 0x3b52d5db, v59
	v_fma_f32 v61, v59, v61, v25
	v_mov_b32_e32 v60, 0x3e6a7578
	v_fma_f32 v61, v59, v61, v26
	v_fmac_f32_e32 v60, 0x3c5b3c5e, v59
	v_fma_f32 v61, v59, v61, v27
	v_fma_f32 v60, v59, v60, v22
	v_fma_f32 v61, v59, v61, 1.0
	v_fma_f32 v60, v59, v60, v23
	v_rcp_f32_e32 v61, v61
	v_fma_f32 v60, v59, v60, v24
	v_fma_f32 v60, v59, v60, v17
	v_mul_f32_e32 v60, v59, v60
	v_mul_f32_e32 v60, v60, v61
	v_fmac_f32_e32 v60, -0.5, v59
	v_add_f32_e32 v57, v57, v60
.LBB11_24:                              ;   in Loop: Header=BB11_4 Depth=1
	s_or_b64 exec, exec, s[10:11]
                                        ; implicit-def: $vgpr59
.LBB11_25:                              ;   in Loop: Header=BB11_4 Depth=1
	s_andn2_saveexec_b64 s[8:9], s[8:9]
	s_cbranch_execz .LBB11_27
; %bb.26:                               ;   in Loop: Header=BB11_4 Depth=1
	v_mul_f32_e32 v60, v59, v59
	v_mul_f32_e32 v61, v59, v60
	v_mov_b32_e32 v63, 0x3a66f867
	v_mov_b32_e32 v64, 0xba0d3085
	v_fmac_f32_e32 v63, 0xb9a3f927, v61
	v_fmac_f32_e32 v64, 0x39afe9f7, v61
	v_mov_b32_e32 v62, 0xbab7f476
	v_fma_f32 v63, v61, v63, v31
	v_fma_f32 v64, v61, v64, v34
	v_fmac_f32_e32 v62, 0x39a57b6b, v61
	v_fma_f32 v63, v61, v63, v32
	v_fma_f32 v64, v61, v64, v35
	;; [unrolled: 1-line block ×6, first 2 shown]
	v_fmac_f32_e32 v63, v59, v64
	v_fma_f32 v62, v61, v62, v30
	v_fma_f32 v59, v61, -v63, s49
	v_fma_f32 v59, v60, v62, -v59
	v_add_f32_e32 v59, 0xbdf8cdce, v59
	v_add_f32_e32 v57, v57, v59
.LBB11_27:                              ;   in Loop: Header=BB11_4 Depth=1
	s_or_b64 exec, exec, s[8:9]
                                        ; implicit-def: $vgpr60
                                        ; implicit-def: $vgpr59
.LBB11_28:                              ;   in Loop: Header=BB11_4 Depth=1
	s_andn2_saveexec_b64 s[6:7], s[6:7]
	s_cbranch_execz .LBB11_32
; %bb.29:                               ;   in Loop: Header=BB11_4 Depth=1
	v_cmp_eq_u32_e32 vcc, 0, v60
	s_and_saveexec_b64 s[8:9], vcc
	s_cbranch_execz .LBB11_31
; %bb.30:                               ;   in Loop: Header=BB11_4 Depth=1
	v_mul_f32_e32 v60, v59, v59
	v_mov_b32_e32 v62, 0x38e28445
	v_mov_b32_e32 v61, 0x39679767
	v_fmac_f32_e32 v62, 0x383c2c75, v60
	v_fmac_f32_e32 v61, 0x37d383a2, v60
	v_fma_f32 v62, v60, v62, v41
	v_fma_f32 v61, v60, v61, v37
	;; [unrolled: 1-line block ×8, first 2 shown]
	v_mul_f32_e32 v60, v60, v62
	v_fmac_f32_e32 v60, v59, v61
	v_fmac_f32_e32 v60, -0.5, v59
	v_add_f32_e32 v57, v57, v60
.LBB11_31:                              ;   in Loop: Header=BB11_4 Depth=1
	s_or_b64 exec, exec, s[8:9]
.LBB11_32:                              ;   in Loop: Header=BB11_4 Depth=1
	s_or_b64 exec, exec, s[6:7]
.LBB11_33:                              ;   in Loop: Header=BB11_4 Depth=1
	s_or_b64 exec, exec, s[0:1]
.LBB11_34:                              ;   in Loop: Header=BB11_4 Depth=1
	s_andn2_saveexec_b64 s[2:3], s[2:3]
	s_cbranch_execz .LBB11_36
; %bb.35:                               ;   in Loop: Header=BB11_4 Depth=1
	v_cmp_lt_f32_e64 vcc, |v56|, s38
	v_cndmask_b32_e64 v57, 0, 32, vcc
	v_ldexp_f32 v57, |v56|, v57
	v_log_f32_e32 v57, v57
	v_fma_f32 v59, |v56|, s50, v52
	v_fma_f32 v59, |v56|, v59, s51
	;; [unrolled: 1-line block ×3, first 2 shown]
	v_mul_f32_e32 v60, 0x3f317217, v57
	v_fma_f32 v61, v57, s39, -v60
	v_fmac_f32_e32 v61, 0x3377d1cf, v57
	v_add_f32_e32 v60, v60, v61
	v_cmp_lt_f32_e64 s[0:1], |v57|, s40
	v_cndmask_b32_e64 v57, v57, v60, s[0:1]
	v_cndmask_b32_e32 v60, 0, v51, vcc
	v_sub_f32_e32 v57, v57, v60
	v_fma_f32 v57, |v56|, v59, -v57
.LBB11_36:                              ;   in Loop: Header=BB11_4 Depth=1
	s_or_b64 exec, exec, s[2:3]
	v_cmp_le_f32_e32 vcc, 0, v56
	v_cmp_nle_f32_e64 s[0:1], 0, v56
	s_and_saveexec_b64 s[2:3], s[0:1]
	s_xor_b64 s[6:7], exec, s[2:3]
	s_cbranch_execz .LBB11_40
; %bb.37:                               ;   in Loop: Header=BB11_4 Depth=1
	v_cmp_lt_f32_e64 s[0:1], |v56|, s53
	v_cmp_gt_f32_e64 s[2:3], |v56|, s54
	s_and_b64 s[0:1], s[0:1], s[2:3]
	s_and_saveexec_b64 s[8:9], s[0:1]
	s_cbranch_execz .LBB11_39
; %bb.38:                               ;   in Loop: Header=BB11_4 Depth=1
	v_mul_f32_e64 v59, |v56|, 0.5
	v_floor_f32_e32 v60, v59
	v_sub_f32_e32 v60, v59, v60
	v_min_f32_e32 v60, 0x3f7fffff, v60
	v_add_f32_e32 v60, v60, v60
	v_cmp_neq_f32_e64 s[0:1], s40, v59
	v_cndmask_b32_e64 v59, 0, v60, s[0:1]
	v_cmp_gt_f32_e64 s[0:1], |v56|, 1.0
	v_cndmask_b32_e64 v59, |v56|, v59, s[0:1]
	v_add_f32_e32 v60, v59, v59
	v_rndne_f32_e32 v60, v60
	v_fmac_f32_e32 v59, -0.5, v60
	v_mul_f32_e32 v61, v59, v59
	v_mov_b32_e32 v62, 0xbf1f24be
	v_fmac_f32_e32 v62, 0x3e75aa41, v61
	v_fma_f32 v62, v61, v62, v45
	v_fma_f32 v62, v61, v62, v46
	v_mul_f32_e32 v63, v59, v61
	v_mul_f32_e32 v62, v63, v62
	v_fmac_f32_e32 v62, 0x40490fdb, v59
	v_mov_b32_e32 v59, 0x3e642e9d
	v_cvt_i32_f32_e32 v60, v60
	v_fmac_f32_e32 v59, 0x3d4be544, v61
	v_fma_f32 v59, v61, v59, v47
	v_fma_f32 v59, v61, v59, v48
	;; [unrolled: 1-line block ×3, first 2 shown]
	v_fma_f32 v59, v61, v59, 1.0
	v_and_b32_e32 v61, 1, v60
	v_cmp_eq_u32_e64 s[0:1], 0, v61
	v_lshlrev_b32_e32 v60, 30, v60
	v_cndmask_b32_e64 v59, v59, v62, s[0:1]
	v_and_or_b32 v58, v60, s42, v58
	v_xor_b32_e32 v58, v58, v59
	v_xor_b32_e32 v58, v58, v56
	v_mul_f32_e32 v58, v56, v58
	v_frexp_mant_f32_e64 v59, |v58|
	v_rcp_f32_e32 v59, v59
	v_frexp_exp_i32_f32_e32 v58, v58
	v_sub_u32_e32 v58, 2, v58
	v_mul_f32_e32 v59, 0x3f490fdb, v59
	v_ldexp_f32 v58, v59, v58
	v_cmp_gt_f32_e64 s[0:1], s38, v58
	v_cndmask_b32_e64 v59, 0, 32, s[0:1]
	v_ldexp_f32 v58, v58, v59
	v_log_f32_e32 v58, v58
	v_mul_f32_e32 v59, 0x3f317217, v58
	v_fma_f32 v60, v58, s39, -v59
	v_fmac_f32_e32 v60, 0x3377d1cf, v58
	v_add_f32_e32 v59, v59, v60
	v_cmp_lt_f32_e64 s[2:3], |v58|, s40
	v_cndmask_b32_e64 v58, v58, v59, s[2:3]
	v_cndmask_b32_e64 v59, 0, v51, s[0:1]
	v_sub_f32_e32 v58, v58, v59
	v_sub_f32_e32 v57, v58, v57
	v_floor_f32_e32 v58, v56
	v_sub_f32_e32 v58, v56, v58
	v_min_f32_e32 v58, 0x3f7fffff, v58
	v_cmp_neq_f32_e64 s[0:1], 0, v58
	v_cndmask_b32_e64 v57, v53, v57, s[0:1]
.LBB11_39:                              ;   in Loop: Header=BB11_4 Depth=1
	s_or_b64 exec, exec, s[8:9]
.LBB11_40:                              ;   in Loop: Header=BB11_4 Depth=1
	s_andn2_saveexec_b64 s[6:7], s[6:7]
; %bb.41:                               ;   in Loop: Header=BB11_4 Depth=1
	v_cmp_eq_f32_e64 s[0:1], 1.0, v56
	v_cmp_eq_f32_e64 s[2:3], 2.0, v56
	s_or_b64 s[0:1], s[0:1], s[2:3]
	v_cndmask_b32_e64 v57, v57, 0, s[0:1]
; %bb.42:                               ;   in Loop: Header=BB11_4 Depth=1
	s_or_b64 exec, exec, s[6:7]
	v_and_b32_e32 v58, 0xffff0000, v3
	v_and_b32_e32 v60, 0x7fffffff, v58
	v_cmp_nlt_f32_e64 s[0:1], |v58|, s35
                                        ; implicit-def: $vgpr59
	s_and_saveexec_b64 s[2:3], s[0:1]
	s_xor_b64 s[6:7], exec, s[2:3]
	s_cbranch_execz .LBB11_72
; %bb.43:                               ;   in Loop: Header=BB11_4 Depth=1
	v_cmp_nlt_f32_e64 s[0:1], |v58|, 2.0
                                        ; implicit-def: $vgpr59
	s_and_saveexec_b64 s[2:3], s[0:1]
	s_xor_b64 s[8:9], exec, s[2:3]
	s_cbranch_execz .LBB11_53
; %bb.44:                               ;   in Loop: Header=BB11_4 Depth=1
	v_cmp_nlt_f32_e64 s[0:1], |v58|, s36
                                        ; implicit-def: $vgpr59
	s_and_saveexec_b64 s[2:3], s[0:1]
	s_xor_b64 s[10:11], exec, s[2:3]
	s_cbranch_execz .LBB11_50
; %bb.45:                               ;   in Loop: Header=BB11_4 Depth=1
	v_cmp_nlt_f32_e64 s[0:1], |v58|, s37
                                        ; implicit-def: $vgpr59
	s_and_saveexec_b64 s[2:3], s[0:1]
	s_xor_b64 s[26:27], exec, s[2:3]
	s_cbranch_execz .LBB11_47
; %bb.46:                               ;   in Loop: Header=BB11_4 Depth=1
	v_cmp_lt_f32_e64 s[0:1], |v58|, s38
	v_cndmask_b32_e64 v59, 0, 32, s[0:1]
	v_ldexp_f32 v59, |v58|, v59
	v_log_f32_e32 v59, v59
	v_mul_f32_e32 v61, 0x3f317217, v59
	v_fma_f32 v62, v59, s39, -v61
	v_fmac_f32_e32 v62, 0x3377d1cf, v59
	v_add_f32_e32 v61, v61, v62
	v_cmp_lt_f32_e64 s[2:3], |v59|, s40
	v_cndmask_b32_e64 v59, v59, v61, s[2:3]
	v_cndmask_b32_e64 v61, 0, v51, s[0:1]
	v_sub_f32_e32 v59, v59, v61
	v_fma_f32 v59, |v58|, v59, -|v58|
.LBB11_47:                              ;   in Loop: Header=BB11_4 Depth=1
	s_andn2_saveexec_b64 s[26:27], s[26:27]
	s_cbranch_execz .LBB11_49
; %bb.48:                               ;   in Loop: Header=BB11_4 Depth=1
	v_rcp_f32_e64 v59, |v58|
	v_cmp_lt_f32_e64 s[0:1], |v58|, s38
	v_cndmask_b32_e64 v62, 0, 32, s[0:1]
	v_mov_b32_e32 v61, 0x3a5b3dd2
	v_mul_f32_e32 v63, v59, v59
	v_ldexp_f32 v62, |v58|, v62
	v_fmac_f32_e32 v61, 0xbad5c4e8, v63
	v_log_f32_e32 v62, v62
	v_fma_f32 v61, v63, v61, v8
	v_fma_f32 v61, v63, v61, v9
	;; [unrolled: 1-line block ×4, first 2 shown]
	v_mul_f32_e32 v63, 0x3f317217, v62
	v_fma_f32 v64, v62, s39, -v63
	v_fmac_f32_e32 v64, 0x3377d1cf, v62
	v_add_f32_e32 v63, v63, v64
	v_cmp_lt_f32_e64 s[2:3], |v62|, s40
	v_cndmask_b32_e64 v62, v62, v63, s[2:3]
	v_cndmask_b32_e64 v63, 0, v51, s[0:1]
	v_sub_f32_e32 v62, v62, v63
	v_fma_f32 v59, v59, v61, v12
	v_add_f32_e64 v61, |v58|, -0.5
	v_add_f32_e32 v62, -1.0, v62
	v_fmac_f32_e32 v59, v61, v62
.LBB11_49:                              ;   in Loop: Header=BB11_4 Depth=1
	s_or_b64 exec, exec, s[26:27]
.LBB11_50:                              ;   in Loop: Header=BB11_4 Depth=1
	s_andn2_saveexec_b64 s[10:11], s[10:11]
	s_cbranch_execz .LBB11_52
; %bb.51:                               ;   in Loop: Header=BB11_4 Depth=1
	v_cvt_i32_f32_e32 v59, v60
	v_mov_b32_e32 v63, 0x3a4beed6
	v_mov_b32_e32 v62, 0x3af135b4
	v_cvt_f32_i32_e32 v61, v59
	v_cmp_lt_i32_e64 s[0:1], 2, v59
	v_sub_f32_e64 v61, |v58|, v61
	v_add_f32_e32 v64, 2.0, v61
	v_add_f32_e32 v65, 0x40400000, v61
	v_cndmask_b32_e64 v64, 1.0, v64, s[0:1]
	v_cmp_lt_i32_e64 s[0:1], 3, v59
	v_add_f32_e32 v66, 4.0, v61
	v_cndmask_b32_e64 v65, 1.0, v65, s[0:1]
	v_cmp_lt_i32_e64 s[0:1], 4, v59
	v_fmac_f32_e32 v63, 0x36f5d7bd, v61
	v_add_f32_e32 v67, 0x40a00000, v61
	v_mul_f32_e32 v64, v64, v65
	v_cndmask_b32_e64 v65, 1.0, v66, s[0:1]
	v_cmp_lt_i32_e64 s[0:1], 5, v59
	v_fma_f32 v63, v61, v63, v18
	v_add_f32_e32 v68, 0x40c00000, v61
	v_mul_f32_e32 v64, v65, v64
	v_cndmask_b32_e64 v65, 1.0, v67, s[0:1]
	v_cmp_lt_i32_e64 s[0:1], 6, v59
	v_fma_f32 v63, v61, v63, v19
	v_mul_f32_e32 v64, v65, v64
	v_cndmask_b32_e64 v59, 1.0, v68, s[0:1]
	v_fmac_f32_e32 v62, 0x3805ff67, v61
	v_fma_f32 v63, v61, v63, v20
	v_mul_f32_e32 v59, v59, v64
	v_fma_f32 v62, v61, v62, v13
	v_fma_f32 v63, v61, v63, v21
	v_cmp_gt_f32_e64 s[0:1], s38, v59
	v_fma_f32 v62, v61, v62, v14
	v_fma_f32 v63, v61, v63, 1.0
	v_cndmask_b32_e64 v64, 0, 32, s[0:1]
	v_fma_f32 v62, v61, v62, v15
	v_rcp_f32_e32 v63, v63
	v_ldexp_f32 v59, v59, v64
	v_fma_f32 v62, v61, v62, v16
	v_log_f32_e32 v59, v59
	v_fma_f32 v62, v61, v62, v17
	v_mul_f32_e32 v62, v61, v62
	v_mul_f32_e32 v62, v62, v63
	v_fmac_f32_e32 v62, 0.5, v61
	v_mul_f32_e32 v61, 0x3f317217, v59
	v_fma_f32 v63, v59, s39, -v61
	v_fmac_f32_e32 v63, 0x3377d1cf, v59
	v_add_f32_e32 v61, v61, v63
	v_cmp_lt_f32_e64 s[2:3], |v59|, s40
	v_cndmask_b32_e64 v59, v59, v61, s[2:3]
	v_cndmask_b32_e64 v61, 0, v51, s[0:1]
	v_sub_f32_e32 v59, v59, v61
	v_add_f32_e32 v59, v59, v62
.LBB11_52:                              ;   in Loop: Header=BB11_4 Depth=1
	s_or_b64 exec, exec, s[10:11]
.LBB11_53:                              ;   in Loop: Header=BB11_4 Depth=1
	s_andn2_saveexec_b64 s[2:3], s[8:9]
	s_cbranch_execz .LBB11_71
; %bb.54:                               ;   in Loop: Header=BB11_4 Depth=1
	v_cmp_le_f32_e64 s[0:1], |v58|, s41
                                        ; implicit-def: $vgpr59
                                        ; implicit-def: $vgpr62
                                        ; implicit-def: $vgpr61
	s_and_saveexec_b64 s[8:9], s[0:1]
	s_xor_b64 s[8:9], exec, s[8:9]
	s_cbranch_execz .LBB11_56
; %bb.55:                               ;   in Loop: Header=BB11_4 Depth=1
	v_cmp_lt_f32_e64 s[0:1], |v58|, s38
	v_cndmask_b32_e64 v59, 0, 32, s[0:1]
	v_ldexp_f32 v59, |v58|, v59
	v_log_f32_e32 v59, v59
	v_cndmask_b32_e64 v61, 0, v51, s[0:1]
	v_mul_f32_e32 v62, 0x3f317217, v59
	v_fma_f32 v63, v59, s39, -v62
	v_fmac_f32_e32 v63, 0x3377d1cf, v59
	v_add_f32_e32 v62, v62, v63
	v_cmp_lt_f32_e64 s[0:1], |v59|, s40
	v_cndmask_b32_e64 v59, v59, v62, s[0:1]
	v_sub_f32_e32 v59, v59, v61
	v_sub_f32_e64 v61, 1.0, |v58|
	v_add_f32_e64 v62, |v58|, s44
	v_cmp_lt_f32_e64 s[0:1], |v58|, s43
	v_cndmask_b32_e64 v61, v61, v62, s[0:1]
	v_cndmask_b32_e64 v62, 0, 1, s[0:1]
	v_cmp_lt_f32_e64 s[0:1], |v58|, s45
	v_xor_b32_e32 v59, 0x80000000, v59
	v_cndmask_b32_e64 v61, v61, |v58|, s[0:1]
	v_cndmask_b32_e64 v62, v62, 2, s[0:1]
.LBB11_56:                              ;   in Loop: Header=BB11_4 Depth=1
	s_andn2_saveexec_b64 s[8:9], s[8:9]
	s_cbranch_execz .LBB11_58
; %bb.57:                               ;   in Loop: Header=BB11_4 Depth=1
	v_sub_f32_e64 v59, 2.0, |v58|
	v_add_f32_e64 v61, |v58|, s47
	v_cmp_lt_f32_e64 s[0:1], |v58|, s46
	v_cndmask_b32_e64 v61, v59, v61, s[0:1]
	v_cndmask_b32_e64 v59, v59, 1.0, s[0:1]
	v_cvt_i32_f32_e32 v59, v59
	v_add_f32_e64 v62, |v58|, -1.0
	v_cmp_lt_f32_e64 s[0:1], |v58|, s48
	v_cndmask_b32_e64 v61, v61, v62, s[0:1]
	v_cndmask_b32_e64 v62, v59, 2, s[0:1]
	v_mov_b32_e32 v59, 0
.LBB11_58:                              ;   in Loop: Header=BB11_4 Depth=1
	s_or_b64 exec, exec, s[8:9]
	v_cmp_lt_i32_e64 s[0:1], 0, v62
	s_and_saveexec_b64 s[8:9], s[0:1]
	s_xor_b64 s[8:9], exec, s[8:9]
	s_cbranch_execz .LBB11_66
; %bb.59:                               ;   in Loop: Header=BB11_4 Depth=1
	v_cmp_lt_i32_e64 s[0:1], 1, v62
	s_and_saveexec_b64 s[10:11], s[0:1]
	s_xor_b64 s[10:11], exec, s[10:11]
	s_cbranch_execz .LBB11_63
; %bb.60:                               ;   in Loop: Header=BB11_4 Depth=1
	v_cmp_eq_u32_e64 s[0:1], 2, v62
	s_and_saveexec_b64 s[26:27], s[0:1]
	s_cbranch_execz .LBB11_62
; %bb.61:                               ;   in Loop: Header=BB11_4 Depth=1
	v_mov_b32_e32 v63, 0x3dd572af
	v_fmac_f32_e32 v63, 0x3b52d5db, v61
	v_fma_f32 v63, v61, v63, v25
	v_mov_b32_e32 v62, 0x3e6a7578
	v_fma_f32 v63, v61, v63, v26
	v_fmac_f32_e32 v62, 0x3c5b3c5e, v61
	v_fma_f32 v63, v61, v63, v27
	v_fma_f32 v62, v61, v62, v22
	v_fma_f32 v63, v61, v63, 1.0
	v_fma_f32 v62, v61, v62, v23
	v_rcp_f32_e32 v63, v63
	v_fma_f32 v62, v61, v62, v24
	v_fma_f32 v62, v61, v62, v17
	v_mul_f32_e32 v62, v61, v62
	v_mul_f32_e32 v62, v62, v63
	v_fmac_f32_e32 v62, -0.5, v61
	v_add_f32_e32 v59, v59, v62
.LBB11_62:                              ;   in Loop: Header=BB11_4 Depth=1
	s_or_b64 exec, exec, s[26:27]
                                        ; implicit-def: $vgpr61
.LBB11_63:                              ;   in Loop: Header=BB11_4 Depth=1
	s_andn2_saveexec_b64 s[0:1], s[10:11]
	s_cbranch_execz .LBB11_65
; %bb.64:                               ;   in Loop: Header=BB11_4 Depth=1
	v_mul_f32_e32 v62, v61, v61
	v_mul_f32_e32 v63, v61, v62
	v_mov_b32_e32 v65, 0x3a66f867
	v_mov_b32_e32 v66, 0xba0d3085
	v_fmac_f32_e32 v65, 0xb9a3f927, v63
	v_fmac_f32_e32 v66, 0x39afe9f7, v63
	v_mov_b32_e32 v64, 0xbab7f476
	v_fma_f32 v65, v63, v65, v31
	v_fma_f32 v66, v63, v66, v34
	v_fmac_f32_e32 v64, 0x39a57b6b, v63
	v_fma_f32 v65, v63, v65, v32
	v_fma_f32 v66, v63, v66, v35
	;; [unrolled: 1-line block ×6, first 2 shown]
	v_fmac_f32_e32 v65, v61, v66
	v_fma_f32 v64, v63, v64, v30
	v_fma_f32 v61, v63, -v65, s49
	v_fma_f32 v61, v62, v64, -v61
	v_add_f32_e32 v61, 0xbdf8cdce, v61
	v_add_f32_e32 v59, v59, v61
.LBB11_65:                              ;   in Loop: Header=BB11_4 Depth=1
	s_or_b64 exec, exec, s[0:1]
                                        ; implicit-def: $vgpr62
                                        ; implicit-def: $vgpr61
.LBB11_66:                              ;   in Loop: Header=BB11_4 Depth=1
	s_andn2_saveexec_b64 s[8:9], s[8:9]
	s_cbranch_execz .LBB11_70
; %bb.67:                               ;   in Loop: Header=BB11_4 Depth=1
	v_cmp_eq_u32_e64 s[0:1], 0, v62
	s_and_saveexec_b64 s[10:11], s[0:1]
	s_cbranch_execz .LBB11_69
; %bb.68:                               ;   in Loop: Header=BB11_4 Depth=1
	v_mul_f32_e32 v62, v61, v61
	v_mov_b32_e32 v64, 0x38e28445
	v_mov_b32_e32 v63, 0x39679767
	v_fmac_f32_e32 v64, 0x383c2c75, v62
	v_fmac_f32_e32 v63, 0x37d383a2, v62
	v_fma_f32 v64, v62, v64, v41
	v_fma_f32 v63, v62, v63, v37
	v_fma_f32 v64, v62, v64, v42
	v_fma_f32 v63, v62, v63, v38
	v_fma_f32 v64, v62, v64, v43
	v_fma_f32 v63, v62, v63, v39
	v_fma_f32 v64, v62, v64, v44
	v_fma_f32 v63, v62, v63, v40
	v_mul_f32_e32 v62, v62, v64
	v_fmac_f32_e32 v62, v61, v63
	v_fmac_f32_e32 v62, -0.5, v61
	v_add_f32_e32 v59, v59, v62
.LBB11_69:                              ;   in Loop: Header=BB11_4 Depth=1
	s_or_b64 exec, exec, s[10:11]
.LBB11_70:                              ;   in Loop: Header=BB11_4 Depth=1
	s_or_b64 exec, exec, s[8:9]
.LBB11_71:                              ;   in Loop: Header=BB11_4 Depth=1
	s_or_b64 exec, exec, s[2:3]
.LBB11_72:                              ;   in Loop: Header=BB11_4 Depth=1
	s_andn2_saveexec_b64 s[6:7], s[6:7]
	s_cbranch_execz .LBB11_74
; %bb.73:                               ;   in Loop: Header=BB11_4 Depth=1
	v_cmp_lt_f32_e64 s[0:1], |v58|, s38
	v_cndmask_b32_e64 v59, 0, 32, s[0:1]
	v_ldexp_f32 v59, |v58|, v59
	v_log_f32_e32 v59, v59
	v_fma_f32 v61, |v58|, s50, v52
	v_fma_f32 v61, |v58|, v61, s51
	;; [unrolled: 1-line block ×3, first 2 shown]
	v_mul_f32_e32 v62, 0x3f317217, v59
	v_fma_f32 v63, v59, s39, -v62
	v_fmac_f32_e32 v63, 0x3377d1cf, v59
	v_add_f32_e32 v62, v62, v63
	v_cmp_lt_f32_e64 s[2:3], |v59|, s40
	v_cndmask_b32_e64 v59, v59, v62, s[2:3]
	v_cndmask_b32_e64 v62, 0, v51, s[0:1]
	v_sub_f32_e32 v59, v59, v62
	v_fma_f32 v59, |v58|, v61, -v59
.LBB11_74:                              ;   in Loop: Header=BB11_4 Depth=1
	s_or_b64 exec, exec, s[6:7]
	v_cmp_le_f32_e64 s[0:1], 0, v58
	v_cmp_nle_f32_e64 s[2:3], 0, v58
	s_and_saveexec_b64 s[6:7], s[2:3]
	s_xor_b64 s[8:9], exec, s[6:7]
	s_cbranch_execz .LBB11_78
; %bb.75:                               ;   in Loop: Header=BB11_4 Depth=1
	v_cmp_lt_f32_e64 s[2:3], |v58|, s53
	v_cmp_gt_f32_e64 s[6:7], |v58|, s54
	s_and_b64 s[2:3], s[2:3], s[6:7]
	s_and_saveexec_b64 s[10:11], s[2:3]
	s_cbranch_execz .LBB11_77
; %bb.76:                               ;   in Loop: Header=BB11_4 Depth=1
	v_mul_f32_e64 v61, |v58|, 0.5
	v_floor_f32_e32 v62, v61
	v_sub_f32_e32 v62, v61, v62
	v_min_f32_e32 v62, 0x3f7fffff, v62
	v_add_f32_e32 v62, v62, v62
	v_cmp_neq_f32_e64 s[2:3], s40, v61
	v_cndmask_b32_e64 v61, 0, v62, s[2:3]
	v_cmp_gt_f32_e64 s[2:3], |v58|, 1.0
	v_cndmask_b32_e64 v61, |v58|, v61, s[2:3]
	v_add_f32_e32 v62, v61, v61
	v_rndne_f32_e32 v62, v62
	v_fmac_f32_e32 v61, -0.5, v62
	v_mul_f32_e32 v63, v61, v61
	v_mov_b32_e32 v64, 0xbf1f24be
	v_fmac_f32_e32 v64, 0x3e75aa41, v63
	v_fma_f32 v64, v63, v64, v45
	v_fma_f32 v64, v63, v64, v46
	v_mul_f32_e32 v65, v61, v63
	v_mul_f32_e32 v64, v65, v64
	v_fmac_f32_e32 v64, 0x40490fdb, v61
	v_mov_b32_e32 v61, 0x3e642e9d
	v_cvt_i32_f32_e32 v62, v62
	v_fmac_f32_e32 v61, 0x3d4be544, v63
	v_fma_f32 v61, v63, v61, v47
	v_fma_f32 v61, v63, v61, v48
	;; [unrolled: 1-line block ×3, first 2 shown]
	v_fma_f32 v61, v63, v61, 1.0
	v_and_b32_e32 v63, 1, v62
	v_cmp_eq_u32_e64 s[2:3], 0, v63
	v_lshlrev_b32_e32 v62, 30, v62
	v_cndmask_b32_e64 v61, v61, v64, s[2:3]
	v_and_or_b32 v60, v62, s42, v60
	v_xor_b32_e32 v60, v60, v61
	v_xor_b32_e32 v60, v60, v58
	v_mul_f32_e32 v60, v58, v60
	v_frexp_mant_f32_e64 v61, |v60|
	v_rcp_f32_e32 v61, v61
	v_frexp_exp_i32_f32_e32 v60, v60
	v_sub_u32_e32 v60, 2, v60
	v_mul_f32_e32 v61, 0x3f490fdb, v61
	v_ldexp_f32 v60, v61, v60
	v_cmp_gt_f32_e64 s[2:3], s38, v60
	v_cndmask_b32_e64 v61, 0, 32, s[2:3]
	v_ldexp_f32 v60, v60, v61
	v_log_f32_e32 v60, v60
	v_mul_f32_e32 v61, 0x3f317217, v60
	v_fma_f32 v62, v60, s39, -v61
	v_fmac_f32_e32 v62, 0x3377d1cf, v60
	v_add_f32_e32 v61, v61, v62
	v_cmp_lt_f32_e64 s[6:7], |v60|, s40
	v_cndmask_b32_e64 v60, v60, v61, s[6:7]
	v_cndmask_b32_e64 v61, 0, v51, s[2:3]
	v_sub_f32_e32 v60, v60, v61
	v_sub_f32_e32 v59, v60, v59
	v_floor_f32_e32 v60, v58
	v_sub_f32_e32 v60, v58, v60
	v_min_f32_e32 v60, 0x3f7fffff, v60
	v_cmp_neq_f32_e64 s[2:3], 0, v60
	v_cndmask_b32_e64 v59, v53, v59, s[2:3]
.LBB11_77:                              ;   in Loop: Header=BB11_4 Depth=1
	s_or_b64 exec, exec, s[10:11]
.LBB11_78:                              ;   in Loop: Header=BB11_4 Depth=1
	s_andn2_saveexec_b64 s[8:9], s[8:9]
; %bb.79:                               ;   in Loop: Header=BB11_4 Depth=1
	v_cmp_eq_f32_e64 s[2:3], 1.0, v58
	v_cmp_eq_f32_e64 s[6:7], 2.0, v58
	s_or_b64 s[2:3], s[2:3], s[6:7]
	v_cndmask_b32_e64 v59, v59, 0, s[2:3]
; %bb.80:                               ;   in Loop: Header=BB11_4 Depth=1
	s_or_b64 exec, exec, s[8:9]
	v_alignbit_b32 v3, v4, v3, 16
	v_and_b32_e32 v3, 0xffff0000, v3
	v_and_b32_e32 v61, 0x7fffffff, v3
	v_cmp_nlt_f32_e64 s[2:3], |v3|, s35
                                        ; implicit-def: $vgpr60
	s_and_saveexec_b64 s[6:7], s[2:3]
	s_xor_b64 s[8:9], exec, s[6:7]
	s_cbranch_execz .LBB11_110
; %bb.81:                               ;   in Loop: Header=BB11_4 Depth=1
	v_cmp_nlt_f32_e64 s[2:3], |v3|, 2.0
                                        ; implicit-def: $vgpr60
	s_and_saveexec_b64 s[6:7], s[2:3]
	s_xor_b64 s[10:11], exec, s[6:7]
	s_cbranch_execz .LBB11_91
; %bb.82:                               ;   in Loop: Header=BB11_4 Depth=1
	v_cmp_nlt_f32_e64 s[2:3], |v3|, s36
                                        ; implicit-def: $vgpr60
	s_and_saveexec_b64 s[6:7], s[2:3]
	s_xor_b64 s[26:27], exec, s[6:7]
	s_cbranch_execz .LBB11_88
; %bb.83:                               ;   in Loop: Header=BB11_4 Depth=1
	v_cmp_nlt_f32_e64 s[2:3], |v3|, s37
                                        ; implicit-def: $vgpr60
	s_and_saveexec_b64 s[6:7], s[2:3]
	s_xor_b64 s[28:29], exec, s[6:7]
	s_cbranch_execz .LBB11_85
; %bb.84:                               ;   in Loop: Header=BB11_4 Depth=1
	v_cmp_lt_f32_e64 s[2:3], |v3|, s38
	v_cndmask_b32_e64 v60, 0, 32, s[2:3]
	v_ldexp_f32 v60, |v3|, v60
	v_log_f32_e32 v60, v60
	v_mul_f32_e32 v62, 0x3f317217, v60
	v_fma_f32 v63, v60, s39, -v62
	v_fmac_f32_e32 v63, 0x3377d1cf, v60
	v_add_f32_e32 v62, v62, v63
	v_cmp_lt_f32_e64 s[6:7], |v60|, s40
	v_cndmask_b32_e64 v60, v60, v62, s[6:7]
	v_cndmask_b32_e64 v62, 0, v51, s[2:3]
	v_sub_f32_e32 v60, v60, v62
	v_fma_f32 v60, |v3|, v60, -|v3|
.LBB11_85:                              ;   in Loop: Header=BB11_4 Depth=1
	s_andn2_saveexec_b64 s[28:29], s[28:29]
	s_cbranch_execz .LBB11_87
; %bb.86:                               ;   in Loop: Header=BB11_4 Depth=1
	v_rcp_f32_e64 v60, |v3|
	v_cmp_lt_f32_e64 s[2:3], |v3|, s38
	v_cndmask_b32_e64 v63, 0, 32, s[2:3]
	v_mov_b32_e32 v62, 0x3a5b3dd2
	v_mul_f32_e32 v64, v60, v60
	v_ldexp_f32 v63, |v3|, v63
	v_fmac_f32_e32 v62, 0xbad5c4e8, v64
	v_log_f32_e32 v63, v63
	v_fma_f32 v62, v64, v62, v8
	v_fma_f32 v62, v64, v62, v9
	;; [unrolled: 1-line block ×4, first 2 shown]
	v_mul_f32_e32 v64, 0x3f317217, v63
	v_fma_f32 v65, v63, s39, -v64
	v_fmac_f32_e32 v65, 0x3377d1cf, v63
	v_add_f32_e32 v64, v64, v65
	v_cmp_lt_f32_e64 s[6:7], |v63|, s40
	v_cndmask_b32_e64 v63, v63, v64, s[6:7]
	v_cndmask_b32_e64 v64, 0, v51, s[2:3]
	v_sub_f32_e32 v63, v63, v64
	v_fma_f32 v60, v60, v62, v12
	v_add_f32_e64 v62, |v3|, -0.5
	v_add_f32_e32 v63, -1.0, v63
	v_fmac_f32_e32 v60, v62, v63
.LBB11_87:                              ;   in Loop: Header=BB11_4 Depth=1
	s_or_b64 exec, exec, s[28:29]
.LBB11_88:                              ;   in Loop: Header=BB11_4 Depth=1
	s_andn2_saveexec_b64 s[26:27], s[26:27]
	s_cbranch_execz .LBB11_90
; %bb.89:                               ;   in Loop: Header=BB11_4 Depth=1
	v_cvt_i32_f32_e32 v60, v61
	v_mov_b32_e32 v64, 0x3a4beed6
	v_mov_b32_e32 v63, 0x3af135b4
	v_cvt_f32_i32_e32 v62, v60
	v_cmp_lt_i32_e64 s[2:3], 2, v60
	v_sub_f32_e64 v62, |v3|, v62
	v_add_f32_e32 v65, 2.0, v62
	v_add_f32_e32 v66, 0x40400000, v62
	v_cndmask_b32_e64 v65, 1.0, v65, s[2:3]
	v_cmp_lt_i32_e64 s[2:3], 3, v60
	v_add_f32_e32 v67, 4.0, v62
	v_cndmask_b32_e64 v66, 1.0, v66, s[2:3]
	v_cmp_lt_i32_e64 s[2:3], 4, v60
	v_fmac_f32_e32 v64, 0x36f5d7bd, v62
	v_add_f32_e32 v68, 0x40a00000, v62
	v_mul_f32_e32 v65, v65, v66
	v_cndmask_b32_e64 v66, 1.0, v67, s[2:3]
	v_cmp_lt_i32_e64 s[2:3], 5, v60
	v_fma_f32 v64, v62, v64, v18
	v_add_f32_e32 v69, 0x40c00000, v62
	v_mul_f32_e32 v65, v66, v65
	v_cndmask_b32_e64 v66, 1.0, v68, s[2:3]
	v_cmp_lt_i32_e64 s[2:3], 6, v60
	v_fma_f32 v64, v62, v64, v19
	v_mul_f32_e32 v65, v66, v65
	v_cndmask_b32_e64 v60, 1.0, v69, s[2:3]
	v_fmac_f32_e32 v63, 0x3805ff67, v62
	v_fma_f32 v64, v62, v64, v20
	v_mul_f32_e32 v60, v60, v65
	v_fma_f32 v63, v62, v63, v13
	v_fma_f32 v64, v62, v64, v21
	v_cmp_gt_f32_e64 s[2:3], s38, v60
	v_fma_f32 v63, v62, v63, v14
	v_fma_f32 v64, v62, v64, 1.0
	v_cndmask_b32_e64 v65, 0, 32, s[2:3]
	v_fma_f32 v63, v62, v63, v15
	v_rcp_f32_e32 v64, v64
	v_ldexp_f32 v60, v60, v65
	v_fma_f32 v63, v62, v63, v16
	v_log_f32_e32 v60, v60
	v_fma_f32 v63, v62, v63, v17
	v_mul_f32_e32 v63, v62, v63
	v_mul_f32_e32 v63, v63, v64
	v_fmac_f32_e32 v63, 0.5, v62
	v_mul_f32_e32 v62, 0x3f317217, v60
	v_fma_f32 v64, v60, s39, -v62
	v_fmac_f32_e32 v64, 0x3377d1cf, v60
	v_add_f32_e32 v62, v62, v64
	v_cmp_lt_f32_e64 s[6:7], |v60|, s40
	v_cndmask_b32_e64 v60, v60, v62, s[6:7]
	v_cndmask_b32_e64 v62, 0, v51, s[2:3]
	v_sub_f32_e32 v60, v60, v62
	v_add_f32_e32 v60, v60, v63
.LBB11_90:                              ;   in Loop: Header=BB11_4 Depth=1
	s_or_b64 exec, exec, s[26:27]
.LBB11_91:                              ;   in Loop: Header=BB11_4 Depth=1
	s_andn2_saveexec_b64 s[6:7], s[10:11]
	s_cbranch_execz .LBB11_109
; %bb.92:                               ;   in Loop: Header=BB11_4 Depth=1
	v_cmp_le_f32_e64 s[2:3], |v3|, s41
                                        ; implicit-def: $vgpr60
                                        ; implicit-def: $vgpr63
                                        ; implicit-def: $vgpr62
	s_and_saveexec_b64 s[10:11], s[2:3]
	s_xor_b64 s[10:11], exec, s[10:11]
	s_cbranch_execz .LBB11_94
; %bb.93:                               ;   in Loop: Header=BB11_4 Depth=1
	v_cmp_lt_f32_e64 s[2:3], |v3|, s38
	v_cndmask_b32_e64 v60, 0, 32, s[2:3]
	v_ldexp_f32 v60, |v3|, v60
	v_log_f32_e32 v60, v60
	v_cndmask_b32_e64 v62, 0, v51, s[2:3]
	v_mul_f32_e32 v63, 0x3f317217, v60
	v_fma_f32 v64, v60, s39, -v63
	v_fmac_f32_e32 v64, 0x3377d1cf, v60
	v_add_f32_e32 v63, v63, v64
	v_cmp_lt_f32_e64 s[2:3], |v60|, s40
	v_cndmask_b32_e64 v60, v60, v63, s[2:3]
	v_sub_f32_e32 v60, v60, v62
	v_sub_f32_e64 v62, 1.0, |v3|
	v_add_f32_e64 v63, |v3|, s44
	v_cmp_lt_f32_e64 s[2:3], |v3|, s43
	v_cndmask_b32_e64 v62, v62, v63, s[2:3]
	v_cndmask_b32_e64 v63, 0, 1, s[2:3]
	v_cmp_lt_f32_e64 s[2:3], |v3|, s45
	v_xor_b32_e32 v60, 0x80000000, v60
	v_cndmask_b32_e64 v62, v62, |v3|, s[2:3]
	v_cndmask_b32_e64 v63, v63, 2, s[2:3]
.LBB11_94:                              ;   in Loop: Header=BB11_4 Depth=1
	s_andn2_saveexec_b64 s[10:11], s[10:11]
	s_cbranch_execz .LBB11_96
; %bb.95:                               ;   in Loop: Header=BB11_4 Depth=1
	v_sub_f32_e64 v60, 2.0, |v3|
	v_add_f32_e64 v62, |v3|, s47
	v_cmp_lt_f32_e64 s[2:3], |v3|, s46
	v_cndmask_b32_e64 v62, v60, v62, s[2:3]
	v_cndmask_b32_e64 v60, v60, 1.0, s[2:3]
	v_cvt_i32_f32_e32 v60, v60
	v_add_f32_e64 v63, |v3|, -1.0
	v_cmp_lt_f32_e64 s[2:3], |v3|, s48
	v_cndmask_b32_e64 v62, v62, v63, s[2:3]
	v_cndmask_b32_e64 v63, v60, 2, s[2:3]
	v_mov_b32_e32 v60, 0
.LBB11_96:                              ;   in Loop: Header=BB11_4 Depth=1
	s_or_b64 exec, exec, s[10:11]
	v_cmp_lt_i32_e64 s[2:3], 0, v63
	s_and_saveexec_b64 s[10:11], s[2:3]
	s_xor_b64 s[10:11], exec, s[10:11]
	s_cbranch_execz .LBB11_104
; %bb.97:                               ;   in Loop: Header=BB11_4 Depth=1
	v_cmp_lt_i32_e64 s[2:3], 1, v63
	s_and_saveexec_b64 s[26:27], s[2:3]
	s_xor_b64 s[26:27], exec, s[26:27]
	s_cbranch_execz .LBB11_101
; %bb.98:                               ;   in Loop: Header=BB11_4 Depth=1
	v_cmp_eq_u32_e64 s[2:3], 2, v63
	s_and_saveexec_b64 s[28:29], s[2:3]
	s_cbranch_execz .LBB11_100
; %bb.99:                               ;   in Loop: Header=BB11_4 Depth=1
	v_mov_b32_e32 v64, 0x3dd572af
	v_fmac_f32_e32 v64, 0x3b52d5db, v62
	v_fma_f32 v64, v62, v64, v25
	v_mov_b32_e32 v63, 0x3e6a7578
	v_fma_f32 v64, v62, v64, v26
	v_fmac_f32_e32 v63, 0x3c5b3c5e, v62
	v_fma_f32 v64, v62, v64, v27
	v_fma_f32 v63, v62, v63, v22
	v_fma_f32 v64, v62, v64, 1.0
	v_fma_f32 v63, v62, v63, v23
	v_rcp_f32_e32 v64, v64
	v_fma_f32 v63, v62, v63, v24
	v_fma_f32 v63, v62, v63, v17
	v_mul_f32_e32 v63, v62, v63
	v_mul_f32_e32 v63, v63, v64
	v_fmac_f32_e32 v63, -0.5, v62
	v_add_f32_e32 v60, v60, v63
.LBB11_100:                             ;   in Loop: Header=BB11_4 Depth=1
	s_or_b64 exec, exec, s[28:29]
                                        ; implicit-def: $vgpr62
.LBB11_101:                             ;   in Loop: Header=BB11_4 Depth=1
	s_andn2_saveexec_b64 s[2:3], s[26:27]
	s_cbranch_execz .LBB11_103
; %bb.102:                              ;   in Loop: Header=BB11_4 Depth=1
	v_mul_f32_e32 v63, v62, v62
	v_mul_f32_e32 v64, v62, v63
	v_mov_b32_e32 v66, 0x3a66f867
	v_mov_b32_e32 v67, 0xba0d3085
	v_fmac_f32_e32 v66, 0xb9a3f927, v64
	v_fmac_f32_e32 v67, 0x39afe9f7, v64
	v_mov_b32_e32 v65, 0xbab7f476
	v_fma_f32 v66, v64, v66, v31
	v_fma_f32 v67, v64, v67, v34
	v_fmac_f32_e32 v65, 0x39a57b6b, v64
	v_fma_f32 v66, v64, v66, v32
	v_fma_f32 v67, v64, v67, v35
	;; [unrolled: 1-line block ×6, first 2 shown]
	v_fmac_f32_e32 v66, v62, v67
	v_fma_f32 v65, v64, v65, v30
	v_fma_f32 v62, v64, -v66, s49
	v_fma_f32 v62, v63, v65, -v62
	v_add_f32_e32 v62, 0xbdf8cdce, v62
	v_add_f32_e32 v60, v60, v62
.LBB11_103:                             ;   in Loop: Header=BB11_4 Depth=1
	s_or_b64 exec, exec, s[2:3]
                                        ; implicit-def: $vgpr63
                                        ; implicit-def: $vgpr62
.LBB11_104:                             ;   in Loop: Header=BB11_4 Depth=1
	s_andn2_saveexec_b64 s[10:11], s[10:11]
	s_cbranch_execz .LBB11_108
; %bb.105:                              ;   in Loop: Header=BB11_4 Depth=1
	v_cmp_eq_u32_e64 s[2:3], 0, v63
	s_and_saveexec_b64 s[26:27], s[2:3]
	s_cbranch_execz .LBB11_107
; %bb.106:                              ;   in Loop: Header=BB11_4 Depth=1
	v_mul_f32_e32 v63, v62, v62
	v_mov_b32_e32 v65, 0x38e28445
	v_mov_b32_e32 v64, 0x39679767
	v_fmac_f32_e32 v65, 0x383c2c75, v63
	v_fmac_f32_e32 v64, 0x37d383a2, v63
	v_fma_f32 v65, v63, v65, v41
	v_fma_f32 v64, v63, v64, v37
	;; [unrolled: 1-line block ×8, first 2 shown]
	v_mul_f32_e32 v63, v63, v65
	v_fmac_f32_e32 v63, v62, v64
	v_fmac_f32_e32 v63, -0.5, v62
	v_add_f32_e32 v60, v60, v63
.LBB11_107:                             ;   in Loop: Header=BB11_4 Depth=1
	s_or_b64 exec, exec, s[26:27]
.LBB11_108:                             ;   in Loop: Header=BB11_4 Depth=1
	s_or_b64 exec, exec, s[10:11]
.LBB11_109:                             ;   in Loop: Header=BB11_4 Depth=1
	s_or_b64 exec, exec, s[6:7]
.LBB11_110:                             ;   in Loop: Header=BB11_4 Depth=1
	s_andn2_saveexec_b64 s[8:9], s[8:9]
	s_cbranch_execz .LBB11_112
; %bb.111:                              ;   in Loop: Header=BB11_4 Depth=1
	v_cmp_lt_f32_e64 s[2:3], |v3|, s38
	v_cndmask_b32_e64 v60, 0, 32, s[2:3]
	v_ldexp_f32 v60, |v3|, v60
	v_log_f32_e32 v60, v60
	v_fma_f32 v62, |v3|, s50, v52
	v_fma_f32 v62, |v3|, v62, s51
	;; [unrolled: 1-line block ×3, first 2 shown]
	v_mul_f32_e32 v63, 0x3f317217, v60
	v_fma_f32 v64, v60, s39, -v63
	v_fmac_f32_e32 v64, 0x3377d1cf, v60
	v_add_f32_e32 v63, v63, v64
	v_cmp_lt_f32_e64 s[6:7], |v60|, s40
	v_cndmask_b32_e64 v60, v60, v63, s[6:7]
	v_cndmask_b32_e64 v63, 0, v51, s[2:3]
	v_sub_f32_e32 v60, v60, v63
	v_fma_f32 v60, |v3|, v62, -v60
.LBB11_112:                             ;   in Loop: Header=BB11_4 Depth=1
	s_or_b64 exec, exec, s[8:9]
	v_cmp_le_f32_e64 s[2:3], 0, v3
	v_cmp_nle_f32_e64 s[6:7], 0, v3
	s_and_saveexec_b64 s[8:9], s[6:7]
	s_xor_b64 s[10:11], exec, s[8:9]
	s_cbranch_execz .LBB11_116
; %bb.113:                              ;   in Loop: Header=BB11_4 Depth=1
	v_cmp_lt_f32_e64 s[6:7], |v3|, s53
	v_cmp_gt_f32_e64 s[8:9], |v3|, s54
	s_and_b64 s[6:7], s[6:7], s[8:9]
	s_and_saveexec_b64 s[26:27], s[6:7]
	s_cbranch_execz .LBB11_115
; %bb.114:                              ;   in Loop: Header=BB11_4 Depth=1
	v_mul_f32_e64 v62, |v3|, 0.5
	v_floor_f32_e32 v63, v62
	v_sub_f32_e32 v63, v62, v63
	v_min_f32_e32 v63, 0x3f7fffff, v63
	v_add_f32_e32 v63, v63, v63
	v_cmp_neq_f32_e64 s[6:7], s40, v62
	v_cndmask_b32_e64 v62, 0, v63, s[6:7]
	v_cmp_gt_f32_e64 s[6:7], |v3|, 1.0
	v_cndmask_b32_e64 v62, |v3|, v62, s[6:7]
	v_add_f32_e32 v63, v62, v62
	v_rndne_f32_e32 v63, v63
	v_fmac_f32_e32 v62, -0.5, v63
	v_mul_f32_e32 v64, v62, v62
	v_mov_b32_e32 v65, 0xbf1f24be
	v_fmac_f32_e32 v65, 0x3e75aa41, v64
	v_fma_f32 v65, v64, v65, v45
	v_fma_f32 v65, v64, v65, v46
	v_mul_f32_e32 v66, v62, v64
	v_mul_f32_e32 v65, v66, v65
	v_fmac_f32_e32 v65, 0x40490fdb, v62
	v_mov_b32_e32 v62, 0x3e642e9d
	v_cvt_i32_f32_e32 v63, v63
	v_fmac_f32_e32 v62, 0x3d4be544, v64
	v_fma_f32 v62, v64, v62, v47
	v_fma_f32 v62, v64, v62, v48
	;; [unrolled: 1-line block ×3, first 2 shown]
	v_fma_f32 v62, v64, v62, 1.0
	v_and_b32_e32 v64, 1, v63
	v_cmp_eq_u32_e64 s[6:7], 0, v64
	v_lshlrev_b32_e32 v63, 30, v63
	v_cndmask_b32_e64 v62, v62, v65, s[6:7]
	v_and_or_b32 v61, v63, s42, v61
	v_xor_b32_e32 v61, v61, v62
	v_xor_b32_e32 v61, v61, v3
	v_mul_f32_e32 v61, v3, v61
	v_frexp_mant_f32_e64 v62, |v61|
	v_rcp_f32_e32 v62, v62
	v_frexp_exp_i32_f32_e32 v61, v61
	v_sub_u32_e32 v61, 2, v61
	v_mul_f32_e32 v62, 0x3f490fdb, v62
	v_ldexp_f32 v61, v62, v61
	v_cmp_gt_f32_e64 s[6:7], s38, v61
	v_cndmask_b32_e64 v62, 0, 32, s[6:7]
	v_ldexp_f32 v61, v61, v62
	v_log_f32_e32 v61, v61
	v_mul_f32_e32 v62, 0x3f317217, v61
	v_fma_f32 v63, v61, s39, -v62
	v_fmac_f32_e32 v63, 0x3377d1cf, v61
	v_add_f32_e32 v62, v62, v63
	v_cmp_lt_f32_e64 s[8:9], |v61|, s40
	v_cndmask_b32_e64 v61, v61, v62, s[8:9]
	v_cndmask_b32_e64 v62, 0, v51, s[6:7]
	v_sub_f32_e32 v61, v61, v62
	v_sub_f32_e32 v60, v61, v60
	v_floor_f32_e32 v61, v3
	v_sub_f32_e32 v61, v3, v61
	v_min_f32_e32 v61, 0x3f7fffff, v61
	v_cmp_neq_f32_e64 s[6:7], 0, v61
	v_cndmask_b32_e64 v60, v53, v60, s[6:7]
.LBB11_115:                             ;   in Loop: Header=BB11_4 Depth=1
	s_or_b64 exec, exec, s[26:27]
.LBB11_116:                             ;   in Loop: Header=BB11_4 Depth=1
	s_andn2_saveexec_b64 s[10:11], s[10:11]
; %bb.117:                              ;   in Loop: Header=BB11_4 Depth=1
	v_cmp_eq_f32_e64 s[6:7], 1.0, v3
	v_cmp_eq_f32_e64 s[8:9], 2.0, v3
	s_or_b64 s[6:7], s[6:7], s[8:9]
	v_cndmask_b32_e64 v60, v60, 0, s[6:7]
; %bb.118:                              ;   in Loop: Header=BB11_4 Depth=1
	s_or_b64 exec, exec, s[10:11]
	v_and_b32_e32 v4, 0xffff0000, v4
	v_and_b32_e32 v61, 0x7fffffff, v4
	v_cmp_nlt_f32_e64 s[6:7], |v4|, s35
                                        ; implicit-def: $vgpr62
	s_and_saveexec_b64 s[8:9], s[6:7]
	s_xor_b64 s[10:11], exec, s[8:9]
	s_cbranch_execz .LBB11_148
; %bb.119:                              ;   in Loop: Header=BB11_4 Depth=1
	v_cmp_nlt_f32_e64 s[6:7], |v4|, 2.0
                                        ; implicit-def: $vgpr62
	s_and_saveexec_b64 s[8:9], s[6:7]
	s_xor_b64 s[26:27], exec, s[8:9]
	s_cbranch_execz .LBB11_129
; %bb.120:                              ;   in Loop: Header=BB11_4 Depth=1
	v_cmp_nlt_f32_e64 s[6:7], |v4|, s36
                                        ; implicit-def: $vgpr62
	s_and_saveexec_b64 s[8:9], s[6:7]
	s_xor_b64 s[28:29], exec, s[8:9]
	s_cbranch_execz .LBB11_126
; %bb.121:                              ;   in Loop: Header=BB11_4 Depth=1
	v_cmp_nlt_f32_e64 s[6:7], |v4|, s37
                                        ; implicit-def: $vgpr62
	s_and_saveexec_b64 s[8:9], s[6:7]
	s_xor_b64 s[30:31], exec, s[8:9]
	s_cbranch_execz .LBB11_123
; %bb.122:                              ;   in Loop: Header=BB11_4 Depth=1
	v_cmp_lt_f32_e64 s[6:7], |v4|, s38
	v_cndmask_b32_e64 v62, 0, 32, s[6:7]
	v_ldexp_f32 v62, |v4|, v62
	v_log_f32_e32 v62, v62
	v_mul_f32_e32 v63, 0x3f317217, v62
	v_fma_f32 v64, v62, s39, -v63
	v_fmac_f32_e32 v64, 0x3377d1cf, v62
	v_add_f32_e32 v63, v63, v64
	v_cmp_lt_f32_e64 s[8:9], |v62|, s40
	v_cndmask_b32_e64 v62, v62, v63, s[8:9]
	v_cndmask_b32_e64 v63, 0, v51, s[6:7]
	v_sub_f32_e32 v62, v62, v63
	v_fma_f32 v62, |v4|, v62, -|v4|
.LBB11_123:                             ;   in Loop: Header=BB11_4 Depth=1
	s_andn2_saveexec_b64 s[30:31], s[30:31]
	s_cbranch_execz .LBB11_125
; %bb.124:                              ;   in Loop: Header=BB11_4 Depth=1
	v_rcp_f32_e64 v62, |v4|
	v_cmp_lt_f32_e64 s[6:7], |v4|, s38
	v_cndmask_b32_e64 v64, 0, 32, s[6:7]
	v_mov_b32_e32 v63, 0x3a5b3dd2
	v_mul_f32_e32 v65, v62, v62
	v_ldexp_f32 v64, |v4|, v64
	v_fmac_f32_e32 v63, 0xbad5c4e8, v65
	v_log_f32_e32 v64, v64
	v_fma_f32 v63, v65, v63, v8
	v_fma_f32 v63, v65, v63, v9
	;; [unrolled: 1-line block ×4, first 2 shown]
	v_mul_f32_e32 v65, 0x3f317217, v64
	v_fma_f32 v66, v64, s39, -v65
	v_fmac_f32_e32 v66, 0x3377d1cf, v64
	v_add_f32_e32 v65, v65, v66
	v_cmp_lt_f32_e64 s[8:9], |v64|, s40
	v_cndmask_b32_e64 v64, v64, v65, s[8:9]
	v_cndmask_b32_e64 v65, 0, v51, s[6:7]
	v_sub_f32_e32 v64, v64, v65
	v_fma_f32 v62, v62, v63, v12
	v_add_f32_e64 v63, |v4|, -0.5
	v_add_f32_e32 v64, -1.0, v64
	v_fmac_f32_e32 v62, v63, v64
.LBB11_125:                             ;   in Loop: Header=BB11_4 Depth=1
	s_or_b64 exec, exec, s[30:31]
.LBB11_126:                             ;   in Loop: Header=BB11_4 Depth=1
	s_andn2_saveexec_b64 s[28:29], s[28:29]
	s_cbranch_execz .LBB11_128
; %bb.127:                              ;   in Loop: Header=BB11_4 Depth=1
	v_cvt_i32_f32_e32 v62, v61
	v_mov_b32_e32 v65, 0x3a4beed6
	v_mov_b32_e32 v64, 0x3af135b4
	v_cvt_f32_i32_e32 v63, v62
	v_cmp_lt_i32_e64 s[6:7], 2, v62
	v_sub_f32_e64 v63, |v4|, v63
	v_add_f32_e32 v66, 2.0, v63
	v_add_f32_e32 v67, 0x40400000, v63
	v_cndmask_b32_e64 v66, 1.0, v66, s[6:7]
	v_cmp_lt_i32_e64 s[6:7], 3, v62
	v_add_f32_e32 v68, 4.0, v63
	v_cndmask_b32_e64 v67, 1.0, v67, s[6:7]
	v_cmp_lt_i32_e64 s[6:7], 4, v62
	v_fmac_f32_e32 v65, 0x36f5d7bd, v63
	v_add_f32_e32 v69, 0x40a00000, v63
	v_mul_f32_e32 v66, v66, v67
	v_cndmask_b32_e64 v67, 1.0, v68, s[6:7]
	v_cmp_lt_i32_e64 s[6:7], 5, v62
	v_fma_f32 v65, v63, v65, v18
	v_add_f32_e32 v70, 0x40c00000, v63
	v_mul_f32_e32 v66, v67, v66
	v_cndmask_b32_e64 v67, 1.0, v69, s[6:7]
	v_cmp_lt_i32_e64 s[6:7], 6, v62
	v_fma_f32 v65, v63, v65, v19
	v_mul_f32_e32 v66, v67, v66
	v_cndmask_b32_e64 v62, 1.0, v70, s[6:7]
	v_fmac_f32_e32 v64, 0x3805ff67, v63
	v_fma_f32 v65, v63, v65, v20
	v_mul_f32_e32 v62, v62, v66
	v_fma_f32 v64, v63, v64, v13
	v_fma_f32 v65, v63, v65, v21
	v_cmp_gt_f32_e64 s[6:7], s38, v62
	v_fma_f32 v64, v63, v64, v14
	v_fma_f32 v65, v63, v65, 1.0
	v_cndmask_b32_e64 v66, 0, 32, s[6:7]
	v_fma_f32 v64, v63, v64, v15
	v_rcp_f32_e32 v65, v65
	v_ldexp_f32 v62, v62, v66
	v_fma_f32 v64, v63, v64, v16
	v_log_f32_e32 v62, v62
	v_fma_f32 v64, v63, v64, v17
	v_mul_f32_e32 v64, v63, v64
	v_mul_f32_e32 v64, v64, v65
	v_fmac_f32_e32 v64, 0.5, v63
	v_mul_f32_e32 v63, 0x3f317217, v62
	v_fma_f32 v65, v62, s39, -v63
	v_fmac_f32_e32 v65, 0x3377d1cf, v62
	v_add_f32_e32 v63, v63, v65
	v_cmp_lt_f32_e64 s[8:9], |v62|, s40
	v_cndmask_b32_e64 v62, v62, v63, s[8:9]
	v_cndmask_b32_e64 v63, 0, v51, s[6:7]
	v_sub_f32_e32 v62, v62, v63
	v_add_f32_e32 v62, v62, v64
.LBB11_128:                             ;   in Loop: Header=BB11_4 Depth=1
	s_or_b64 exec, exec, s[28:29]
.LBB11_129:                             ;   in Loop: Header=BB11_4 Depth=1
	s_andn2_saveexec_b64 s[8:9], s[26:27]
	s_cbranch_execz .LBB11_147
; %bb.130:                              ;   in Loop: Header=BB11_4 Depth=1
	v_cmp_le_f32_e64 s[6:7], |v4|, s41
                                        ; implicit-def: $vgpr62
                                        ; implicit-def: $vgpr64
                                        ; implicit-def: $vgpr63
	s_and_saveexec_b64 s[26:27], s[6:7]
	s_xor_b64 s[26:27], exec, s[26:27]
	s_cbranch_execz .LBB11_132
; %bb.131:                              ;   in Loop: Header=BB11_4 Depth=1
	v_cmp_lt_f32_e64 s[6:7], |v4|, s38
	v_cndmask_b32_e64 v62, 0, 32, s[6:7]
	v_ldexp_f32 v62, |v4|, v62
	v_log_f32_e32 v62, v62
	v_cndmask_b32_e64 v63, 0, v51, s[6:7]
	v_mul_f32_e32 v64, 0x3f317217, v62
	v_fma_f32 v65, v62, s39, -v64
	v_fmac_f32_e32 v65, 0x3377d1cf, v62
	v_add_f32_e32 v64, v64, v65
	v_cmp_lt_f32_e64 s[6:7], |v62|, s40
	v_cndmask_b32_e64 v62, v62, v64, s[6:7]
	v_sub_f32_e32 v62, v62, v63
	v_sub_f32_e64 v63, 1.0, |v4|
	v_add_f32_e64 v64, |v4|, s44
	v_cmp_lt_f32_e64 s[6:7], |v4|, s43
	v_cndmask_b32_e64 v63, v63, v64, s[6:7]
	v_cndmask_b32_e64 v64, 0, 1, s[6:7]
	v_cmp_lt_f32_e64 s[6:7], |v4|, s45
	v_xor_b32_e32 v62, 0x80000000, v62
	v_cndmask_b32_e64 v63, v63, |v4|, s[6:7]
	v_cndmask_b32_e64 v64, v64, 2, s[6:7]
.LBB11_132:                             ;   in Loop: Header=BB11_4 Depth=1
	s_andn2_saveexec_b64 s[26:27], s[26:27]
	s_cbranch_execz .LBB11_134
; %bb.133:                              ;   in Loop: Header=BB11_4 Depth=1
	v_sub_f32_e64 v62, 2.0, |v4|
	v_add_f32_e64 v63, |v4|, s47
	v_cmp_lt_f32_e64 s[6:7], |v4|, s46
	v_cndmask_b32_e64 v63, v62, v63, s[6:7]
	v_cndmask_b32_e64 v62, v62, 1.0, s[6:7]
	v_cvt_i32_f32_e32 v62, v62
	v_add_f32_e64 v64, |v4|, -1.0
	v_cmp_lt_f32_e64 s[6:7], |v4|, s48
	v_cndmask_b32_e64 v63, v63, v64, s[6:7]
	v_cndmask_b32_e64 v64, v62, 2, s[6:7]
	v_mov_b32_e32 v62, 0
.LBB11_134:                             ;   in Loop: Header=BB11_4 Depth=1
	s_or_b64 exec, exec, s[26:27]
	v_cmp_lt_i32_e64 s[6:7], 0, v64
	s_and_saveexec_b64 s[26:27], s[6:7]
	s_xor_b64 s[26:27], exec, s[26:27]
	s_cbranch_execz .LBB11_142
; %bb.135:                              ;   in Loop: Header=BB11_4 Depth=1
	v_cmp_lt_i32_e64 s[6:7], 1, v64
	s_and_saveexec_b64 s[28:29], s[6:7]
	s_xor_b64 s[28:29], exec, s[28:29]
	s_cbranch_execz .LBB11_139
; %bb.136:                              ;   in Loop: Header=BB11_4 Depth=1
	v_cmp_eq_u32_e64 s[6:7], 2, v64
	s_and_saveexec_b64 s[30:31], s[6:7]
	s_cbranch_execz .LBB11_138
; %bb.137:                              ;   in Loop: Header=BB11_4 Depth=1
	v_mov_b32_e32 v65, 0x3dd572af
	v_fmac_f32_e32 v65, 0x3b52d5db, v63
	v_fma_f32 v65, v63, v65, v25
	v_mov_b32_e32 v64, 0x3e6a7578
	v_fma_f32 v65, v63, v65, v26
	v_fmac_f32_e32 v64, 0x3c5b3c5e, v63
	v_fma_f32 v65, v63, v65, v27
	v_fma_f32 v64, v63, v64, v22
	v_fma_f32 v65, v63, v65, 1.0
	v_fma_f32 v64, v63, v64, v23
	v_rcp_f32_e32 v65, v65
	v_fma_f32 v64, v63, v64, v24
	v_fma_f32 v64, v63, v64, v17
	v_mul_f32_e32 v64, v63, v64
	v_mul_f32_e32 v64, v64, v65
	v_fmac_f32_e32 v64, -0.5, v63
	v_add_f32_e32 v62, v62, v64
.LBB11_138:                             ;   in Loop: Header=BB11_4 Depth=1
	s_or_b64 exec, exec, s[30:31]
                                        ; implicit-def: $vgpr63
.LBB11_139:                             ;   in Loop: Header=BB11_4 Depth=1
	s_andn2_saveexec_b64 s[6:7], s[28:29]
	s_cbranch_execz .LBB11_141
; %bb.140:                              ;   in Loop: Header=BB11_4 Depth=1
	v_mul_f32_e32 v64, v63, v63
	v_mul_f32_e32 v65, v63, v64
	v_mov_b32_e32 v67, 0x3a66f867
	v_mov_b32_e32 v68, 0xba0d3085
	v_fmac_f32_e32 v67, 0xb9a3f927, v65
	v_fmac_f32_e32 v68, 0x39afe9f7, v65
	v_mov_b32_e32 v66, 0xbab7f476
	v_fma_f32 v67, v65, v67, v31
	v_fma_f32 v68, v65, v68, v34
	v_fmac_f32_e32 v66, 0x39a57b6b, v65
	v_fma_f32 v67, v65, v67, v32
	v_fma_f32 v68, v65, v68, v35
	;; [unrolled: 1-line block ×6, first 2 shown]
	v_fmac_f32_e32 v67, v63, v68
	v_fma_f32 v66, v65, v66, v30
	v_fma_f32 v63, v65, -v67, s49
	v_fma_f32 v63, v64, v66, -v63
	v_add_f32_e32 v63, 0xbdf8cdce, v63
	v_add_f32_e32 v62, v62, v63
.LBB11_141:                             ;   in Loop: Header=BB11_4 Depth=1
	s_or_b64 exec, exec, s[6:7]
                                        ; implicit-def: $vgpr64
                                        ; implicit-def: $vgpr63
.LBB11_142:                             ;   in Loop: Header=BB11_4 Depth=1
	s_andn2_saveexec_b64 s[26:27], s[26:27]
	s_cbranch_execz .LBB11_146
; %bb.143:                              ;   in Loop: Header=BB11_4 Depth=1
	v_cmp_eq_u32_e64 s[6:7], 0, v64
	s_and_saveexec_b64 s[28:29], s[6:7]
	s_cbranch_execz .LBB11_145
; %bb.144:                              ;   in Loop: Header=BB11_4 Depth=1
	v_mul_f32_e32 v64, v63, v63
	v_mov_b32_e32 v66, 0x38e28445
	v_mov_b32_e32 v65, 0x39679767
	v_fmac_f32_e32 v66, 0x383c2c75, v64
	v_fmac_f32_e32 v65, 0x37d383a2, v64
	v_fma_f32 v66, v64, v66, v41
	v_fma_f32 v65, v64, v65, v37
	;; [unrolled: 1-line block ×8, first 2 shown]
	v_mul_f32_e32 v64, v64, v66
	v_fmac_f32_e32 v64, v63, v65
	v_fmac_f32_e32 v64, -0.5, v63
	v_add_f32_e32 v62, v62, v64
.LBB11_145:                             ;   in Loop: Header=BB11_4 Depth=1
	s_or_b64 exec, exec, s[28:29]
.LBB11_146:                             ;   in Loop: Header=BB11_4 Depth=1
	s_or_b64 exec, exec, s[26:27]
.LBB11_147:                             ;   in Loop: Header=BB11_4 Depth=1
	s_or_b64 exec, exec, s[8:9]
.LBB11_148:                             ;   in Loop: Header=BB11_4 Depth=1
	s_andn2_saveexec_b64 s[10:11], s[10:11]
	s_cbranch_execz .LBB11_150
; %bb.149:                              ;   in Loop: Header=BB11_4 Depth=1
	v_cmp_lt_f32_e64 s[6:7], |v4|, s38
	v_cndmask_b32_e64 v62, 0, 32, s[6:7]
	v_ldexp_f32 v62, |v4|, v62
	v_log_f32_e32 v62, v62
	v_fma_f32 v63, |v4|, s50, v52
	v_fma_f32 v63, |v4|, v63, s51
	;; [unrolled: 1-line block ×3, first 2 shown]
	v_mul_f32_e32 v64, 0x3f317217, v62
	v_fma_f32 v65, v62, s39, -v64
	v_fmac_f32_e32 v65, 0x3377d1cf, v62
	v_add_f32_e32 v64, v64, v65
	v_cmp_lt_f32_e64 s[8:9], |v62|, s40
	v_cndmask_b32_e64 v62, v62, v64, s[8:9]
	v_cndmask_b32_e64 v64, 0, v51, s[6:7]
	v_sub_f32_e32 v62, v62, v64
	v_fma_f32 v62, |v4|, v63, -v62
.LBB11_150:                             ;   in Loop: Header=BB11_4 Depth=1
	s_or_b64 exec, exec, s[10:11]
	v_cmp_le_f32_e64 s[6:7], 0, v4
	v_cmp_nle_f32_e64 s[8:9], 0, v4
	s_and_saveexec_b64 s[10:11], s[8:9]
	s_xor_b64 s[26:27], exec, s[10:11]
	s_cbranch_execz .LBB11_154
; %bb.151:                              ;   in Loop: Header=BB11_4 Depth=1
	v_cmp_lt_f32_e64 s[8:9], |v4|, s53
	v_cmp_gt_f32_e64 s[10:11], |v4|, s54
	s_and_b64 s[8:9], s[8:9], s[10:11]
	s_and_saveexec_b64 s[28:29], s[8:9]
	s_cbranch_execz .LBB11_153
; %bb.152:                              ;   in Loop: Header=BB11_4 Depth=1
	v_mul_f32_e64 v63, |v4|, 0.5
	v_floor_f32_e32 v64, v63
	v_sub_f32_e32 v64, v63, v64
	v_min_f32_e32 v64, 0x3f7fffff, v64
	v_add_f32_e32 v64, v64, v64
	v_cmp_neq_f32_e64 s[8:9], s40, v63
	v_cndmask_b32_e64 v63, 0, v64, s[8:9]
	v_cmp_gt_f32_e64 s[8:9], |v4|, 1.0
	v_cndmask_b32_e64 v63, |v4|, v63, s[8:9]
	v_add_f32_e32 v64, v63, v63
	v_rndne_f32_e32 v64, v64
	v_fmac_f32_e32 v63, -0.5, v64
	v_mul_f32_e32 v65, v63, v63
	v_mov_b32_e32 v66, 0xbf1f24be
	v_fmac_f32_e32 v66, 0x3e75aa41, v65
	v_fma_f32 v66, v65, v66, v45
	v_fma_f32 v66, v65, v66, v46
	v_mul_f32_e32 v67, v63, v65
	v_mul_f32_e32 v66, v67, v66
	v_fmac_f32_e32 v66, 0x40490fdb, v63
	v_mov_b32_e32 v63, 0x3e642e9d
	v_cvt_i32_f32_e32 v64, v64
	v_fmac_f32_e32 v63, 0x3d4be544, v65
	v_fma_f32 v63, v65, v63, v47
	v_fma_f32 v63, v65, v63, v48
	;; [unrolled: 1-line block ×3, first 2 shown]
	v_fma_f32 v63, v65, v63, 1.0
	v_and_b32_e32 v65, 1, v64
	v_cmp_eq_u32_e64 s[8:9], 0, v65
	v_lshlrev_b32_e32 v64, 30, v64
	v_cndmask_b32_e64 v63, v63, v66, s[8:9]
	v_and_or_b32 v61, v64, s42, v61
	v_xor_b32_e32 v61, v61, v63
	v_xor_b32_e32 v61, v61, v4
	v_mul_f32_e32 v61, v4, v61
	v_frexp_mant_f32_e64 v63, |v61|
	v_rcp_f32_e32 v63, v63
	v_frexp_exp_i32_f32_e32 v61, v61
	v_sub_u32_e32 v61, 2, v61
	v_mul_f32_e32 v63, 0x3f490fdb, v63
	v_ldexp_f32 v61, v63, v61
	v_cmp_gt_f32_e64 s[8:9], s38, v61
	v_cndmask_b32_e64 v63, 0, 32, s[8:9]
	v_ldexp_f32 v61, v61, v63
	v_log_f32_e32 v61, v61
	v_mul_f32_e32 v63, 0x3f317217, v61
	v_fma_f32 v64, v61, s39, -v63
	v_fmac_f32_e32 v64, 0x3377d1cf, v61
	v_add_f32_e32 v63, v63, v64
	v_cmp_lt_f32_e64 s[10:11], |v61|, s40
	v_cndmask_b32_e64 v61, v61, v63, s[10:11]
	v_cndmask_b32_e64 v63, 0, v51, s[8:9]
	v_sub_f32_e32 v61, v61, v63
	v_sub_f32_e32 v61, v61, v62
	v_floor_f32_e32 v62, v4
	v_sub_f32_e32 v62, v4, v62
	v_min_f32_e32 v62, 0x3f7fffff, v62
	v_cmp_neq_f32_e64 s[8:9], 0, v62
	v_cndmask_b32_e64 v62, v53, v61, s[8:9]
.LBB11_153:                             ;   in Loop: Header=BB11_4 Depth=1
	s_or_b64 exec, exec, s[28:29]
.LBB11_154:                             ;   in Loop: Header=BB11_4 Depth=1
	s_andn2_saveexec_b64 s[26:27], s[26:27]
	s_cbranch_execz .LBB11_3
; %bb.155:                              ;   in Loop: Header=BB11_4 Depth=1
	v_cmp_eq_f32_e64 s[8:9], 1.0, v4
	v_cmp_eq_f32_e64 s[10:11], 2.0, v4
	s_or_b64 s[8:9], s[8:9], s[10:11]
	v_cndmask_b32_e64 v62, v62, 0, s[8:9]
	s_branch .LBB11_3
.LBB11_156:
	s_or_b64 exec, exec, s[22:23]
	s_mov_b64 s[0:1], 0
.LBB11_157:
	s_andn2_b64 vcc, exec, s[0:1]
	s_cbranch_vccnz .LBB11_329
; %bb.158:
	v_cmp_lt_i64_e64 s[0:1], s[16:17], 1
	s_and_b64 vcc, exec, s[0:1]
	s_cbranch_vccnz .LBB11_329
; %bb.159:
	v_mov_b32_e32 v1, 0x10000
	s_load_dword s2, s[4:5], 0xc5c
	v_mov_b32_e32 v2, 0
	v_cmp_lt_i64_e32 vcc, s[16:17], v[1:2]
	v_mov_b32_e32 v10, 0
	s_and_b64 s[0:1], vcc, exec
	v_cmp_lt_u64_e32 vcc, s[16:17], v[1:2]
	s_cselect_b32 s21, s17, 0
	s_cselect_b32 s20, s16, 0x10000
	s_waitcnt lgkmcnt(0)
	s_and_b32 s2, s2, 0xffff
	v_lshlrev_b32_e32 v9, 1, v0
	s_and_b64 s[0:1], vcc, exec
	v_mov_b32_e32 v2, s15
	v_add_co_u32_e32 v1, vcc, s14, v9
	v_mad_u64_u32 v[7:8], s[0:1], s2, 6, v[9:10]
	v_addc_co_u32_e32 v2, vcc, 0, v2, vcc
	v_mov_b32_e32 v4, s13
	v_add_co_u32_e32 v3, vcc, s12, v9
	v_addc_co_u32_e32 v4, vcc, 0, v4, vcc
	v_mov_b32_e32 v6, s15
	v_add_co_u32_e32 v5, vcc, s14, v7
	;; [unrolled: 3-line block ×3, first 2 shown]
	s_cselect_b32 s23, s17, 0
	s_cselect_b32 s22, s16, 0x10000
	s_lshl_b32 s33, s2, 2
	v_addc_co_u32_e32 v8, vcc, v10, v8, vcc
	v_add_co_u32_e32 v11, vcc, s33, v9
	v_addc_co_u32_e64 v12, s[0:1], 0, 0, vcc
	v_mov_b32_e32 v10, s15
	v_add_co_u32_e32 v9, vcc, s14, v11
	v_addc_co_u32_e32 v10, vcc, v10, v12, vcc
	v_mov_b32_e32 v13, s13
	v_add_co_u32_e32 v11, vcc, s12, v11
	v_addc_co_u32_e32 v12, vcc, v13, v12, vcc
	v_add_co_u32_e32 v13, vcc, s2, v0
	v_lshlrev_b32_e32 v17, 1, v13
	v_addc_co_u32_e64 v14, s[0:1], 0, 0, vcc
	v_mov_b32_e32 v16, s15
	v_add_co_u32_e32 v15, vcc, s14, v17
	v_addc_co_u32_e32 v16, vcc, 0, v16, vcc
	v_mov_b32_e32 v18, s13
	v_add_co_u32_e32 v17, vcc, s12, v17
	s_mul_i32 s4, s2, 3
	v_addc_co_u32_e32 v18, vcc, 0, v18, vcc
	s_lshl_b32 s3, s2, 1
	v_add_co_u32_e32 v19, vcc, s4, v0
	v_addc_co_u32_e64 v20, s[0:1], 0, 0, vcc
	v_add_co_u32_e32 v21, vcc, s3, v0
	s_lshl_b32 s34, s2, 3
	s_mov_b64 s[24:25], 0
	s_mov_b32 s35, 0x3c800000
	s_mov_b32 s36, 0x41000000
	;; [unrolled: 1-line block ×7, first 2 shown]
	s_brev_b32 s42, 1
	s_mov_b32 s43, 0x3f3b4a23
	s_mov_b32 s44, 0xbeec5b0c
	;; [unrolled: 1-line block ×12, first 2 shown]
	s_movk_i32 s55, 0x7fff
	v_addc_co_u32_e64 v22, s[0:1], 0, 0, vcc
	v_mov_b32_e32 v23, 0xba1c065c
	v_mov_b32_e32 v24, 0x3a500cfd
	;; [unrolled: 1-line block ×47, first 2 shown]
	s_branch .LBB11_161
.LBB11_160:                             ;   in Loop: Header=BB11_161 Depth=1
	s_or_b64 exec, exec, s[2:3]
	v_add_co_u32_e32 v1, vcc, s34, v1
	v_addc_co_u32_e32 v2, vcc, 0, v2, vcc
	v_add_co_u32_e32 v3, vcc, s34, v3
	v_addc_co_u32_e32 v4, vcc, 0, v4, vcc
	;; [unrolled: 2-line block ×6, first 2 shown]
	s_add_u32 s24, s24, s33
	v_add_co_u32_e32 v15, vcc, s34, v15
	v_mov_b32_e32 v71, s21
	s_addc_u32 s25, s25, 0
	v_addc_co_u32_e32 v16, vcc, 0, v16, vcc
	v_mov_b32_e32 v70, s20
	v_cmp_ge_i64_e32 vcc, s[24:25], v[70:71]
	v_add_co_u32_e64 v17, s[0:1], s34, v17
	v_addc_co_u32_e64 v18, s[0:1], 0, v18, s[0:1]
	s_cbranch_vccnz .LBB11_329
.LBB11_161:                             ; =>This Inner Loop Header: Depth=1
	v_mov_b32_e32 v71, s25
	v_add_co_u32_e32 v70, vcc, s24, v0
	v_addc_co_u32_e32 v71, vcc, 0, v71, vcc
	v_cmp_gt_u64_e32 vcc, s[22:23], v[70:71]
	v_mov_b32_e32 v73, 0
	s_and_saveexec_b64 s[2:3], vcc
	s_cbranch_execz .LBB11_163
; %bb.162:                              ;   in Loop: Header=BB11_161 Depth=1
	v_mov_b32_e32 v71, s19
	v_add_co_u32_e64 v70, s[0:1], s18, v1
	v_addc_co_u32_e64 v71, s[0:1], v2, v71, s[0:1]
	global_load_ushort v70, v[70:71], off
	s_waitcnt vmcnt(0)
	v_lshlrev_b32_e32 v73, 16, v70
.LBB11_163:                             ;   in Loop: Header=BB11_161 Depth=1
	s_or_b64 exec, exec, s[2:3]
	v_mov_b32_e32 v71, s25
	v_add_co_u32_e64 v70, s[0:1], s24, v13
	v_addc_co_u32_e64 v71, s[0:1], v14, v71, s[0:1]
	v_cmp_gt_u64_e64 s[4:5], s[22:23], v[70:71]
	v_mov_b32_e32 v70, 0
	v_mov_b32_e32 v72, 0
	s_and_saveexec_b64 s[2:3], s[4:5]
	s_cbranch_execz .LBB11_165
; %bb.164:                              ;   in Loop: Header=BB11_161 Depth=1
	v_mov_b32_e32 v72, s19
	v_add_co_u32_e64 v71, s[0:1], s18, v15
	v_addc_co_u32_e64 v72, s[0:1], v16, v72, s[0:1]
	global_load_ushort v71, v[71:72], off
	s_waitcnt vmcnt(0)
	v_lshlrev_b32_e32 v72, 16, v71
.LBB11_165:                             ;   in Loop: Header=BB11_161 Depth=1
	s_or_b64 exec, exec, s[2:3]
	v_mov_b32_e32 v71, s25
	v_add_co_u32_e64 v74, s[0:1], s24, v21
	v_addc_co_u32_e64 v75, s[0:1], v22, v71, s[0:1]
	v_cmp_gt_u64_e64 s[2:3], s[22:23], v[74:75]
	s_and_saveexec_b64 s[6:7], s[2:3]
	s_cbranch_execz .LBB11_167
; %bb.166:                              ;   in Loop: Header=BB11_161 Depth=1
	v_mov_b32_e32 v71, s19
	v_add_co_u32_e64 v70, s[0:1], s18, v9
	v_addc_co_u32_e64 v71, s[0:1], v10, v71, s[0:1]
	global_load_ushort v70, v[70:71], off
	s_waitcnt vmcnt(0)
	v_lshlrev_b32_e32 v70, 16, v70
.LBB11_167:                             ;   in Loop: Header=BB11_161 Depth=1
	s_or_b64 exec, exec, s[6:7]
	v_mov_b32_e32 v71, s25
	v_add_co_u32_e64 v74, s[0:1], s24, v19
	v_addc_co_u32_e64 v75, s[0:1], v20, v71, s[0:1]
	v_cmp_gt_u64_e64 s[0:1], s[22:23], v[74:75]
	v_mov_b32_e32 v71, 0
	s_and_saveexec_b64 s[8:9], s[0:1]
	s_cbranch_execz .LBB11_169
; %bb.168:                              ;   in Loop: Header=BB11_161 Depth=1
	v_mov_b32_e32 v71, s19
	v_add_co_u32_e64 v74, s[6:7], s18, v5
	v_addc_co_u32_e64 v75, s[6:7], v6, v71, s[6:7]
	global_load_ushort v71, v[74:75], off
	s_waitcnt vmcnt(0)
	v_lshlrev_b32_e32 v71, 16, v71
.LBB11_169:                             ;   in Loop: Header=BB11_161 Depth=1
	s_or_b64 exec, exec, s[8:9]
	v_and_b32_e32 v75, 0x7fffffff, v73
	v_cmp_nlt_f32_e64 s[6:7], |v73|, s35
                                        ; implicit-def: $vgpr74
	s_and_saveexec_b64 s[8:9], s[6:7]
	s_xor_b64 s[10:11], exec, s[8:9]
	s_cbranch_execz .LBB11_199
; %bb.170:                              ;   in Loop: Header=BB11_161 Depth=1
	v_cmp_nlt_f32_e64 s[6:7], |v73|, 2.0
                                        ; implicit-def: $vgpr74
	s_and_saveexec_b64 s[8:9], s[6:7]
	s_xor_b64 s[12:13], exec, s[8:9]
	s_cbranch_execz .LBB11_180
; %bb.171:                              ;   in Loop: Header=BB11_161 Depth=1
	v_cmp_nlt_f32_e64 s[6:7], |v73|, s36
                                        ; implicit-def: $vgpr74
	s_and_saveexec_b64 s[8:9], s[6:7]
	s_xor_b64 s[14:15], exec, s[8:9]
	s_cbranch_execz .LBB11_177
; %bb.172:                              ;   in Loop: Header=BB11_161 Depth=1
	v_cmp_nlt_f32_e64 s[6:7], |v73|, s37
                                        ; implicit-def: $vgpr74
	s_and_saveexec_b64 s[8:9], s[6:7]
	s_xor_b64 s[16:17], exec, s[8:9]
	s_cbranch_execz .LBB11_174
; %bb.173:                              ;   in Loop: Header=BB11_161 Depth=1
	v_cmp_lt_f32_e64 s[6:7], |v73|, s38
	v_cndmask_b32_e64 v74, 0, 32, s[6:7]
	v_ldexp_f32 v74, |v73|, v74
	v_log_f32_e32 v74, v74
	v_mul_f32_e32 v76, 0x3f317217, v74
	v_fma_f32 v77, v74, s39, -v76
	v_fmac_f32_e32 v77, 0x3377d1cf, v74
	v_add_f32_e32 v76, v76, v77
	v_cmp_lt_f32_e64 s[8:9], |v74|, s40
	v_cndmask_b32_e64 v74, v74, v76, s[8:9]
	v_cndmask_b32_e64 v76, 0, v66, s[6:7]
	v_sub_f32_e32 v74, v74, v76
	v_fma_f32 v74, |v73|, v74, -|v73|
.LBB11_174:                             ;   in Loop: Header=BB11_161 Depth=1
	s_andn2_saveexec_b64 s[16:17], s[16:17]
	s_cbranch_execz .LBB11_176
; %bb.175:                              ;   in Loop: Header=BB11_161 Depth=1
	v_rcp_f32_e64 v74, |v73|
	v_cmp_lt_f32_e64 s[6:7], |v73|, s38
	v_cndmask_b32_e64 v77, 0, 32, s[6:7]
	v_mov_b32_e32 v76, 0x3a5b3dd2
	v_mul_f32_e32 v78, v74, v74
	v_ldexp_f32 v77, |v73|, v77
	v_fmac_f32_e32 v76, 0xbad5c4e8, v78
	v_log_f32_e32 v77, v77
	v_fma_f32 v76, v78, v76, v23
	v_fma_f32 v76, v78, v76, v24
	;; [unrolled: 1-line block ×4, first 2 shown]
	v_mul_f32_e32 v78, 0x3f317217, v77
	v_fma_f32 v79, v77, s39, -v78
	v_fmac_f32_e32 v79, 0x3377d1cf, v77
	v_add_f32_e32 v78, v78, v79
	v_cmp_lt_f32_e64 s[8:9], |v77|, s40
	v_cndmask_b32_e64 v77, v77, v78, s[8:9]
	v_cndmask_b32_e64 v78, 0, v66, s[6:7]
	v_sub_f32_e32 v77, v77, v78
	v_fma_f32 v74, v74, v76, v27
	v_add_f32_e64 v76, |v73|, -0.5
	v_add_f32_e32 v77, -1.0, v77
	v_fmac_f32_e32 v74, v76, v77
.LBB11_176:                             ;   in Loop: Header=BB11_161 Depth=1
	s_or_b64 exec, exec, s[16:17]
.LBB11_177:                             ;   in Loop: Header=BB11_161 Depth=1
	s_andn2_saveexec_b64 s[14:15], s[14:15]
	s_cbranch_execz .LBB11_179
; %bb.178:                              ;   in Loop: Header=BB11_161 Depth=1
	v_cvt_i32_f32_e32 v74, v75
	v_mov_b32_e32 v78, 0x3a4beed6
	v_mov_b32_e32 v77, 0x3af135b4
	v_cvt_f32_i32_e32 v76, v74
	v_cmp_lt_i32_e64 s[6:7], 2, v74
	v_sub_f32_e64 v76, |v73|, v76
	v_fmac_f32_e32 v78, 0x36f5d7bd, v76
	v_fma_f32 v78, v76, v78, v33
	v_fma_f32 v78, v76, v78, v34
	v_fmac_f32_e32 v77, 0x3805ff67, v76
	v_fma_f32 v78, v76, v78, v35
	v_fma_f32 v77, v76, v77, v28
	;; [unrolled: 1-line block ×4, first 2 shown]
	v_fma_f32 v78, v76, v78, 1.0
	v_fma_f32 v77, v76, v77, v30
	v_rcp_f32_e32 v78, v78
	v_fma_f32 v77, v76, v77, v31
	v_fma_f32 v77, v76, v77, v32
	v_mul_f32_e32 v77, v76, v77
	v_mul_f32_e32 v77, v77, v78
	v_add_f32_e32 v78, 2.0, v76
	v_add_f32_e32 v79, 0x40400000, v76
	v_cndmask_b32_e64 v78, 1.0, v78, s[6:7]
	v_cmp_lt_i32_e64 s[6:7], 3, v74
	v_add_f32_e32 v80, 4.0, v76
	v_cndmask_b32_e64 v79, 1.0, v79, s[6:7]
	v_cmp_lt_i32_e64 s[6:7], 4, v74
	v_add_f32_e32 v81, 0x40a00000, v76
	v_mul_f32_e32 v78, v78, v79
	v_cndmask_b32_e64 v79, 1.0, v80, s[6:7]
	v_cmp_lt_i32_e64 s[6:7], 5, v74
	v_fmac_f32_e32 v77, 0.5, v76
	v_add_f32_e32 v76, 0x40c00000, v76
	v_mul_f32_e32 v78, v79, v78
	v_cndmask_b32_e64 v79, 1.0, v81, s[6:7]
	v_cmp_lt_i32_e64 s[6:7], 6, v74
	v_mul_f32_e32 v78, v79, v78
	v_cndmask_b32_e64 v74, 1.0, v76, s[6:7]
	v_mul_f32_e32 v74, v74, v78
	v_cmp_gt_f32_e64 s[6:7], s38, v74
	v_cndmask_b32_e64 v76, 0, 32, s[6:7]
	v_ldexp_f32 v74, v74, v76
	v_log_f32_e32 v74, v74
	v_mul_f32_e32 v76, 0x3f317217, v74
	v_fma_f32 v78, v74, s39, -v76
	v_fmac_f32_e32 v78, 0x3377d1cf, v74
	v_add_f32_e32 v76, v76, v78
	v_cmp_lt_f32_e64 s[8:9], |v74|, s40
	v_cndmask_b32_e64 v74, v74, v76, s[8:9]
	v_cndmask_b32_e64 v76, 0, v66, s[6:7]
	v_sub_f32_e32 v74, v74, v76
	v_add_f32_e32 v74, v74, v77
.LBB11_179:                             ;   in Loop: Header=BB11_161 Depth=1
	s_or_b64 exec, exec, s[14:15]
.LBB11_180:                             ;   in Loop: Header=BB11_161 Depth=1
	s_andn2_saveexec_b64 s[8:9], s[12:13]
	s_cbranch_execz .LBB11_198
; %bb.181:                              ;   in Loop: Header=BB11_161 Depth=1
	v_cmp_le_f32_e64 s[6:7], |v73|, s41
                                        ; implicit-def: $vgpr74
                                        ; implicit-def: $vgpr77
                                        ; implicit-def: $vgpr76
	s_and_saveexec_b64 s[12:13], s[6:7]
	s_xor_b64 s[12:13], exec, s[12:13]
	s_cbranch_execz .LBB11_183
; %bb.182:                              ;   in Loop: Header=BB11_161 Depth=1
	v_cmp_lt_f32_e64 s[6:7], |v73|, s38
	v_cndmask_b32_e64 v74, 0, 32, s[6:7]
	v_ldexp_f32 v74, |v73|, v74
	v_log_f32_e32 v74, v74
	v_cndmask_b32_e64 v76, 0, v66, s[6:7]
	v_mul_f32_e32 v77, 0x3f317217, v74
	v_fma_f32 v78, v74, s39, -v77
	v_fmac_f32_e32 v78, 0x3377d1cf, v74
	v_add_f32_e32 v77, v77, v78
	v_cmp_lt_f32_e64 s[6:7], |v74|, s40
	v_cndmask_b32_e64 v74, v74, v77, s[6:7]
	v_sub_f32_e32 v74, v74, v76
	v_sub_f32_e64 v76, 1.0, |v73|
	v_add_f32_e64 v77, |v73|, s44
	v_cmp_lt_f32_e64 s[6:7], |v73|, s43
	v_cndmask_b32_e64 v76, v76, v77, s[6:7]
	v_cndmask_b32_e64 v77, 0, 1, s[6:7]
	v_cmp_lt_f32_e64 s[6:7], |v73|, s45
	v_xor_b32_e32 v74, 0x80000000, v74
	v_cndmask_b32_e64 v76, v76, |v73|, s[6:7]
	v_cndmask_b32_e64 v77, v77, 2, s[6:7]
.LBB11_183:                             ;   in Loop: Header=BB11_161 Depth=1
	s_andn2_saveexec_b64 s[12:13], s[12:13]
	s_cbranch_execz .LBB11_185
; %bb.184:                              ;   in Loop: Header=BB11_161 Depth=1
	v_sub_f32_e64 v74, 2.0, |v73|
	v_add_f32_e64 v76, |v73|, s47
	v_cmp_lt_f32_e64 s[6:7], |v73|, s46
	v_cndmask_b32_e64 v76, v74, v76, s[6:7]
	v_cndmask_b32_e64 v74, v74, 1.0, s[6:7]
	v_cvt_i32_f32_e32 v74, v74
	v_add_f32_e64 v77, |v73|, -1.0
	v_cmp_lt_f32_e64 s[6:7], |v73|, s48
	v_cndmask_b32_e64 v76, v76, v77, s[6:7]
	v_cndmask_b32_e64 v77, v74, 2, s[6:7]
	v_mov_b32_e32 v74, 0
.LBB11_185:                             ;   in Loop: Header=BB11_161 Depth=1
	s_or_b64 exec, exec, s[12:13]
	v_cmp_lt_i32_e64 s[6:7], 0, v77
	s_and_saveexec_b64 s[12:13], s[6:7]
	s_xor_b64 s[12:13], exec, s[12:13]
	s_cbranch_execz .LBB11_193
; %bb.186:                              ;   in Loop: Header=BB11_161 Depth=1
	v_cmp_lt_i32_e64 s[6:7], 1, v77
	s_and_saveexec_b64 s[14:15], s[6:7]
	s_xor_b64 s[14:15], exec, s[14:15]
	s_cbranch_execz .LBB11_190
; %bb.187:                              ;   in Loop: Header=BB11_161 Depth=1
	v_cmp_eq_u32_e64 s[6:7], 2, v77
	s_and_saveexec_b64 s[16:17], s[6:7]
	s_cbranch_execz .LBB11_189
; %bb.188:                              ;   in Loop: Header=BB11_161 Depth=1
	v_mov_b32_e32 v78, 0x3dd572af
	v_fmac_f32_e32 v78, 0x3b52d5db, v76
	v_fma_f32 v78, v76, v78, v40
	v_mov_b32_e32 v77, 0x3e6a7578
	v_fma_f32 v78, v76, v78, v41
	v_fmac_f32_e32 v77, 0x3c5b3c5e, v76
	v_fma_f32 v78, v76, v78, v42
	v_fma_f32 v77, v76, v77, v37
	v_fma_f32 v78, v76, v78, 1.0
	v_fma_f32 v77, v76, v77, v38
	v_rcp_f32_e32 v78, v78
	v_fma_f32 v77, v76, v77, v39
	v_fma_f32 v77, v76, v77, v32
	v_mul_f32_e32 v77, v76, v77
	v_mul_f32_e32 v77, v77, v78
	v_fmac_f32_e32 v77, -0.5, v76
	v_add_f32_e32 v74, v74, v77
.LBB11_189:                             ;   in Loop: Header=BB11_161 Depth=1
	s_or_b64 exec, exec, s[16:17]
                                        ; implicit-def: $vgpr76
.LBB11_190:                             ;   in Loop: Header=BB11_161 Depth=1
	s_andn2_saveexec_b64 s[6:7], s[14:15]
	s_cbranch_execz .LBB11_192
; %bb.191:                              ;   in Loop: Header=BB11_161 Depth=1
	v_mul_f32_e32 v77, v76, v76
	v_mul_f32_e32 v78, v76, v77
	v_mov_b32_e32 v80, 0x3a66f867
	v_mov_b32_e32 v81, 0xba0d3085
	v_fmac_f32_e32 v80, 0xb9a3f927, v78
	v_fmac_f32_e32 v81, 0x39afe9f7, v78
	v_mov_b32_e32 v79, 0xbab7f476
	v_fma_f32 v80, v78, v80, v46
	v_fma_f32 v81, v78, v81, v49
	v_fmac_f32_e32 v79, 0x39a57b6b, v78
	v_fma_f32 v80, v78, v80, v47
	v_fma_f32 v81, v78, v81, v50
	;; [unrolled: 1-line block ×6, first 2 shown]
	v_fmac_f32_e32 v80, v76, v81
	v_fma_f32 v79, v78, v79, v45
	v_fma_f32 v76, v78, -v80, s49
	v_fma_f32 v76, v77, v79, -v76
	v_add_f32_e32 v76, 0xbdf8cdce, v76
	v_add_f32_e32 v74, v74, v76
.LBB11_192:                             ;   in Loop: Header=BB11_161 Depth=1
	s_or_b64 exec, exec, s[6:7]
                                        ; implicit-def: $vgpr77
                                        ; implicit-def: $vgpr76
.LBB11_193:                             ;   in Loop: Header=BB11_161 Depth=1
	s_andn2_saveexec_b64 s[12:13], s[12:13]
	s_cbranch_execz .LBB11_197
; %bb.194:                              ;   in Loop: Header=BB11_161 Depth=1
	v_cmp_eq_u32_e64 s[6:7], 0, v77
	s_and_saveexec_b64 s[14:15], s[6:7]
	s_cbranch_execz .LBB11_196
; %bb.195:                              ;   in Loop: Header=BB11_161 Depth=1
	v_mul_f32_e32 v77, v76, v76
	v_mov_b32_e32 v79, 0x38e28445
	v_mov_b32_e32 v78, 0x39679767
	v_fmac_f32_e32 v79, 0x383c2c75, v77
	v_fmac_f32_e32 v78, 0x37d383a2, v77
	v_fma_f32 v79, v77, v79, v56
	v_fma_f32 v78, v77, v78, v52
	;; [unrolled: 1-line block ×8, first 2 shown]
	v_mul_f32_e32 v77, v77, v79
	v_fmac_f32_e32 v77, v76, v78
	v_fmac_f32_e32 v77, -0.5, v76
	v_add_f32_e32 v74, v74, v77
.LBB11_196:                             ;   in Loop: Header=BB11_161 Depth=1
	s_or_b64 exec, exec, s[14:15]
.LBB11_197:                             ;   in Loop: Header=BB11_161 Depth=1
	s_or_b64 exec, exec, s[12:13]
.LBB11_198:                             ;   in Loop: Header=BB11_161 Depth=1
	s_or_b64 exec, exec, s[8:9]
.LBB11_199:                             ;   in Loop: Header=BB11_161 Depth=1
	s_andn2_saveexec_b64 s[10:11], s[10:11]
	s_cbranch_execz .LBB11_201
; %bb.200:                              ;   in Loop: Header=BB11_161 Depth=1
	v_cmp_lt_f32_e64 s[6:7], |v73|, s38
	v_cndmask_b32_e64 v74, 0, 32, s[6:7]
	v_ldexp_f32 v74, |v73|, v74
	v_log_f32_e32 v74, v74
	v_fma_f32 v76, |v73|, s50, v67
	v_fma_f32 v76, |v73|, v76, s51
	;; [unrolled: 1-line block ×3, first 2 shown]
	v_mul_f32_e32 v77, 0x3f317217, v74
	v_fma_f32 v78, v74, s39, -v77
	v_fmac_f32_e32 v78, 0x3377d1cf, v74
	v_add_f32_e32 v77, v77, v78
	v_cmp_lt_f32_e64 s[8:9], |v74|, s40
	v_cndmask_b32_e64 v74, v74, v77, s[8:9]
	v_cndmask_b32_e64 v77, 0, v66, s[6:7]
	v_sub_f32_e32 v74, v74, v77
	v_fma_f32 v74, |v73|, v76, -v74
.LBB11_201:                             ;   in Loop: Header=BB11_161 Depth=1
	s_or_b64 exec, exec, s[10:11]
	v_cmp_le_f32_e64 s[6:7], 0, v73
	v_cmp_nle_f32_e64 s[8:9], 0, v73
	s_and_saveexec_b64 s[10:11], s[8:9]
	s_xor_b64 s[12:13], exec, s[10:11]
	s_cbranch_execz .LBB11_205
; %bb.202:                              ;   in Loop: Header=BB11_161 Depth=1
	v_cmp_lt_f32_e64 s[8:9], |v73|, s53
	v_cmp_gt_f32_e64 s[10:11], |v73|, s54
	s_and_b64 s[8:9], s[8:9], s[10:11]
	s_and_saveexec_b64 s[14:15], s[8:9]
	s_cbranch_execz .LBB11_204
; %bb.203:                              ;   in Loop: Header=BB11_161 Depth=1
	v_mul_f32_e64 v76, |v73|, 0.5
	v_floor_f32_e32 v77, v76
	v_sub_f32_e32 v77, v76, v77
	v_min_f32_e32 v77, 0x3f7fffff, v77
	v_add_f32_e32 v77, v77, v77
	v_cmp_neq_f32_e64 s[8:9], s40, v76
	v_cndmask_b32_e64 v76, 0, v77, s[8:9]
	v_cmp_gt_f32_e64 s[8:9], |v73|, 1.0
	v_cndmask_b32_e64 v76, |v73|, v76, s[8:9]
	v_add_f32_e32 v77, v76, v76
	v_rndne_f32_e32 v77, v77
	v_fmac_f32_e32 v76, -0.5, v77
	v_mul_f32_e32 v78, v76, v76
	v_mov_b32_e32 v79, 0xbf1f24be
	v_fmac_f32_e32 v79, 0x3e75aa41, v78
	v_fma_f32 v79, v78, v79, v60
	v_fma_f32 v79, v78, v79, v61
	v_mul_f32_e32 v80, v76, v78
	v_mul_f32_e32 v79, v80, v79
	v_fmac_f32_e32 v79, 0x40490fdb, v76
	v_mov_b32_e32 v76, 0x3e642e9d
	v_cvt_i32_f32_e32 v77, v77
	v_fmac_f32_e32 v76, 0x3d4be544, v78
	v_fma_f32 v76, v78, v76, v62
	v_fma_f32 v76, v78, v76, v63
	;; [unrolled: 1-line block ×3, first 2 shown]
	v_fma_f32 v76, v78, v76, 1.0
	v_and_b32_e32 v78, 1, v77
	v_cmp_eq_u32_e64 s[8:9], 0, v78
	v_lshlrev_b32_e32 v77, 30, v77
	v_cndmask_b32_e64 v76, v76, v79, s[8:9]
	v_and_or_b32 v75, v77, s42, v75
	v_xor_b32_e32 v75, v75, v76
	v_xor_b32_e32 v75, v75, v73
	v_mul_f32_e32 v75, v73, v75
	v_frexp_mant_f32_e64 v76, |v75|
	v_rcp_f32_e32 v76, v76
	v_frexp_exp_i32_f32_e32 v75, v75
	v_sub_u32_e32 v75, 2, v75
	v_mul_f32_e32 v76, 0x3f490fdb, v76
	v_ldexp_f32 v75, v76, v75
	v_cmp_gt_f32_e64 s[8:9], s38, v75
	v_cndmask_b32_e64 v76, 0, 32, s[8:9]
	v_ldexp_f32 v75, v75, v76
	v_log_f32_e32 v75, v75
	v_mul_f32_e32 v76, 0x3f317217, v75
	v_fma_f32 v77, v75, s39, -v76
	v_fmac_f32_e32 v77, 0x3377d1cf, v75
	v_add_f32_e32 v76, v76, v77
	v_cmp_lt_f32_e64 s[10:11], |v75|, s40
	v_cndmask_b32_e64 v75, v75, v76, s[10:11]
	v_cndmask_b32_e64 v76, 0, v66, s[8:9]
	v_sub_f32_e32 v75, v75, v76
	v_sub_f32_e32 v74, v75, v74
	v_floor_f32_e32 v75, v73
	v_sub_f32_e32 v75, v73, v75
	v_min_f32_e32 v75, 0x3f7fffff, v75
	v_cmp_neq_f32_e64 s[8:9], 0, v75
	v_cndmask_b32_e64 v74, v68, v74, s[8:9]
.LBB11_204:                             ;   in Loop: Header=BB11_161 Depth=1
	s_or_b64 exec, exec, s[14:15]
.LBB11_205:                             ;   in Loop: Header=BB11_161 Depth=1
	s_andn2_saveexec_b64 s[12:13], s[12:13]
; %bb.206:                              ;   in Loop: Header=BB11_161 Depth=1
	v_cmp_eq_f32_e64 s[8:9], 1.0, v73
	v_cmp_eq_f32_e64 s[10:11], 2.0, v73
	s_or_b64 s[8:9], s[8:9], s[10:11]
	v_cndmask_b32_e64 v74, v74, 0, s[8:9]
; %bb.207:                              ;   in Loop: Header=BB11_161 Depth=1
	s_or_b64 exec, exec, s[12:13]
	v_and_b32_e32 v76, 0x7fffffff, v72
	v_cmp_nlt_f32_e64 s[8:9], |v72|, s35
                                        ; implicit-def: $vgpr75
	s_and_saveexec_b64 s[10:11], s[8:9]
	s_xor_b64 s[12:13], exec, s[10:11]
	s_cbranch_execz .LBB11_237
; %bb.208:                              ;   in Loop: Header=BB11_161 Depth=1
	v_cmp_nlt_f32_e64 s[8:9], |v72|, 2.0
                                        ; implicit-def: $vgpr75
	s_and_saveexec_b64 s[10:11], s[8:9]
	s_xor_b64 s[14:15], exec, s[10:11]
	s_cbranch_execz .LBB11_218
; %bb.209:                              ;   in Loop: Header=BB11_161 Depth=1
	v_cmp_nlt_f32_e64 s[8:9], |v72|, s36
                                        ; implicit-def: $vgpr75
	s_and_saveexec_b64 s[10:11], s[8:9]
	s_xor_b64 s[16:17], exec, s[10:11]
	s_cbranch_execz .LBB11_215
; %bb.210:                              ;   in Loop: Header=BB11_161 Depth=1
	v_cmp_nlt_f32_e64 s[8:9], |v72|, s37
                                        ; implicit-def: $vgpr75
	s_and_saveexec_b64 s[10:11], s[8:9]
	s_xor_b64 s[26:27], exec, s[10:11]
	s_cbranch_execz .LBB11_212
; %bb.211:                              ;   in Loop: Header=BB11_161 Depth=1
	v_cmp_lt_f32_e64 s[8:9], |v72|, s38
	v_cndmask_b32_e64 v75, 0, 32, s[8:9]
	v_ldexp_f32 v75, |v72|, v75
	v_log_f32_e32 v75, v75
	v_mul_f32_e32 v77, 0x3f317217, v75
	v_fma_f32 v78, v75, s39, -v77
	v_fmac_f32_e32 v78, 0x3377d1cf, v75
	v_add_f32_e32 v77, v77, v78
	v_cmp_lt_f32_e64 s[10:11], |v75|, s40
	v_cndmask_b32_e64 v75, v75, v77, s[10:11]
	v_cndmask_b32_e64 v77, 0, v66, s[8:9]
	v_sub_f32_e32 v75, v75, v77
	v_fma_f32 v75, |v72|, v75, -|v72|
.LBB11_212:                             ;   in Loop: Header=BB11_161 Depth=1
	s_andn2_saveexec_b64 s[26:27], s[26:27]
	s_cbranch_execz .LBB11_214
; %bb.213:                              ;   in Loop: Header=BB11_161 Depth=1
	v_rcp_f32_e64 v75, |v72|
	v_cmp_lt_f32_e64 s[8:9], |v72|, s38
	v_cndmask_b32_e64 v78, 0, 32, s[8:9]
	v_mov_b32_e32 v77, 0x3a5b3dd2
	v_mul_f32_e32 v79, v75, v75
	v_ldexp_f32 v78, |v72|, v78
	v_fmac_f32_e32 v77, 0xbad5c4e8, v79
	v_log_f32_e32 v78, v78
	v_fma_f32 v77, v79, v77, v23
	v_fma_f32 v77, v79, v77, v24
	;; [unrolled: 1-line block ×4, first 2 shown]
	v_mul_f32_e32 v79, 0x3f317217, v78
	v_fma_f32 v80, v78, s39, -v79
	v_fmac_f32_e32 v80, 0x3377d1cf, v78
	v_add_f32_e32 v79, v79, v80
	v_cmp_lt_f32_e64 s[10:11], |v78|, s40
	v_cndmask_b32_e64 v78, v78, v79, s[10:11]
	v_cndmask_b32_e64 v79, 0, v66, s[8:9]
	v_sub_f32_e32 v78, v78, v79
	v_fma_f32 v75, v75, v77, v27
	v_add_f32_e64 v77, |v72|, -0.5
	v_add_f32_e32 v78, -1.0, v78
	v_fmac_f32_e32 v75, v77, v78
.LBB11_214:                             ;   in Loop: Header=BB11_161 Depth=1
	s_or_b64 exec, exec, s[26:27]
.LBB11_215:                             ;   in Loop: Header=BB11_161 Depth=1
	s_andn2_saveexec_b64 s[16:17], s[16:17]
	s_cbranch_execz .LBB11_217
; %bb.216:                              ;   in Loop: Header=BB11_161 Depth=1
	v_cvt_i32_f32_e32 v75, v76
	v_mov_b32_e32 v79, 0x3a4beed6
	v_mov_b32_e32 v78, 0x3af135b4
	v_cvt_f32_i32_e32 v77, v75
	v_cmp_lt_i32_e64 s[8:9], 2, v75
	v_sub_f32_e64 v77, |v72|, v77
	v_fmac_f32_e32 v79, 0x36f5d7bd, v77
	v_fma_f32 v79, v77, v79, v33
	v_fma_f32 v79, v77, v79, v34
	v_fmac_f32_e32 v78, 0x3805ff67, v77
	v_fma_f32 v79, v77, v79, v35
	v_fma_f32 v78, v77, v78, v28
	;; [unrolled: 1-line block ×4, first 2 shown]
	v_fma_f32 v79, v77, v79, 1.0
	v_fma_f32 v78, v77, v78, v30
	v_rcp_f32_e32 v79, v79
	v_fma_f32 v78, v77, v78, v31
	v_fma_f32 v78, v77, v78, v32
	v_mul_f32_e32 v78, v77, v78
	v_mul_f32_e32 v78, v78, v79
	v_add_f32_e32 v79, 2.0, v77
	v_add_f32_e32 v80, 0x40400000, v77
	v_cndmask_b32_e64 v79, 1.0, v79, s[8:9]
	v_cmp_lt_i32_e64 s[8:9], 3, v75
	v_add_f32_e32 v81, 4.0, v77
	v_cndmask_b32_e64 v80, 1.0, v80, s[8:9]
	v_cmp_lt_i32_e64 s[8:9], 4, v75
	v_add_f32_e32 v82, 0x40a00000, v77
	v_mul_f32_e32 v79, v79, v80
	v_cndmask_b32_e64 v80, 1.0, v81, s[8:9]
	v_cmp_lt_i32_e64 s[8:9], 5, v75
	v_fmac_f32_e32 v78, 0.5, v77
	v_add_f32_e32 v77, 0x40c00000, v77
	v_mul_f32_e32 v79, v80, v79
	v_cndmask_b32_e64 v80, 1.0, v82, s[8:9]
	v_cmp_lt_i32_e64 s[8:9], 6, v75
	v_mul_f32_e32 v79, v80, v79
	v_cndmask_b32_e64 v75, 1.0, v77, s[8:9]
	v_mul_f32_e32 v75, v75, v79
	v_cmp_gt_f32_e64 s[8:9], s38, v75
	v_cndmask_b32_e64 v77, 0, 32, s[8:9]
	v_ldexp_f32 v75, v75, v77
	v_log_f32_e32 v75, v75
	v_mul_f32_e32 v77, 0x3f317217, v75
	v_fma_f32 v79, v75, s39, -v77
	v_fmac_f32_e32 v79, 0x3377d1cf, v75
	v_add_f32_e32 v77, v77, v79
	v_cmp_lt_f32_e64 s[10:11], |v75|, s40
	v_cndmask_b32_e64 v75, v75, v77, s[10:11]
	v_cndmask_b32_e64 v77, 0, v66, s[8:9]
	v_sub_f32_e32 v75, v75, v77
	v_add_f32_e32 v75, v75, v78
.LBB11_217:                             ;   in Loop: Header=BB11_161 Depth=1
	s_or_b64 exec, exec, s[16:17]
.LBB11_218:                             ;   in Loop: Header=BB11_161 Depth=1
	s_andn2_saveexec_b64 s[10:11], s[14:15]
	s_cbranch_execz .LBB11_236
; %bb.219:                              ;   in Loop: Header=BB11_161 Depth=1
	v_cmp_le_f32_e64 s[8:9], |v72|, s41
                                        ; implicit-def: $vgpr75
                                        ; implicit-def: $vgpr78
                                        ; implicit-def: $vgpr77
	s_and_saveexec_b64 s[14:15], s[8:9]
	s_xor_b64 s[14:15], exec, s[14:15]
	s_cbranch_execz .LBB11_221
; %bb.220:                              ;   in Loop: Header=BB11_161 Depth=1
	v_cmp_lt_f32_e64 s[8:9], |v72|, s38
	v_cndmask_b32_e64 v75, 0, 32, s[8:9]
	v_ldexp_f32 v75, |v72|, v75
	v_log_f32_e32 v75, v75
	v_cndmask_b32_e64 v77, 0, v66, s[8:9]
	v_mul_f32_e32 v78, 0x3f317217, v75
	v_fma_f32 v79, v75, s39, -v78
	v_fmac_f32_e32 v79, 0x3377d1cf, v75
	v_add_f32_e32 v78, v78, v79
	v_cmp_lt_f32_e64 s[8:9], |v75|, s40
	v_cndmask_b32_e64 v75, v75, v78, s[8:9]
	v_sub_f32_e32 v75, v75, v77
	v_sub_f32_e64 v77, 1.0, |v72|
	v_add_f32_e64 v78, |v72|, s44
	v_cmp_lt_f32_e64 s[8:9], |v72|, s43
	v_cndmask_b32_e64 v77, v77, v78, s[8:9]
	v_cndmask_b32_e64 v78, 0, 1, s[8:9]
	v_cmp_lt_f32_e64 s[8:9], |v72|, s45
	v_xor_b32_e32 v75, 0x80000000, v75
	v_cndmask_b32_e64 v77, v77, |v72|, s[8:9]
	v_cndmask_b32_e64 v78, v78, 2, s[8:9]
.LBB11_221:                             ;   in Loop: Header=BB11_161 Depth=1
	s_andn2_saveexec_b64 s[14:15], s[14:15]
	s_cbranch_execz .LBB11_223
; %bb.222:                              ;   in Loop: Header=BB11_161 Depth=1
	v_sub_f32_e64 v75, 2.0, |v72|
	v_add_f32_e64 v77, |v72|, s47
	v_cmp_lt_f32_e64 s[8:9], |v72|, s46
	v_cndmask_b32_e64 v77, v75, v77, s[8:9]
	v_cndmask_b32_e64 v75, v75, 1.0, s[8:9]
	v_cvt_i32_f32_e32 v75, v75
	v_add_f32_e64 v78, |v72|, -1.0
	v_cmp_lt_f32_e64 s[8:9], |v72|, s48
	v_cndmask_b32_e64 v77, v77, v78, s[8:9]
	v_cndmask_b32_e64 v78, v75, 2, s[8:9]
	v_mov_b32_e32 v75, 0
.LBB11_223:                             ;   in Loop: Header=BB11_161 Depth=1
	s_or_b64 exec, exec, s[14:15]
	v_cmp_lt_i32_e64 s[8:9], 0, v78
	s_and_saveexec_b64 s[14:15], s[8:9]
	s_xor_b64 s[14:15], exec, s[14:15]
	s_cbranch_execz .LBB11_231
; %bb.224:                              ;   in Loop: Header=BB11_161 Depth=1
	v_cmp_lt_i32_e64 s[8:9], 1, v78
	s_and_saveexec_b64 s[16:17], s[8:9]
	s_xor_b64 s[16:17], exec, s[16:17]
	s_cbranch_execz .LBB11_228
; %bb.225:                              ;   in Loop: Header=BB11_161 Depth=1
	v_cmp_eq_u32_e64 s[8:9], 2, v78
	s_and_saveexec_b64 s[26:27], s[8:9]
	s_cbranch_execz .LBB11_227
; %bb.226:                              ;   in Loop: Header=BB11_161 Depth=1
	v_mov_b32_e32 v79, 0x3dd572af
	v_fmac_f32_e32 v79, 0x3b52d5db, v77
	v_fma_f32 v79, v77, v79, v40
	v_mov_b32_e32 v78, 0x3e6a7578
	v_fma_f32 v79, v77, v79, v41
	v_fmac_f32_e32 v78, 0x3c5b3c5e, v77
	v_fma_f32 v79, v77, v79, v42
	v_fma_f32 v78, v77, v78, v37
	v_fma_f32 v79, v77, v79, 1.0
	v_fma_f32 v78, v77, v78, v38
	v_rcp_f32_e32 v79, v79
	v_fma_f32 v78, v77, v78, v39
	v_fma_f32 v78, v77, v78, v32
	v_mul_f32_e32 v78, v77, v78
	v_mul_f32_e32 v78, v78, v79
	v_fmac_f32_e32 v78, -0.5, v77
	v_add_f32_e32 v75, v75, v78
.LBB11_227:                             ;   in Loop: Header=BB11_161 Depth=1
	s_or_b64 exec, exec, s[26:27]
                                        ; implicit-def: $vgpr77
.LBB11_228:                             ;   in Loop: Header=BB11_161 Depth=1
	s_andn2_saveexec_b64 s[8:9], s[16:17]
	s_cbranch_execz .LBB11_230
; %bb.229:                              ;   in Loop: Header=BB11_161 Depth=1
	v_mul_f32_e32 v78, v77, v77
	v_mul_f32_e32 v79, v77, v78
	v_mov_b32_e32 v81, 0x3a66f867
	v_mov_b32_e32 v82, 0xba0d3085
	v_fmac_f32_e32 v81, 0xb9a3f927, v79
	v_fmac_f32_e32 v82, 0x39afe9f7, v79
	v_mov_b32_e32 v80, 0xbab7f476
	v_fma_f32 v81, v79, v81, v46
	v_fma_f32 v82, v79, v82, v49
	v_fmac_f32_e32 v80, 0x39a57b6b, v79
	v_fma_f32 v81, v79, v81, v47
	v_fma_f32 v82, v79, v82, v50
	;; [unrolled: 1-line block ×6, first 2 shown]
	v_fmac_f32_e32 v81, v77, v82
	v_fma_f32 v80, v79, v80, v45
	v_fma_f32 v77, v79, -v81, s49
	v_fma_f32 v77, v78, v80, -v77
	v_add_f32_e32 v77, 0xbdf8cdce, v77
	v_add_f32_e32 v75, v75, v77
.LBB11_230:                             ;   in Loop: Header=BB11_161 Depth=1
	s_or_b64 exec, exec, s[8:9]
                                        ; implicit-def: $vgpr78
                                        ; implicit-def: $vgpr77
.LBB11_231:                             ;   in Loop: Header=BB11_161 Depth=1
	s_andn2_saveexec_b64 s[14:15], s[14:15]
	s_cbranch_execz .LBB11_235
; %bb.232:                              ;   in Loop: Header=BB11_161 Depth=1
	v_cmp_eq_u32_e64 s[8:9], 0, v78
	s_and_saveexec_b64 s[16:17], s[8:9]
	s_cbranch_execz .LBB11_234
; %bb.233:                              ;   in Loop: Header=BB11_161 Depth=1
	v_mul_f32_e32 v78, v77, v77
	v_mov_b32_e32 v80, 0x38e28445
	v_mov_b32_e32 v79, 0x39679767
	v_fmac_f32_e32 v80, 0x383c2c75, v78
	v_fmac_f32_e32 v79, 0x37d383a2, v78
	v_fma_f32 v80, v78, v80, v56
	v_fma_f32 v79, v78, v79, v52
	v_fma_f32 v80, v78, v80, v57
	v_fma_f32 v79, v78, v79, v53
	v_fma_f32 v80, v78, v80, v58
	v_fma_f32 v79, v78, v79, v54
	v_fma_f32 v80, v78, v80, v59
	v_fma_f32 v79, v78, v79, v55
	v_mul_f32_e32 v78, v78, v80
	v_fmac_f32_e32 v78, v77, v79
	v_fmac_f32_e32 v78, -0.5, v77
	v_add_f32_e32 v75, v75, v78
.LBB11_234:                             ;   in Loop: Header=BB11_161 Depth=1
	s_or_b64 exec, exec, s[16:17]
.LBB11_235:                             ;   in Loop: Header=BB11_161 Depth=1
	s_or_b64 exec, exec, s[14:15]
.LBB11_236:                             ;   in Loop: Header=BB11_161 Depth=1
	s_or_b64 exec, exec, s[10:11]
.LBB11_237:                             ;   in Loop: Header=BB11_161 Depth=1
	s_andn2_saveexec_b64 s[12:13], s[12:13]
	s_cbranch_execz .LBB11_239
; %bb.238:                              ;   in Loop: Header=BB11_161 Depth=1
	v_cmp_lt_f32_e64 s[8:9], |v72|, s38
	v_cndmask_b32_e64 v75, 0, 32, s[8:9]
	v_ldexp_f32 v75, |v72|, v75
	v_log_f32_e32 v75, v75
	v_fma_f32 v77, |v72|, s50, v67
	v_fma_f32 v77, |v72|, v77, s51
	v_fma_f32 v77, |v72|, v77, s52
	v_mul_f32_e32 v78, 0x3f317217, v75
	v_fma_f32 v79, v75, s39, -v78
	v_fmac_f32_e32 v79, 0x3377d1cf, v75
	v_add_f32_e32 v78, v78, v79
	v_cmp_lt_f32_e64 s[10:11], |v75|, s40
	v_cndmask_b32_e64 v75, v75, v78, s[10:11]
	v_cndmask_b32_e64 v78, 0, v66, s[8:9]
	v_sub_f32_e32 v75, v75, v78
	v_fma_f32 v75, |v72|, v77, -v75
.LBB11_239:                             ;   in Loop: Header=BB11_161 Depth=1
	s_or_b64 exec, exec, s[12:13]
	v_cmp_le_f32_e64 s[8:9], 0, v72
	v_cmp_nle_f32_e64 s[10:11], 0, v72
	s_and_saveexec_b64 s[12:13], s[10:11]
	s_xor_b64 s[14:15], exec, s[12:13]
	s_cbranch_execz .LBB11_243
; %bb.240:                              ;   in Loop: Header=BB11_161 Depth=1
	v_cmp_lt_f32_e64 s[10:11], |v72|, s53
	v_cmp_gt_f32_e64 s[12:13], |v72|, s54
	s_and_b64 s[10:11], s[10:11], s[12:13]
	s_and_saveexec_b64 s[16:17], s[10:11]
	s_cbranch_execz .LBB11_242
; %bb.241:                              ;   in Loop: Header=BB11_161 Depth=1
	v_mul_f32_e64 v77, |v72|, 0.5
	v_floor_f32_e32 v78, v77
	v_sub_f32_e32 v78, v77, v78
	v_min_f32_e32 v78, 0x3f7fffff, v78
	v_add_f32_e32 v78, v78, v78
	v_cmp_neq_f32_e64 s[10:11], s40, v77
	v_cndmask_b32_e64 v77, 0, v78, s[10:11]
	v_cmp_gt_f32_e64 s[10:11], |v72|, 1.0
	v_cndmask_b32_e64 v77, |v72|, v77, s[10:11]
	v_add_f32_e32 v78, v77, v77
	v_rndne_f32_e32 v78, v78
	v_fmac_f32_e32 v77, -0.5, v78
	v_mul_f32_e32 v79, v77, v77
	v_mov_b32_e32 v80, 0xbf1f24be
	v_fmac_f32_e32 v80, 0x3e75aa41, v79
	v_fma_f32 v80, v79, v80, v60
	v_fma_f32 v80, v79, v80, v61
	v_mul_f32_e32 v81, v77, v79
	v_mul_f32_e32 v80, v81, v80
	v_fmac_f32_e32 v80, 0x40490fdb, v77
	v_mov_b32_e32 v77, 0x3e642e9d
	v_cvt_i32_f32_e32 v78, v78
	v_fmac_f32_e32 v77, 0x3d4be544, v79
	v_fma_f32 v77, v79, v77, v62
	v_fma_f32 v77, v79, v77, v63
	v_fma_f32 v77, v79, v77, v64
	v_fma_f32 v77, v79, v77, 1.0
	v_and_b32_e32 v79, 1, v78
	v_cmp_eq_u32_e64 s[10:11], 0, v79
	v_lshlrev_b32_e32 v78, 30, v78
	v_cndmask_b32_e64 v77, v77, v80, s[10:11]
	v_and_or_b32 v76, v78, s42, v76
	v_xor_b32_e32 v76, v76, v77
	v_xor_b32_e32 v76, v76, v72
	v_mul_f32_e32 v76, v72, v76
	v_frexp_mant_f32_e64 v77, |v76|
	v_rcp_f32_e32 v77, v77
	v_frexp_exp_i32_f32_e32 v76, v76
	v_sub_u32_e32 v76, 2, v76
	v_mul_f32_e32 v77, 0x3f490fdb, v77
	v_ldexp_f32 v76, v77, v76
	v_cmp_gt_f32_e64 s[10:11], s38, v76
	v_cndmask_b32_e64 v77, 0, 32, s[10:11]
	v_ldexp_f32 v76, v76, v77
	v_log_f32_e32 v76, v76
	v_mul_f32_e32 v77, 0x3f317217, v76
	v_fma_f32 v78, v76, s39, -v77
	v_fmac_f32_e32 v78, 0x3377d1cf, v76
	v_add_f32_e32 v77, v77, v78
	v_cmp_lt_f32_e64 s[12:13], |v76|, s40
	v_cndmask_b32_e64 v76, v76, v77, s[12:13]
	v_cndmask_b32_e64 v77, 0, v66, s[10:11]
	v_sub_f32_e32 v76, v76, v77
	v_sub_f32_e32 v75, v76, v75
	v_floor_f32_e32 v76, v72
	v_sub_f32_e32 v76, v72, v76
	v_min_f32_e32 v76, 0x3f7fffff, v76
	v_cmp_neq_f32_e64 s[10:11], 0, v76
	v_cndmask_b32_e64 v75, v68, v75, s[10:11]
.LBB11_242:                             ;   in Loop: Header=BB11_161 Depth=1
	s_or_b64 exec, exec, s[16:17]
.LBB11_243:                             ;   in Loop: Header=BB11_161 Depth=1
	s_andn2_saveexec_b64 s[14:15], s[14:15]
; %bb.244:                              ;   in Loop: Header=BB11_161 Depth=1
	v_cmp_eq_f32_e64 s[10:11], 1.0, v72
	v_cmp_eq_f32_e64 s[12:13], 2.0, v72
	s_or_b64 s[10:11], s[10:11], s[12:13]
	v_cndmask_b32_e64 v75, v75, 0, s[10:11]
; %bb.245:                              ;   in Loop: Header=BB11_161 Depth=1
	s_or_b64 exec, exec, s[14:15]
	v_and_b32_e32 v77, 0x7fffffff, v70
	v_cmp_nlt_f32_e64 s[10:11], |v70|, s35
                                        ; implicit-def: $vgpr76
	s_and_saveexec_b64 s[12:13], s[10:11]
	s_xor_b64 s[14:15], exec, s[12:13]
	s_cbranch_execz .LBB11_275
; %bb.246:                              ;   in Loop: Header=BB11_161 Depth=1
	v_cmp_nlt_f32_e64 s[10:11], |v70|, 2.0
                                        ; implicit-def: $vgpr76
	s_and_saveexec_b64 s[12:13], s[10:11]
	s_xor_b64 s[16:17], exec, s[12:13]
	s_cbranch_execz .LBB11_256
; %bb.247:                              ;   in Loop: Header=BB11_161 Depth=1
	v_cmp_nlt_f32_e64 s[10:11], |v70|, s36
                                        ; implicit-def: $vgpr76
	s_and_saveexec_b64 s[12:13], s[10:11]
	s_xor_b64 s[26:27], exec, s[12:13]
	s_cbranch_execz .LBB11_253
; %bb.248:                              ;   in Loop: Header=BB11_161 Depth=1
	v_cmp_nlt_f32_e64 s[10:11], |v70|, s37
                                        ; implicit-def: $vgpr76
	s_and_saveexec_b64 s[12:13], s[10:11]
	s_xor_b64 s[28:29], exec, s[12:13]
	s_cbranch_execz .LBB11_250
; %bb.249:                              ;   in Loop: Header=BB11_161 Depth=1
	v_cmp_lt_f32_e64 s[10:11], |v70|, s38
	v_cndmask_b32_e64 v76, 0, 32, s[10:11]
	v_ldexp_f32 v76, |v70|, v76
	v_log_f32_e32 v76, v76
	v_mul_f32_e32 v78, 0x3f317217, v76
	v_fma_f32 v79, v76, s39, -v78
	v_fmac_f32_e32 v79, 0x3377d1cf, v76
	v_add_f32_e32 v78, v78, v79
	v_cmp_lt_f32_e64 s[12:13], |v76|, s40
	v_cndmask_b32_e64 v76, v76, v78, s[12:13]
	v_cndmask_b32_e64 v78, 0, v66, s[10:11]
	v_sub_f32_e32 v76, v76, v78
	v_fma_f32 v76, |v70|, v76, -|v70|
.LBB11_250:                             ;   in Loop: Header=BB11_161 Depth=1
	s_andn2_saveexec_b64 s[28:29], s[28:29]
	s_cbranch_execz .LBB11_252
; %bb.251:                              ;   in Loop: Header=BB11_161 Depth=1
	v_rcp_f32_e64 v76, |v70|
	v_cmp_lt_f32_e64 s[10:11], |v70|, s38
	v_cndmask_b32_e64 v79, 0, 32, s[10:11]
	v_mov_b32_e32 v78, 0x3a5b3dd2
	v_mul_f32_e32 v80, v76, v76
	v_ldexp_f32 v79, |v70|, v79
	v_fmac_f32_e32 v78, 0xbad5c4e8, v80
	v_log_f32_e32 v79, v79
	v_fma_f32 v78, v80, v78, v23
	v_fma_f32 v78, v80, v78, v24
	;; [unrolled: 1-line block ×4, first 2 shown]
	v_mul_f32_e32 v80, 0x3f317217, v79
	v_fma_f32 v81, v79, s39, -v80
	v_fmac_f32_e32 v81, 0x3377d1cf, v79
	v_add_f32_e32 v80, v80, v81
	v_cmp_lt_f32_e64 s[12:13], |v79|, s40
	v_cndmask_b32_e64 v79, v79, v80, s[12:13]
	v_cndmask_b32_e64 v80, 0, v66, s[10:11]
	v_sub_f32_e32 v79, v79, v80
	v_fma_f32 v76, v76, v78, v27
	v_add_f32_e64 v78, |v70|, -0.5
	v_add_f32_e32 v79, -1.0, v79
	v_fmac_f32_e32 v76, v78, v79
.LBB11_252:                             ;   in Loop: Header=BB11_161 Depth=1
	s_or_b64 exec, exec, s[28:29]
.LBB11_253:                             ;   in Loop: Header=BB11_161 Depth=1
	s_andn2_saveexec_b64 s[26:27], s[26:27]
	s_cbranch_execz .LBB11_255
; %bb.254:                              ;   in Loop: Header=BB11_161 Depth=1
	v_cvt_i32_f32_e32 v76, v77
	v_mov_b32_e32 v80, 0x3a4beed6
	v_mov_b32_e32 v79, 0x3af135b4
	v_cvt_f32_i32_e32 v78, v76
	v_cmp_lt_i32_e64 s[10:11], 2, v76
	v_sub_f32_e64 v78, |v70|, v78
	v_add_f32_e32 v81, 2.0, v78
	v_add_f32_e32 v82, 0x40400000, v78
	v_cndmask_b32_e64 v81, 1.0, v81, s[10:11]
	v_cmp_lt_i32_e64 s[10:11], 3, v76
	v_add_f32_e32 v83, 4.0, v78
	v_cndmask_b32_e64 v82, 1.0, v82, s[10:11]
	v_cmp_lt_i32_e64 s[10:11], 4, v76
	v_fmac_f32_e32 v80, 0x36f5d7bd, v78
	v_add_f32_e32 v84, 0x40a00000, v78
	v_mul_f32_e32 v81, v81, v82
	v_cndmask_b32_e64 v82, 1.0, v83, s[10:11]
	v_cmp_lt_i32_e64 s[10:11], 5, v76
	v_fma_f32 v80, v78, v80, v33
	v_add_f32_e32 v85, 0x40c00000, v78
	v_mul_f32_e32 v81, v82, v81
	v_cndmask_b32_e64 v82, 1.0, v84, s[10:11]
	v_cmp_lt_i32_e64 s[10:11], 6, v76
	v_fma_f32 v80, v78, v80, v34
	v_mul_f32_e32 v81, v82, v81
	v_cndmask_b32_e64 v76, 1.0, v85, s[10:11]
	v_fmac_f32_e32 v79, 0x3805ff67, v78
	v_fma_f32 v80, v78, v80, v35
	v_mul_f32_e32 v76, v76, v81
	v_fma_f32 v79, v78, v79, v28
	v_fma_f32 v80, v78, v80, v36
	v_cmp_gt_f32_e64 s[10:11], s38, v76
	v_fma_f32 v79, v78, v79, v29
	v_fma_f32 v80, v78, v80, 1.0
	v_cndmask_b32_e64 v81, 0, 32, s[10:11]
	v_fma_f32 v79, v78, v79, v30
	v_rcp_f32_e32 v80, v80
	v_ldexp_f32 v76, v76, v81
	v_fma_f32 v79, v78, v79, v31
	v_log_f32_e32 v76, v76
	v_fma_f32 v79, v78, v79, v32
	v_mul_f32_e32 v79, v78, v79
	v_mul_f32_e32 v79, v79, v80
	v_fmac_f32_e32 v79, 0.5, v78
	v_mul_f32_e32 v78, 0x3f317217, v76
	v_fma_f32 v80, v76, s39, -v78
	v_fmac_f32_e32 v80, 0x3377d1cf, v76
	v_add_f32_e32 v78, v78, v80
	v_cmp_lt_f32_e64 s[12:13], |v76|, s40
	v_cndmask_b32_e64 v76, v76, v78, s[12:13]
	v_cndmask_b32_e64 v78, 0, v66, s[10:11]
	v_sub_f32_e32 v76, v76, v78
	v_add_f32_e32 v76, v76, v79
.LBB11_255:                             ;   in Loop: Header=BB11_161 Depth=1
	s_or_b64 exec, exec, s[26:27]
.LBB11_256:                             ;   in Loop: Header=BB11_161 Depth=1
	s_andn2_saveexec_b64 s[12:13], s[16:17]
	s_cbranch_execz .LBB11_274
; %bb.257:                              ;   in Loop: Header=BB11_161 Depth=1
	v_cmp_le_f32_e64 s[10:11], |v70|, s41
                                        ; implicit-def: $vgpr76
                                        ; implicit-def: $vgpr79
                                        ; implicit-def: $vgpr78
	s_and_saveexec_b64 s[16:17], s[10:11]
	s_xor_b64 s[16:17], exec, s[16:17]
	s_cbranch_execz .LBB11_259
; %bb.258:                              ;   in Loop: Header=BB11_161 Depth=1
	v_cmp_lt_f32_e64 s[10:11], |v70|, s38
	v_cndmask_b32_e64 v76, 0, 32, s[10:11]
	v_ldexp_f32 v76, |v70|, v76
	v_log_f32_e32 v76, v76
	v_cndmask_b32_e64 v78, 0, v66, s[10:11]
	v_mul_f32_e32 v79, 0x3f317217, v76
	v_fma_f32 v80, v76, s39, -v79
	v_fmac_f32_e32 v80, 0x3377d1cf, v76
	v_add_f32_e32 v79, v79, v80
	v_cmp_lt_f32_e64 s[10:11], |v76|, s40
	v_cndmask_b32_e64 v76, v76, v79, s[10:11]
	v_sub_f32_e32 v76, v76, v78
	v_sub_f32_e64 v78, 1.0, |v70|
	v_add_f32_e64 v79, |v70|, s44
	v_cmp_lt_f32_e64 s[10:11], |v70|, s43
	v_cndmask_b32_e64 v78, v78, v79, s[10:11]
	v_cndmask_b32_e64 v79, 0, 1, s[10:11]
	v_cmp_lt_f32_e64 s[10:11], |v70|, s45
	v_xor_b32_e32 v76, 0x80000000, v76
	v_cndmask_b32_e64 v78, v78, |v70|, s[10:11]
	v_cndmask_b32_e64 v79, v79, 2, s[10:11]
.LBB11_259:                             ;   in Loop: Header=BB11_161 Depth=1
	s_andn2_saveexec_b64 s[16:17], s[16:17]
	s_cbranch_execz .LBB11_261
; %bb.260:                              ;   in Loop: Header=BB11_161 Depth=1
	v_sub_f32_e64 v76, 2.0, |v70|
	v_add_f32_e64 v78, |v70|, s47
	v_cmp_lt_f32_e64 s[10:11], |v70|, s46
	v_cndmask_b32_e64 v78, v76, v78, s[10:11]
	v_cndmask_b32_e64 v76, v76, 1.0, s[10:11]
	v_cvt_i32_f32_e32 v76, v76
	v_add_f32_e64 v79, |v70|, -1.0
	v_cmp_lt_f32_e64 s[10:11], |v70|, s48
	v_cndmask_b32_e64 v78, v78, v79, s[10:11]
	v_cndmask_b32_e64 v79, v76, 2, s[10:11]
	v_mov_b32_e32 v76, 0
.LBB11_261:                             ;   in Loop: Header=BB11_161 Depth=1
	s_or_b64 exec, exec, s[16:17]
	v_cmp_lt_i32_e64 s[10:11], 0, v79
	s_and_saveexec_b64 s[16:17], s[10:11]
	s_xor_b64 s[16:17], exec, s[16:17]
	s_cbranch_execz .LBB11_269
; %bb.262:                              ;   in Loop: Header=BB11_161 Depth=1
	v_cmp_lt_i32_e64 s[10:11], 1, v79
	s_and_saveexec_b64 s[26:27], s[10:11]
	s_xor_b64 s[26:27], exec, s[26:27]
	s_cbranch_execz .LBB11_266
; %bb.263:                              ;   in Loop: Header=BB11_161 Depth=1
	v_cmp_eq_u32_e64 s[10:11], 2, v79
	s_and_saveexec_b64 s[28:29], s[10:11]
	s_cbranch_execz .LBB11_265
; %bb.264:                              ;   in Loop: Header=BB11_161 Depth=1
	v_mov_b32_e32 v80, 0x3dd572af
	v_fmac_f32_e32 v80, 0x3b52d5db, v78
	v_fma_f32 v80, v78, v80, v40
	v_mov_b32_e32 v79, 0x3e6a7578
	v_fma_f32 v80, v78, v80, v41
	v_fmac_f32_e32 v79, 0x3c5b3c5e, v78
	v_fma_f32 v80, v78, v80, v42
	v_fma_f32 v79, v78, v79, v37
	v_fma_f32 v80, v78, v80, 1.0
	v_fma_f32 v79, v78, v79, v38
	v_rcp_f32_e32 v80, v80
	v_fma_f32 v79, v78, v79, v39
	v_fma_f32 v79, v78, v79, v32
	v_mul_f32_e32 v79, v78, v79
	v_mul_f32_e32 v79, v79, v80
	v_fmac_f32_e32 v79, -0.5, v78
	v_add_f32_e32 v76, v76, v79
.LBB11_265:                             ;   in Loop: Header=BB11_161 Depth=1
	s_or_b64 exec, exec, s[28:29]
                                        ; implicit-def: $vgpr78
.LBB11_266:                             ;   in Loop: Header=BB11_161 Depth=1
	s_andn2_saveexec_b64 s[10:11], s[26:27]
	s_cbranch_execz .LBB11_268
; %bb.267:                              ;   in Loop: Header=BB11_161 Depth=1
	v_mul_f32_e32 v79, v78, v78
	v_mul_f32_e32 v80, v78, v79
	v_mov_b32_e32 v82, 0x3a66f867
	v_mov_b32_e32 v83, 0xba0d3085
	v_fmac_f32_e32 v82, 0xb9a3f927, v80
	v_fmac_f32_e32 v83, 0x39afe9f7, v80
	v_mov_b32_e32 v81, 0xbab7f476
	v_fma_f32 v82, v80, v82, v46
	v_fma_f32 v83, v80, v83, v49
	v_fmac_f32_e32 v81, 0x39a57b6b, v80
	v_fma_f32 v82, v80, v82, v47
	v_fma_f32 v83, v80, v83, v50
	v_fma_f32 v81, v80, v81, v43
	v_fma_f32 v82, v80, v82, v48
	v_fma_f32 v83, v80, v83, v51
	v_fma_f32 v81, v80, v81, v44
	v_fmac_f32_e32 v82, v78, v83
	v_fma_f32 v81, v80, v81, v45
	v_fma_f32 v78, v80, -v82, s49
	v_fma_f32 v78, v79, v81, -v78
	v_add_f32_e32 v78, 0xbdf8cdce, v78
	v_add_f32_e32 v76, v76, v78
.LBB11_268:                             ;   in Loop: Header=BB11_161 Depth=1
	s_or_b64 exec, exec, s[10:11]
                                        ; implicit-def: $vgpr79
                                        ; implicit-def: $vgpr78
.LBB11_269:                             ;   in Loop: Header=BB11_161 Depth=1
	s_andn2_saveexec_b64 s[16:17], s[16:17]
	s_cbranch_execz .LBB11_273
; %bb.270:                              ;   in Loop: Header=BB11_161 Depth=1
	v_cmp_eq_u32_e64 s[10:11], 0, v79
	s_and_saveexec_b64 s[26:27], s[10:11]
	s_cbranch_execz .LBB11_272
; %bb.271:                              ;   in Loop: Header=BB11_161 Depth=1
	v_mul_f32_e32 v79, v78, v78
	v_mov_b32_e32 v81, 0x38e28445
	v_mov_b32_e32 v80, 0x39679767
	v_fmac_f32_e32 v81, 0x383c2c75, v79
	v_fmac_f32_e32 v80, 0x37d383a2, v79
	v_fma_f32 v81, v79, v81, v56
	v_fma_f32 v80, v79, v80, v52
	v_fma_f32 v81, v79, v81, v57
	v_fma_f32 v80, v79, v80, v53
	v_fma_f32 v81, v79, v81, v58
	v_fma_f32 v80, v79, v80, v54
	v_fma_f32 v81, v79, v81, v59
	v_fma_f32 v80, v79, v80, v55
	v_mul_f32_e32 v79, v79, v81
	v_fmac_f32_e32 v79, v78, v80
	v_fmac_f32_e32 v79, -0.5, v78
	v_add_f32_e32 v76, v76, v79
.LBB11_272:                             ;   in Loop: Header=BB11_161 Depth=1
	s_or_b64 exec, exec, s[26:27]
.LBB11_273:                             ;   in Loop: Header=BB11_161 Depth=1
	s_or_b64 exec, exec, s[16:17]
.LBB11_274:                             ;   in Loop: Header=BB11_161 Depth=1
	s_or_b64 exec, exec, s[12:13]
.LBB11_275:                             ;   in Loop: Header=BB11_161 Depth=1
	s_andn2_saveexec_b64 s[14:15], s[14:15]
	s_cbranch_execz .LBB11_277
; %bb.276:                              ;   in Loop: Header=BB11_161 Depth=1
	v_cmp_lt_f32_e64 s[10:11], |v70|, s38
	v_cndmask_b32_e64 v76, 0, 32, s[10:11]
	v_ldexp_f32 v76, |v70|, v76
	v_log_f32_e32 v76, v76
	v_fma_f32 v78, |v70|, s50, v67
	v_fma_f32 v78, |v70|, v78, s51
	;; [unrolled: 1-line block ×3, first 2 shown]
	v_mul_f32_e32 v79, 0x3f317217, v76
	v_fma_f32 v80, v76, s39, -v79
	v_fmac_f32_e32 v80, 0x3377d1cf, v76
	v_add_f32_e32 v79, v79, v80
	v_cmp_lt_f32_e64 s[12:13], |v76|, s40
	v_cndmask_b32_e64 v76, v76, v79, s[12:13]
	v_cndmask_b32_e64 v79, 0, v66, s[10:11]
	v_sub_f32_e32 v76, v76, v79
	v_fma_f32 v76, |v70|, v78, -v76
.LBB11_277:                             ;   in Loop: Header=BB11_161 Depth=1
	s_or_b64 exec, exec, s[14:15]
	v_cmp_le_f32_e64 s[10:11], 0, v70
	v_cmp_nle_f32_e64 s[12:13], 0, v70
	s_and_saveexec_b64 s[14:15], s[12:13]
	s_xor_b64 s[16:17], exec, s[14:15]
	s_cbranch_execz .LBB11_281
; %bb.278:                              ;   in Loop: Header=BB11_161 Depth=1
	v_cmp_lt_f32_e64 s[12:13], |v70|, s53
	v_cmp_gt_f32_e64 s[14:15], |v70|, s54
	s_and_b64 s[12:13], s[12:13], s[14:15]
	s_and_saveexec_b64 s[26:27], s[12:13]
	s_cbranch_execz .LBB11_280
; %bb.279:                              ;   in Loop: Header=BB11_161 Depth=1
	v_mul_f32_e64 v78, |v70|, 0.5
	v_floor_f32_e32 v79, v78
	v_sub_f32_e32 v79, v78, v79
	v_min_f32_e32 v79, 0x3f7fffff, v79
	v_add_f32_e32 v79, v79, v79
	v_cmp_neq_f32_e64 s[12:13], s40, v78
	v_cndmask_b32_e64 v78, 0, v79, s[12:13]
	v_cmp_gt_f32_e64 s[12:13], |v70|, 1.0
	v_cndmask_b32_e64 v78, |v70|, v78, s[12:13]
	v_add_f32_e32 v79, v78, v78
	v_rndne_f32_e32 v79, v79
	v_fmac_f32_e32 v78, -0.5, v79
	v_mul_f32_e32 v80, v78, v78
	v_mov_b32_e32 v81, 0xbf1f24be
	v_fmac_f32_e32 v81, 0x3e75aa41, v80
	v_fma_f32 v81, v80, v81, v60
	v_fma_f32 v81, v80, v81, v61
	v_mul_f32_e32 v82, v78, v80
	v_mul_f32_e32 v81, v82, v81
	v_fmac_f32_e32 v81, 0x40490fdb, v78
	v_mov_b32_e32 v78, 0x3e642e9d
	v_cvt_i32_f32_e32 v79, v79
	v_fmac_f32_e32 v78, 0x3d4be544, v80
	v_fma_f32 v78, v80, v78, v62
	v_fma_f32 v78, v80, v78, v63
	;; [unrolled: 1-line block ×3, first 2 shown]
	v_fma_f32 v78, v80, v78, 1.0
	v_and_b32_e32 v80, 1, v79
	v_cmp_eq_u32_e64 s[12:13], 0, v80
	v_lshlrev_b32_e32 v79, 30, v79
	v_cndmask_b32_e64 v78, v78, v81, s[12:13]
	v_and_or_b32 v77, v79, s42, v77
	v_xor_b32_e32 v77, v77, v78
	v_xor_b32_e32 v77, v77, v70
	v_mul_f32_e32 v77, v70, v77
	v_frexp_mant_f32_e64 v78, |v77|
	v_rcp_f32_e32 v78, v78
	v_frexp_exp_i32_f32_e32 v77, v77
	v_sub_u32_e32 v77, 2, v77
	v_mul_f32_e32 v78, 0x3f490fdb, v78
	v_ldexp_f32 v77, v78, v77
	v_cmp_gt_f32_e64 s[12:13], s38, v77
	v_cndmask_b32_e64 v78, 0, 32, s[12:13]
	v_ldexp_f32 v77, v77, v78
	v_log_f32_e32 v77, v77
	v_mul_f32_e32 v78, 0x3f317217, v77
	v_fma_f32 v79, v77, s39, -v78
	v_fmac_f32_e32 v79, 0x3377d1cf, v77
	v_add_f32_e32 v78, v78, v79
	v_cmp_lt_f32_e64 s[14:15], |v77|, s40
	v_cndmask_b32_e64 v77, v77, v78, s[14:15]
	v_cndmask_b32_e64 v78, 0, v66, s[12:13]
	v_sub_f32_e32 v77, v77, v78
	v_sub_f32_e32 v76, v77, v76
	v_floor_f32_e32 v77, v70
	v_sub_f32_e32 v77, v70, v77
	v_min_f32_e32 v77, 0x3f7fffff, v77
	v_cmp_neq_f32_e64 s[12:13], 0, v77
	v_cndmask_b32_e64 v76, v68, v76, s[12:13]
.LBB11_280:                             ;   in Loop: Header=BB11_161 Depth=1
	s_or_b64 exec, exec, s[26:27]
.LBB11_281:                             ;   in Loop: Header=BB11_161 Depth=1
	s_andn2_saveexec_b64 s[16:17], s[16:17]
; %bb.282:                              ;   in Loop: Header=BB11_161 Depth=1
	v_cmp_eq_f32_e64 s[12:13], 1.0, v70
	v_cmp_eq_f32_e64 s[14:15], 2.0, v70
	s_or_b64 s[12:13], s[12:13], s[14:15]
	v_cndmask_b32_e64 v76, v76, 0, s[12:13]
; %bb.283:                              ;   in Loop: Header=BB11_161 Depth=1
	s_or_b64 exec, exec, s[16:17]
	v_and_b32_e32 v77, 0x7fffffff, v71
	v_cmp_nlt_f32_e64 s[12:13], |v71|, s35
                                        ; implicit-def: $vgpr78
	s_and_saveexec_b64 s[14:15], s[12:13]
	s_xor_b64 s[16:17], exec, s[14:15]
	s_cbranch_execz .LBB11_313
; %bb.284:                              ;   in Loop: Header=BB11_161 Depth=1
	v_cmp_nlt_f32_e64 s[12:13], |v71|, 2.0
                                        ; implicit-def: $vgpr78
	s_and_saveexec_b64 s[14:15], s[12:13]
	s_xor_b64 s[26:27], exec, s[14:15]
	s_cbranch_execz .LBB11_294
; %bb.285:                              ;   in Loop: Header=BB11_161 Depth=1
	v_cmp_nlt_f32_e64 s[12:13], |v71|, s36
                                        ; implicit-def: $vgpr78
	s_and_saveexec_b64 s[14:15], s[12:13]
	s_xor_b64 s[28:29], exec, s[14:15]
	s_cbranch_execz .LBB11_291
; %bb.286:                              ;   in Loop: Header=BB11_161 Depth=1
	v_cmp_nlt_f32_e64 s[12:13], |v71|, s37
                                        ; implicit-def: $vgpr78
	s_and_saveexec_b64 s[14:15], s[12:13]
	s_xor_b64 s[30:31], exec, s[14:15]
	s_cbranch_execz .LBB11_288
; %bb.287:                              ;   in Loop: Header=BB11_161 Depth=1
	v_cmp_lt_f32_e64 s[12:13], |v71|, s38
	v_cndmask_b32_e64 v78, 0, 32, s[12:13]
	v_ldexp_f32 v78, |v71|, v78
	v_log_f32_e32 v78, v78
	v_mul_f32_e32 v79, 0x3f317217, v78
	v_fma_f32 v80, v78, s39, -v79
	v_fmac_f32_e32 v80, 0x3377d1cf, v78
	v_add_f32_e32 v79, v79, v80
	v_cmp_lt_f32_e64 s[14:15], |v78|, s40
	v_cndmask_b32_e64 v78, v78, v79, s[14:15]
	v_cndmask_b32_e64 v79, 0, v66, s[12:13]
	v_sub_f32_e32 v78, v78, v79
	v_fma_f32 v78, |v71|, v78, -|v71|
.LBB11_288:                             ;   in Loop: Header=BB11_161 Depth=1
	s_andn2_saveexec_b64 s[30:31], s[30:31]
	s_cbranch_execz .LBB11_290
; %bb.289:                              ;   in Loop: Header=BB11_161 Depth=1
	v_rcp_f32_e64 v78, |v71|
	v_cmp_lt_f32_e64 s[12:13], |v71|, s38
	v_cndmask_b32_e64 v80, 0, 32, s[12:13]
	v_mov_b32_e32 v79, 0x3a5b3dd2
	v_mul_f32_e32 v81, v78, v78
	v_ldexp_f32 v80, |v71|, v80
	v_fmac_f32_e32 v79, 0xbad5c4e8, v81
	v_log_f32_e32 v80, v80
	v_fma_f32 v79, v81, v79, v23
	v_fma_f32 v79, v81, v79, v24
	;; [unrolled: 1-line block ×4, first 2 shown]
	v_mul_f32_e32 v81, 0x3f317217, v80
	v_fma_f32 v82, v80, s39, -v81
	v_fmac_f32_e32 v82, 0x3377d1cf, v80
	v_add_f32_e32 v81, v81, v82
	v_cmp_lt_f32_e64 s[14:15], |v80|, s40
	v_cndmask_b32_e64 v80, v80, v81, s[14:15]
	v_cndmask_b32_e64 v81, 0, v66, s[12:13]
	v_sub_f32_e32 v80, v80, v81
	v_fma_f32 v78, v78, v79, v27
	v_add_f32_e64 v79, |v71|, -0.5
	v_add_f32_e32 v80, -1.0, v80
	v_fmac_f32_e32 v78, v79, v80
.LBB11_290:                             ;   in Loop: Header=BB11_161 Depth=1
	s_or_b64 exec, exec, s[30:31]
.LBB11_291:                             ;   in Loop: Header=BB11_161 Depth=1
	s_andn2_saveexec_b64 s[28:29], s[28:29]
	s_cbranch_execz .LBB11_293
; %bb.292:                              ;   in Loop: Header=BB11_161 Depth=1
	v_cvt_i32_f32_e32 v78, v77
	v_mov_b32_e32 v81, 0x3a4beed6
	v_mov_b32_e32 v80, 0x3af135b4
	v_cvt_f32_i32_e32 v79, v78
	v_cmp_lt_i32_e64 s[12:13], 2, v78
	v_sub_f32_e64 v79, |v71|, v79
	v_add_f32_e32 v82, 2.0, v79
	v_add_f32_e32 v83, 0x40400000, v79
	v_cndmask_b32_e64 v82, 1.0, v82, s[12:13]
	v_cmp_lt_i32_e64 s[12:13], 3, v78
	v_add_f32_e32 v84, 4.0, v79
	v_cndmask_b32_e64 v83, 1.0, v83, s[12:13]
	v_cmp_lt_i32_e64 s[12:13], 4, v78
	v_fmac_f32_e32 v81, 0x36f5d7bd, v79
	v_add_f32_e32 v85, 0x40a00000, v79
	v_mul_f32_e32 v82, v82, v83
	v_cndmask_b32_e64 v83, 1.0, v84, s[12:13]
	v_cmp_lt_i32_e64 s[12:13], 5, v78
	v_fma_f32 v81, v79, v81, v33
	v_add_f32_e32 v86, 0x40c00000, v79
	v_mul_f32_e32 v82, v83, v82
	v_cndmask_b32_e64 v83, 1.0, v85, s[12:13]
	v_cmp_lt_i32_e64 s[12:13], 6, v78
	v_fma_f32 v81, v79, v81, v34
	v_mul_f32_e32 v82, v83, v82
	v_cndmask_b32_e64 v78, 1.0, v86, s[12:13]
	v_fmac_f32_e32 v80, 0x3805ff67, v79
	v_fma_f32 v81, v79, v81, v35
	v_mul_f32_e32 v78, v78, v82
	v_fma_f32 v80, v79, v80, v28
	v_fma_f32 v81, v79, v81, v36
	v_cmp_gt_f32_e64 s[12:13], s38, v78
	v_fma_f32 v80, v79, v80, v29
	v_fma_f32 v81, v79, v81, 1.0
	v_cndmask_b32_e64 v82, 0, 32, s[12:13]
	v_fma_f32 v80, v79, v80, v30
	v_rcp_f32_e32 v81, v81
	v_ldexp_f32 v78, v78, v82
	v_fma_f32 v80, v79, v80, v31
	v_log_f32_e32 v78, v78
	v_fma_f32 v80, v79, v80, v32
	v_mul_f32_e32 v80, v79, v80
	v_mul_f32_e32 v80, v80, v81
	v_fmac_f32_e32 v80, 0.5, v79
	v_mul_f32_e32 v79, 0x3f317217, v78
	v_fma_f32 v81, v78, s39, -v79
	v_fmac_f32_e32 v81, 0x3377d1cf, v78
	v_add_f32_e32 v79, v79, v81
	v_cmp_lt_f32_e64 s[14:15], |v78|, s40
	v_cndmask_b32_e64 v78, v78, v79, s[14:15]
	v_cndmask_b32_e64 v79, 0, v66, s[12:13]
	v_sub_f32_e32 v78, v78, v79
	v_add_f32_e32 v78, v78, v80
.LBB11_293:                             ;   in Loop: Header=BB11_161 Depth=1
	s_or_b64 exec, exec, s[28:29]
.LBB11_294:                             ;   in Loop: Header=BB11_161 Depth=1
	s_andn2_saveexec_b64 s[14:15], s[26:27]
	s_cbranch_execz .LBB11_312
; %bb.295:                              ;   in Loop: Header=BB11_161 Depth=1
	v_cmp_le_f32_e64 s[12:13], |v71|, s41
                                        ; implicit-def: $vgpr78
                                        ; implicit-def: $vgpr80
                                        ; implicit-def: $vgpr79
	s_and_saveexec_b64 s[26:27], s[12:13]
	s_xor_b64 s[26:27], exec, s[26:27]
	s_cbranch_execz .LBB11_297
; %bb.296:                              ;   in Loop: Header=BB11_161 Depth=1
	v_cmp_lt_f32_e64 s[12:13], |v71|, s38
	v_cndmask_b32_e64 v78, 0, 32, s[12:13]
	v_ldexp_f32 v78, |v71|, v78
	v_log_f32_e32 v78, v78
	v_cndmask_b32_e64 v79, 0, v66, s[12:13]
	v_mul_f32_e32 v80, 0x3f317217, v78
	v_fma_f32 v81, v78, s39, -v80
	v_fmac_f32_e32 v81, 0x3377d1cf, v78
	v_add_f32_e32 v80, v80, v81
	v_cmp_lt_f32_e64 s[12:13], |v78|, s40
	v_cndmask_b32_e64 v78, v78, v80, s[12:13]
	v_sub_f32_e32 v78, v78, v79
	v_sub_f32_e64 v79, 1.0, |v71|
	v_add_f32_e64 v80, |v71|, s44
	v_cmp_lt_f32_e64 s[12:13], |v71|, s43
	v_cndmask_b32_e64 v79, v79, v80, s[12:13]
	v_cndmask_b32_e64 v80, 0, 1, s[12:13]
	v_cmp_lt_f32_e64 s[12:13], |v71|, s45
	v_xor_b32_e32 v78, 0x80000000, v78
	v_cndmask_b32_e64 v79, v79, |v71|, s[12:13]
	v_cndmask_b32_e64 v80, v80, 2, s[12:13]
.LBB11_297:                             ;   in Loop: Header=BB11_161 Depth=1
	s_andn2_saveexec_b64 s[26:27], s[26:27]
	s_cbranch_execz .LBB11_299
; %bb.298:                              ;   in Loop: Header=BB11_161 Depth=1
	v_sub_f32_e64 v78, 2.0, |v71|
	v_add_f32_e64 v79, |v71|, s47
	v_cmp_lt_f32_e64 s[12:13], |v71|, s46
	v_cndmask_b32_e64 v79, v78, v79, s[12:13]
	v_cndmask_b32_e64 v78, v78, 1.0, s[12:13]
	v_cvt_i32_f32_e32 v78, v78
	v_add_f32_e64 v80, |v71|, -1.0
	v_cmp_lt_f32_e64 s[12:13], |v71|, s48
	v_cndmask_b32_e64 v79, v79, v80, s[12:13]
	v_cndmask_b32_e64 v80, v78, 2, s[12:13]
	v_mov_b32_e32 v78, 0
.LBB11_299:                             ;   in Loop: Header=BB11_161 Depth=1
	s_or_b64 exec, exec, s[26:27]
	v_cmp_lt_i32_e64 s[12:13], 0, v80
	s_and_saveexec_b64 s[26:27], s[12:13]
	s_xor_b64 s[26:27], exec, s[26:27]
	s_cbranch_execz .LBB11_307
; %bb.300:                              ;   in Loop: Header=BB11_161 Depth=1
	v_cmp_lt_i32_e64 s[12:13], 1, v80
	s_and_saveexec_b64 s[28:29], s[12:13]
	s_xor_b64 s[28:29], exec, s[28:29]
	s_cbranch_execz .LBB11_304
; %bb.301:                              ;   in Loop: Header=BB11_161 Depth=1
	v_cmp_eq_u32_e64 s[12:13], 2, v80
	s_and_saveexec_b64 s[30:31], s[12:13]
	s_cbranch_execz .LBB11_303
; %bb.302:                              ;   in Loop: Header=BB11_161 Depth=1
	v_mov_b32_e32 v81, 0x3dd572af
	v_fmac_f32_e32 v81, 0x3b52d5db, v79
	v_fma_f32 v81, v79, v81, v40
	v_mov_b32_e32 v80, 0x3e6a7578
	v_fma_f32 v81, v79, v81, v41
	v_fmac_f32_e32 v80, 0x3c5b3c5e, v79
	v_fma_f32 v81, v79, v81, v42
	v_fma_f32 v80, v79, v80, v37
	v_fma_f32 v81, v79, v81, 1.0
	v_fma_f32 v80, v79, v80, v38
	v_rcp_f32_e32 v81, v81
	v_fma_f32 v80, v79, v80, v39
	v_fma_f32 v80, v79, v80, v32
	v_mul_f32_e32 v80, v79, v80
	v_mul_f32_e32 v80, v80, v81
	v_fmac_f32_e32 v80, -0.5, v79
	v_add_f32_e32 v78, v78, v80
.LBB11_303:                             ;   in Loop: Header=BB11_161 Depth=1
	s_or_b64 exec, exec, s[30:31]
                                        ; implicit-def: $vgpr79
.LBB11_304:                             ;   in Loop: Header=BB11_161 Depth=1
	s_andn2_saveexec_b64 s[12:13], s[28:29]
	s_cbranch_execz .LBB11_306
; %bb.305:                              ;   in Loop: Header=BB11_161 Depth=1
	v_mul_f32_e32 v80, v79, v79
	v_mul_f32_e32 v81, v79, v80
	v_mov_b32_e32 v83, 0x3a66f867
	v_mov_b32_e32 v84, 0xba0d3085
	v_fmac_f32_e32 v83, 0xb9a3f927, v81
	v_fmac_f32_e32 v84, 0x39afe9f7, v81
	v_mov_b32_e32 v82, 0xbab7f476
	v_fma_f32 v83, v81, v83, v46
	v_fma_f32 v84, v81, v84, v49
	v_fmac_f32_e32 v82, 0x39a57b6b, v81
	v_fma_f32 v83, v81, v83, v47
	v_fma_f32 v84, v81, v84, v50
	;; [unrolled: 1-line block ×6, first 2 shown]
	v_fmac_f32_e32 v83, v79, v84
	v_fma_f32 v82, v81, v82, v45
	v_fma_f32 v79, v81, -v83, s49
	v_fma_f32 v79, v80, v82, -v79
	v_add_f32_e32 v79, 0xbdf8cdce, v79
	v_add_f32_e32 v78, v78, v79
.LBB11_306:                             ;   in Loop: Header=BB11_161 Depth=1
	s_or_b64 exec, exec, s[12:13]
                                        ; implicit-def: $vgpr80
                                        ; implicit-def: $vgpr79
.LBB11_307:                             ;   in Loop: Header=BB11_161 Depth=1
	s_andn2_saveexec_b64 s[26:27], s[26:27]
	s_cbranch_execz .LBB11_311
; %bb.308:                              ;   in Loop: Header=BB11_161 Depth=1
	v_cmp_eq_u32_e64 s[12:13], 0, v80
	s_and_saveexec_b64 s[28:29], s[12:13]
	s_cbranch_execz .LBB11_310
; %bb.309:                              ;   in Loop: Header=BB11_161 Depth=1
	v_mul_f32_e32 v80, v79, v79
	v_mov_b32_e32 v82, 0x38e28445
	v_mov_b32_e32 v81, 0x39679767
	v_fmac_f32_e32 v82, 0x383c2c75, v80
	v_fmac_f32_e32 v81, 0x37d383a2, v80
	v_fma_f32 v82, v80, v82, v56
	v_fma_f32 v81, v80, v81, v52
	;; [unrolled: 1-line block ×8, first 2 shown]
	v_mul_f32_e32 v80, v80, v82
	v_fmac_f32_e32 v80, v79, v81
	v_fmac_f32_e32 v80, -0.5, v79
	v_add_f32_e32 v78, v78, v80
.LBB11_310:                             ;   in Loop: Header=BB11_161 Depth=1
	s_or_b64 exec, exec, s[28:29]
.LBB11_311:                             ;   in Loop: Header=BB11_161 Depth=1
	s_or_b64 exec, exec, s[26:27]
.LBB11_312:                             ;   in Loop: Header=BB11_161 Depth=1
	s_or_b64 exec, exec, s[14:15]
.LBB11_313:                             ;   in Loop: Header=BB11_161 Depth=1
	s_andn2_saveexec_b64 s[16:17], s[16:17]
	s_cbranch_execz .LBB11_315
; %bb.314:                              ;   in Loop: Header=BB11_161 Depth=1
	v_cmp_lt_f32_e64 s[12:13], |v71|, s38
	v_cndmask_b32_e64 v78, 0, 32, s[12:13]
	v_ldexp_f32 v78, |v71|, v78
	v_log_f32_e32 v78, v78
	v_fma_f32 v79, |v71|, s50, v67
	v_fma_f32 v79, |v71|, v79, s51
	;; [unrolled: 1-line block ×3, first 2 shown]
	v_mul_f32_e32 v80, 0x3f317217, v78
	v_fma_f32 v81, v78, s39, -v80
	v_fmac_f32_e32 v81, 0x3377d1cf, v78
	v_add_f32_e32 v80, v80, v81
	v_cmp_lt_f32_e64 s[14:15], |v78|, s40
	v_cndmask_b32_e64 v78, v78, v80, s[14:15]
	v_cndmask_b32_e64 v80, 0, v66, s[12:13]
	v_sub_f32_e32 v78, v78, v80
	v_fma_f32 v78, |v71|, v79, -v78
.LBB11_315:                             ;   in Loop: Header=BB11_161 Depth=1
	s_or_b64 exec, exec, s[16:17]
	v_cmp_le_f32_e64 s[12:13], 0, v71
	v_cmp_nle_f32_e64 s[14:15], 0, v71
	s_and_saveexec_b64 s[16:17], s[14:15]
	s_xor_b64 s[26:27], exec, s[16:17]
	s_cbranch_execnz .LBB11_321
; %bb.316:                              ;   in Loop: Header=BB11_161 Depth=1
	s_andn2_saveexec_b64 s[26:27], s[26:27]
	s_cbranch_execnz .LBB11_324
.LBB11_317:                             ;   in Loop: Header=BB11_161 Depth=1
	s_or_b64 exec, exec, s[26:27]
	s_and_saveexec_b64 s[14:15], vcc
	s_xor_b64 s[14:15], exec, s[14:15]
	s_cbranch_execnz .LBB11_325
.LBB11_318:                             ;   in Loop: Header=BB11_161 Depth=1
	s_or_b64 exec, exec, s[14:15]
	s_and_saveexec_b64 s[6:7], s[4:5]
	s_cbranch_execnz .LBB11_326
.LBB11_319:                             ;   in Loop: Header=BB11_161 Depth=1
	s_or_b64 exec, exec, s[6:7]
	s_and_saveexec_b64 s[4:5], s[2:3]
	s_cbranch_execnz .LBB11_327
.LBB11_320:                             ;   in Loop: Header=BB11_161 Depth=1
	s_or_b64 exec, exec, s[4:5]
	s_and_saveexec_b64 s[2:3], s[0:1]
	s_cbranch_execz .LBB11_160
	s_branch .LBB11_328
.LBB11_321:                             ;   in Loop: Header=BB11_161 Depth=1
	v_cmp_lt_f32_e64 s[14:15], |v71|, s53
	v_cmp_gt_f32_e64 s[16:17], |v71|, s54
	s_and_b64 s[14:15], s[14:15], s[16:17]
	s_and_saveexec_b64 s[28:29], s[14:15]
	s_cbranch_execz .LBB11_323
; %bb.322:                              ;   in Loop: Header=BB11_161 Depth=1
	v_mul_f32_e64 v79, |v71|, 0.5
	v_floor_f32_e32 v80, v79
	v_sub_f32_e32 v80, v79, v80
	v_min_f32_e32 v80, 0x3f7fffff, v80
	v_add_f32_e32 v80, v80, v80
	v_cmp_neq_f32_e64 s[14:15], s40, v79
	v_cndmask_b32_e64 v79, 0, v80, s[14:15]
	v_cmp_gt_f32_e64 s[14:15], |v71|, 1.0
	v_cndmask_b32_e64 v79, |v71|, v79, s[14:15]
	v_add_f32_e32 v80, v79, v79
	v_rndne_f32_e32 v80, v80
	v_fmac_f32_e32 v79, -0.5, v80
	v_mul_f32_e32 v81, v79, v79
	v_mov_b32_e32 v82, 0xbf1f24be
	v_fmac_f32_e32 v82, 0x3e75aa41, v81
	v_fma_f32 v82, v81, v82, v60
	v_fma_f32 v82, v81, v82, v61
	v_mul_f32_e32 v83, v79, v81
	v_mul_f32_e32 v82, v83, v82
	v_fmac_f32_e32 v82, 0x40490fdb, v79
	v_mov_b32_e32 v79, 0x3e642e9d
	v_cvt_i32_f32_e32 v80, v80
	v_fmac_f32_e32 v79, 0x3d4be544, v81
	v_fma_f32 v79, v81, v79, v62
	v_fma_f32 v79, v81, v79, v63
	;; [unrolled: 1-line block ×3, first 2 shown]
	v_fma_f32 v79, v81, v79, 1.0
	v_and_b32_e32 v81, 1, v80
	v_cmp_eq_u32_e64 s[14:15], 0, v81
	v_lshlrev_b32_e32 v80, 30, v80
	v_cndmask_b32_e64 v79, v79, v82, s[14:15]
	v_and_or_b32 v77, v80, s42, v77
	v_xor_b32_e32 v77, v77, v79
	v_xor_b32_e32 v77, v77, v71
	v_mul_f32_e32 v77, v71, v77
	v_frexp_mant_f32_e64 v79, |v77|
	v_rcp_f32_e32 v79, v79
	v_frexp_exp_i32_f32_e32 v77, v77
	v_sub_u32_e32 v77, 2, v77
	v_mul_f32_e32 v79, 0x3f490fdb, v79
	v_ldexp_f32 v77, v79, v77
	v_cmp_gt_f32_e64 s[14:15], s38, v77
	v_cndmask_b32_e64 v79, 0, 32, s[14:15]
	v_ldexp_f32 v77, v77, v79
	v_log_f32_e32 v77, v77
	v_mul_f32_e32 v79, 0x3f317217, v77
	v_fma_f32 v80, v77, s39, -v79
	v_fmac_f32_e32 v80, 0x3377d1cf, v77
	v_add_f32_e32 v79, v79, v80
	v_cmp_lt_f32_e64 s[16:17], |v77|, s40
	v_cndmask_b32_e64 v77, v77, v79, s[16:17]
	v_cndmask_b32_e64 v79, 0, v66, s[14:15]
	v_sub_f32_e32 v77, v77, v79
	v_sub_f32_e32 v77, v77, v78
	v_floor_f32_e32 v78, v71
	v_sub_f32_e32 v78, v71, v78
	v_min_f32_e32 v78, 0x3f7fffff, v78
	v_cmp_neq_f32_e64 s[14:15], 0, v78
	v_cndmask_b32_e64 v78, v68, v77, s[14:15]
.LBB11_323:                             ;   in Loop: Header=BB11_161 Depth=1
	s_or_b64 exec, exec, s[28:29]
	s_andn2_saveexec_b64 s[26:27], s[26:27]
	s_cbranch_execz .LBB11_317
.LBB11_324:                             ;   in Loop: Header=BB11_161 Depth=1
	v_cmp_eq_f32_e64 s[14:15], 1.0, v71
	v_cmp_eq_f32_e64 s[16:17], 2.0, v71
	s_or_b64 s[14:15], s[14:15], s[16:17]
	v_cndmask_b32_e64 v78, v78, 0, s[14:15]
	s_or_b64 exec, exec, s[26:27]
	s_and_saveexec_b64 s[14:15], vcc
	s_xor_b64 s[14:15], exec, s[14:15]
	s_cbranch_execz .LBB11_318
.LBB11_325:                             ;   in Loop: Header=BB11_161 Depth=1
	v_cmp_lt_f32_e64 s[16:17], |v73|, s53
	s_or_b64 vcc, s[6:7], s[16:17]
	v_cndmask_b32_e32 v74, v68, v74, vcc
	v_cmp_class_f32_e32 vcc, v73, v65
	v_cndmask_b32_e32 v74, v74, v68, vcc
	v_cmp_u_f32_e32 vcc, v73, v73
	v_cndmask_b32_e32 v73, v74, v73, vcc
	v_bfe_u32 v74, v73, 16, 1
	v_add3_u32 v74, v73, v74, s55
	v_cmp_o_f32_e32 vcc, v73, v73
	v_cndmask_b32_sdwa v77, v69, v74, vcc dst_sel:DWORD dst_unused:UNUSED_PAD src0_sel:DWORD src1_sel:WORD_1
	v_mov_b32_e32 v74, s19
	v_add_co_u32_e32 v73, vcc, s18, v3
	v_addc_co_u32_e32 v74, vcc, v4, v74, vcc
	global_store_short v[73:74], v77, off
	s_or_b64 exec, exec, s[14:15]
	s_and_saveexec_b64 s[6:7], s[4:5]
	s_cbranch_execz .LBB11_319
.LBB11_326:                             ;   in Loop: Header=BB11_161 Depth=1
	v_cmp_lt_f32_e64 s[4:5], |v72|, s53
	s_or_b64 vcc, s[8:9], s[4:5]
	v_cndmask_b32_e32 v73, v68, v75, vcc
	v_cmp_class_f32_e32 vcc, v72, v65
	v_cndmask_b32_e32 v73, v73, v68, vcc
	v_cmp_u_f32_e32 vcc, v72, v72
	v_cndmask_b32_e32 v72, v73, v72, vcc
	v_bfe_u32 v73, v72, 16, 1
	v_add3_u32 v73, v72, v73, s55
	v_cmp_o_f32_e32 vcc, v72, v72
	v_cndmask_b32_sdwa v74, v69, v73, vcc dst_sel:DWORD dst_unused:UNUSED_PAD src0_sel:DWORD src1_sel:WORD_1
	v_mov_b32_e32 v73, s19
	v_add_co_u32_e32 v72, vcc, s18, v17
	v_addc_co_u32_e32 v73, vcc, v18, v73, vcc
	global_store_short v[72:73], v74, off
	s_or_b64 exec, exec, s[6:7]
	s_and_saveexec_b64 s[4:5], s[2:3]
	s_cbranch_execz .LBB11_320
.LBB11_327:                             ;   in Loop: Header=BB11_161 Depth=1
	v_cmp_lt_f32_e64 s[2:3], |v70|, s53
	s_or_b64 vcc, s[10:11], s[2:3]
	v_cndmask_b32_e32 v72, v68, v76, vcc
	v_cmp_class_f32_e32 vcc, v70, v65
	v_cndmask_b32_e32 v72, v72, v68, vcc
	v_cmp_u_f32_e32 vcc, v70, v70
	v_cndmask_b32_e32 v70, v72, v70, vcc
	v_bfe_u32 v72, v70, 16, 1
	v_add3_u32 v72, v70, v72, s55
	v_cmp_o_f32_e32 vcc, v70, v70
	v_cndmask_b32_sdwa v70, v69, v72, vcc dst_sel:DWORD dst_unused:UNUSED_PAD src0_sel:DWORD src1_sel:WORD_1
	v_mov_b32_e32 v73, s19
	v_add_co_u32_e32 v72, vcc, s18, v11
	v_addc_co_u32_e32 v73, vcc, v12, v73, vcc
	global_store_short v[72:73], v70, off
	s_or_b64 exec, exec, s[4:5]
	s_and_saveexec_b64 s[2:3], s[0:1]
	s_cbranch_execz .LBB11_160
.LBB11_328:                             ;   in Loop: Header=BB11_161 Depth=1
	v_cmp_lt_f32_e64 s[0:1], |v71|, s53
	s_or_b64 vcc, s[12:13], s[0:1]
	v_cndmask_b32_e32 v70, v68, v78, vcc
	v_cmp_class_f32_e32 vcc, v71, v65
	v_cndmask_b32_e32 v70, v70, v68, vcc
	v_cmp_u_f32_e32 vcc, v71, v71
	v_cndmask_b32_e32 v70, v70, v71, vcc
	v_bfe_u32 v71, v70, 16, 1
	v_add3_u32 v71, v70, v71, s55
	v_cmp_o_f32_e32 vcc, v70, v70
	v_cndmask_b32_sdwa v72, v69, v71, vcc dst_sel:DWORD dst_unused:UNUSED_PAD src0_sel:DWORD src1_sel:WORD_1
	v_mov_b32_e32 v71, s19
	v_add_co_u32_e32 v70, vcc, s18, v7
	v_addc_co_u32_e32 v71, vcc, v8, v71, vcc
	global_store_short v[70:71], v72, off
	s_branch .LBB11_160
.LBB11_329:
	s_endpgm
	.section	.rodata,"a",@progbits
	.p2align	6, 0x0
	.amdhsa_kernel _ZN2at6native12_GLOBAL__N_125multi_tensor_apply_kernelINS1_18TensorListMetadataILi2EEENS1_14UnaryOpFunctorIN3c108BFloat16ELi2ELi1ELi1EEEJNS0_6LgammaIfEEEEEvT_T0_DpT1_
		.amdhsa_group_segment_fixed_size 0
		.amdhsa_private_segment_fixed_size 0
		.amdhsa_kernarg_size 3408
		.amdhsa_user_sgpr_count 6
		.amdhsa_user_sgpr_private_segment_buffer 1
		.amdhsa_user_sgpr_dispatch_ptr 0
		.amdhsa_user_sgpr_queue_ptr 0
		.amdhsa_user_sgpr_kernarg_segment_ptr 1
		.amdhsa_user_sgpr_dispatch_id 0
		.amdhsa_user_sgpr_flat_scratch_init 0
		.amdhsa_user_sgpr_private_segment_size 0
		.amdhsa_uses_dynamic_stack 0
		.amdhsa_system_sgpr_private_segment_wavefront_offset 0
		.amdhsa_system_sgpr_workgroup_id_x 1
		.amdhsa_system_sgpr_workgroup_id_y 0
		.amdhsa_system_sgpr_workgroup_id_z 0
		.amdhsa_system_sgpr_workgroup_info 0
		.amdhsa_system_vgpr_workitem_id 0
		.amdhsa_next_free_vgpr 87
		.amdhsa_next_free_sgpr 56
		.amdhsa_reserve_vcc 1
		.amdhsa_reserve_flat_scratch 0
		.amdhsa_float_round_mode_32 0
		.amdhsa_float_round_mode_16_64 0
		.amdhsa_float_denorm_mode_32 3
		.amdhsa_float_denorm_mode_16_64 3
		.amdhsa_dx10_clamp 1
		.amdhsa_ieee_mode 1
		.amdhsa_fp16_overflow 0
		.amdhsa_exception_fp_ieee_invalid_op 0
		.amdhsa_exception_fp_denorm_src 0
		.amdhsa_exception_fp_ieee_div_zero 0
		.amdhsa_exception_fp_ieee_overflow 0
		.amdhsa_exception_fp_ieee_underflow 0
		.amdhsa_exception_fp_ieee_inexact 0
		.amdhsa_exception_int_div_zero 0
	.end_amdhsa_kernel
	.section	.text._ZN2at6native12_GLOBAL__N_125multi_tensor_apply_kernelINS1_18TensorListMetadataILi2EEENS1_14UnaryOpFunctorIN3c108BFloat16ELi2ELi1ELi1EEEJNS0_6LgammaIfEEEEEvT_T0_DpT1_,"axG",@progbits,_ZN2at6native12_GLOBAL__N_125multi_tensor_apply_kernelINS1_18TensorListMetadataILi2EEENS1_14UnaryOpFunctorIN3c108BFloat16ELi2ELi1ELi1EEEJNS0_6LgammaIfEEEEEvT_T0_DpT1_,comdat
.Lfunc_end11:
	.size	_ZN2at6native12_GLOBAL__N_125multi_tensor_apply_kernelINS1_18TensorListMetadataILi2EEENS1_14UnaryOpFunctorIN3c108BFloat16ELi2ELi1ELi1EEEJNS0_6LgammaIfEEEEEvT_T0_DpT1_, .Lfunc_end11-_ZN2at6native12_GLOBAL__N_125multi_tensor_apply_kernelINS1_18TensorListMetadataILi2EEENS1_14UnaryOpFunctorIN3c108BFloat16ELi2ELi1ELi1EEEJNS0_6LgammaIfEEEEEvT_T0_DpT1_
                                        ; -- End function
	.set _ZN2at6native12_GLOBAL__N_125multi_tensor_apply_kernelINS1_18TensorListMetadataILi2EEENS1_14UnaryOpFunctorIN3c108BFloat16ELi2ELi1ELi1EEEJNS0_6LgammaIfEEEEEvT_T0_DpT1_.num_vgpr, 87
	.set _ZN2at6native12_GLOBAL__N_125multi_tensor_apply_kernelINS1_18TensorListMetadataILi2EEENS1_14UnaryOpFunctorIN3c108BFloat16ELi2ELi1ELi1EEEJNS0_6LgammaIfEEEEEvT_T0_DpT1_.num_agpr, 0
	.set _ZN2at6native12_GLOBAL__N_125multi_tensor_apply_kernelINS1_18TensorListMetadataILi2EEENS1_14UnaryOpFunctorIN3c108BFloat16ELi2ELi1ELi1EEEJNS0_6LgammaIfEEEEEvT_T0_DpT1_.numbered_sgpr, 56
	.set _ZN2at6native12_GLOBAL__N_125multi_tensor_apply_kernelINS1_18TensorListMetadataILi2EEENS1_14UnaryOpFunctorIN3c108BFloat16ELi2ELi1ELi1EEEJNS0_6LgammaIfEEEEEvT_T0_DpT1_.num_named_barrier, 0
	.set _ZN2at6native12_GLOBAL__N_125multi_tensor_apply_kernelINS1_18TensorListMetadataILi2EEENS1_14UnaryOpFunctorIN3c108BFloat16ELi2ELi1ELi1EEEJNS0_6LgammaIfEEEEEvT_T0_DpT1_.private_seg_size, 0
	.set _ZN2at6native12_GLOBAL__N_125multi_tensor_apply_kernelINS1_18TensorListMetadataILi2EEENS1_14UnaryOpFunctorIN3c108BFloat16ELi2ELi1ELi1EEEJNS0_6LgammaIfEEEEEvT_T0_DpT1_.uses_vcc, 1
	.set _ZN2at6native12_GLOBAL__N_125multi_tensor_apply_kernelINS1_18TensorListMetadataILi2EEENS1_14UnaryOpFunctorIN3c108BFloat16ELi2ELi1ELi1EEEJNS0_6LgammaIfEEEEEvT_T0_DpT1_.uses_flat_scratch, 0
	.set _ZN2at6native12_GLOBAL__N_125multi_tensor_apply_kernelINS1_18TensorListMetadataILi2EEENS1_14UnaryOpFunctorIN3c108BFloat16ELi2ELi1ELi1EEEJNS0_6LgammaIfEEEEEvT_T0_DpT1_.has_dyn_sized_stack, 0
	.set _ZN2at6native12_GLOBAL__N_125multi_tensor_apply_kernelINS1_18TensorListMetadataILi2EEENS1_14UnaryOpFunctorIN3c108BFloat16ELi2ELi1ELi1EEEJNS0_6LgammaIfEEEEEvT_T0_DpT1_.has_recursion, 0
	.set _ZN2at6native12_GLOBAL__N_125multi_tensor_apply_kernelINS1_18TensorListMetadataILi2EEENS1_14UnaryOpFunctorIN3c108BFloat16ELi2ELi1ELi1EEEJNS0_6LgammaIfEEEEEvT_T0_DpT1_.has_indirect_call, 0
	.section	.AMDGPU.csdata,"",@progbits
; Kernel info:
; codeLenInByte = 19692
; TotalNumSgprs: 60
; NumVgprs: 87
; ScratchSize: 0
; MemoryBound: 0
; FloatMode: 240
; IeeeMode: 1
; LDSByteSize: 0 bytes/workgroup (compile time only)
; SGPRBlocks: 7
; VGPRBlocks: 21
; NumSGPRsForWavesPerEU: 60
; NumVGPRsForWavesPerEU: 87
; Occupancy: 2
; WaveLimiterHint : 0
; COMPUTE_PGM_RSRC2:SCRATCH_EN: 0
; COMPUTE_PGM_RSRC2:USER_SGPR: 6
; COMPUTE_PGM_RSRC2:TRAP_HANDLER: 0
; COMPUTE_PGM_RSRC2:TGID_X_EN: 1
; COMPUTE_PGM_RSRC2:TGID_Y_EN: 0
; COMPUTE_PGM_RSRC2:TGID_Z_EN: 0
; COMPUTE_PGM_RSRC2:TIDIG_COMP_CNT: 0
	.section	.text._ZN2at6native12_GLOBAL__N_125multi_tensor_apply_kernelINS1_18TensorListMetadataILi1EEENS1_14UnaryOpFunctorIdLi1ELi1ELi0EEEJNS0_6LgammaIdEEEEEvT_T0_DpT1_,"axG",@progbits,_ZN2at6native12_GLOBAL__N_125multi_tensor_apply_kernelINS1_18TensorListMetadataILi1EEENS1_14UnaryOpFunctorIdLi1ELi1ELi0EEEJNS0_6LgammaIdEEEEEvT_T0_DpT1_,comdat
	.globl	_ZN2at6native12_GLOBAL__N_125multi_tensor_apply_kernelINS1_18TensorListMetadataILi1EEENS1_14UnaryOpFunctorIdLi1ELi1ELi0EEEJNS0_6LgammaIdEEEEEvT_T0_DpT1_ ; -- Begin function _ZN2at6native12_GLOBAL__N_125multi_tensor_apply_kernelINS1_18TensorListMetadataILi1EEENS1_14UnaryOpFunctorIdLi1ELi1ELi0EEEJNS0_6LgammaIdEEEEEvT_T0_DpT1_
	.p2align	8
	.type	_ZN2at6native12_GLOBAL__N_125multi_tensor_apply_kernelINS1_18TensorListMetadataILi1EEENS1_14UnaryOpFunctorIdLi1ELi1ELi0EEEJNS0_6LgammaIdEEEEEvT_T0_DpT1_,@function
_ZN2at6native12_GLOBAL__N_125multi_tensor_apply_kernelINS1_18TensorListMetadataILi1EEENS1_14UnaryOpFunctorIdLi1ELi1ELi0EEEJNS0_6LgammaIdEEEEEvT_T0_DpT1_: ; @_ZN2at6native12_GLOBAL__N_125multi_tensor_apply_kernelINS1_18TensorListMetadataILi1EEENS1_14UnaryOpFunctorIdLi1ELi1ELi0EEEJNS0_6LgammaIdEEEEEvT_T0_DpT1_
; %bb.0:
	v_mov_b32_e32 v1, s6
	global_load_ubyte v1, v1, s[4:5] offset:1760
	s_add_u32 s0, s4, s6
	s_mul_hi_u32 s1, s6, 3
	s_mul_i32 s6, s6, 3
	s_addc_u32 s2, s5, 0
	s_add_u32 s0, s0, s6
	s_addc_u32 s1, s2, s1
	s_load_dword s6, s[0:1], 0x820
                                        ; implicit-def: $vgpr86 : SGPR spill to VGPR lane
	s_mov_b32 s11, 0
	s_waitcnt lgkmcnt(0)
	s_ashr_i32 s7, s6, 31
	s_waitcnt vmcnt(0)
	v_readfirstlane_b32 s0, v1
	s_lshl_b32 s2, s0, 3
	s_load_dwordx2 s[0:1], s[4:5], s2 offset:0x0
	s_load_dwordx2 s[8:9], s[4:5], s2 offset:0x370
	s_lshl_b64 s[2:3], s[6:7], 19
	s_waitcnt lgkmcnt(0)
	s_add_u32 s10, s0, s2
	s_addc_u32 s39, s1, s3
	v_writelane_b32 v86, s10, 0
	s_and_b32 s10, s10, 31
	s_lshl_b64 s[6:7], s[6:7], 16
	s_sub_u32 s14, s8, s6
	s_subb_u32 s15, s9, s7
	s_and_b32 s6, s8, 3
	s_mov_b32 s7, s11
	s_or_b64 s[6:7], s[10:11], s[6:7]
	s_cmp_eq_u64 s[6:7], 0
	s_cbranch_scc1 .LBB12_157
; %bb.1:
	v_cmp_lt_i64_e64 s[6:7], s[14:15], 1
	s_and_b64 vcc, exec, s[6:7]
	s_cbranch_vccnz .LBB12_156
; %bb.2:
	v_mov_b32_e32 v1, 0x10000
	s_load_dword s8, s[4:5], 0xd3c
	v_mov_b32_e32 v2, 0
	v_cmp_lt_i64_e32 vcc, s[14:15], v[1:2]
	s_mov_b32 s68, 0x55555555
	s_and_b64 s[6:7], vcc, exec
	v_cmp_lt_u64_e32 vcc, s[14:15], v[1:2]
	s_cselect_b32 s17, s15, 0
	s_cselect_b32 s16, s14, 0x10000
	s_waitcnt lgkmcnt(0)
	s_and_b32 s8, s8, 0xffff
	s_and_b64 s[6:7], vcc, exec
	s_cselect_b32 s19, s15, 0
	s_cselect_b32 s18, s14, 0x10000
	s_lshl_b32 s6, s8, 1
	s_lshl_b32 s86, s8, 2
	s_add_u32 s2, s0, s2
	v_lshlrev_b32_e32 v1, 3, v0
	s_addc_u32 s3, s1, s3
	v_mov_b32_e32 v2, s3
	v_add_co_u32_e32 v1, vcc, s2, v1
	s_mul_i32 s7, s8, 3
	v_addc_co_u32_e32 v2, vcc, 0, v2, vcc
	v_add_co_u32_e32 v63, vcc, s7, v0
	v_addc_co_u32_e64 v64, s[0:1], 0, 0, vcc
	v_add_co_u32_e32 v65, vcc, s6, v0
	v_addc_co_u32_e64 v66, s[0:1], 0, 0, vcc
	v_add_co_u32_e32 v67, vcc, s8, v0
	v_lshlrev_b32_e32 v3, 3, v67
	v_addc_co_u32_e64 v68, s[0:1], 0, 0, vcc
	v_mov_b32_e32 v4, s3
	v_add_co_u32_e32 v3, vcc, s2, v3
	s_mov_b32 s22, 0xbf559e2b
	s_mov_b32 s24, 0xd7f4df2e
	;; [unrolled: 1-line block ×24, first 2 shown]
	s_lshl_b32 s87, s8, 5
	s_mul_i32 s88, s8, 24
	s_lshl_b32 s89, s8, 4
	v_addc_co_u32_e32 v4, vcc, 0, v4, vcc
	s_mov_b32 s69, 0x3fe55555
	s_mov_b32 s23, 0x3fc3ab76
	;; [unrolled: 1-line block ×24, first 2 shown]
	v_mov_b32_e32 v69, 0x264
	v_mov_b32_e32 v5, 0x6b47b09a
	;; [unrolled: 1-line block ×33, first 2 shown]
	s_mov_b32 s72, 0x3f6fffff
	s_brev_b32 s73, -4
	s_mov_b32 s74, 0x401fffff
	s_movk_i32 s75, 0x204
	s_mov_b32 s76, 0x3feccccc
	s_mov_b32 s77, 0x65fffff
	s_movk_i32 s33, 0x1f8
	s_mov_b32 s38, 0x432fffff
	s_mov_b64 s[66:67], 0
	s_mov_b32 s20, 0x55555780
	s_mov_b32 s71, 0x7ff00000
	;; [unrolled: 1-line block ×3, first 2 shown]
	s_branch .LBB12_4
.LBB12_3:                               ;   in Loop: Header=BB12_4 Depth=1
	s_or_b64 exec, exec, s[6:7]
	s_add_u32 s66, s66, s86
	v_add_co_u32_e32 v1, vcc, s87, v1
	v_mov_b32_e32 v34, s17
	s_addc_u32 s67, s67, 0
	v_addc_co_u32_e32 v2, vcc, 0, v2, vcc
	v_mov_b32_e32 v33, s16
	v_cmp_ge_i64_e32 vcc, s[66:67], v[33:34]
	v_add_co_u32_e64 v3, s[0:1], s87, v3
	v_addc_co_u32_e64 v4, s[0:1], 0, v4, s[0:1]
	s_cbranch_vccnz .LBB12_156
.LBB12_4:                               ; =>This Inner Loop Header: Depth=1
	v_mov_b32_e32 v34, s67
	v_add_co_u32_e32 v33, vcc, s66, v0
	v_addc_co_u32_e32 v34, vcc, 0, v34, vcc
	v_cmp_gt_u64_e64 s[8:9], s[18:19], v[33:34]
	v_mov_b32_e32 v35, 0
	v_mov_b32_e32 v39, 0
	;; [unrolled: 1-line block ×4, first 2 shown]
	s_and_saveexec_b64 s[0:1], s[8:9]
	s_cbranch_execz .LBB12_6
; %bb.5:                                ;   in Loop: Header=BB12_4 Depth=1
	global_load_dwordx2 v[39:40], v[1:2], off
.LBB12_6:                               ;   in Loop: Header=BB12_4 Depth=1
	s_or_b64 exec, exec, s[0:1]
	v_mov_b32_e32 v34, s67
	v_add_co_u32_e32 v33, vcc, s66, v67
	v_addc_co_u32_e32 v34, vcc, v68, v34, vcc
	v_cmp_gt_u64_e64 s[6:7], s[18:19], v[33:34]
	s_and_saveexec_b64 s[0:1], s[6:7]
	s_cbranch_execz .LBB12_8
; %bb.7:                                ;   in Loop: Header=BB12_4 Depth=1
	global_load_dwordx2 v[35:36], v[3:4], off
.LBB12_8:                               ;   in Loop: Header=BB12_4 Depth=1
	s_or_b64 exec, exec, s[0:1]
	v_mov_b32_e32 v34, s67
	v_add_co_u32_e32 v33, vcc, s66, v65
	v_addc_co_u32_e32 v34, vcc, v66, v34, vcc
	v_cmp_gt_u64_e64 s[2:3], s[18:19], v[33:34]
	v_mov_b32_e32 v33, 0
	v_mov_b32_e32 v37, 0
	;; [unrolled: 1-line block ×4, first 2 shown]
	s_and_saveexec_b64 s[0:1], s[2:3]
	s_cbranch_execz .LBB12_10
; %bb.9:                                ;   in Loop: Header=BB12_4 Depth=1
	v_add_co_u32_e32 v37, vcc, s89, v1
	v_addc_co_u32_e32 v38, vcc, 0, v2, vcc
	global_load_dwordx2 v[37:38], v[37:38], off
.LBB12_10:                              ;   in Loop: Header=BB12_4 Depth=1
	s_or_b64 exec, exec, s[0:1]
	v_mov_b32_e32 v42, s67
	v_add_co_u32_e32 v41, vcc, s66, v63
	v_addc_co_u32_e32 v42, vcc, v64, v42, vcc
	v_cmp_gt_u64_e64 s[0:1], s[18:19], v[41:42]
	s_and_saveexec_b64 s[10:11], s[0:1]
	s_cbranch_execz .LBB12_12
; %bb.11:                               ;   in Loop: Header=BB12_4 Depth=1
	v_add_co_u32_e32 v33, vcc, s88, v1
	v_addc_co_u32_e32 v34, vcc, 0, v2, vcc
	global_load_dwordx2 v[33:34], v[33:34], off
.LBB12_12:                              ;   in Loop: Header=BB12_4 Depth=1
	s_or_b64 exec, exec, s[10:11]
	s_waitcnt vmcnt(0)
	v_and_b32_e32 v42, 0x7fffffff, v40
	v_mov_b32_e32 v41, v39
	v_cmp_lt_u32_e32 vcc, s72, v42
                                        ; implicit-def: $vgpr43_vgpr44
	s_and_saveexec_b64 s[10:11], vcc
	s_xor_b64 s[80:81], exec, s[10:11]
	s_cbranch_execz .LBB12_38
; %bb.13:                               ;   in Loop: Header=BB12_4 Depth=1
	v_cmp_lt_u32_e32 vcc, s73, v42
                                        ; implicit-def: $vgpr43_vgpr44
	s_and_saveexec_b64 s[10:11], vcc
	s_xor_b64 s[12:13], exec, s[10:11]
	s_cbranch_execz .LBB12_23
; %bb.14:                               ;   in Loop: Header=BB12_4 Depth=1
	;; [unrolled: 6-line block ×3, first 2 shown]
	s_mov_b32 s10, 0x438fffff
	v_cmp_lt_u32_e32 vcc, s10, v42
                                        ; implicit-def: $vgpr43_vgpr44
	s_and_saveexec_b64 s[10:11], vcc
	s_xor_b64 s[84:85], exec, s[10:11]
	s_cbranch_execz .LBB12_17
; %bb.16:                               ;   in Loop: Header=BB12_4 Depth=1
	v_frexp_mant_f64_e64 v[43:44], |v[39:40]|
	s_mov_b32 s21, s69
	v_cmp_neq_f64_e64 s[10:11], 0, v[39:40]
	v_cmp_gt_f64_e32 vcc, s[68:69], v[43:44]
	v_cndmask_b32_e64 v41, 0, 1, vcc
	v_ldexp_f64 v[43:44], v[43:44], v41
	v_frexp_exp_i32_f64_e32 v41, v[39:40]
	v_add_f64 v[45:46], v[43:44], 1.0
	v_add_f64 v[51:52], v[43:44], -1.0
	v_subbrev_co_u32_e32 v41, vcc, 0, v41, vcc
	v_cmp_neq_f64_e64 vcc, |v[39:40]|, s[70:71]
	v_rcp_f64_e32 v[47:48], v[45:46]
	v_add_f64 v[53:54], v[45:46], -1.0
	v_add_f64 v[43:44], v[43:44], -v[53:54]
	v_fma_f64 v[49:50], -v[45:46], v[47:48], 1.0
	v_fma_f64 v[47:48], v[49:50], v[47:48], v[47:48]
	v_fma_f64 v[49:50], -v[45:46], v[47:48], 1.0
	v_fma_f64 v[47:48], v[49:50], v[47:48], v[47:48]
	v_mul_f64 v[49:50], v[51:52], v[47:48]
	v_mul_f64 v[55:56], v[45:46], v[49:50]
	v_fma_f64 v[45:46], v[49:50], v[45:46], -v[55:56]
	v_fma_f64 v[43:44], v[49:50], v[43:44], v[45:46]
	v_add_f64 v[45:46], v[55:56], v[43:44]
	v_add_f64 v[53:54], v[51:52], -v[45:46]
	v_add_f64 v[55:56], v[45:46], -v[55:56]
	;; [unrolled: 1-line block ×5, first 2 shown]
	v_add_f64 v[43:44], v[43:44], v[45:46]
	v_add_f64 v[43:44], v[53:54], v[43:44]
	v_mul_f64 v[43:44], v[47:48], v[43:44]
	v_add_f64 v[45:46], v[49:50], v[43:44]
	v_mul_f64 v[47:48], v[45:46], v[45:46]
	v_fma_f64 v[51:52], v[47:48], s[22:23], v[5:6]
	v_mul_f64 v[53:54], v[45:46], v[47:48]
	v_fma_f64 v[51:52], v[47:48], v[51:52], s[24:25]
	v_fma_f64 v[51:52], v[47:48], v[51:52], s[26:27]
	;; [unrolled: 1-line block ×5, first 2 shown]
	v_ldexp_f64 v[51:52], v[45:46], 1
	v_add_f64 v[45:46], v[45:46], -v[49:50]
	v_mul_f64 v[47:48], v[53:54], v[47:48]
	v_cvt_f64_i32_e32 v[53:54], v41
	v_add_f64 v[43:44], v[43:44], -v[45:46]
	v_mul_f64 v[55:56], v[53:54], s[34:35]
	v_add_f64 v[49:50], v[51:52], v[47:48]
	v_ldexp_f64 v[43:44], v[43:44], 1
	v_add_f64 v[45:46], v[49:50], -v[51:52]
	v_fma_f64 v[51:52], v[53:54], s[34:35], -v[55:56]
	v_add_f64 v[45:46], v[47:48], -v[45:46]
	v_fma_f64 v[47:48], v[53:54], s[36:37], v[51:52]
	v_add_f64 v[43:44], v[43:44], v[45:46]
	v_add_f64 v[45:46], v[55:56], v[47:48]
	;; [unrolled: 1-line block ×3, first 2 shown]
	v_add_f64 v[55:56], v[45:46], -v[55:56]
	v_add_f64 v[53:54], v[45:46], v[51:52]
	v_add_f64 v[49:50], v[51:52], -v[49:50]
	v_add_f64 v[47:48], v[47:48], -v[55:56]
	;; [unrolled: 1-line block ×6, first 2 shown]
	v_add_f64 v[51:52], v[47:48], v[43:44]
	v_add_f64 v[45:46], v[45:46], -v[59:60]
	v_add_f64 v[45:46], v[49:50], v[45:46]
	v_add_f64 v[49:50], v[51:52], -v[47:48]
	;; [unrolled: 2-line block ×3, first 2 shown]
	v_add_f64 v[43:44], v[43:44], -v[49:50]
	v_add_f64 v[55:56], v[53:54], v[45:46]
	v_add_f64 v[47:48], v[47:48], -v[51:52]
	v_add_f64 v[49:50], v[55:56], -v[53:54]
	v_add_f64 v[43:44], v[43:44], v[47:48]
	v_add_f64 v[45:46], v[45:46], -v[49:50]
	v_add_f64 v[43:44], v[43:44], v[45:46]
	v_add_f64 v[43:44], v[55:56], v[43:44]
	v_cndmask_b32_e32 v41, v70, v44, vcc
	s_and_b64 vcc, s[10:11], vcc
	v_cndmask_b32_e64 v44, v71, v41, s[10:11]
	v_cndmask_b32_e32 v43, 0, v43, vcc
	v_fma_f64 v[43:44], |v[39:40]|, v[43:44], -|v[39:40]|
.LBB12_17:                              ;   in Loop: Header=BB12_4 Depth=1
	s_andn2_saveexec_b64 s[84:85], s[84:85]
	s_cbranch_execz .LBB12_19
; %bb.18:                               ;   in Loop: Header=BB12_4 Depth=1
	v_frexp_mant_f64_e64 v[43:44], |v[39:40]|
	s_mov_b32 s21, s69
	s_mov_b32 s42, 0x90c97d69
	;; [unrolled: 1-line block ×3, first 2 shown]
	v_cmp_gt_f64_e32 vcc, s[68:69], v[43:44]
	v_cndmask_b32_e64 v41, 0, 1, vcc
	v_ldexp_f64 v[43:44], v[43:44], v41
	v_mov_b32_e32 v41, v39
	v_add_f64 v[45:46], v[43:44], 1.0
	v_add_f64 v[51:52], v[43:44], -1.0
	v_rcp_f64_e32 v[47:48], v[45:46]
	v_add_f64 v[53:54], v[45:46], -1.0
	v_add_f64 v[43:44], v[43:44], -v[53:54]
	v_fma_f64 v[49:50], -v[45:46], v[47:48], 1.0
	v_fma_f64 v[47:48], v[49:50], v[47:48], v[47:48]
	v_fma_f64 v[49:50], -v[45:46], v[47:48], 1.0
	v_fma_f64 v[47:48], v[49:50], v[47:48], v[47:48]
	v_mul_f64 v[49:50], v[51:52], v[47:48]
	v_mul_f64 v[55:56], v[45:46], v[49:50]
	v_fma_f64 v[45:46], v[49:50], v[45:46], -v[55:56]
	v_fma_f64 v[43:44], v[49:50], v[43:44], v[45:46]
	v_add_f64 v[45:46], v[55:56], v[43:44]
	v_add_f64 v[53:54], v[51:52], -v[45:46]
	v_add_f64 v[55:56], v[45:46], -v[55:56]
	;; [unrolled: 1-line block ×5, first 2 shown]
	v_add_f64 v[43:44], v[43:44], v[45:46]
	v_add_f64 v[43:44], v[53:54], v[43:44]
	v_mul_f64 v[43:44], v[47:48], v[43:44]
	v_add_f64 v[45:46], v[49:50], v[43:44]
	v_mul_f64 v[47:48], v[45:46], v[45:46]
	v_ldexp_f64 v[55:56], v[45:46], 1
	v_fma_f64 v[51:52], v[47:48], s[22:23], v[5:6]
	v_mul_f64 v[53:54], v[45:46], v[47:48]
	v_add_f64 v[45:46], v[45:46], -v[49:50]
	v_fma_f64 v[51:52], v[47:48], v[51:52], s[24:25]
	v_add_f64 v[43:44], v[43:44], -v[45:46]
	v_fma_f64 v[51:52], v[47:48], v[51:52], s[26:27]
	v_ldexp_f64 v[43:44], v[43:44], 1
	v_fma_f64 v[51:52], v[47:48], v[51:52], s[28:29]
	v_fma_f64 v[51:52], v[47:48], v[51:52], s[30:31]
	;; [unrolled: 1-line block ×3, first 2 shown]
	v_div_scale_f64 v[51:52], s[10:11], v[41:42], v[41:42], 1.0
	s_mov_b32 s10, 0xb9e43e4
	s_mov_b32 s11, 0xbf5ab89d
	v_mul_f64 v[47:48], v[53:54], v[47:48]
	v_frexp_exp_i32_f64_e32 v53, v[39:40]
	v_add_f64 v[49:50], v[55:56], v[47:48]
	v_rcp_f64_e32 v[57:58], v[51:52]
	v_subbrev_co_u32_e32 v53, vcc, 0, v53, vcc
	v_cvt_f64_i32_e32 v[53:54], v53
	v_mul_f64 v[59:60], v[53:54], s[34:35]
	v_add_f64 v[45:46], v[49:50], -v[55:56]
	v_fma_f64 v[55:56], v[53:54], s[34:35], -v[59:60]
	v_add_f64 v[45:46], v[47:48], -v[45:46]
	v_fma_f64 v[47:48], -v[51:52], v[57:58], 1.0
	v_fma_f64 v[53:54], v[53:54], s[36:37], v[55:56]
	v_add_f64 v[43:44], v[43:44], v[45:46]
	v_fma_f64 v[45:46], v[57:58], v[47:48], v[57:58]
	v_div_scale_f64 v[57:58], vcc, 1.0, v[41:42], 1.0
	v_add_f64 v[47:48], v[59:60], v[53:54]
	v_add_f64 v[55:56], v[49:50], v[43:44]
	v_fma_f64 v[61:62], -v[51:52], v[45:46], 1.0
	v_add_f64 v[59:60], v[47:48], -v[59:60]
	v_add_f64 v[74:75], v[47:48], v[55:56]
	v_fma_f64 v[45:46], v[45:46], v[61:62], v[45:46]
	v_add_f64 v[49:50], v[55:56], -v[49:50]
	v_add_f64 v[53:54], v[53:54], -v[59:60]
	;; [unrolled: 1-line block ×3, first 2 shown]
	v_mul_f64 v[76:77], v[57:58], v[45:46]
	v_add_f64 v[43:44], v[43:44], -v[49:50]
	v_add_f64 v[78:79], v[74:75], -v[61:62]
	v_fma_f64 v[51:52], -v[51:52], v[76:77], v[57:58]
	v_add_f64 v[49:50], v[55:56], -v[61:62]
	v_add_f64 v[47:48], v[47:48], -v[78:79]
	v_div_fmas_f64 v[45:46], v[51:52], v[45:46], v[76:77]
	v_add_f64 v[51:52], v[53:54], v[43:44]
	v_cmp_neq_f64_e64 vcc, |v[39:40]|, s[70:71]
	v_add_f64 v[47:48], v[49:50], v[47:48]
	v_add_f64 v[49:50], v[51:52], -v[53:54]
	v_add_f64 v[47:48], v[51:52], v[47:48]
	v_div_fixup_f64 v[45:46], v[45:46], |v[39:40]|, 1.0
	v_add_f64 v[51:52], v[51:52], -v[49:50]
	v_add_f64 v[43:44], v[43:44], -v[49:50]
	v_add_f64 v[55:56], v[74:75], v[47:48]
	v_mul_f64 v[57:58], v[45:46], v[45:46]
	v_add_f64 v[49:50], v[53:54], -v[51:52]
	v_add_f64 v[51:52], v[55:56], -v[74:75]
	v_fma_f64 v[53:54], v[57:58], s[10:11], v[7:8]
	s_mov_b32 s10, 0x8c0fe741
	s_mov_b32 s11, 0xbf4380cb
	v_add_f64 v[43:44], v[43:44], v[49:50]
	v_add_f64 v[47:48], v[47:48], -v[51:52]
	v_fma_f64 v[49:50], v[57:58], v[53:54], s[10:11]
	s_mov_b32 s10, 0x98cf38b6
	s_mov_b32 s11, 0x3f4a019f
	v_add_f64 v[43:44], v[43:44], v[47:48]
	v_fma_f64 v[47:48], v[57:58], v[49:50], s[10:11]
	s_mov_b32 s10, 0x16b02e5c
	s_mov_b32 s11, 0xbf66c16c
	v_add_f64 v[49:50], |v[39:40]|, -0.5
	v_add_f64 v[43:44], v[55:56], v[43:44]
	v_fma_f64 v[47:48], v[57:58], v[47:48], s[10:11]
	s_mov_b32 s10, 0x5555553b
	s_mov_b32 s11, 0x3fb55555
	v_add_f64 v[43:44], v[43:44], -1.0
	v_fma_f64 v[47:48], v[57:58], v[47:48], s[10:11]
	v_cmp_neq_f64_e64 s[10:11], 0, v[39:40]
	v_cndmask_b32_e32 v41, v70, v44, vcc
	v_fma_f64 v[44:45], v[45:46], v[47:48], s[42:43]
	s_and_b64 vcc, s[10:11], vcc
	v_cndmask_b32_e64 v47, v71, v41, s[10:11]
	v_cndmask_b32_e32 v46, 0, v43, vcc
	s_mov_b32 s42, 0xdd17e945
	s_mov_b32 s43, 0x3f00bfec
	v_fma_f64 v[43:44], v[49:50], v[46:47], v[44:45]
.LBB12_19:                              ;   in Loop: Header=BB12_4 Depth=1
	s_or_b64 exec, exec, s[84:85]
.LBB12_20:                              ;   in Loop: Header=BB12_4 Depth=1
	s_andn2_saveexec_b64 s[10:11], s[82:83]
	s_cbranch_execz .LBB12_22
; %bb.21:                               ;   in Loop: Header=BB12_4 Depth=1
	v_cvt_i32_f64_e32 v41, v[41:42]
	s_mov_b32 s82, 0x7e939961
	s_mov_b32 s83, 0x3f9b481c
	;; [unrolled: 1-line block ×3, first 2 shown]
	v_cvt_f64_i32_e32 v[43:44], v41
	s_mov_b32 s21, s69
	v_add_f64 v[45:46], |v[39:40]|, -v[43:44]
	v_fma_f64 v[43:44], v[45:46], s[42:43], v[9:10]
	v_fma_f64 v[43:44], v[45:46], v[43:44], s[82:83]
	s_mov_b32 s82, 0xbee5f2f7
	s_mov_b32 s83, 0x3fc2bb9c
	v_fma_f64 v[43:44], v[45:46], v[43:44], s[82:83]
	s_mov_b32 s82, 0x4f139f59
	s_mov_b32 s83, 0x3fd4d98f
	;; [unrolled: 3-line block ×5, first 2 shown]
	v_fma_f64 v[43:44], v[45:46], v[43:44], s[40:41]
	v_fma_f64 v[47:48], v[45:46], v[47:48], s[82:83]
	s_mov_b32 s82, 0xccfbdf27
	s_mov_b32 s83, 0x3fc601ed
	v_mul_f64 v[43:44], v[45:46], v[43:44]
	v_fma_f64 v[47:48], v[45:46], v[47:48], s[82:83]
	s_mov_b32 s82, 0x93d3dcdc
	s_mov_b32 s83, 0x3fe71a18
	v_fma_f64 v[47:48], v[45:46], v[47:48], s[82:83]
	s_mov_b32 s82, 0x62c4ab74
	s_mov_b32 s83, 0x3ff645a7
	v_fma_f64 v[47:48], v[45:46], v[47:48], s[82:83]
	v_fma_f64 v[47:48], v[45:46], v[47:48], 1.0
	v_div_scale_f64 v[49:50], s[82:83], v[47:48], v[47:48], v[43:44]
	s_mov_b32 s82, 0
	s_mov_b32 s83, 0x40080000
	v_rcp_f64_e32 v[51:52], v[49:50]
	v_fma_f64 v[53:54], -v[49:50], v[51:52], 1.0
	v_fma_f64 v[51:52], v[51:52], v[53:54], v[51:52]
	v_fma_f64 v[53:54], -v[49:50], v[51:52], 1.0
	v_fma_f64 v[51:52], v[51:52], v[53:54], v[51:52]
	v_div_scale_f64 v[53:54], vcc, v[43:44], v[47:48], v[43:44]
	v_mul_f64 v[55:56], v[53:54], v[51:52]
	v_fma_f64 v[49:50], -v[49:50], v[55:56], v[53:54]
	s_nop 1
	v_div_fmas_f64 v[49:50], v[49:50], v[51:52], v[55:56]
	v_cmp_lt_i32_e32 vcc, 2, v41
	v_add_f64 v[51:52], v[45:46], 4.0
	v_div_fixup_f64 v[43:44], v[49:50], v[47:48], v[43:44]
	v_add_f64 v[47:48], v[45:46], 2.0
	v_add_f64 v[49:50], v[45:46], s[82:83]
	s_mov_b32 s82, 0
	s_mov_b32 s83, 0x40140000
	v_add_f64 v[53:54], v[45:46], s[82:83]
	s_mov_b32 s82, 0
	s_mov_b32 s83, 0x40180000
	v_fma_f64 v[43:44], v[45:46], 0.5, v[43:44]
	v_cndmask_b32_e32 v48, v72, v48, vcc
	v_cndmask_b32_e32 v47, 0, v47, vcc
	v_cmp_lt_i32_e32 vcc, 3, v41
	v_cndmask_b32_e32 v50, v72, v50, vcc
	v_cndmask_b32_e32 v49, 0, v49, vcc
	v_mul_f64 v[47:48], v[47:48], v[49:50]
	v_cmp_lt_i32_e32 vcc, 4, v41
	v_cndmask_b32_e32 v50, v72, v52, vcc
	v_cndmask_b32_e32 v49, 0, v51, vcc
	v_cmp_lt_i32_e32 vcc, 5, v41
	v_add_f64 v[45:46], v[45:46], s[82:83]
	v_mul_f64 v[47:48], v[49:50], v[47:48]
	v_cndmask_b32_e32 v50, v72, v54, vcc
	v_cndmask_b32_e32 v49, 0, v53, vcc
	v_cmp_lt_i32_e32 vcc, 6, v41
	v_cndmask_b32_e32 v46, v72, v46, vcc
	v_cndmask_b32_e32 v45, 0, v45, vcc
	v_mul_f64 v[47:48], v[49:50], v[47:48]
	v_mul_f64 v[45:46], v[45:46], v[47:48]
	v_frexp_mant_f64_e32 v[47:48], v[45:46]
	v_frexp_exp_i32_f64_e32 v41, v[45:46]
	v_cmp_gt_f64_e32 vcc, s[68:69], v[47:48]
	v_cndmask_b32_e64 v49, 0, 1, vcc
	v_ldexp_f64 v[47:48], v[47:48], v49
	v_subbrev_co_u32_e32 v41, vcc, 0, v41, vcc
	v_cmp_class_f64_e64 vcc, v[45:46], s75
	v_add_f64 v[51:52], v[47:48], 1.0
	v_add_f64 v[49:50], v[47:48], -1.0
	v_add_f64 v[53:54], v[51:52], -1.0
	v_add_f64 v[47:48], v[47:48], -v[53:54]
	v_rcp_f64_e32 v[53:54], v[51:52]
	v_fma_f64 v[55:56], -v[51:52], v[53:54], 1.0
	v_fma_f64 v[53:54], v[55:56], v[53:54], v[53:54]
	v_fma_f64 v[55:56], -v[51:52], v[53:54], 1.0
	v_fma_f64 v[53:54], v[55:56], v[53:54], v[53:54]
	v_mul_f64 v[55:56], v[49:50], v[53:54]
	v_mul_f64 v[57:58], v[51:52], v[55:56]
	v_fma_f64 v[51:52], v[55:56], v[51:52], -v[57:58]
	v_fma_f64 v[47:48], v[55:56], v[47:48], v[51:52]
	v_add_f64 v[51:52], v[57:58], v[47:48]
	v_add_f64 v[59:60], v[49:50], -v[51:52]
	v_add_f64 v[57:58], v[51:52], -v[57:58]
	;; [unrolled: 1-line block ×5, first 2 shown]
	v_add_f64 v[47:48], v[47:48], v[49:50]
	v_add_f64 v[47:48], v[59:60], v[47:48]
	v_mul_f64 v[47:48], v[53:54], v[47:48]
	v_add_f64 v[49:50], v[55:56], v[47:48]
	v_add_f64 v[51:52], v[49:50], -v[55:56]
	v_ldexp_f64 v[55:56], v[49:50], 1
	v_add_f64 v[47:48], v[47:48], -v[51:52]
	v_mul_f64 v[51:52], v[49:50], v[49:50]
	v_ldexp_f64 v[47:48], v[47:48], 1
	v_fma_f64 v[53:54], v[51:52], s[22:23], v[5:6]
	v_mul_f64 v[49:50], v[49:50], v[51:52]
	v_fma_f64 v[53:54], v[51:52], v[53:54], s[24:25]
	v_fma_f64 v[53:54], v[51:52], v[53:54], s[26:27]
	;; [unrolled: 1-line block ×5, first 2 shown]
	v_mul_f64 v[49:50], v[49:50], v[53:54]
	v_add_f64 v[51:52], v[55:56], v[49:50]
	v_add_f64 v[53:54], v[51:52], -v[55:56]
	v_add_f64 v[49:50], v[49:50], -v[53:54]
	v_add_f64 v[47:48], v[47:48], v[49:50]
	v_add_f64 v[49:50], v[51:52], v[47:48]
	v_add_f64 v[51:52], v[49:50], -v[51:52]
	v_add_f64 v[47:48], v[47:48], -v[51:52]
	v_cvt_f64_i32_e32 v[51:52], v41
	v_mul_f64 v[53:54], v[51:52], s[34:35]
	v_fma_f64 v[55:56], v[51:52], s[34:35], -v[53:54]
	v_fma_f64 v[51:52], v[51:52], s[36:37], v[55:56]
	v_add_f64 v[55:56], v[53:54], v[51:52]
	v_add_f64 v[53:54], v[55:56], -v[53:54]
	v_add_f64 v[51:52], v[51:52], -v[53:54]
	v_add_f64 v[53:54], v[55:56], v[49:50]
	v_add_f64 v[57:58], v[53:54], -v[55:56]
	v_add_f64 v[59:60], v[53:54], -v[57:58]
	;; [unrolled: 1-line block ×4, first 2 shown]
	v_add_f64 v[49:50], v[49:50], v[55:56]
	v_add_f64 v[55:56], v[51:52], v[47:48]
	v_add_f64 v[57:58], v[55:56], -v[51:52]
	v_add_f64 v[49:50], v[55:56], v[49:50]
	v_add_f64 v[59:60], v[55:56], -v[57:58]
	v_add_f64 v[47:48], v[47:48], -v[57:58]
	;; [unrolled: 1-line block ×3, first 2 shown]
	v_add_f64 v[47:48], v[47:48], v[51:52]
	v_add_f64 v[51:52], v[53:54], v[49:50]
	v_add_f64 v[53:54], v[51:52], -v[53:54]
	v_add_f64 v[49:50], v[49:50], -v[53:54]
	v_add_f64 v[47:48], v[47:48], v[49:50]
	v_add_f64 v[47:48], v[51:52], v[47:48]
	v_cndmask_b32_e32 v41, v47, v45, vcc
	v_cndmask_b32_e32 v47, v48, v46, vcc
	v_cmp_ngt_f64_e32 vcc, 0, v[45:46]
	v_cndmask_b32_e32 v48, v73, v47, vcc
	v_cmp_nge_f64_e32 vcc, 0, v[45:46]
	v_cndmask_b32_e32 v47, 0, v41, vcc
	v_cmp_neq_f64_e32 vcc, 0, v[45:46]
	v_cndmask_b32_e32 v48, v71, v48, vcc
	v_add_f64 v[43:44], v[43:44], v[47:48]
.LBB12_22:                              ;   in Loop: Header=BB12_4 Depth=1
	s_or_b64 exec, exec, s[10:11]
.LBB12_23:                              ;   in Loop: Header=BB12_4 Depth=1
	s_andn2_saveexec_b64 s[82:83], s[12:13]
	s_cbranch_execz .LBB12_37
; %bb.24:                               ;   in Loop: Header=BB12_4 Depth=1
	v_cmp_lt_u32_e32 vcc, s76, v42
                                        ; implicit-def: $vgpr41
                                        ; implicit-def: $vgpr45_vgpr46
	s_and_saveexec_b64 s[10:11], vcc
	s_xor_b64 s[10:11], exec, s[10:11]
	s_cbranch_execz .LBB12_26
; %bb.25:                               ;   in Loop: Header=BB12_4 Depth=1
	s_mov_b32 s12, 0x6356be3f
	s_mov_b32 s13, 0xbff762d8
	v_add_f64 v[43:44], -|v[39:40]|, 2.0
	v_add_f64 v[45:46], |v[39:40]|, s[12:13]
	v_add_f64 v[47:48], |v[39:40]|, -1.0
	s_mov_b32 s12, 0x3ffbb4c3
	v_cmp_gt_u32_e32 vcc, s12, v42
	s_mov_b32 s12, 0x3ff3b4c4
	v_cndmask_b32_e64 v41, 0, 1, vcc
	v_cndmask_b32_e32 v43, v43, v45, vcc
	v_cndmask_b32_e32 v44, v44, v46, vcc
	v_cmp_gt_u32_e32 vcc, s12, v42
	v_cndmask_b32_e32 v46, v44, v48, vcc
	v_cndmask_b32_e32 v45, v43, v47, vcc
	v_cndmask_b32_e64 v41, v41, 2, vcc
.LBB12_26:                              ;   in Loop: Header=BB12_4 Depth=1
	s_or_saveexec_b64 s[84:85], s[10:11]
	v_mov_b32_e32 v43, 0
	v_mov_b32_e32 v44, 0
	s_xor_b64 exec, exec, s[84:85]
	s_cbranch_execz .LBB12_28
; %bb.27:                               ;   in Loop: Header=BB12_4 Depth=1
	v_frexp_mant_f64_e64 v[43:44], |v[39:40]|
	s_mov_b32 s21, s69
	s_mov_b32 s10, 0x8d5af8fc
	;; [unrolled: 1-line block ×4, first 2 shown]
	v_cmp_gt_u32_e64 s[12:13], s12, v42
	v_cmp_gt_f64_e32 vcc, s[68:69], v[43:44]
	v_cndmask_b32_e64 v41, 0, 1, vcc
	v_ldexp_f64 v[43:44], v[43:44], v41
	v_frexp_exp_i32_f64_e32 v41, v[39:40]
	v_add_f64 v[45:46], v[43:44], 1.0
	v_add_f64 v[51:52], v[43:44], -1.0
	v_subbrev_co_u32_e32 v41, vcc, 0, v41, vcc
	v_cmp_neq_f64_e64 vcc, |v[39:40]|, s[70:71]
	v_rcp_f64_e32 v[47:48], v[45:46]
	v_add_f64 v[53:54], v[45:46], -1.0
	v_add_f64 v[43:44], v[43:44], -v[53:54]
	v_fma_f64 v[49:50], -v[45:46], v[47:48], 1.0
	v_fma_f64 v[47:48], v[49:50], v[47:48], v[47:48]
	v_fma_f64 v[49:50], -v[45:46], v[47:48], 1.0
	v_fma_f64 v[47:48], v[49:50], v[47:48], v[47:48]
	v_mul_f64 v[49:50], v[51:52], v[47:48]
	v_mul_f64 v[55:56], v[45:46], v[49:50]
	v_fma_f64 v[45:46], v[49:50], v[45:46], -v[55:56]
	v_fma_f64 v[43:44], v[49:50], v[43:44], v[45:46]
	v_add_f64 v[45:46], v[55:56], v[43:44]
	v_add_f64 v[53:54], v[51:52], -v[45:46]
	v_add_f64 v[55:56], v[45:46], -v[55:56]
	;; [unrolled: 1-line block ×5, first 2 shown]
	v_add_f64 v[43:44], v[43:44], v[45:46]
	v_add_f64 v[43:44], v[53:54], v[43:44]
	v_mul_f64 v[43:44], v[47:48], v[43:44]
	v_add_f64 v[45:46], v[49:50], v[43:44]
	v_mul_f64 v[47:48], v[45:46], v[45:46]
	v_fma_f64 v[51:52], v[47:48], s[22:23], v[5:6]
	v_mul_f64 v[53:54], v[45:46], v[47:48]
	v_fma_f64 v[51:52], v[47:48], v[51:52], s[24:25]
	v_fma_f64 v[51:52], v[47:48], v[51:52], s[26:27]
	;; [unrolled: 1-line block ×5, first 2 shown]
	v_ldexp_f64 v[51:52], v[45:46], 1
	v_add_f64 v[45:46], v[45:46], -v[49:50]
	v_mul_f64 v[47:48], v[53:54], v[47:48]
	v_cvt_f64_i32_e32 v[53:54], v41
	v_add_f64 v[43:44], v[43:44], -v[45:46]
	v_mul_f64 v[55:56], v[53:54], s[34:35]
	v_add_f64 v[49:50], v[51:52], v[47:48]
	v_ldexp_f64 v[43:44], v[43:44], 1
	v_add_f64 v[45:46], v[49:50], -v[51:52]
	v_fma_f64 v[51:52], v[53:54], s[34:35], -v[55:56]
	v_add_f64 v[45:46], v[47:48], -v[45:46]
	v_fma_f64 v[47:48], v[53:54], s[36:37], v[51:52]
	v_add_f64 v[43:44], v[43:44], v[45:46]
	v_add_f64 v[45:46], v[55:56], v[47:48]
	;; [unrolled: 1-line block ×3, first 2 shown]
	v_add_f64 v[55:56], v[45:46], -v[55:56]
	v_add_f64 v[53:54], v[45:46], v[51:52]
	v_add_f64 v[49:50], v[51:52], -v[49:50]
	v_add_f64 v[47:48], v[47:48], -v[55:56]
	;; [unrolled: 1-line block ×6, first 2 shown]
	v_add_f64 v[51:52], v[47:48], v[43:44]
	v_add_f64 v[45:46], v[45:46], -v[59:60]
	v_add_f64 v[45:46], v[49:50], v[45:46]
	v_add_f64 v[49:50], v[51:52], -v[47:48]
	;; [unrolled: 2-line block ×3, first 2 shown]
	v_add_f64 v[43:44], v[43:44], -v[49:50]
	v_add_f64 v[55:56], v[53:54], v[45:46]
	v_add_f64 v[47:48], v[47:48], -v[51:52]
	v_add_f64 v[49:50], v[55:56], -v[53:54]
	v_add_f64 v[43:44], v[43:44], v[47:48]
	v_add_f64 v[47:48], |v[39:40]|, s[10:11]
	v_cmp_neq_f64_e64 s[10:11], 0, v[39:40]
	v_add_f64 v[45:46], v[45:46], -v[49:50]
	v_cndmask_b32_e64 v49, 0, 1, s[12:13]
	v_add_f64 v[43:44], v[43:44], v[45:46]
	v_add_f64 v[45:46], -|v[39:40]|, 1.0
	v_add_f64 v[43:44], v[55:56], v[43:44]
	v_xor_b32_e32 v41, 0x80000000, v44
	v_cndmask_b32_e64 v44, v45, v47, s[12:13]
	v_cndmask_b32_e64 v45, v46, v48, s[12:13]
	s_mov_b32 s12, 0x3fcda661
	v_cndmask_b32_e32 v41, v71, v41, vcc
	v_cmp_gt_u32_e64 s[12:13], s12, v42
	s_and_b64 vcc, s[10:11], vcc
	v_cndmask_b32_e64 v46, v45, v42, s[12:13]
	v_cndmask_b32_e64 v45, v44, v39, s[12:13]
	;; [unrolled: 1-line block ×3, first 2 shown]
	v_cndmask_b32_e32 v43, 0, v43, vcc
	v_cndmask_b32_e64 v41, v49, 2, s[12:13]
.LBB12_28:                              ;   in Loop: Header=BB12_4 Depth=1
	s_or_b64 exec, exec, s[84:85]
	v_cmp_lt_i32_e32 vcc, 1, v41
                                        ; implicit-def: $vgpr49_vgpr50
	s_and_saveexec_b64 s[10:11], vcc
	s_xor_b64 s[10:11], exec, s[10:11]
	s_cbranch_execz .LBB12_30
; %bb.29:                               ;   in Loop: Header=BB12_4 Depth=1
	s_mov_b32 s12, 0xbf2bab09
	s_mov_b32 s13, 0x3f8b678b
	v_fma_f64 v[47:48], v[45:46], s[12:13], v[13:14]
	s_mov_b32 s12, 0x57d0cf61
	s_mov_b32 s13, 0x3f6a5abb
	v_fma_f64 v[49:50], v[45:46], s[12:13], v[15:16]
	s_mov_b32 s12, 0x44ea8450
	s_mov_b32 s13, 0x3fef4976
	;; [unrolled: 1-line block ×3, first 2 shown]
                                        ; implicit-def: $vgpr41
	v_fma_f64 v[47:48], v[45:46], v[47:48], s[12:13]
	s_mov_b32 s12, 0xe45050af
	s_mov_b32 s13, 0x3fe89dfb
	v_fma_f64 v[49:50], v[45:46], v[49:50], s[12:13]
	s_mov_b32 s12, 0xd119bd6f
	s_mov_b32 s13, 0x3ff7475c
	v_fma_f64 v[47:48], v[45:46], v[47:48], s[12:13]
	s_mov_b32 s12, 0xa42b18f5
	s_mov_b32 s13, 0x40010725
	v_fma_f64 v[49:50], v[45:46], v[49:50], s[12:13]
	s_mov_b32 s12, 0x8b005dff
	s_mov_b32 s13, 0x3fe4401e
	v_fma_f64 v[47:48], v[45:46], v[47:48], s[12:13]
	s_mov_b32 s12, 0xc2bd619c
	s_mov_b32 s13, 0x4003a5d7
	v_fma_f64 v[49:50], v[45:46], v[49:50], s[12:13]
	v_fma_f64 v[47:48], v[45:46], v[47:48], s[40:41]
	v_fma_f64 v[49:50], v[45:46], v[49:50], 1.0
	v_mul_f64 v[47:48], v[45:46], v[47:48]
	v_div_scale_f64 v[51:52], s[12:13], v[49:50], v[49:50], v[47:48]
	v_div_scale_f64 v[57:58], vcc, v[47:48], v[49:50], v[47:48]
	v_rcp_f64_e32 v[53:54], v[51:52]
	v_fma_f64 v[55:56], -v[51:52], v[53:54], 1.0
	v_fma_f64 v[53:54], v[53:54], v[55:56], v[53:54]
	v_fma_f64 v[55:56], -v[51:52], v[53:54], 1.0
	v_fma_f64 v[53:54], v[53:54], v[55:56], v[53:54]
	v_mul_f64 v[55:56], v[57:58], v[53:54]
	v_fma_f64 v[51:52], -v[51:52], v[55:56], v[57:58]
	v_div_fmas_f64 v[51:52], v[51:52], v[53:54], v[55:56]
	v_div_fixup_f64 v[47:48], v[51:52], v[49:50], v[47:48]
	v_fma_f64 v[49:50], v[45:46], -0.5, v[47:48]
                                        ; implicit-def: $vgpr45_vgpr46
.LBB12_30:                              ;   in Loop: Header=BB12_4 Depth=1
	s_andn2_saveexec_b64 s[10:11], s[10:11]
	s_cbranch_execz .LBB12_36
; %bb.31:                               ;   in Loop: Header=BB12_4 Depth=1
	v_mul_f64 v[47:48], v[45:46], v[45:46]
	v_cmp_ne_u32_e32 vcc, 1, v41
                                        ; implicit-def: $vgpr49_vgpr50
	s_and_saveexec_b64 s[12:13], vcc
	s_xor_b64 s[12:13], exec, s[12:13]
	s_cbranch_execz .LBB12_33
; %bb.32:                               ;   in Loop: Header=BB12_4 Depth=1
	s_mov_b32 s84, 0x90a45837
	s_mov_b32 s85, 0x3f07858e
	v_fma_f64 v[49:50], v[47:48], s[84:85], v[19:20]
	s_mov_b32 s84, 0x428cfa52
	s_mov_b32 s85, 0x3efa7074
	v_fma_f64 v[51:52], v[47:48], s[84:85], v[17:18]
	;; [unrolled: 3-line block ×9, first 2 shown]
	v_fma_f64 v[51:52], v[47:48], v[51:52], s[78:79]
	v_mul_f64 v[47:48], v[47:48], v[49:50]
	v_fma_f64 v[47:48], v[45:46], v[51:52], v[47:48]
	v_fma_f64 v[49:50], v[45:46], -0.5, v[47:48]
                                        ; implicit-def: $vgpr45_vgpr46
                                        ; implicit-def: $vgpr47_vgpr48
.LBB12_33:                              ;   in Loop: Header=BB12_4 Depth=1
	s_andn2_saveexec_b64 s[12:13], s[12:13]
	s_cbranch_execz .LBB12_35
; %bb.34:                               ;   in Loop: Header=BB12_4 Depth=1
	v_mul_f64 v[49:50], v[45:46], v[47:48]
	s_mov_b32 s84, 0xecc38c38
	s_mov_b32 s85, 0xbf347f24
	v_fma_f64 v[51:52], v[49:50], s[84:85], v[23:24]
	s_mov_b32 s84, 0xe8c2d3f4
	s_mov_b32 s85, 0x3f35fd3e
	v_fma_f64 v[53:54], v[49:50], s[84:85], v[25:26]
	;; [unrolled: 3-line block ×12, first 2 shown]
	v_fma_f64 v[51:52], v[49:50], v[55:56], s[84:85]
	s_mov_b32 s84, 0xa48a971f
	s_mov_b32 s85, 0xbc50c7ca
	v_fma_f64 v[45:46], v[49:50], -v[45:46], s[84:85]
	s_mov_b32 s84, 0xbcc38a42
	s_mov_b32 s85, 0xbfbf19b9
	v_fma_f64 v[45:46], v[47:48], v[51:52], -v[45:46]
	v_add_f64 v[49:50], v[45:46], s[84:85]
.LBB12_35:                              ;   in Loop: Header=BB12_4 Depth=1
	s_or_b64 exec, exec, s[12:13]
.LBB12_36:                              ;   in Loop: Header=BB12_4 Depth=1
	s_or_b64 exec, exec, s[10:11]
	v_add_f64 v[43:44], v[43:44], v[49:50]
.LBB12_37:                              ;   in Loop: Header=BB12_4 Depth=1
	s_or_b64 exec, exec, s[82:83]
.LBB12_38:                              ;   in Loop: Header=BB12_4 Depth=1
	s_andn2_saveexec_b64 s[12:13], s[80:81]
	s_cbranch_execz .LBB12_40
; %bb.39:                               ;   in Loop: Header=BB12_4 Depth=1
	v_frexp_mant_f64_e64 v[43:44], |v[39:40]|
	s_mov_b32 s21, s69
	v_cmp_neq_f64_e64 s[10:11], 0, v[39:40]
	v_cmp_gt_f64_e32 vcc, s[68:69], v[43:44]
	v_cndmask_b32_e64 v41, 0, 1, vcc
	v_ldexp_f64 v[43:44], v[43:44], v41
	v_frexp_exp_i32_f64_e32 v41, v[39:40]
	v_add_f64 v[45:46], v[43:44], 1.0
	v_add_f64 v[51:52], v[43:44], -1.0
	v_subbrev_co_u32_e32 v41, vcc, 0, v41, vcc
	v_cmp_neq_f64_e64 vcc, |v[39:40]|, s[70:71]
	v_rcp_f64_e32 v[47:48], v[45:46]
	v_add_f64 v[53:54], v[45:46], -1.0
	v_add_f64 v[43:44], v[43:44], -v[53:54]
	v_fma_f64 v[49:50], -v[45:46], v[47:48], 1.0
	v_fma_f64 v[47:48], v[49:50], v[47:48], v[47:48]
	v_fma_f64 v[49:50], -v[45:46], v[47:48], 1.0
	v_fma_f64 v[47:48], v[49:50], v[47:48], v[47:48]
	v_mul_f64 v[49:50], v[51:52], v[47:48]
	v_mul_f64 v[55:56], v[45:46], v[49:50]
	v_fma_f64 v[45:46], v[49:50], v[45:46], -v[55:56]
	v_fma_f64 v[43:44], v[49:50], v[43:44], v[45:46]
	v_add_f64 v[45:46], v[55:56], v[43:44]
	v_add_f64 v[53:54], v[51:52], -v[45:46]
	v_add_f64 v[55:56], v[45:46], -v[55:56]
	;; [unrolled: 1-line block ×5, first 2 shown]
	v_add_f64 v[43:44], v[43:44], v[45:46]
	v_add_f64 v[43:44], v[53:54], v[43:44]
	v_mul_f64 v[43:44], v[47:48], v[43:44]
	v_add_f64 v[45:46], v[49:50], v[43:44]
	v_mul_f64 v[47:48], v[45:46], v[45:46]
	v_fma_f64 v[51:52], v[47:48], s[22:23], v[5:6]
	v_mul_f64 v[53:54], v[45:46], v[47:48]
	v_fma_f64 v[51:52], v[47:48], v[51:52], s[24:25]
	v_fma_f64 v[51:52], v[47:48], v[51:52], s[26:27]
	;; [unrolled: 1-line block ×5, first 2 shown]
	v_ldexp_f64 v[51:52], v[45:46], 1
	v_add_f64 v[45:46], v[45:46], -v[49:50]
	v_mul_f64 v[47:48], v[53:54], v[47:48]
	v_cvt_f64_i32_e32 v[53:54], v41
	v_add_f64 v[43:44], v[43:44], -v[45:46]
	v_mul_f64 v[55:56], v[53:54], s[34:35]
	v_add_f64 v[49:50], v[51:52], v[47:48]
	v_ldexp_f64 v[43:44], v[43:44], 1
	v_add_f64 v[45:46], v[49:50], -v[51:52]
	v_fma_f64 v[51:52], v[53:54], s[34:35], -v[55:56]
	v_add_f64 v[45:46], v[47:48], -v[45:46]
	v_fma_f64 v[47:48], v[53:54], s[36:37], v[51:52]
	v_add_f64 v[43:44], v[43:44], v[45:46]
	v_add_f64 v[45:46], v[55:56], v[47:48]
	;; [unrolled: 1-line block ×3, first 2 shown]
	v_add_f64 v[55:56], v[45:46], -v[55:56]
	v_add_f64 v[53:54], v[45:46], v[51:52]
	v_add_f64 v[49:50], v[51:52], -v[49:50]
	v_add_f64 v[47:48], v[47:48], -v[55:56]
	;; [unrolled: 1-line block ×6, first 2 shown]
	v_add_f64 v[51:52], v[47:48], v[43:44]
	v_add_f64 v[45:46], v[45:46], -v[59:60]
	v_add_f64 v[45:46], v[49:50], v[45:46]
	v_add_f64 v[49:50], v[51:52], -v[47:48]
	;; [unrolled: 2-line block ×3, first 2 shown]
	v_add_f64 v[43:44], v[43:44], -v[49:50]
	v_add_f64 v[55:56], v[53:54], v[45:46]
	v_add_f64 v[47:48], v[47:48], -v[51:52]
	v_add_f64 v[49:50], v[55:56], -v[53:54]
	v_add_f64 v[43:44], v[43:44], v[47:48]
	v_fma_f64 v[47:48], |v[39:40]|, s[48:49], v[27:28]
	v_add_f64 v[45:46], v[45:46], -v[49:50]
	v_add_f64 v[43:44], v[43:44], v[45:46]
	v_fma_f64 v[45:46], |v[39:40]|, v[47:48], s[90:91]
	v_add_f64 v[43:44], v[55:56], v[43:44]
	v_fma_f64 v[45:46], |v[39:40]|, v[45:46], s[92:93]
	v_xor_b32_e32 v41, 0x80000000, v44
	v_fma_f64 v[44:45], |v[39:40]|, v[45:46], s[94:95]
	v_cndmask_b32_e32 v41, v71, v41, vcc
	s_and_b64 vcc, s[10:11], vcc
	v_cndmask_b32_e64 v47, v70, v41, s[10:11]
	v_cndmask_b32_e32 v46, 0, v43, vcc
	v_fma_f64 v[43:44], |v[39:40]|, v[44:45], v[46:47]
.LBB12_40:                              ;   in Loop: Header=BB12_4 Depth=1
	s_or_b64 exec, exec, s[12:13]
	v_cmp_le_f64_e32 vcc, 0, v[39:40]
	s_and_saveexec_b64 s[10:11], vcc
	s_xor_b64 s[12:13], exec, s[10:11]
	s_cbranch_execz .LBB12_42
; %bb.41:                               ;   in Loop: Header=BB12_4 Depth=1
	v_cmp_eq_f64_e32 vcc, 1.0, v[39:40]
	v_cmp_eq_f64_e64 s[10:11], 2.0, v[39:40]
	s_or_b64 s[10:11], vcc, s[10:11]
	v_cndmask_b32_e64 v44, v44, 0, s[10:11]
	v_cndmask_b32_e64 v43, v43, 0, s[10:11]
.LBB12_42:                              ;   in Loop: Header=BB12_4 Depth=1
	s_andn2_saveexec_b64 s[12:13], s[12:13]
	s_cbranch_execz .LBB12_46
; %bb.43:                               ;   in Loop: Header=BB12_4 Depth=1
	v_add_u32_e32 v41, 0xc32fffff, v42
	v_cmp_gt_u32_e32 vcc, s77, v41
	s_and_saveexec_b64 s[80:81], vcc
	s_cbranch_execz .LBB12_45
; %bb.44:                               ;   in Loop: Header=BB12_4 Depth=1
	v_mul_f64 v[45:46], |v[39:40]|, 0.5
	s_mov_b32 s10, 0xf99eb0bb
	s_mov_b32 s11, 0x3f3e357e
	;; [unrolled: 1-line block ×3, first 2 shown]
	v_cmp_class_f64_e64 s[82:83], v[39:40], s75
	v_fract_f64_e32 v[47:48], v[45:46]
	v_cmp_neq_f64_e64 vcc, |v[45:46]|, s[70:71]
	v_add_f64 v[47:48], v[47:48], v[47:48]
	v_cndmask_b32_e32 v41, 0, v47, vcc
	v_cndmask_b32_e32 v45, 0, v48, vcc
	v_cmp_gt_f64_e64 vcc, |v[39:40]|, 1.0
	v_cndmask_b32_e32 v46, v42, v45, vcc
	v_cndmask_b32_e32 v45, v39, v41, vcc
	v_add_f64 v[47:48], v[45:46], v[45:46]
	v_rndne_f64_e32 v[47:48], v[47:48]
	v_fma_f64 v[45:46], v[47:48], -0.5, v[45:46]
	v_cvt_i32_f64_e32 v41, v[47:48]
	v_and_b32_e32 v47, 1, v41
	v_lshlrev_b32_e32 v41, 30, v41
	v_cmp_eq_u32_e32 vcc, 0, v47
	v_mul_f64 v[49:50], v[45:46], v[45:46]
	v_xor_b32_e32 v41, v41, v40
	v_and_b32_e32 v41, 0x80000000, v41
	v_fma_f64 v[51:52], v[49:50], s[10:11], v[29:30]
	v_fma_f64 v[53:54], v[49:50], s[54:55], v[31:32]
	s_mov_b32 s10, 0xd5f14825
	s_mov_b32 s11, 0x3fb50782
	v_mul_f64 v[55:56], v[45:46], v[49:50]
	v_fma_f64 v[51:52], v[49:50], v[51:52], s[10:11]
	v_fma_f64 v[53:54], v[49:50], v[53:54], s[56:57]
	v_cmp_class_f64_e64 s[10:11], v[39:40], s33
	v_fma_f64 v[51:52], v[49:50], v[51:52], s[44:45]
	v_fma_f64 v[53:54], v[49:50], v[53:54], s[58:59]
	;; [unrolled: 1-line block ×6, first 2 shown]
	v_mul_f64 v[51:52], v[55:56], v[51:52]
	v_fma_f64 v[53:54], v[49:50], v[53:54], s[64:65]
	v_fma_f64 v[45:46], v[45:46], s[52:53], v[51:52]
	v_fma_f64 v[49:50], v[49:50], v[53:54], 1.0
	v_cndmask_b32_e32 v46, v50, v46, vcc
	v_cndmask_b32_e32 v45, v49, v45, vcc
	v_xor_b32_e32 v41, v46, v41
	v_cndmask_b32_e64 v45, 0, v45, s[10:11]
	v_cndmask_b32_e64 v46, v73, v41, s[10:11]
	v_mul_f64 v[45:46], v[39:40], v[45:46]
	v_and_b32_e32 v48, 0x7fffffff, v46
	v_mov_b32_e32 v47, v45
	v_div_scale_f64 v[49:50], s[10:11], v[47:48], v[47:48], s[52:53]
	v_div_scale_f64 v[47:48], vcc, s[52:53], v[47:48], s[52:53]
	v_rcp_f64_e32 v[51:52], v[49:50]
	v_fma_f64 v[53:54], -v[49:50], v[51:52], 1.0
	v_fma_f64 v[51:52], v[51:52], v[53:54], v[51:52]
	v_fma_f64 v[53:54], -v[49:50], v[51:52], 1.0
	v_fma_f64 v[51:52], v[51:52], v[53:54], v[51:52]
	v_mul_f64 v[53:54], v[47:48], v[51:52]
	v_fma_f64 v[47:48], -v[49:50], v[53:54], v[47:48]
	v_div_fmas_f64 v[47:48], v[47:48], v[51:52], v[53:54]
	v_div_fixup_f64 v[45:46], v[47:48], |v[45:46]|, s[52:53]
	v_frexp_mant_f64_e32 v[47:48], v[45:46]
	v_cmp_gt_f64_e32 vcc, s[68:69], v[47:48]
	v_cndmask_b32_e64 v41, 0, 1, vcc
	v_ldexp_f64 v[47:48], v[47:48], v41
	v_frexp_exp_i32_f64_e32 v41, v[45:46]
	v_add_f64 v[49:50], v[47:48], 1.0
	v_add_f64 v[55:56], v[47:48], -1.0
	v_subbrev_co_u32_e32 v41, vcc, 0, v41, vcc
	v_cmp_class_f64_e64 vcc, v[45:46], s75
	v_rcp_f64_e32 v[51:52], v[49:50]
	v_add_f64 v[57:58], v[49:50], -1.0
	v_add_f64 v[47:48], v[47:48], -v[57:58]
	v_fma_f64 v[53:54], -v[49:50], v[51:52], 1.0
	v_fma_f64 v[51:52], v[53:54], v[51:52], v[51:52]
	v_fma_f64 v[53:54], -v[49:50], v[51:52], 1.0
	v_fma_f64 v[51:52], v[53:54], v[51:52], v[51:52]
	v_mul_f64 v[53:54], v[55:56], v[51:52]
	v_mul_f64 v[59:60], v[49:50], v[53:54]
	v_fma_f64 v[49:50], v[53:54], v[49:50], -v[59:60]
	v_fma_f64 v[47:48], v[53:54], v[47:48], v[49:50]
	v_add_f64 v[49:50], v[59:60], v[47:48]
	v_add_f64 v[57:58], v[55:56], -v[49:50]
	v_add_f64 v[59:60], v[49:50], -v[59:60]
	;; [unrolled: 1-line block ×5, first 2 shown]
	v_add_f64 v[47:48], v[47:48], v[49:50]
	v_add_f64 v[47:48], v[57:58], v[47:48]
	v_mul_f64 v[47:48], v[51:52], v[47:48]
	v_add_f64 v[49:50], v[53:54], v[47:48]
	v_mul_f64 v[51:52], v[49:50], v[49:50]
	v_fma_f64 v[55:56], v[51:52], s[22:23], v[5:6]
	v_mul_f64 v[57:58], v[49:50], v[51:52]
	v_fma_f64 v[55:56], v[51:52], v[55:56], s[24:25]
	v_fma_f64 v[55:56], v[51:52], v[55:56], s[26:27]
	;; [unrolled: 1-line block ×5, first 2 shown]
	v_ldexp_f64 v[55:56], v[49:50], 1
	v_add_f64 v[49:50], v[49:50], -v[53:54]
	v_mul_f64 v[51:52], v[57:58], v[51:52]
	v_cvt_f64_i32_e32 v[57:58], v41
	v_add_f64 v[47:48], v[47:48], -v[49:50]
	v_mul_f64 v[59:60], v[57:58], s[34:35]
	v_add_f64 v[53:54], v[55:56], v[51:52]
	v_ldexp_f64 v[47:48], v[47:48], 1
	v_add_f64 v[49:50], v[53:54], -v[55:56]
	v_fma_f64 v[55:56], v[57:58], s[34:35], -v[59:60]
	v_add_f64 v[49:50], v[51:52], -v[49:50]
	v_fma_f64 v[51:52], v[57:58], s[36:37], v[55:56]
	v_add_f64 v[47:48], v[47:48], v[49:50]
	v_add_f64 v[49:50], v[59:60], v[51:52]
	;; [unrolled: 1-line block ×3, first 2 shown]
	v_add_f64 v[59:60], v[49:50], -v[59:60]
	v_add_f64 v[57:58], v[49:50], v[55:56]
	v_add_f64 v[53:54], v[55:56], -v[53:54]
	v_add_f64 v[51:52], v[51:52], -v[59:60]
	;; [unrolled: 1-line block ×6, first 2 shown]
	v_add_f64 v[55:56], v[51:52], v[47:48]
	v_add_f64 v[49:50], v[49:50], -v[74:75]
	v_add_f64 v[49:50], v[53:54], v[49:50]
	v_add_f64 v[53:54], v[55:56], -v[51:52]
	;; [unrolled: 2-line block ×3, first 2 shown]
	v_add_f64 v[47:48], v[47:48], -v[53:54]
	v_add_f64 v[59:60], v[57:58], v[49:50]
	v_add_f64 v[51:52], v[51:52], -v[55:56]
	v_add_f64 v[53:54], v[59:60], -v[57:58]
	v_add_f64 v[47:48], v[47:48], v[51:52]
	v_add_f64 v[49:50], v[49:50], -v[53:54]
	v_add_f64 v[47:48], v[47:48], v[49:50]
	v_fract_f64_e32 v[49:50], v[39:40]
	v_add_f64 v[47:48], v[59:60], v[47:48]
	v_cmp_eq_f64_e64 s[10:11], 0, v[49:50]
	v_cndmask_b32_e32 v41, v47, v45, vcc
	v_cndmask_b32_e32 v47, v48, v46, vcc
	v_cmp_neq_f64_e32 vcc, 0, v[45:46]
	v_cndmask_b32_e32 v46, v71, v47, vcc
	v_cndmask_b32_e32 v45, 0, v41, vcc
	v_add_f64 v[43:44], v[45:46], -v[43:44]
	s_or_b64 vcc, s[82:83], s[10:11]
	v_cndmask_b32_e32 v44, v44, v70, vcc
	v_cndmask_b32_e64 v43, v43, 0, vcc
.LBB12_45:                              ;   in Loop: Header=BB12_4 Depth=1
	s_or_b64 exec, exec, s[80:81]
.LBB12_46:                              ;   in Loop: Header=BB12_4 Depth=1
	s_or_b64 exec, exec, s[12:13]
	v_and_b32_e32 v46, 0x7fffffff, v36
	v_mov_b32_e32 v45, v35
	v_cmp_lt_u32_e32 vcc, s72, v46
                                        ; implicit-def: $vgpr47_vgpr48
	s_and_saveexec_b64 s[10:11], vcc
	s_xor_b64 s[80:81], exec, s[10:11]
	s_cbranch_execz .LBB12_72
; %bb.47:                               ;   in Loop: Header=BB12_4 Depth=1
	v_cmp_lt_u32_e32 vcc, s73, v46
                                        ; implicit-def: $vgpr47_vgpr48
	s_and_saveexec_b64 s[10:11], vcc
	s_xor_b64 s[12:13], exec, s[10:11]
	s_cbranch_execz .LBB12_57
; %bb.48:                               ;   in Loop: Header=BB12_4 Depth=1
	;; [unrolled: 6-line block ×3, first 2 shown]
	s_mov_b32 s10, 0x438fffff
	v_cmp_lt_u32_e32 vcc, s10, v46
                                        ; implicit-def: $vgpr47_vgpr48
	s_and_saveexec_b64 s[10:11], vcc
	s_xor_b64 s[84:85], exec, s[10:11]
	s_cbranch_execz .LBB12_51
; %bb.50:                               ;   in Loop: Header=BB12_4 Depth=1
	v_frexp_mant_f64_e64 v[47:48], |v[35:36]|
	s_mov_b32 s21, s69
	v_cmp_neq_f64_e64 s[10:11], 0, v[35:36]
	v_cmp_gt_f64_e32 vcc, s[68:69], v[47:48]
	v_cndmask_b32_e64 v41, 0, 1, vcc
	v_ldexp_f64 v[47:48], v[47:48], v41
	v_frexp_exp_i32_f64_e32 v41, v[35:36]
	v_add_f64 v[49:50], v[47:48], 1.0
	v_add_f64 v[55:56], v[47:48], -1.0
	v_subbrev_co_u32_e32 v41, vcc, 0, v41, vcc
	v_cmp_neq_f64_e64 vcc, |v[35:36]|, s[70:71]
	v_rcp_f64_e32 v[51:52], v[49:50]
	v_add_f64 v[57:58], v[49:50], -1.0
	v_add_f64 v[47:48], v[47:48], -v[57:58]
	v_fma_f64 v[53:54], -v[49:50], v[51:52], 1.0
	v_fma_f64 v[51:52], v[53:54], v[51:52], v[51:52]
	v_fma_f64 v[53:54], -v[49:50], v[51:52], 1.0
	v_fma_f64 v[51:52], v[53:54], v[51:52], v[51:52]
	v_mul_f64 v[53:54], v[55:56], v[51:52]
	v_mul_f64 v[59:60], v[49:50], v[53:54]
	v_fma_f64 v[49:50], v[53:54], v[49:50], -v[59:60]
	v_fma_f64 v[47:48], v[53:54], v[47:48], v[49:50]
	v_add_f64 v[49:50], v[59:60], v[47:48]
	v_add_f64 v[57:58], v[55:56], -v[49:50]
	v_add_f64 v[59:60], v[49:50], -v[59:60]
	;; [unrolled: 1-line block ×5, first 2 shown]
	v_add_f64 v[47:48], v[47:48], v[49:50]
	v_add_f64 v[47:48], v[57:58], v[47:48]
	v_mul_f64 v[47:48], v[51:52], v[47:48]
	v_add_f64 v[49:50], v[53:54], v[47:48]
	v_mul_f64 v[51:52], v[49:50], v[49:50]
	v_fma_f64 v[55:56], v[51:52], s[22:23], v[5:6]
	v_mul_f64 v[57:58], v[49:50], v[51:52]
	v_fma_f64 v[55:56], v[51:52], v[55:56], s[24:25]
	v_fma_f64 v[55:56], v[51:52], v[55:56], s[26:27]
	v_fma_f64 v[55:56], v[51:52], v[55:56], s[28:29]
	v_fma_f64 v[55:56], v[51:52], v[55:56], s[30:31]
	v_fma_f64 v[51:52], v[51:52], v[55:56], s[20:21]
	v_ldexp_f64 v[55:56], v[49:50], 1
	v_add_f64 v[49:50], v[49:50], -v[53:54]
	v_mul_f64 v[51:52], v[57:58], v[51:52]
	v_cvt_f64_i32_e32 v[57:58], v41
	v_add_f64 v[47:48], v[47:48], -v[49:50]
	v_mul_f64 v[59:60], v[57:58], s[34:35]
	v_add_f64 v[53:54], v[55:56], v[51:52]
	v_ldexp_f64 v[47:48], v[47:48], 1
	v_add_f64 v[49:50], v[53:54], -v[55:56]
	v_fma_f64 v[55:56], v[57:58], s[34:35], -v[59:60]
	v_add_f64 v[49:50], v[51:52], -v[49:50]
	v_fma_f64 v[51:52], v[57:58], s[36:37], v[55:56]
	v_add_f64 v[47:48], v[47:48], v[49:50]
	v_add_f64 v[49:50], v[59:60], v[51:52]
	;; [unrolled: 1-line block ×3, first 2 shown]
	v_add_f64 v[59:60], v[49:50], -v[59:60]
	v_add_f64 v[57:58], v[49:50], v[55:56]
	v_add_f64 v[53:54], v[55:56], -v[53:54]
	v_add_f64 v[51:52], v[51:52], -v[59:60]
	;; [unrolled: 1-line block ×6, first 2 shown]
	v_add_f64 v[55:56], v[51:52], v[47:48]
	v_add_f64 v[49:50], v[49:50], -v[74:75]
	v_add_f64 v[49:50], v[53:54], v[49:50]
	v_add_f64 v[53:54], v[55:56], -v[51:52]
	v_add_f64 v[49:50], v[55:56], v[49:50]
	v_add_f64 v[55:56], v[55:56], -v[53:54]
	v_add_f64 v[47:48], v[47:48], -v[53:54]
	v_add_f64 v[59:60], v[57:58], v[49:50]
	v_add_f64 v[51:52], v[51:52], -v[55:56]
	v_add_f64 v[53:54], v[59:60], -v[57:58]
	v_add_f64 v[47:48], v[47:48], v[51:52]
	v_add_f64 v[49:50], v[49:50], -v[53:54]
	v_add_f64 v[47:48], v[47:48], v[49:50]
	v_add_f64 v[47:48], v[59:60], v[47:48]
	v_cndmask_b32_e32 v41, v70, v48, vcc
	s_and_b64 vcc, s[10:11], vcc
	v_cndmask_b32_e64 v48, v71, v41, s[10:11]
	v_cndmask_b32_e32 v47, 0, v47, vcc
	v_fma_f64 v[47:48], |v[35:36]|, v[47:48], -|v[35:36]|
.LBB12_51:                              ;   in Loop: Header=BB12_4 Depth=1
	s_andn2_saveexec_b64 s[84:85], s[84:85]
	s_cbranch_execz .LBB12_53
; %bb.52:                               ;   in Loop: Header=BB12_4 Depth=1
	v_frexp_mant_f64_e64 v[47:48], |v[35:36]|
	s_mov_b32 s21, s69
	v_mov_b32_e32 v45, v35
	s_mov_b32 s42, 0x90c97d69
	s_mov_b32 s43, 0x3fdacfe3
	v_cmp_gt_f64_e32 vcc, s[68:69], v[47:48]
	v_cndmask_b32_e64 v41, 0, 1, vcc
	v_ldexp_f64 v[47:48], v[47:48], v41
	v_frexp_exp_i32_f64_e32 v41, v[35:36]
	v_add_f64 v[49:50], v[47:48], 1.0
	v_add_f64 v[55:56], v[47:48], -1.0
	v_subbrev_co_u32_e32 v41, vcc, 0, v41, vcc
	v_rcp_f64_e32 v[51:52], v[49:50]
	v_add_f64 v[57:58], v[49:50], -1.0
	v_add_f64 v[47:48], v[47:48], -v[57:58]
	v_fma_f64 v[53:54], -v[49:50], v[51:52], 1.0
	v_fma_f64 v[51:52], v[53:54], v[51:52], v[51:52]
	v_fma_f64 v[53:54], -v[49:50], v[51:52], 1.0
	v_fma_f64 v[51:52], v[53:54], v[51:52], v[51:52]
	v_mul_f64 v[53:54], v[55:56], v[51:52]
	v_mul_f64 v[59:60], v[49:50], v[53:54]
	v_fma_f64 v[49:50], v[53:54], v[49:50], -v[59:60]
	v_fma_f64 v[47:48], v[53:54], v[47:48], v[49:50]
	v_add_f64 v[49:50], v[59:60], v[47:48]
	v_add_f64 v[57:58], v[55:56], -v[49:50]
	v_add_f64 v[59:60], v[49:50], -v[59:60]
	;; [unrolled: 1-line block ×5, first 2 shown]
	v_add_f64 v[47:48], v[47:48], v[49:50]
	v_add_f64 v[47:48], v[57:58], v[47:48]
	v_mul_f64 v[47:48], v[51:52], v[47:48]
	v_add_f64 v[49:50], v[53:54], v[47:48]
	v_mul_f64 v[51:52], v[49:50], v[49:50]
	v_ldexp_f64 v[59:60], v[49:50], 1
	v_fma_f64 v[55:56], v[51:52], s[22:23], v[5:6]
	v_mul_f64 v[57:58], v[49:50], v[51:52]
	v_add_f64 v[49:50], v[49:50], -v[53:54]
	v_fma_f64 v[55:56], v[51:52], v[55:56], s[24:25]
	v_add_f64 v[47:48], v[47:48], -v[49:50]
	v_fma_f64 v[55:56], v[51:52], v[55:56], s[26:27]
	v_ldexp_f64 v[47:48], v[47:48], 1
	v_fma_f64 v[55:56], v[51:52], v[55:56], s[28:29]
	v_fma_f64 v[55:56], v[51:52], v[55:56], s[30:31]
	;; [unrolled: 1-line block ×3, first 2 shown]
	v_div_scale_f64 v[55:56], s[10:11], v[45:46], v[45:46], 1.0
	s_mov_b32 s10, 0xb9e43e4
	s_mov_b32 s11, 0xbf5ab89d
	v_mul_f64 v[51:52], v[57:58], v[51:52]
	v_cvt_f64_i32_e32 v[57:58], v41
	v_mul_f64 v[74:75], v[57:58], s[34:35]
	v_add_f64 v[53:54], v[59:60], v[51:52]
	v_rcp_f64_e32 v[61:62], v[55:56]
	v_add_f64 v[49:50], v[53:54], -v[59:60]
	v_fma_f64 v[59:60], v[57:58], s[34:35], -v[74:75]
	v_add_f64 v[49:50], v[51:52], -v[49:50]
	v_fma_f64 v[51:52], -v[55:56], v[61:62], 1.0
	v_fma_f64 v[57:58], v[57:58], s[36:37], v[59:60]
	v_add_f64 v[47:48], v[47:48], v[49:50]
	v_fma_f64 v[49:50], v[61:62], v[51:52], v[61:62]
	v_add_f64 v[51:52], v[74:75], v[57:58]
	v_div_scale_f64 v[61:62], vcc, 1.0, v[45:46], 1.0
	v_add_f64 v[59:60], v[53:54], v[47:48]
	v_fma_f64 v[76:77], -v[55:56], v[49:50], 1.0
	v_add_f64 v[74:75], v[51:52], -v[74:75]
	v_add_f64 v[78:79], v[51:52], v[59:60]
	v_fma_f64 v[49:50], v[49:50], v[76:77], v[49:50]
	v_add_f64 v[53:54], v[59:60], -v[53:54]
	v_add_f64 v[57:58], v[57:58], -v[74:75]
	;; [unrolled: 1-line block ×3, first 2 shown]
	v_mul_f64 v[80:81], v[61:62], v[49:50]
	v_add_f64 v[47:48], v[47:48], -v[53:54]
	v_add_f64 v[82:83], v[78:79], -v[76:77]
	v_fma_f64 v[55:56], -v[55:56], v[80:81], v[61:62]
	v_add_f64 v[53:54], v[59:60], -v[76:77]
	v_add_f64 v[51:52], v[51:52], -v[82:83]
	v_div_fmas_f64 v[49:50], v[55:56], v[49:50], v[80:81]
	v_add_f64 v[55:56], v[57:58], v[47:48]
	v_cmp_neq_f64_e64 vcc, |v[35:36]|, s[70:71]
	v_add_f64 v[51:52], v[53:54], v[51:52]
	v_add_f64 v[53:54], v[55:56], -v[57:58]
	v_add_f64 v[51:52], v[55:56], v[51:52]
	v_div_fixup_f64 v[49:50], v[49:50], |v[35:36]|, 1.0
	v_add_f64 v[55:56], v[55:56], -v[53:54]
	v_add_f64 v[47:48], v[47:48], -v[53:54]
	v_add_f64 v[59:60], v[78:79], v[51:52]
	v_mul_f64 v[61:62], v[49:50], v[49:50]
	v_add_f64 v[53:54], v[57:58], -v[55:56]
	v_add_f64 v[55:56], v[59:60], -v[78:79]
	v_fma_f64 v[57:58], v[61:62], s[10:11], v[7:8]
	s_mov_b32 s10, 0x8c0fe741
	s_mov_b32 s11, 0xbf4380cb
	v_add_f64 v[47:48], v[47:48], v[53:54]
	v_add_f64 v[51:52], v[51:52], -v[55:56]
	v_fma_f64 v[53:54], v[61:62], v[57:58], s[10:11]
	s_mov_b32 s10, 0x98cf38b6
	s_mov_b32 s11, 0x3f4a019f
	v_add_f64 v[47:48], v[47:48], v[51:52]
	v_fma_f64 v[51:52], v[61:62], v[53:54], s[10:11]
	s_mov_b32 s10, 0x16b02e5c
	s_mov_b32 s11, 0xbf66c16c
	v_add_f64 v[53:54], |v[35:36]|, -0.5
	v_add_f64 v[47:48], v[59:60], v[47:48]
	v_fma_f64 v[51:52], v[61:62], v[51:52], s[10:11]
	s_mov_b32 s10, 0x5555553b
	s_mov_b32 s11, 0x3fb55555
	v_add_f64 v[47:48], v[47:48], -1.0
	v_fma_f64 v[51:52], v[61:62], v[51:52], s[10:11]
	v_cmp_neq_f64_e64 s[10:11], 0, v[35:36]
	v_cndmask_b32_e32 v41, v70, v48, vcc
	v_fma_f64 v[48:49], v[49:50], v[51:52], s[42:43]
	s_and_b64 vcc, s[10:11], vcc
	v_cndmask_b32_e64 v51, v71, v41, s[10:11]
	v_cndmask_b32_e32 v50, 0, v47, vcc
	s_mov_b32 s42, 0xdd17e945
	s_mov_b32 s43, 0x3f00bfec
	v_fma_f64 v[47:48], v[53:54], v[50:51], v[48:49]
.LBB12_53:                              ;   in Loop: Header=BB12_4 Depth=1
	s_or_b64 exec, exec, s[84:85]
.LBB12_54:                              ;   in Loop: Header=BB12_4 Depth=1
	s_andn2_saveexec_b64 s[10:11], s[82:83]
	s_cbranch_execz .LBB12_56
; %bb.55:                               ;   in Loop: Header=BB12_4 Depth=1
	v_cvt_i32_f64_e32 v41, v[45:46]
	s_mov_b32 s82, 0x7e939961
	s_mov_b32 s83, 0x3f9b481c
	;; [unrolled: 1-line block ×3, first 2 shown]
	v_cvt_f64_i32_e32 v[47:48], v41
	s_mov_b32 s21, s69
	v_add_f64 v[49:50], |v[35:36]|, -v[47:48]
	v_fma_f64 v[47:48], v[49:50], s[42:43], v[9:10]
	v_fma_f64 v[47:48], v[49:50], v[47:48], s[82:83]
	s_mov_b32 s82, 0xbee5f2f7
	s_mov_b32 s83, 0x3fc2bb9c
	v_fma_f64 v[47:48], v[49:50], v[47:48], s[82:83]
	s_mov_b32 s82, 0x4f139f59
	s_mov_b32 s83, 0x3fd4d98f
	;; [unrolled: 3-line block ×5, first 2 shown]
	v_fma_f64 v[47:48], v[49:50], v[47:48], s[40:41]
	v_fma_f64 v[51:52], v[49:50], v[51:52], s[82:83]
	s_mov_b32 s82, 0xccfbdf27
	s_mov_b32 s83, 0x3fc601ed
	v_mul_f64 v[47:48], v[49:50], v[47:48]
	v_fma_f64 v[51:52], v[49:50], v[51:52], s[82:83]
	s_mov_b32 s82, 0x93d3dcdc
	s_mov_b32 s83, 0x3fe71a18
	v_fma_f64 v[51:52], v[49:50], v[51:52], s[82:83]
	s_mov_b32 s82, 0x62c4ab74
	s_mov_b32 s83, 0x3ff645a7
	v_fma_f64 v[51:52], v[49:50], v[51:52], s[82:83]
	v_fma_f64 v[51:52], v[49:50], v[51:52], 1.0
	v_div_scale_f64 v[53:54], s[82:83], v[51:52], v[51:52], v[47:48]
	s_mov_b32 s82, 0
	s_mov_b32 s83, 0x40080000
	v_rcp_f64_e32 v[55:56], v[53:54]
	v_fma_f64 v[57:58], -v[53:54], v[55:56], 1.0
	v_fma_f64 v[55:56], v[55:56], v[57:58], v[55:56]
	v_fma_f64 v[57:58], -v[53:54], v[55:56], 1.0
	v_fma_f64 v[55:56], v[55:56], v[57:58], v[55:56]
	v_div_scale_f64 v[57:58], vcc, v[47:48], v[51:52], v[47:48]
	v_mul_f64 v[59:60], v[57:58], v[55:56]
	v_fma_f64 v[53:54], -v[53:54], v[59:60], v[57:58]
	s_nop 1
	v_div_fmas_f64 v[53:54], v[53:54], v[55:56], v[59:60]
	v_cmp_lt_i32_e32 vcc, 2, v41
	v_add_f64 v[55:56], v[49:50], 4.0
	v_div_fixup_f64 v[47:48], v[53:54], v[51:52], v[47:48]
	v_add_f64 v[51:52], v[49:50], 2.0
	v_add_f64 v[53:54], v[49:50], s[82:83]
	s_mov_b32 s82, 0
	s_mov_b32 s83, 0x40140000
	v_add_f64 v[57:58], v[49:50], s[82:83]
	s_mov_b32 s82, 0
	s_mov_b32 s83, 0x40180000
	v_fma_f64 v[47:48], v[49:50], 0.5, v[47:48]
	v_cndmask_b32_e32 v52, v72, v52, vcc
	v_cndmask_b32_e32 v51, 0, v51, vcc
	v_cmp_lt_i32_e32 vcc, 3, v41
	v_cndmask_b32_e32 v54, v72, v54, vcc
	v_cndmask_b32_e32 v53, 0, v53, vcc
	v_mul_f64 v[51:52], v[51:52], v[53:54]
	v_cmp_lt_i32_e32 vcc, 4, v41
	v_cndmask_b32_e32 v54, v72, v56, vcc
	v_cndmask_b32_e32 v53, 0, v55, vcc
	v_cmp_lt_i32_e32 vcc, 5, v41
	v_add_f64 v[49:50], v[49:50], s[82:83]
	v_mul_f64 v[51:52], v[53:54], v[51:52]
	v_cndmask_b32_e32 v54, v72, v58, vcc
	v_cndmask_b32_e32 v53, 0, v57, vcc
	v_cmp_lt_i32_e32 vcc, 6, v41
	v_cndmask_b32_e32 v50, v72, v50, vcc
	v_cndmask_b32_e32 v49, 0, v49, vcc
	v_mul_f64 v[51:52], v[53:54], v[51:52]
	v_mul_f64 v[49:50], v[49:50], v[51:52]
	v_frexp_mant_f64_e32 v[51:52], v[49:50]
	v_frexp_exp_i32_f64_e32 v41, v[49:50]
	v_cmp_gt_f64_e32 vcc, s[68:69], v[51:52]
	v_cndmask_b32_e64 v45, 0, 1, vcc
	v_ldexp_f64 v[51:52], v[51:52], v45
	v_subbrev_co_u32_e32 v41, vcc, 0, v41, vcc
	v_cmp_class_f64_e64 vcc, v[49:50], s75
	v_add_f64 v[55:56], v[51:52], 1.0
	v_add_f64 v[53:54], v[51:52], -1.0
	v_add_f64 v[57:58], v[55:56], -1.0
	v_add_f64 v[51:52], v[51:52], -v[57:58]
	v_rcp_f64_e32 v[57:58], v[55:56]
	v_fma_f64 v[59:60], -v[55:56], v[57:58], 1.0
	v_fma_f64 v[57:58], v[59:60], v[57:58], v[57:58]
	v_fma_f64 v[59:60], -v[55:56], v[57:58], 1.0
	v_fma_f64 v[57:58], v[59:60], v[57:58], v[57:58]
	v_mul_f64 v[59:60], v[53:54], v[57:58]
	v_mul_f64 v[61:62], v[55:56], v[59:60]
	v_fma_f64 v[55:56], v[59:60], v[55:56], -v[61:62]
	v_fma_f64 v[51:52], v[59:60], v[51:52], v[55:56]
	v_add_f64 v[55:56], v[61:62], v[51:52]
	v_add_f64 v[74:75], v[53:54], -v[55:56]
	v_add_f64 v[61:62], v[55:56], -v[61:62]
	;; [unrolled: 1-line block ×5, first 2 shown]
	v_add_f64 v[51:52], v[51:52], v[53:54]
	v_add_f64 v[51:52], v[74:75], v[51:52]
	v_mul_f64 v[51:52], v[57:58], v[51:52]
	v_add_f64 v[53:54], v[59:60], v[51:52]
	v_add_f64 v[55:56], v[53:54], -v[59:60]
	v_ldexp_f64 v[59:60], v[53:54], 1
	v_add_f64 v[51:52], v[51:52], -v[55:56]
	v_mul_f64 v[55:56], v[53:54], v[53:54]
	v_ldexp_f64 v[51:52], v[51:52], 1
	v_fma_f64 v[57:58], v[55:56], s[22:23], v[5:6]
	v_mul_f64 v[53:54], v[53:54], v[55:56]
	v_fma_f64 v[57:58], v[55:56], v[57:58], s[24:25]
	v_fma_f64 v[57:58], v[55:56], v[57:58], s[26:27]
	;; [unrolled: 1-line block ×5, first 2 shown]
	v_mul_f64 v[53:54], v[53:54], v[57:58]
	v_add_f64 v[55:56], v[59:60], v[53:54]
	v_add_f64 v[57:58], v[55:56], -v[59:60]
	v_add_f64 v[53:54], v[53:54], -v[57:58]
	v_add_f64 v[51:52], v[51:52], v[53:54]
	v_add_f64 v[53:54], v[55:56], v[51:52]
	v_add_f64 v[55:56], v[53:54], -v[55:56]
	v_add_f64 v[51:52], v[51:52], -v[55:56]
	v_cvt_f64_i32_e32 v[55:56], v41
	v_mul_f64 v[57:58], v[55:56], s[34:35]
	v_fma_f64 v[59:60], v[55:56], s[34:35], -v[57:58]
	v_fma_f64 v[55:56], v[55:56], s[36:37], v[59:60]
	v_add_f64 v[59:60], v[57:58], v[55:56]
	v_add_f64 v[57:58], v[59:60], -v[57:58]
	v_add_f64 v[55:56], v[55:56], -v[57:58]
	v_add_f64 v[57:58], v[59:60], v[53:54]
	v_add_f64 v[61:62], v[57:58], -v[59:60]
	v_add_f64 v[74:75], v[57:58], -v[61:62]
	;; [unrolled: 1-line block ×4, first 2 shown]
	v_add_f64 v[53:54], v[53:54], v[59:60]
	v_add_f64 v[59:60], v[55:56], v[51:52]
	v_add_f64 v[61:62], v[59:60], -v[55:56]
	v_add_f64 v[53:54], v[59:60], v[53:54]
	v_add_f64 v[74:75], v[59:60], -v[61:62]
	v_add_f64 v[51:52], v[51:52], -v[61:62]
	;; [unrolled: 1-line block ×3, first 2 shown]
	v_add_f64 v[51:52], v[51:52], v[55:56]
	v_add_f64 v[55:56], v[57:58], v[53:54]
	v_add_f64 v[57:58], v[55:56], -v[57:58]
	v_add_f64 v[53:54], v[53:54], -v[57:58]
	v_add_f64 v[51:52], v[51:52], v[53:54]
	v_add_f64 v[51:52], v[55:56], v[51:52]
	v_cndmask_b32_e32 v41, v51, v49, vcc
	v_cndmask_b32_e32 v45, v52, v50, vcc
	v_cmp_ngt_f64_e32 vcc, 0, v[49:50]
	v_cndmask_b32_e32 v45, v73, v45, vcc
	v_cmp_nge_f64_e32 vcc, 0, v[49:50]
	v_cndmask_b32_e32 v51, 0, v41, vcc
	v_cmp_neq_f64_e32 vcc, 0, v[49:50]
	v_cndmask_b32_e32 v52, v71, v45, vcc
	v_add_f64 v[47:48], v[47:48], v[51:52]
.LBB12_56:                              ;   in Loop: Header=BB12_4 Depth=1
	s_or_b64 exec, exec, s[10:11]
.LBB12_57:                              ;   in Loop: Header=BB12_4 Depth=1
	s_andn2_saveexec_b64 s[82:83], s[12:13]
	s_cbranch_execz .LBB12_71
; %bb.58:                               ;   in Loop: Header=BB12_4 Depth=1
	v_cmp_lt_u32_e32 vcc, s76, v46
                                        ; implicit-def: $vgpr41
                                        ; implicit-def: $vgpr49_vgpr50
	s_and_saveexec_b64 s[10:11], vcc
	s_xor_b64 s[10:11], exec, s[10:11]
	s_cbranch_execz .LBB12_60
; %bb.59:                               ;   in Loop: Header=BB12_4 Depth=1
	s_mov_b32 s12, 0x6356be3f
	s_mov_b32 s13, 0xbff762d8
	v_add_f64 v[47:48], -|v[35:36]|, 2.0
	v_add_f64 v[49:50], |v[35:36]|, s[12:13]
	v_add_f64 v[51:52], |v[35:36]|, -1.0
	s_mov_b32 s12, 0x3ffbb4c3
	v_cmp_gt_u32_e32 vcc, s12, v46
	s_mov_b32 s12, 0x3ff3b4c4
	v_cndmask_b32_e64 v41, 0, 1, vcc
	v_cndmask_b32_e32 v45, v47, v49, vcc
	v_cndmask_b32_e32 v47, v48, v50, vcc
	v_cmp_gt_u32_e32 vcc, s12, v46
	v_cndmask_b32_e32 v50, v47, v52, vcc
	v_cndmask_b32_e32 v49, v45, v51, vcc
	v_cndmask_b32_e64 v41, v41, 2, vcc
.LBB12_60:                              ;   in Loop: Header=BB12_4 Depth=1
	s_or_saveexec_b64 s[84:85], s[10:11]
	v_mov_b32_e32 v47, 0
	v_mov_b32_e32 v48, 0
	s_xor_b64 exec, exec, s[84:85]
	s_cbranch_execz .LBB12_62
; %bb.61:                               ;   in Loop: Header=BB12_4 Depth=1
	v_frexp_mant_f64_e64 v[47:48], |v[35:36]|
	s_mov_b32 s21, s69
	s_mov_b32 s10, 0x8d5af8fc
	;; [unrolled: 1-line block ×4, first 2 shown]
	v_cmp_gt_u32_e64 s[12:13], s12, v46
	v_cndmask_b32_e64 v45, 0, 1, s[12:13]
	v_cmp_gt_f64_e32 vcc, s[68:69], v[47:48]
	v_cndmask_b32_e64 v41, 0, 1, vcc
	v_ldexp_f64 v[47:48], v[47:48], v41
	v_frexp_exp_i32_f64_e32 v41, v[35:36]
	v_add_f64 v[49:50], v[47:48], 1.0
	v_add_f64 v[55:56], v[47:48], -1.0
	v_subbrev_co_u32_e32 v41, vcc, 0, v41, vcc
	v_cmp_neq_f64_e64 vcc, |v[35:36]|, s[70:71]
	v_rcp_f64_e32 v[51:52], v[49:50]
	v_add_f64 v[57:58], v[49:50], -1.0
	v_add_f64 v[47:48], v[47:48], -v[57:58]
	v_fma_f64 v[53:54], -v[49:50], v[51:52], 1.0
	v_fma_f64 v[51:52], v[53:54], v[51:52], v[51:52]
	v_fma_f64 v[53:54], -v[49:50], v[51:52], 1.0
	v_fma_f64 v[51:52], v[53:54], v[51:52], v[51:52]
	v_mul_f64 v[53:54], v[55:56], v[51:52]
	v_mul_f64 v[59:60], v[49:50], v[53:54]
	v_fma_f64 v[49:50], v[53:54], v[49:50], -v[59:60]
	v_fma_f64 v[47:48], v[53:54], v[47:48], v[49:50]
	v_add_f64 v[49:50], v[59:60], v[47:48]
	v_add_f64 v[57:58], v[55:56], -v[49:50]
	v_add_f64 v[59:60], v[49:50], -v[59:60]
	;; [unrolled: 1-line block ×5, first 2 shown]
	v_add_f64 v[47:48], v[47:48], v[49:50]
	v_add_f64 v[47:48], v[57:58], v[47:48]
	v_mul_f64 v[47:48], v[51:52], v[47:48]
	v_add_f64 v[49:50], v[53:54], v[47:48]
	v_mul_f64 v[51:52], v[49:50], v[49:50]
	v_fma_f64 v[55:56], v[51:52], s[22:23], v[5:6]
	v_mul_f64 v[57:58], v[49:50], v[51:52]
	v_fma_f64 v[55:56], v[51:52], v[55:56], s[24:25]
	v_fma_f64 v[55:56], v[51:52], v[55:56], s[26:27]
	;; [unrolled: 1-line block ×5, first 2 shown]
	v_ldexp_f64 v[55:56], v[49:50], 1
	v_add_f64 v[49:50], v[49:50], -v[53:54]
	v_mul_f64 v[51:52], v[57:58], v[51:52]
	v_cvt_f64_i32_e32 v[57:58], v41
	v_add_f64 v[47:48], v[47:48], -v[49:50]
	v_mul_f64 v[59:60], v[57:58], s[34:35]
	v_add_f64 v[53:54], v[55:56], v[51:52]
	v_ldexp_f64 v[47:48], v[47:48], 1
	v_add_f64 v[49:50], v[53:54], -v[55:56]
	v_fma_f64 v[55:56], v[57:58], s[34:35], -v[59:60]
	v_add_f64 v[49:50], v[51:52], -v[49:50]
	v_fma_f64 v[51:52], v[57:58], s[36:37], v[55:56]
	v_add_f64 v[47:48], v[47:48], v[49:50]
	v_add_f64 v[49:50], v[59:60], v[51:52]
	;; [unrolled: 1-line block ×3, first 2 shown]
	v_add_f64 v[59:60], v[49:50], -v[59:60]
	v_add_f64 v[57:58], v[49:50], v[55:56]
	v_add_f64 v[53:54], v[55:56], -v[53:54]
	v_add_f64 v[51:52], v[51:52], -v[59:60]
	;; [unrolled: 1-line block ×6, first 2 shown]
	v_add_f64 v[55:56], v[51:52], v[47:48]
	v_add_f64 v[49:50], v[49:50], -v[74:75]
	v_add_f64 v[49:50], v[53:54], v[49:50]
	v_add_f64 v[53:54], v[55:56], -v[51:52]
	v_add_f64 v[49:50], v[55:56], v[49:50]
	v_add_f64 v[55:56], v[55:56], -v[53:54]
	v_add_f64 v[47:48], v[47:48], -v[53:54]
	v_add_f64 v[59:60], v[57:58], v[49:50]
	v_add_f64 v[51:52], v[51:52], -v[55:56]
	v_add_f64 v[53:54], v[59:60], -v[57:58]
	v_add_f64 v[47:48], v[47:48], v[51:52]
	v_add_f64 v[51:52], |v[35:36]|, s[10:11]
	v_cmp_neq_f64_e64 s[10:11], 0, v[35:36]
	v_add_f64 v[49:50], v[49:50], -v[53:54]
	v_add_f64 v[47:48], v[47:48], v[49:50]
	v_add_f64 v[49:50], -|v[35:36]|, 1.0
	v_add_f64 v[47:48], v[59:60], v[47:48]
	v_xor_b32_e32 v41, 0x80000000, v48
	v_cndmask_b32_e64 v48, v49, v51, s[12:13]
	v_cndmask_b32_e64 v49, v50, v52, s[12:13]
	s_mov_b32 s12, 0x3fcda661
	v_cndmask_b32_e32 v41, v71, v41, vcc
	v_cmp_gt_u32_e64 s[12:13], s12, v46
	s_and_b64 vcc, s[10:11], vcc
	v_cndmask_b32_e64 v50, v49, v46, s[12:13]
	v_cndmask_b32_e64 v49, v48, v35, s[12:13]
	;; [unrolled: 1-line block ×3, first 2 shown]
	v_cndmask_b32_e32 v47, 0, v47, vcc
	v_cndmask_b32_e64 v41, v45, 2, s[12:13]
.LBB12_62:                              ;   in Loop: Header=BB12_4 Depth=1
	s_or_b64 exec, exec, s[84:85]
	v_cmp_lt_i32_e32 vcc, 1, v41
                                        ; implicit-def: $vgpr53_vgpr54
	s_and_saveexec_b64 s[10:11], vcc
	s_xor_b64 s[10:11], exec, s[10:11]
	s_cbranch_execz .LBB12_64
; %bb.63:                               ;   in Loop: Header=BB12_4 Depth=1
	s_mov_b32 s12, 0xbf2bab09
	s_mov_b32 s13, 0x3f8b678b
	v_fma_f64 v[51:52], v[49:50], s[12:13], v[13:14]
	s_mov_b32 s12, 0x57d0cf61
	s_mov_b32 s13, 0x3f6a5abb
	v_fma_f64 v[53:54], v[49:50], s[12:13], v[15:16]
	s_mov_b32 s12, 0x44ea8450
	s_mov_b32 s13, 0x3fef4976
	s_mov_b32 s40, s78
                                        ; implicit-def: $vgpr41
	v_fma_f64 v[51:52], v[49:50], v[51:52], s[12:13]
	s_mov_b32 s12, 0xe45050af
	s_mov_b32 s13, 0x3fe89dfb
	v_fma_f64 v[53:54], v[49:50], v[53:54], s[12:13]
	s_mov_b32 s12, 0xd119bd6f
	s_mov_b32 s13, 0x3ff7475c
	v_fma_f64 v[51:52], v[49:50], v[51:52], s[12:13]
	s_mov_b32 s12, 0xa42b18f5
	s_mov_b32 s13, 0x40010725
	v_fma_f64 v[53:54], v[49:50], v[53:54], s[12:13]
	s_mov_b32 s12, 0x8b005dff
	s_mov_b32 s13, 0x3fe4401e
	v_fma_f64 v[51:52], v[49:50], v[51:52], s[12:13]
	s_mov_b32 s12, 0xc2bd619c
	s_mov_b32 s13, 0x4003a5d7
	v_fma_f64 v[53:54], v[49:50], v[53:54], s[12:13]
	v_fma_f64 v[51:52], v[49:50], v[51:52], s[40:41]
	v_fma_f64 v[53:54], v[49:50], v[53:54], 1.0
	v_mul_f64 v[51:52], v[49:50], v[51:52]
	v_div_scale_f64 v[55:56], s[12:13], v[53:54], v[53:54], v[51:52]
	v_div_scale_f64 v[61:62], vcc, v[51:52], v[53:54], v[51:52]
	v_rcp_f64_e32 v[57:58], v[55:56]
	v_fma_f64 v[59:60], -v[55:56], v[57:58], 1.0
	v_fma_f64 v[57:58], v[57:58], v[59:60], v[57:58]
	v_fma_f64 v[59:60], -v[55:56], v[57:58], 1.0
	v_fma_f64 v[57:58], v[57:58], v[59:60], v[57:58]
	v_mul_f64 v[59:60], v[61:62], v[57:58]
	v_fma_f64 v[55:56], -v[55:56], v[59:60], v[61:62]
	v_div_fmas_f64 v[55:56], v[55:56], v[57:58], v[59:60]
	v_div_fixup_f64 v[51:52], v[55:56], v[53:54], v[51:52]
	v_fma_f64 v[53:54], v[49:50], -0.5, v[51:52]
                                        ; implicit-def: $vgpr49_vgpr50
.LBB12_64:                              ;   in Loop: Header=BB12_4 Depth=1
	s_andn2_saveexec_b64 s[10:11], s[10:11]
	s_cbranch_execz .LBB12_70
; %bb.65:                               ;   in Loop: Header=BB12_4 Depth=1
	v_mul_f64 v[51:52], v[49:50], v[49:50]
	v_cmp_ne_u32_e32 vcc, 1, v41
                                        ; implicit-def: $vgpr53_vgpr54
	s_and_saveexec_b64 s[12:13], vcc
	s_xor_b64 s[12:13], exec, s[12:13]
	s_cbranch_execz .LBB12_67
; %bb.66:                               ;   in Loop: Header=BB12_4 Depth=1
	s_mov_b32 s84, 0x90a45837
	s_mov_b32 s85, 0x3f07858e
	v_fma_f64 v[53:54], v[51:52], s[84:85], v[19:20]
	s_mov_b32 s84, 0x428cfa52
	s_mov_b32 s85, 0x3efa7074
	v_fma_f64 v[55:56], v[51:52], s[84:85], v[17:18]
	s_mov_b32 s84, 0x89b99c00
	s_mov_b32 s85, 0x3f40b6c6
	v_fma_f64 v[53:54], v[51:52], v[53:54], s[84:85]
	s_mov_b32 s84, 0x116f3f5d
	s_mov_b32 s85, 0x3f538a94
	v_fma_f64 v[55:56], v[51:52], v[55:56], s[84:85]
	s_mov_b32 s84, 0xccb7926b
	s_mov_b32 s85, 0x3f67add8
	v_fma_f64 v[53:54], v[51:52], v[53:54], s[84:85]
	s_mov_b32 s84, 0xb68fefe8
	s_mov_b32 s85, 0x3f7e404f
	v_fma_f64 v[55:56], v[51:52], v[55:56], s[84:85]
	s_mov_b32 s84, 0xac92547b
	s_mov_b32 s85, 0x3f951322
	v_fma_f64 v[53:54], v[51:52], v[53:54], s[84:85]
	s_mov_b32 s84, 0x1a5562a7
	s_mov_b32 s85, 0x3fb13e00
	v_fma_f64 v[55:56], v[51:52], v[55:56], s[84:85]
	s_mov_b32 s84, 0xc4a60fad
	s_mov_b32 s85, 0x3fd4a34c
	v_fma_f64 v[53:54], v[51:52], v[53:54], s[84:85]
	v_fma_f64 v[55:56], v[51:52], v[55:56], s[78:79]
	v_mul_f64 v[51:52], v[51:52], v[53:54]
	v_fma_f64 v[51:52], v[49:50], v[55:56], v[51:52]
	v_fma_f64 v[53:54], v[49:50], -0.5, v[51:52]
                                        ; implicit-def: $vgpr49_vgpr50
                                        ; implicit-def: $vgpr51_vgpr52
.LBB12_67:                              ;   in Loop: Header=BB12_4 Depth=1
	s_andn2_saveexec_b64 s[12:13], s[12:13]
	s_cbranch_execz .LBB12_69
; %bb.68:                               ;   in Loop: Header=BB12_4 Depth=1
	v_mul_f64 v[53:54], v[49:50], v[51:52]
	s_mov_b32 s84, 0xecc38c38
	s_mov_b32 s85, 0xbf347f24
	v_fma_f64 v[55:56], v[53:54], s[84:85], v[23:24]
	s_mov_b32 s84, 0xe8c2d3f4
	s_mov_b32 s85, 0x3f35fd3e
	v_fma_f64 v[57:58], v[53:54], s[84:85], v[25:26]
	;; [unrolled: 3-line block ×12, first 2 shown]
	v_fma_f64 v[55:56], v[53:54], v[59:60], s[84:85]
	s_mov_b32 s84, 0xa48a971f
	s_mov_b32 s85, 0xbc50c7ca
	v_fma_f64 v[49:50], v[53:54], -v[49:50], s[84:85]
	s_mov_b32 s84, 0xbcc38a42
	s_mov_b32 s85, 0xbfbf19b9
	v_fma_f64 v[49:50], v[51:52], v[55:56], -v[49:50]
	v_add_f64 v[53:54], v[49:50], s[84:85]
.LBB12_69:                              ;   in Loop: Header=BB12_4 Depth=1
	s_or_b64 exec, exec, s[12:13]
.LBB12_70:                              ;   in Loop: Header=BB12_4 Depth=1
	s_or_b64 exec, exec, s[10:11]
	v_add_f64 v[47:48], v[47:48], v[53:54]
.LBB12_71:                              ;   in Loop: Header=BB12_4 Depth=1
	s_or_b64 exec, exec, s[82:83]
.LBB12_72:                              ;   in Loop: Header=BB12_4 Depth=1
	s_andn2_saveexec_b64 s[12:13], s[80:81]
	s_cbranch_execz .LBB12_74
; %bb.73:                               ;   in Loop: Header=BB12_4 Depth=1
	v_frexp_mant_f64_e64 v[47:48], |v[35:36]|
	s_mov_b32 s21, s69
	v_cmp_neq_f64_e64 s[10:11], 0, v[35:36]
	v_cmp_gt_f64_e32 vcc, s[68:69], v[47:48]
	v_cndmask_b32_e64 v41, 0, 1, vcc
	v_ldexp_f64 v[47:48], v[47:48], v41
	v_frexp_exp_i32_f64_e32 v41, v[35:36]
	v_add_f64 v[49:50], v[47:48], 1.0
	v_add_f64 v[55:56], v[47:48], -1.0
	v_subbrev_co_u32_e32 v41, vcc, 0, v41, vcc
	v_cmp_neq_f64_e64 vcc, |v[35:36]|, s[70:71]
	v_rcp_f64_e32 v[51:52], v[49:50]
	v_add_f64 v[57:58], v[49:50], -1.0
	v_add_f64 v[47:48], v[47:48], -v[57:58]
	v_fma_f64 v[53:54], -v[49:50], v[51:52], 1.0
	v_fma_f64 v[51:52], v[53:54], v[51:52], v[51:52]
	v_fma_f64 v[53:54], -v[49:50], v[51:52], 1.0
	v_fma_f64 v[51:52], v[53:54], v[51:52], v[51:52]
	v_mul_f64 v[53:54], v[55:56], v[51:52]
	v_mul_f64 v[59:60], v[49:50], v[53:54]
	v_fma_f64 v[49:50], v[53:54], v[49:50], -v[59:60]
	v_fma_f64 v[47:48], v[53:54], v[47:48], v[49:50]
	v_add_f64 v[49:50], v[59:60], v[47:48]
	v_add_f64 v[57:58], v[55:56], -v[49:50]
	v_add_f64 v[59:60], v[49:50], -v[59:60]
	;; [unrolled: 1-line block ×5, first 2 shown]
	v_add_f64 v[47:48], v[47:48], v[49:50]
	v_add_f64 v[47:48], v[57:58], v[47:48]
	v_mul_f64 v[47:48], v[51:52], v[47:48]
	v_add_f64 v[49:50], v[53:54], v[47:48]
	v_mul_f64 v[51:52], v[49:50], v[49:50]
	v_fma_f64 v[55:56], v[51:52], s[22:23], v[5:6]
	v_mul_f64 v[57:58], v[49:50], v[51:52]
	v_fma_f64 v[55:56], v[51:52], v[55:56], s[24:25]
	v_fma_f64 v[55:56], v[51:52], v[55:56], s[26:27]
	;; [unrolled: 1-line block ×5, first 2 shown]
	v_ldexp_f64 v[55:56], v[49:50], 1
	v_add_f64 v[49:50], v[49:50], -v[53:54]
	v_mul_f64 v[51:52], v[57:58], v[51:52]
	v_cvt_f64_i32_e32 v[57:58], v41
	v_add_f64 v[47:48], v[47:48], -v[49:50]
	v_mul_f64 v[59:60], v[57:58], s[34:35]
	v_add_f64 v[53:54], v[55:56], v[51:52]
	v_ldexp_f64 v[47:48], v[47:48], 1
	v_add_f64 v[49:50], v[53:54], -v[55:56]
	v_fma_f64 v[55:56], v[57:58], s[34:35], -v[59:60]
	v_add_f64 v[49:50], v[51:52], -v[49:50]
	v_fma_f64 v[51:52], v[57:58], s[36:37], v[55:56]
	v_add_f64 v[47:48], v[47:48], v[49:50]
	v_add_f64 v[49:50], v[59:60], v[51:52]
	v_add_f64 v[55:56], v[53:54], v[47:48]
	v_add_f64 v[59:60], v[49:50], -v[59:60]
	v_add_f64 v[57:58], v[49:50], v[55:56]
	v_add_f64 v[53:54], v[55:56], -v[53:54]
	v_add_f64 v[51:52], v[51:52], -v[59:60]
	;; [unrolled: 1-line block ×6, first 2 shown]
	v_add_f64 v[55:56], v[51:52], v[47:48]
	v_add_f64 v[49:50], v[49:50], -v[74:75]
	v_add_f64 v[49:50], v[53:54], v[49:50]
	v_add_f64 v[53:54], v[55:56], -v[51:52]
	;; [unrolled: 2-line block ×3, first 2 shown]
	v_add_f64 v[47:48], v[47:48], -v[53:54]
	v_add_f64 v[59:60], v[57:58], v[49:50]
	v_add_f64 v[51:52], v[51:52], -v[55:56]
	v_add_f64 v[53:54], v[59:60], -v[57:58]
	v_add_f64 v[47:48], v[47:48], v[51:52]
	v_fma_f64 v[51:52], |v[35:36]|, s[48:49], v[27:28]
	v_add_f64 v[49:50], v[49:50], -v[53:54]
	v_add_f64 v[47:48], v[47:48], v[49:50]
	v_fma_f64 v[49:50], |v[35:36]|, v[51:52], s[90:91]
	v_add_f64 v[47:48], v[59:60], v[47:48]
	v_fma_f64 v[49:50], |v[35:36]|, v[49:50], s[92:93]
	v_xor_b32_e32 v41, 0x80000000, v48
	v_fma_f64 v[48:49], |v[35:36]|, v[49:50], s[94:95]
	v_cndmask_b32_e32 v41, v71, v41, vcc
	s_and_b64 vcc, s[10:11], vcc
	v_cndmask_b32_e64 v51, v70, v41, s[10:11]
	v_cndmask_b32_e32 v50, 0, v47, vcc
	v_fma_f64 v[47:48], |v[35:36]|, v[48:49], v[50:51]
.LBB12_74:                              ;   in Loop: Header=BB12_4 Depth=1
	s_or_b64 exec, exec, s[12:13]
	v_cmp_le_f64_e32 vcc, 0, v[35:36]
	s_and_saveexec_b64 s[10:11], vcc
	s_xor_b64 s[12:13], exec, s[10:11]
	s_cbranch_execz .LBB12_76
; %bb.75:                               ;   in Loop: Header=BB12_4 Depth=1
	v_cmp_eq_f64_e32 vcc, 1.0, v[35:36]
	v_cmp_eq_f64_e64 s[10:11], 2.0, v[35:36]
	s_or_b64 s[10:11], vcc, s[10:11]
	v_cndmask_b32_e64 v48, v48, 0, s[10:11]
	v_cndmask_b32_e64 v47, v47, 0, s[10:11]
.LBB12_76:                              ;   in Loop: Header=BB12_4 Depth=1
	s_andn2_saveexec_b64 s[12:13], s[12:13]
	s_cbranch_execz .LBB12_80
; %bb.77:                               ;   in Loop: Header=BB12_4 Depth=1
	v_add_u32_e32 v41, 0xc32fffff, v46
	v_cmp_gt_u32_e32 vcc, s77, v41
	s_and_saveexec_b64 s[80:81], vcc
	s_cbranch_execz .LBB12_79
; %bb.78:                               ;   in Loop: Header=BB12_4 Depth=1
	v_mul_f64 v[49:50], |v[35:36]|, 0.5
	s_mov_b32 s10, 0xf99eb0bb
	s_mov_b32 s11, 0x3f3e357e
	;; [unrolled: 1-line block ×3, first 2 shown]
	v_cmp_class_f64_e64 s[82:83], v[35:36], s75
	v_fract_f64_e32 v[51:52], v[49:50]
	v_cmp_neq_f64_e64 vcc, |v[49:50]|, s[70:71]
	v_add_f64 v[51:52], v[51:52], v[51:52]
	v_cndmask_b32_e32 v41, 0, v51, vcc
	v_cndmask_b32_e32 v45, 0, v52, vcc
	v_cmp_gt_f64_e64 vcc, |v[35:36]|, 1.0
	v_cndmask_b32_e32 v50, v46, v45, vcc
	v_cndmask_b32_e32 v49, v35, v41, vcc
	v_add_f64 v[51:52], v[49:50], v[49:50]
	v_rndne_f64_e32 v[51:52], v[51:52]
	v_fma_f64 v[49:50], v[51:52], -0.5, v[49:50]
	v_cvt_i32_f64_e32 v41, v[51:52]
	v_and_b32_e32 v45, 1, v41
	v_lshlrev_b32_e32 v41, 30, v41
	v_cmp_eq_u32_e32 vcc, 0, v45
	v_mul_f64 v[53:54], v[49:50], v[49:50]
	v_xor_b32_e32 v41, v41, v36
	v_and_b32_e32 v41, 0x80000000, v41
	v_fma_f64 v[55:56], v[53:54], s[10:11], v[29:30]
	v_fma_f64 v[57:58], v[53:54], s[54:55], v[31:32]
	s_mov_b32 s10, 0xd5f14825
	s_mov_b32 s11, 0x3fb50782
	v_mul_f64 v[59:60], v[49:50], v[53:54]
	v_fma_f64 v[55:56], v[53:54], v[55:56], s[10:11]
	v_fma_f64 v[57:58], v[53:54], v[57:58], s[56:57]
	v_cmp_class_f64_e64 s[10:11], v[35:36], s33
	v_fma_f64 v[55:56], v[53:54], v[55:56], s[44:45]
	v_fma_f64 v[57:58], v[53:54], v[57:58], s[58:59]
	;; [unrolled: 1-line block ×6, first 2 shown]
	v_mul_f64 v[55:56], v[59:60], v[55:56]
	v_fma_f64 v[57:58], v[53:54], v[57:58], s[64:65]
	v_fma_f64 v[49:50], v[49:50], s[52:53], v[55:56]
	v_fma_f64 v[53:54], v[53:54], v[57:58], 1.0
	v_cndmask_b32_e32 v45, v53, v49, vcc
	v_cndmask_b32_e32 v49, v54, v50, vcc
	v_xor_b32_e32 v41, v49, v41
	v_cndmask_b32_e64 v49, 0, v45, s[10:11]
	v_cndmask_b32_e64 v50, v73, v41, s[10:11]
	v_mul_f64 v[49:50], v[35:36], v[49:50]
	v_and_b32_e32 v52, 0x7fffffff, v50
	v_mov_b32_e32 v51, v49
	v_div_scale_f64 v[53:54], s[10:11], v[51:52], v[51:52], s[52:53]
	v_div_scale_f64 v[51:52], vcc, s[52:53], v[51:52], s[52:53]
	v_rcp_f64_e32 v[55:56], v[53:54]
	v_fma_f64 v[57:58], -v[53:54], v[55:56], 1.0
	v_fma_f64 v[55:56], v[55:56], v[57:58], v[55:56]
	v_fma_f64 v[57:58], -v[53:54], v[55:56], 1.0
	v_fma_f64 v[55:56], v[55:56], v[57:58], v[55:56]
	v_mul_f64 v[57:58], v[51:52], v[55:56]
	v_fma_f64 v[51:52], -v[53:54], v[57:58], v[51:52]
	v_div_fmas_f64 v[51:52], v[51:52], v[55:56], v[57:58]
	v_div_fixup_f64 v[49:50], v[51:52], |v[49:50]|, s[52:53]
	v_frexp_mant_f64_e32 v[51:52], v[49:50]
	v_cmp_gt_f64_e32 vcc, s[68:69], v[51:52]
	v_cndmask_b32_e64 v41, 0, 1, vcc
	v_ldexp_f64 v[51:52], v[51:52], v41
	v_frexp_exp_i32_f64_e32 v41, v[49:50]
	v_add_f64 v[53:54], v[51:52], 1.0
	v_add_f64 v[59:60], v[51:52], -1.0
	v_subbrev_co_u32_e32 v41, vcc, 0, v41, vcc
	v_cmp_class_f64_e64 vcc, v[49:50], s75
	v_rcp_f64_e32 v[55:56], v[53:54]
	v_add_f64 v[61:62], v[53:54], -1.0
	v_add_f64 v[51:52], v[51:52], -v[61:62]
	v_fma_f64 v[57:58], -v[53:54], v[55:56], 1.0
	v_fma_f64 v[55:56], v[57:58], v[55:56], v[55:56]
	v_fma_f64 v[57:58], -v[53:54], v[55:56], 1.0
	v_fma_f64 v[55:56], v[57:58], v[55:56], v[55:56]
	v_mul_f64 v[57:58], v[59:60], v[55:56]
	v_mul_f64 v[74:75], v[53:54], v[57:58]
	v_fma_f64 v[53:54], v[57:58], v[53:54], -v[74:75]
	v_fma_f64 v[51:52], v[57:58], v[51:52], v[53:54]
	v_add_f64 v[53:54], v[74:75], v[51:52]
	v_add_f64 v[61:62], v[59:60], -v[53:54]
	v_add_f64 v[74:75], v[53:54], -v[74:75]
	;; [unrolled: 1-line block ×5, first 2 shown]
	v_add_f64 v[51:52], v[51:52], v[53:54]
	v_add_f64 v[51:52], v[61:62], v[51:52]
	v_mul_f64 v[51:52], v[55:56], v[51:52]
	v_add_f64 v[53:54], v[57:58], v[51:52]
	v_mul_f64 v[55:56], v[53:54], v[53:54]
	v_fma_f64 v[59:60], v[55:56], s[22:23], v[5:6]
	v_mul_f64 v[61:62], v[53:54], v[55:56]
	v_fma_f64 v[59:60], v[55:56], v[59:60], s[24:25]
	v_fma_f64 v[59:60], v[55:56], v[59:60], s[26:27]
	;; [unrolled: 1-line block ×5, first 2 shown]
	v_ldexp_f64 v[59:60], v[53:54], 1
	v_add_f64 v[53:54], v[53:54], -v[57:58]
	v_mul_f64 v[55:56], v[61:62], v[55:56]
	v_cvt_f64_i32_e32 v[61:62], v41
	v_add_f64 v[51:52], v[51:52], -v[53:54]
	v_mul_f64 v[74:75], v[61:62], s[34:35]
	v_add_f64 v[57:58], v[59:60], v[55:56]
	v_ldexp_f64 v[51:52], v[51:52], 1
	v_add_f64 v[53:54], v[57:58], -v[59:60]
	v_fma_f64 v[59:60], v[61:62], s[34:35], -v[74:75]
	v_add_f64 v[53:54], v[55:56], -v[53:54]
	v_fma_f64 v[55:56], v[61:62], s[36:37], v[59:60]
	v_add_f64 v[51:52], v[51:52], v[53:54]
	v_add_f64 v[53:54], v[74:75], v[55:56]
	;; [unrolled: 1-line block ×3, first 2 shown]
	v_add_f64 v[74:75], v[53:54], -v[74:75]
	v_add_f64 v[61:62], v[53:54], v[59:60]
	v_add_f64 v[57:58], v[59:60], -v[57:58]
	v_add_f64 v[55:56], v[55:56], -v[74:75]
	;; [unrolled: 1-line block ×6, first 2 shown]
	v_add_f64 v[59:60], v[55:56], v[51:52]
	v_add_f64 v[53:54], v[53:54], -v[78:79]
	v_add_f64 v[53:54], v[57:58], v[53:54]
	v_add_f64 v[57:58], v[59:60], -v[55:56]
	;; [unrolled: 2-line block ×3, first 2 shown]
	v_add_f64 v[51:52], v[51:52], -v[57:58]
	v_add_f64 v[74:75], v[61:62], v[53:54]
	v_add_f64 v[55:56], v[55:56], -v[59:60]
	v_add_f64 v[57:58], v[74:75], -v[61:62]
	v_add_f64 v[51:52], v[51:52], v[55:56]
	v_add_f64 v[53:54], v[53:54], -v[57:58]
	v_add_f64 v[51:52], v[51:52], v[53:54]
	v_fract_f64_e32 v[53:54], v[35:36]
	v_add_f64 v[51:52], v[74:75], v[51:52]
	v_cmp_eq_f64_e64 s[10:11], 0, v[53:54]
	v_cndmask_b32_e32 v41, v51, v49, vcc
	v_cndmask_b32_e32 v45, v52, v50, vcc
	v_cmp_neq_f64_e32 vcc, 0, v[49:50]
	v_cndmask_b32_e32 v50, v71, v45, vcc
	v_cndmask_b32_e32 v49, 0, v41, vcc
	v_add_f64 v[47:48], v[49:50], -v[47:48]
	s_or_b64 vcc, s[82:83], s[10:11]
	v_cndmask_b32_e32 v48, v48, v70, vcc
	v_cndmask_b32_e64 v47, v47, 0, vcc
.LBB12_79:                              ;   in Loop: Header=BB12_4 Depth=1
	s_or_b64 exec, exec, s[80:81]
.LBB12_80:                              ;   in Loop: Header=BB12_4 Depth=1
	s_or_b64 exec, exec, s[12:13]
	v_and_b32_e32 v50, 0x7fffffff, v38
	v_mov_b32_e32 v49, v37
	v_cmp_lt_u32_e32 vcc, s72, v50
                                        ; implicit-def: $vgpr51_vgpr52
	s_and_saveexec_b64 s[10:11], vcc
	s_xor_b64 s[80:81], exec, s[10:11]
	s_cbranch_execz .LBB12_106
; %bb.81:                               ;   in Loop: Header=BB12_4 Depth=1
	v_cmp_lt_u32_e32 vcc, s73, v50
                                        ; implicit-def: $vgpr51_vgpr52
	s_and_saveexec_b64 s[10:11], vcc
	s_xor_b64 s[12:13], exec, s[10:11]
	s_cbranch_execz .LBB12_91
; %bb.82:                               ;   in Loop: Header=BB12_4 Depth=1
	v_cmp_lt_u32_e32 vcc, s74, v50
                                        ; implicit-def: $vgpr51_vgpr52
	s_and_saveexec_b64 s[10:11], vcc
	s_xor_b64 s[82:83], exec, s[10:11]
	s_cbranch_execz .LBB12_88
; %bb.83:                               ;   in Loop: Header=BB12_4 Depth=1
	s_mov_b32 s10, 0x438fffff
	v_cmp_lt_u32_e32 vcc, s10, v50
                                        ; implicit-def: $vgpr51_vgpr52
	s_and_saveexec_b64 s[10:11], vcc
	s_xor_b64 s[84:85], exec, s[10:11]
	s_cbranch_execz .LBB12_85
; %bb.84:                               ;   in Loop: Header=BB12_4 Depth=1
	v_frexp_mant_f64_e64 v[51:52], |v[37:38]|
	s_mov_b32 s21, s69
	v_cmp_neq_f64_e64 s[10:11], 0, v[37:38]
	v_cmp_gt_f64_e32 vcc, s[68:69], v[51:52]
	v_cndmask_b32_e64 v41, 0, 1, vcc
	v_ldexp_f64 v[51:52], v[51:52], v41
	v_frexp_exp_i32_f64_e32 v41, v[37:38]
	v_add_f64 v[53:54], v[51:52], 1.0
	v_add_f64 v[59:60], v[51:52], -1.0
	v_subbrev_co_u32_e32 v41, vcc, 0, v41, vcc
	v_cmp_neq_f64_e64 vcc, |v[37:38]|, s[70:71]
	v_rcp_f64_e32 v[55:56], v[53:54]
	v_add_f64 v[61:62], v[53:54], -1.0
	v_add_f64 v[51:52], v[51:52], -v[61:62]
	v_fma_f64 v[57:58], -v[53:54], v[55:56], 1.0
	v_fma_f64 v[55:56], v[57:58], v[55:56], v[55:56]
	v_fma_f64 v[57:58], -v[53:54], v[55:56], 1.0
	v_fma_f64 v[55:56], v[57:58], v[55:56], v[55:56]
	v_mul_f64 v[57:58], v[59:60], v[55:56]
	v_mul_f64 v[74:75], v[53:54], v[57:58]
	v_fma_f64 v[53:54], v[57:58], v[53:54], -v[74:75]
	v_fma_f64 v[51:52], v[57:58], v[51:52], v[53:54]
	v_add_f64 v[53:54], v[74:75], v[51:52]
	v_add_f64 v[61:62], v[59:60], -v[53:54]
	v_add_f64 v[74:75], v[53:54], -v[74:75]
	;; [unrolled: 1-line block ×5, first 2 shown]
	v_add_f64 v[51:52], v[51:52], v[53:54]
	v_add_f64 v[51:52], v[61:62], v[51:52]
	v_mul_f64 v[51:52], v[55:56], v[51:52]
	v_add_f64 v[53:54], v[57:58], v[51:52]
	v_mul_f64 v[55:56], v[53:54], v[53:54]
	v_fma_f64 v[59:60], v[55:56], s[22:23], v[5:6]
	v_mul_f64 v[61:62], v[53:54], v[55:56]
	v_fma_f64 v[59:60], v[55:56], v[59:60], s[24:25]
	v_fma_f64 v[59:60], v[55:56], v[59:60], s[26:27]
	;; [unrolled: 1-line block ×5, first 2 shown]
	v_ldexp_f64 v[59:60], v[53:54], 1
	v_add_f64 v[53:54], v[53:54], -v[57:58]
	v_mul_f64 v[55:56], v[61:62], v[55:56]
	v_cvt_f64_i32_e32 v[61:62], v41
	v_add_f64 v[51:52], v[51:52], -v[53:54]
	v_mul_f64 v[74:75], v[61:62], s[34:35]
	v_add_f64 v[57:58], v[59:60], v[55:56]
	v_ldexp_f64 v[51:52], v[51:52], 1
	v_add_f64 v[53:54], v[57:58], -v[59:60]
	v_fma_f64 v[59:60], v[61:62], s[34:35], -v[74:75]
	v_add_f64 v[53:54], v[55:56], -v[53:54]
	v_fma_f64 v[55:56], v[61:62], s[36:37], v[59:60]
	v_add_f64 v[51:52], v[51:52], v[53:54]
	v_add_f64 v[53:54], v[74:75], v[55:56]
	;; [unrolled: 1-line block ×3, first 2 shown]
	v_add_f64 v[74:75], v[53:54], -v[74:75]
	v_add_f64 v[61:62], v[53:54], v[59:60]
	v_add_f64 v[57:58], v[59:60], -v[57:58]
	v_add_f64 v[55:56], v[55:56], -v[74:75]
	v_add_f64 v[76:77], v[61:62], -v[53:54]
	v_add_f64 v[51:52], v[51:52], -v[57:58]
	v_add_f64 v[78:79], v[61:62], -v[76:77]
	v_add_f64 v[57:58], v[59:60], -v[76:77]
	v_add_f64 v[59:60], v[55:56], v[51:52]
	v_add_f64 v[53:54], v[53:54], -v[78:79]
	v_add_f64 v[53:54], v[57:58], v[53:54]
	v_add_f64 v[57:58], v[59:60], -v[55:56]
	;; [unrolled: 2-line block ×3, first 2 shown]
	v_add_f64 v[51:52], v[51:52], -v[57:58]
	v_add_f64 v[74:75], v[61:62], v[53:54]
	v_add_f64 v[55:56], v[55:56], -v[59:60]
	v_add_f64 v[57:58], v[74:75], -v[61:62]
	v_add_f64 v[51:52], v[51:52], v[55:56]
	v_add_f64 v[53:54], v[53:54], -v[57:58]
	v_add_f64 v[51:52], v[51:52], v[53:54]
	v_add_f64 v[51:52], v[74:75], v[51:52]
	v_cndmask_b32_e32 v41, v70, v52, vcc
	s_and_b64 vcc, s[10:11], vcc
	v_cndmask_b32_e64 v52, v71, v41, s[10:11]
	v_cndmask_b32_e32 v51, 0, v51, vcc
	v_fma_f64 v[51:52], |v[37:38]|, v[51:52], -|v[37:38]|
.LBB12_85:                              ;   in Loop: Header=BB12_4 Depth=1
	s_andn2_saveexec_b64 s[84:85], s[84:85]
	s_cbranch_execz .LBB12_87
; %bb.86:                               ;   in Loop: Header=BB12_4 Depth=1
	v_mov_b32_e32 v49, v37
	v_div_scale_f64 v[51:52], s[10:11], v[49:50], v[49:50], 1.0
	s_mov_b32 s10, 0xb9e43e4
	s_mov_b32 s11, 0xbf5ab89d
	;; [unrolled: 1-line block ×3, first 2 shown]
	v_frexp_exp_i32_f64_e32 v41, v[37:38]
	v_rcp_f64_e32 v[53:54], v[51:52]
	v_fma_f64 v[55:56], -v[51:52], v[53:54], 1.0
	v_fma_f64 v[53:54], v[53:54], v[55:56], v[53:54]
	v_fma_f64 v[55:56], -v[51:52], v[53:54], 1.0
	v_fma_f64 v[53:54], v[53:54], v[55:56], v[53:54]
	v_div_scale_f64 v[55:56], vcc, 1.0, v[49:50], 1.0
	v_mul_f64 v[57:58], v[55:56], v[53:54]
	v_fma_f64 v[51:52], -v[51:52], v[57:58], v[55:56]
	s_nop 1
	v_div_fmas_f64 v[51:52], v[51:52], v[53:54], v[57:58]
	v_div_fixup_f64 v[51:52], v[51:52], |v[37:38]|, 1.0
	v_mul_f64 v[53:54], v[51:52], v[51:52]
	v_fma_f64 v[55:56], v[53:54], s[10:11], v[7:8]
	s_mov_b32 s10, 0x8c0fe741
	s_mov_b32 s11, 0xbf4380cb
	v_fma_f64 v[55:56], v[53:54], v[55:56], s[10:11]
	s_mov_b32 s10, 0x98cf38b6
	s_mov_b32 s11, 0x3f4a019f
	v_fma_f64 v[55:56], v[53:54], v[55:56], s[10:11]
	s_mov_b32 s10, 0x16b02e5c
	s_mov_b32 s11, 0xbf66c16c
	v_fma_f64 v[55:56], v[53:54], v[55:56], s[10:11]
	s_mov_b32 s10, 0x5555553b
	s_mov_b32 s11, 0x3fb55555
	v_fma_f64 v[53:54], v[53:54], v[55:56], s[10:11]
	v_frexp_mant_f64_e64 v[55:56], |v[37:38]|
	s_mov_b32 s10, 0x90c97d69
	s_mov_b32 s11, 0x3fdacfe3
	v_fma_f64 v[51:52], v[51:52], v[53:54], s[10:11]
	v_cmp_gt_f64_e32 vcc, s[68:69], v[55:56]
	v_cmp_neq_f64_e64 s[10:11], 0, v[37:38]
	v_add_f64 v[53:54], |v[37:38]|, -0.5
	v_cndmask_b32_e64 v45, 0, 1, vcc
	v_ldexp_f64 v[55:56], v[55:56], v45
	v_subbrev_co_u32_e32 v41, vcc, 0, v41, vcc
	v_cmp_neq_f64_e64 vcc, |v[37:38]|, s[70:71]
	v_add_f64 v[59:60], v[55:56], 1.0
	v_add_f64 v[57:58], v[55:56], -1.0
	v_add_f64 v[61:62], v[59:60], -1.0
	v_add_f64 v[55:56], v[55:56], -v[61:62]
	v_rcp_f64_e32 v[61:62], v[59:60]
	v_fma_f64 v[74:75], -v[59:60], v[61:62], 1.0
	v_fma_f64 v[61:62], v[74:75], v[61:62], v[61:62]
	v_fma_f64 v[74:75], -v[59:60], v[61:62], 1.0
	v_fma_f64 v[61:62], v[74:75], v[61:62], v[61:62]
	v_mul_f64 v[74:75], v[57:58], v[61:62]
	v_mul_f64 v[76:77], v[59:60], v[74:75]
	v_fma_f64 v[59:60], v[74:75], v[59:60], -v[76:77]
	v_fma_f64 v[55:56], v[74:75], v[55:56], v[59:60]
	v_add_f64 v[59:60], v[76:77], v[55:56]
	v_add_f64 v[78:79], v[57:58], -v[59:60]
	v_add_f64 v[76:77], v[59:60], -v[76:77]
	v_add_f64 v[57:58], v[57:58], -v[78:79]
	v_add_f64 v[55:56], v[76:77], -v[55:56]
	v_add_f64 v[57:58], v[57:58], -v[59:60]
	v_add_f64 v[55:56], v[55:56], v[57:58]
	v_add_f64 v[55:56], v[78:79], v[55:56]
	v_mul_f64 v[55:56], v[61:62], v[55:56]
	v_add_f64 v[57:58], v[74:75], v[55:56]
	v_add_f64 v[59:60], v[57:58], -v[74:75]
	v_ldexp_f64 v[74:75], v[57:58], 1
	v_add_f64 v[55:56], v[55:56], -v[59:60]
	v_mul_f64 v[59:60], v[57:58], v[57:58]
	v_ldexp_f64 v[55:56], v[55:56], 1
	v_fma_f64 v[61:62], v[59:60], s[22:23], v[5:6]
	v_mul_f64 v[57:58], v[57:58], v[59:60]
	v_fma_f64 v[61:62], v[59:60], v[61:62], s[24:25]
	v_fma_f64 v[61:62], v[59:60], v[61:62], s[26:27]
	;; [unrolled: 1-line block ×5, first 2 shown]
	v_mul_f64 v[57:58], v[57:58], v[61:62]
	v_add_f64 v[59:60], v[74:75], v[57:58]
	v_add_f64 v[61:62], v[59:60], -v[74:75]
	v_add_f64 v[57:58], v[57:58], -v[61:62]
	v_add_f64 v[55:56], v[55:56], v[57:58]
	v_add_f64 v[57:58], v[59:60], v[55:56]
	v_add_f64 v[59:60], v[57:58], -v[59:60]
	v_add_f64 v[55:56], v[55:56], -v[59:60]
	v_cvt_f64_i32_e32 v[59:60], v41
	v_mul_f64 v[61:62], v[59:60], s[34:35]
	v_fma_f64 v[74:75], v[59:60], s[34:35], -v[61:62]
	v_fma_f64 v[59:60], v[59:60], s[36:37], v[74:75]
	v_add_f64 v[74:75], v[61:62], v[59:60]
	v_add_f64 v[61:62], v[74:75], -v[61:62]
	v_add_f64 v[59:60], v[59:60], -v[61:62]
	v_add_f64 v[61:62], v[74:75], v[57:58]
	v_add_f64 v[76:77], v[61:62], -v[74:75]
	v_add_f64 v[78:79], v[61:62], -v[76:77]
	;; [unrolled: 1-line block ×4, first 2 shown]
	v_add_f64 v[57:58], v[57:58], v[74:75]
	v_add_f64 v[74:75], v[59:60], v[55:56]
	v_add_f64 v[76:77], v[74:75], -v[59:60]
	v_add_f64 v[57:58], v[74:75], v[57:58]
	v_add_f64 v[78:79], v[74:75], -v[76:77]
	v_add_f64 v[55:56], v[55:56], -v[76:77]
	;; [unrolled: 1-line block ×3, first 2 shown]
	v_add_f64 v[55:56], v[55:56], v[59:60]
	v_add_f64 v[59:60], v[61:62], v[57:58]
	v_add_f64 v[61:62], v[59:60], -v[61:62]
	v_add_f64 v[57:58], v[57:58], -v[61:62]
	v_add_f64 v[55:56], v[55:56], v[57:58]
	v_add_f64 v[55:56], v[59:60], v[55:56]
	v_add_f64 v[55:56], v[55:56], -1.0
	v_cndmask_b32_e32 v41, v70, v56, vcc
	s_and_b64 vcc, s[10:11], vcc
	v_cndmask_b32_e32 v55, 0, v55, vcc
	v_cndmask_b32_e64 v56, v71, v41, s[10:11]
	v_fma_f64 v[51:52], v[53:54], v[55:56], v[51:52]
.LBB12_87:                              ;   in Loop: Header=BB12_4 Depth=1
	s_or_b64 exec, exec, s[84:85]
.LBB12_88:                              ;   in Loop: Header=BB12_4 Depth=1
	s_andn2_saveexec_b64 s[10:11], s[82:83]
	s_cbranch_execz .LBB12_90
; %bb.89:                               ;   in Loop: Header=BB12_4 Depth=1
	v_cvt_i32_f64_e32 v41, v[49:50]
	s_mov_b32 s82, 0x7e939961
	s_mov_b32 s83, 0x3f9b481c
	;; [unrolled: 1-line block ×3, first 2 shown]
	v_cvt_f64_i32_e32 v[51:52], v41
	s_mov_b32 s21, s69
	v_add_f64 v[53:54], |v[37:38]|, -v[51:52]
	v_fma_f64 v[51:52], v[53:54], s[42:43], v[9:10]
	v_fma_f64 v[51:52], v[53:54], v[51:52], s[82:83]
	s_mov_b32 s82, 0xbee5f2f7
	s_mov_b32 s83, 0x3fc2bb9c
	v_fma_f64 v[51:52], v[53:54], v[51:52], s[82:83]
	s_mov_b32 s82, 0x4f139f59
	s_mov_b32 s83, 0x3fd4d98f
	;; [unrolled: 3-line block ×5, first 2 shown]
	v_fma_f64 v[51:52], v[53:54], v[51:52], s[40:41]
	v_fma_f64 v[55:56], v[53:54], v[55:56], s[82:83]
	s_mov_b32 s82, 0xccfbdf27
	s_mov_b32 s83, 0x3fc601ed
	v_mul_f64 v[51:52], v[53:54], v[51:52]
	v_fma_f64 v[55:56], v[53:54], v[55:56], s[82:83]
	s_mov_b32 s82, 0x93d3dcdc
	s_mov_b32 s83, 0x3fe71a18
	v_fma_f64 v[55:56], v[53:54], v[55:56], s[82:83]
	s_mov_b32 s82, 0x62c4ab74
	s_mov_b32 s83, 0x3ff645a7
	v_fma_f64 v[55:56], v[53:54], v[55:56], s[82:83]
	v_fma_f64 v[55:56], v[53:54], v[55:56], 1.0
	v_div_scale_f64 v[57:58], s[82:83], v[55:56], v[55:56], v[51:52]
	s_mov_b32 s82, 0
	s_mov_b32 s83, 0x40080000
	v_rcp_f64_e32 v[59:60], v[57:58]
	v_fma_f64 v[61:62], -v[57:58], v[59:60], 1.0
	v_fma_f64 v[59:60], v[59:60], v[61:62], v[59:60]
	v_fma_f64 v[61:62], -v[57:58], v[59:60], 1.0
	v_fma_f64 v[59:60], v[59:60], v[61:62], v[59:60]
	v_div_scale_f64 v[61:62], vcc, v[51:52], v[55:56], v[51:52]
	v_mul_f64 v[74:75], v[61:62], v[59:60]
	v_fma_f64 v[57:58], -v[57:58], v[74:75], v[61:62]
	s_nop 1
	v_div_fmas_f64 v[57:58], v[57:58], v[59:60], v[74:75]
	v_cmp_lt_i32_e32 vcc, 2, v41
	v_add_f64 v[59:60], v[53:54], 4.0
	v_div_fixup_f64 v[51:52], v[57:58], v[55:56], v[51:52]
	v_add_f64 v[55:56], v[53:54], 2.0
	v_add_f64 v[57:58], v[53:54], s[82:83]
	s_mov_b32 s82, 0
	s_mov_b32 s83, 0x40140000
	v_add_f64 v[61:62], v[53:54], s[82:83]
	s_mov_b32 s82, 0
	s_mov_b32 s83, 0x40180000
	v_fma_f64 v[51:52], v[53:54], 0.5, v[51:52]
	v_cndmask_b32_e32 v56, v72, v56, vcc
	v_cndmask_b32_e32 v55, 0, v55, vcc
	v_cmp_lt_i32_e32 vcc, 3, v41
	v_cndmask_b32_e32 v58, v72, v58, vcc
	v_cndmask_b32_e32 v57, 0, v57, vcc
	v_mul_f64 v[55:56], v[55:56], v[57:58]
	v_cmp_lt_i32_e32 vcc, 4, v41
	v_cndmask_b32_e32 v58, v72, v60, vcc
	v_cndmask_b32_e32 v57, 0, v59, vcc
	v_cmp_lt_i32_e32 vcc, 5, v41
	v_add_f64 v[53:54], v[53:54], s[82:83]
	v_mul_f64 v[55:56], v[57:58], v[55:56]
	v_cndmask_b32_e32 v58, v72, v62, vcc
	v_cndmask_b32_e32 v57, 0, v61, vcc
	v_cmp_lt_i32_e32 vcc, 6, v41
	v_cndmask_b32_e32 v54, v72, v54, vcc
	v_cndmask_b32_e32 v53, 0, v53, vcc
	v_mul_f64 v[55:56], v[57:58], v[55:56]
	v_mul_f64 v[53:54], v[53:54], v[55:56]
	v_frexp_mant_f64_e32 v[55:56], v[53:54]
	v_frexp_exp_i32_f64_e32 v41, v[53:54]
	v_cmp_gt_f64_e32 vcc, s[68:69], v[55:56]
	v_cndmask_b32_e64 v45, 0, 1, vcc
	v_ldexp_f64 v[55:56], v[55:56], v45
	v_subbrev_co_u32_e32 v41, vcc, 0, v41, vcc
	v_cmp_class_f64_e64 vcc, v[53:54], s75
	v_add_f64 v[59:60], v[55:56], 1.0
	v_add_f64 v[57:58], v[55:56], -1.0
	v_add_f64 v[61:62], v[59:60], -1.0
	v_add_f64 v[55:56], v[55:56], -v[61:62]
	v_rcp_f64_e32 v[61:62], v[59:60]
	v_fma_f64 v[74:75], -v[59:60], v[61:62], 1.0
	v_fma_f64 v[61:62], v[74:75], v[61:62], v[61:62]
	v_fma_f64 v[74:75], -v[59:60], v[61:62], 1.0
	v_fma_f64 v[61:62], v[74:75], v[61:62], v[61:62]
	v_mul_f64 v[74:75], v[57:58], v[61:62]
	v_mul_f64 v[76:77], v[59:60], v[74:75]
	v_fma_f64 v[59:60], v[74:75], v[59:60], -v[76:77]
	v_fma_f64 v[55:56], v[74:75], v[55:56], v[59:60]
	v_add_f64 v[59:60], v[76:77], v[55:56]
	v_add_f64 v[78:79], v[57:58], -v[59:60]
	v_add_f64 v[76:77], v[59:60], -v[76:77]
	;; [unrolled: 1-line block ×5, first 2 shown]
	v_add_f64 v[55:56], v[55:56], v[57:58]
	v_add_f64 v[55:56], v[78:79], v[55:56]
	v_mul_f64 v[55:56], v[61:62], v[55:56]
	v_add_f64 v[57:58], v[74:75], v[55:56]
	v_add_f64 v[59:60], v[57:58], -v[74:75]
	v_ldexp_f64 v[74:75], v[57:58], 1
	v_add_f64 v[55:56], v[55:56], -v[59:60]
	v_mul_f64 v[59:60], v[57:58], v[57:58]
	v_ldexp_f64 v[55:56], v[55:56], 1
	v_fma_f64 v[61:62], v[59:60], s[22:23], v[5:6]
	v_mul_f64 v[57:58], v[57:58], v[59:60]
	v_fma_f64 v[61:62], v[59:60], v[61:62], s[24:25]
	v_fma_f64 v[61:62], v[59:60], v[61:62], s[26:27]
	;; [unrolled: 1-line block ×5, first 2 shown]
	v_mul_f64 v[57:58], v[57:58], v[61:62]
	v_add_f64 v[59:60], v[74:75], v[57:58]
	v_add_f64 v[61:62], v[59:60], -v[74:75]
	v_add_f64 v[57:58], v[57:58], -v[61:62]
	v_add_f64 v[55:56], v[55:56], v[57:58]
	v_add_f64 v[57:58], v[59:60], v[55:56]
	v_add_f64 v[59:60], v[57:58], -v[59:60]
	v_add_f64 v[55:56], v[55:56], -v[59:60]
	v_cvt_f64_i32_e32 v[59:60], v41
	v_mul_f64 v[61:62], v[59:60], s[34:35]
	v_fma_f64 v[74:75], v[59:60], s[34:35], -v[61:62]
	v_fma_f64 v[59:60], v[59:60], s[36:37], v[74:75]
	v_add_f64 v[74:75], v[61:62], v[59:60]
	v_add_f64 v[61:62], v[74:75], -v[61:62]
	v_add_f64 v[59:60], v[59:60], -v[61:62]
	v_add_f64 v[61:62], v[74:75], v[57:58]
	v_add_f64 v[76:77], v[61:62], -v[74:75]
	v_add_f64 v[78:79], v[61:62], -v[76:77]
	;; [unrolled: 1-line block ×4, first 2 shown]
	v_add_f64 v[57:58], v[57:58], v[74:75]
	v_add_f64 v[74:75], v[59:60], v[55:56]
	v_add_f64 v[76:77], v[74:75], -v[59:60]
	v_add_f64 v[57:58], v[74:75], v[57:58]
	v_add_f64 v[78:79], v[74:75], -v[76:77]
	v_add_f64 v[55:56], v[55:56], -v[76:77]
	;; [unrolled: 1-line block ×3, first 2 shown]
	v_add_f64 v[55:56], v[55:56], v[59:60]
	v_add_f64 v[59:60], v[61:62], v[57:58]
	v_add_f64 v[61:62], v[59:60], -v[61:62]
	v_add_f64 v[57:58], v[57:58], -v[61:62]
	v_add_f64 v[55:56], v[55:56], v[57:58]
	v_add_f64 v[55:56], v[59:60], v[55:56]
	v_cndmask_b32_e32 v41, v55, v53, vcc
	v_cndmask_b32_e32 v45, v56, v54, vcc
	v_cmp_ngt_f64_e32 vcc, 0, v[53:54]
	v_cndmask_b32_e32 v45, v73, v45, vcc
	v_cmp_nge_f64_e32 vcc, 0, v[53:54]
	v_cndmask_b32_e32 v55, 0, v41, vcc
	v_cmp_neq_f64_e32 vcc, 0, v[53:54]
	v_cndmask_b32_e32 v56, v71, v45, vcc
	v_add_f64 v[51:52], v[51:52], v[55:56]
.LBB12_90:                              ;   in Loop: Header=BB12_4 Depth=1
	s_or_b64 exec, exec, s[10:11]
.LBB12_91:                              ;   in Loop: Header=BB12_4 Depth=1
	s_andn2_saveexec_b64 s[82:83], s[12:13]
	s_cbranch_execz .LBB12_105
; %bb.92:                               ;   in Loop: Header=BB12_4 Depth=1
	v_cmp_lt_u32_e32 vcc, s76, v50
                                        ; implicit-def: $vgpr41
                                        ; implicit-def: $vgpr53_vgpr54
	s_and_saveexec_b64 s[10:11], vcc
	s_xor_b64 s[10:11], exec, s[10:11]
	s_cbranch_execz .LBB12_94
; %bb.93:                               ;   in Loop: Header=BB12_4 Depth=1
	s_mov_b32 s12, 0x6356be3f
	s_mov_b32 s13, 0xbff762d8
	v_add_f64 v[51:52], -|v[37:38]|, 2.0
	v_add_f64 v[53:54], |v[37:38]|, s[12:13]
	v_add_f64 v[55:56], |v[37:38]|, -1.0
	s_mov_b32 s12, 0x3ffbb4c3
	v_cmp_gt_u32_e32 vcc, s12, v50
	s_mov_b32 s12, 0x3ff3b4c4
	v_cndmask_b32_e64 v41, 0, 1, vcc
	v_cndmask_b32_e32 v45, v51, v53, vcc
	v_cndmask_b32_e32 v49, v52, v54, vcc
	v_cmp_gt_u32_e32 vcc, s12, v50
	v_cndmask_b32_e32 v54, v49, v56, vcc
	v_cndmask_b32_e32 v53, v45, v55, vcc
	v_cndmask_b32_e64 v41, v41, 2, vcc
.LBB12_94:                              ;   in Loop: Header=BB12_4 Depth=1
	s_or_saveexec_b64 s[84:85], s[10:11]
	v_mov_b32_e32 v51, 0
	v_mov_b32_e32 v52, 0
	s_xor_b64 exec, exec, s[84:85]
	s_cbranch_execz .LBB12_96
; %bb.95:                               ;   in Loop: Header=BB12_4 Depth=1
	v_frexp_mant_f64_e64 v[51:52], |v[37:38]|
	s_mov_b32 s21, s69
	s_mov_b32 s10, 0x8d5af8fc
	;; [unrolled: 1-line block ×4, first 2 shown]
	v_cmp_gt_u32_e64 s[12:13], s12, v50
	v_cndmask_b32_e64 v45, 0, 1, s[12:13]
	v_cmp_gt_f64_e32 vcc, s[68:69], v[51:52]
	v_cndmask_b32_e64 v41, 0, 1, vcc
	v_ldexp_f64 v[51:52], v[51:52], v41
	v_frexp_exp_i32_f64_e32 v41, v[37:38]
	v_add_f64 v[53:54], v[51:52], 1.0
	v_add_f64 v[59:60], v[51:52], -1.0
	v_subbrev_co_u32_e32 v41, vcc, 0, v41, vcc
	v_cmp_neq_f64_e64 vcc, |v[37:38]|, s[70:71]
	v_rcp_f64_e32 v[55:56], v[53:54]
	v_add_f64 v[61:62], v[53:54], -1.0
	v_add_f64 v[51:52], v[51:52], -v[61:62]
	v_fma_f64 v[57:58], -v[53:54], v[55:56], 1.0
	v_fma_f64 v[55:56], v[57:58], v[55:56], v[55:56]
	v_fma_f64 v[57:58], -v[53:54], v[55:56], 1.0
	v_fma_f64 v[55:56], v[57:58], v[55:56], v[55:56]
	v_mul_f64 v[57:58], v[59:60], v[55:56]
	v_mul_f64 v[74:75], v[53:54], v[57:58]
	v_fma_f64 v[53:54], v[57:58], v[53:54], -v[74:75]
	v_fma_f64 v[51:52], v[57:58], v[51:52], v[53:54]
	v_add_f64 v[53:54], v[74:75], v[51:52]
	v_add_f64 v[61:62], v[59:60], -v[53:54]
	v_add_f64 v[74:75], v[53:54], -v[74:75]
	;; [unrolled: 1-line block ×5, first 2 shown]
	v_add_f64 v[51:52], v[51:52], v[53:54]
	v_add_f64 v[51:52], v[61:62], v[51:52]
	v_mul_f64 v[51:52], v[55:56], v[51:52]
	v_add_f64 v[53:54], v[57:58], v[51:52]
	v_mul_f64 v[55:56], v[53:54], v[53:54]
	v_fma_f64 v[59:60], v[55:56], s[22:23], v[5:6]
	v_mul_f64 v[61:62], v[53:54], v[55:56]
	v_fma_f64 v[59:60], v[55:56], v[59:60], s[24:25]
	v_fma_f64 v[59:60], v[55:56], v[59:60], s[26:27]
	v_fma_f64 v[59:60], v[55:56], v[59:60], s[28:29]
	v_fma_f64 v[59:60], v[55:56], v[59:60], s[30:31]
	v_fma_f64 v[55:56], v[55:56], v[59:60], s[20:21]
	v_ldexp_f64 v[59:60], v[53:54], 1
	v_add_f64 v[53:54], v[53:54], -v[57:58]
	v_mul_f64 v[55:56], v[61:62], v[55:56]
	v_cvt_f64_i32_e32 v[61:62], v41
	v_add_f64 v[51:52], v[51:52], -v[53:54]
	v_mul_f64 v[74:75], v[61:62], s[34:35]
	v_add_f64 v[57:58], v[59:60], v[55:56]
	v_ldexp_f64 v[51:52], v[51:52], 1
	v_add_f64 v[53:54], v[57:58], -v[59:60]
	v_fma_f64 v[59:60], v[61:62], s[34:35], -v[74:75]
	v_add_f64 v[53:54], v[55:56], -v[53:54]
	v_fma_f64 v[55:56], v[61:62], s[36:37], v[59:60]
	v_add_f64 v[51:52], v[51:52], v[53:54]
	v_add_f64 v[53:54], v[74:75], v[55:56]
	;; [unrolled: 1-line block ×3, first 2 shown]
	v_add_f64 v[74:75], v[53:54], -v[74:75]
	v_add_f64 v[61:62], v[53:54], v[59:60]
	v_add_f64 v[57:58], v[59:60], -v[57:58]
	v_add_f64 v[55:56], v[55:56], -v[74:75]
	;; [unrolled: 1-line block ×6, first 2 shown]
	v_add_f64 v[59:60], v[55:56], v[51:52]
	v_add_f64 v[53:54], v[53:54], -v[78:79]
	v_add_f64 v[53:54], v[57:58], v[53:54]
	v_add_f64 v[57:58], v[59:60], -v[55:56]
	v_add_f64 v[53:54], v[59:60], v[53:54]
	v_add_f64 v[59:60], v[59:60], -v[57:58]
	v_add_f64 v[51:52], v[51:52], -v[57:58]
	v_add_f64 v[74:75], v[61:62], v[53:54]
	v_add_f64 v[55:56], v[55:56], -v[59:60]
	v_add_f64 v[57:58], v[74:75], -v[61:62]
	v_add_f64 v[51:52], v[51:52], v[55:56]
	v_add_f64 v[55:56], |v[37:38]|, s[10:11]
	v_cmp_neq_f64_e64 s[10:11], 0, v[37:38]
	v_add_f64 v[53:54], v[53:54], -v[57:58]
	v_add_f64 v[51:52], v[51:52], v[53:54]
	v_add_f64 v[53:54], -|v[37:38]|, 1.0
	v_add_f64 v[51:52], v[74:75], v[51:52]
	v_cndmask_b32_e64 v49, v53, v55, s[12:13]
	v_xor_b32_e32 v41, 0x80000000, v52
	v_cndmask_b32_e64 v52, v54, v56, s[12:13]
	s_mov_b32 s12, 0x3fcda661
	v_cndmask_b32_e32 v41, v71, v41, vcc
	v_cmp_gt_u32_e64 s[12:13], s12, v50
	s_and_b64 vcc, s[10:11], vcc
	v_cndmask_b32_e64 v54, v52, v50, s[12:13]
	v_cndmask_b32_e64 v53, v49, v37, s[12:13]
	;; [unrolled: 1-line block ×3, first 2 shown]
	v_cndmask_b32_e32 v51, 0, v51, vcc
	v_cndmask_b32_e64 v41, v45, 2, s[12:13]
.LBB12_96:                              ;   in Loop: Header=BB12_4 Depth=1
	s_or_b64 exec, exec, s[84:85]
	v_cmp_lt_i32_e32 vcc, 1, v41
                                        ; implicit-def: $vgpr57_vgpr58
	s_and_saveexec_b64 s[10:11], vcc
	s_xor_b64 s[10:11], exec, s[10:11]
	s_cbranch_execz .LBB12_98
; %bb.97:                               ;   in Loop: Header=BB12_4 Depth=1
	s_mov_b32 s12, 0xbf2bab09
	s_mov_b32 s13, 0x3f8b678b
	v_fma_f64 v[55:56], v[53:54], s[12:13], v[13:14]
	s_mov_b32 s12, 0x57d0cf61
	s_mov_b32 s13, 0x3f6a5abb
	v_fma_f64 v[57:58], v[53:54], s[12:13], v[15:16]
	s_mov_b32 s12, 0x44ea8450
	s_mov_b32 s13, 0x3fef4976
	;; [unrolled: 1-line block ×3, first 2 shown]
                                        ; implicit-def: $vgpr41
	v_fma_f64 v[55:56], v[53:54], v[55:56], s[12:13]
	s_mov_b32 s12, 0xe45050af
	s_mov_b32 s13, 0x3fe89dfb
	v_fma_f64 v[57:58], v[53:54], v[57:58], s[12:13]
	s_mov_b32 s12, 0xd119bd6f
	s_mov_b32 s13, 0x3ff7475c
	;; [unrolled: 3-line block ×5, first 2 shown]
	v_fma_f64 v[57:58], v[53:54], v[57:58], s[12:13]
	v_fma_f64 v[55:56], v[53:54], v[55:56], s[40:41]
	v_fma_f64 v[57:58], v[53:54], v[57:58], 1.0
	v_mul_f64 v[55:56], v[53:54], v[55:56]
	v_div_scale_f64 v[59:60], s[12:13], v[57:58], v[57:58], v[55:56]
	v_div_scale_f64 v[76:77], vcc, v[55:56], v[57:58], v[55:56]
	v_rcp_f64_e32 v[61:62], v[59:60]
	v_fma_f64 v[74:75], -v[59:60], v[61:62], 1.0
	v_fma_f64 v[61:62], v[61:62], v[74:75], v[61:62]
	v_fma_f64 v[74:75], -v[59:60], v[61:62], 1.0
	v_fma_f64 v[61:62], v[61:62], v[74:75], v[61:62]
	v_mul_f64 v[74:75], v[76:77], v[61:62]
	v_fma_f64 v[59:60], -v[59:60], v[74:75], v[76:77]
	v_div_fmas_f64 v[59:60], v[59:60], v[61:62], v[74:75]
	v_div_fixup_f64 v[55:56], v[59:60], v[57:58], v[55:56]
	v_fma_f64 v[57:58], v[53:54], -0.5, v[55:56]
                                        ; implicit-def: $vgpr53_vgpr54
.LBB12_98:                              ;   in Loop: Header=BB12_4 Depth=1
	s_andn2_saveexec_b64 s[10:11], s[10:11]
	s_cbranch_execz .LBB12_104
; %bb.99:                               ;   in Loop: Header=BB12_4 Depth=1
	v_mul_f64 v[55:56], v[53:54], v[53:54]
	v_cmp_ne_u32_e32 vcc, 1, v41
                                        ; implicit-def: $vgpr57_vgpr58
	s_and_saveexec_b64 s[12:13], vcc
	s_xor_b64 s[12:13], exec, s[12:13]
	s_cbranch_execz .LBB12_101
; %bb.100:                              ;   in Loop: Header=BB12_4 Depth=1
	s_mov_b32 s84, 0x90a45837
	s_mov_b32 s85, 0x3f07858e
	v_fma_f64 v[57:58], v[55:56], s[84:85], v[19:20]
	s_mov_b32 s84, 0x428cfa52
	s_mov_b32 s85, 0x3efa7074
	v_fma_f64 v[59:60], v[55:56], s[84:85], v[17:18]
	s_mov_b32 s84, 0x89b99c00
	s_mov_b32 s85, 0x3f40b6c6
	v_fma_f64 v[57:58], v[55:56], v[57:58], s[84:85]
	s_mov_b32 s84, 0x116f3f5d
	s_mov_b32 s85, 0x3f538a94
	v_fma_f64 v[59:60], v[55:56], v[59:60], s[84:85]
	s_mov_b32 s84, 0xccb7926b
	s_mov_b32 s85, 0x3f67add8
	v_fma_f64 v[57:58], v[55:56], v[57:58], s[84:85]
	s_mov_b32 s84, 0xb68fefe8
	s_mov_b32 s85, 0x3f7e404f
	v_fma_f64 v[59:60], v[55:56], v[59:60], s[84:85]
	s_mov_b32 s84, 0xac92547b
	s_mov_b32 s85, 0x3f951322
	v_fma_f64 v[57:58], v[55:56], v[57:58], s[84:85]
	s_mov_b32 s84, 0x1a5562a7
	s_mov_b32 s85, 0x3fb13e00
	v_fma_f64 v[59:60], v[55:56], v[59:60], s[84:85]
	s_mov_b32 s84, 0xc4a60fad
	s_mov_b32 s85, 0x3fd4a34c
	v_fma_f64 v[57:58], v[55:56], v[57:58], s[84:85]
	v_fma_f64 v[59:60], v[55:56], v[59:60], s[78:79]
	v_mul_f64 v[55:56], v[55:56], v[57:58]
	v_fma_f64 v[55:56], v[53:54], v[59:60], v[55:56]
	v_fma_f64 v[57:58], v[53:54], -0.5, v[55:56]
                                        ; implicit-def: $vgpr53_vgpr54
                                        ; implicit-def: $vgpr55_vgpr56
.LBB12_101:                             ;   in Loop: Header=BB12_4 Depth=1
	s_andn2_saveexec_b64 s[12:13], s[12:13]
	s_cbranch_execz .LBB12_103
; %bb.102:                              ;   in Loop: Header=BB12_4 Depth=1
	v_mul_f64 v[57:58], v[53:54], v[55:56]
	s_mov_b32 s84, 0xecc38c38
	s_mov_b32 s85, 0xbf347f24
	v_fma_f64 v[59:60], v[57:58], s[84:85], v[23:24]
	s_mov_b32 s84, 0xe8c2d3f4
	s_mov_b32 s85, 0x3f35fd3e
	v_fma_f64 v[61:62], v[57:58], s[84:85], v[25:26]
	;; [unrolled: 3-line block ×12, first 2 shown]
	v_fma_f64 v[59:60], v[57:58], v[74:75], s[84:85]
	s_mov_b32 s84, 0xa48a971f
	s_mov_b32 s85, 0xbc50c7ca
	v_fma_f64 v[53:54], v[57:58], -v[53:54], s[84:85]
	s_mov_b32 s84, 0xbcc38a42
	s_mov_b32 s85, 0xbfbf19b9
	v_fma_f64 v[53:54], v[55:56], v[59:60], -v[53:54]
	v_add_f64 v[57:58], v[53:54], s[84:85]
.LBB12_103:                             ;   in Loop: Header=BB12_4 Depth=1
	s_or_b64 exec, exec, s[12:13]
.LBB12_104:                             ;   in Loop: Header=BB12_4 Depth=1
	s_or_b64 exec, exec, s[10:11]
	v_add_f64 v[51:52], v[51:52], v[57:58]
.LBB12_105:                             ;   in Loop: Header=BB12_4 Depth=1
	s_or_b64 exec, exec, s[82:83]
.LBB12_106:                             ;   in Loop: Header=BB12_4 Depth=1
	s_andn2_saveexec_b64 s[12:13], s[80:81]
	s_cbranch_execz .LBB12_108
; %bb.107:                              ;   in Loop: Header=BB12_4 Depth=1
	v_frexp_mant_f64_e64 v[51:52], |v[37:38]|
	s_mov_b32 s21, s69
	v_cmp_neq_f64_e64 s[10:11], 0, v[37:38]
	v_cmp_gt_f64_e32 vcc, s[68:69], v[51:52]
	v_cndmask_b32_e64 v41, 0, 1, vcc
	v_ldexp_f64 v[51:52], v[51:52], v41
	v_frexp_exp_i32_f64_e32 v41, v[37:38]
	v_add_f64 v[53:54], v[51:52], 1.0
	v_add_f64 v[59:60], v[51:52], -1.0
	v_subbrev_co_u32_e32 v41, vcc, 0, v41, vcc
	v_cmp_neq_f64_e64 vcc, |v[37:38]|, s[70:71]
	v_rcp_f64_e32 v[55:56], v[53:54]
	v_add_f64 v[61:62], v[53:54], -1.0
	v_add_f64 v[51:52], v[51:52], -v[61:62]
	v_fma_f64 v[57:58], -v[53:54], v[55:56], 1.0
	v_fma_f64 v[55:56], v[57:58], v[55:56], v[55:56]
	v_fma_f64 v[57:58], -v[53:54], v[55:56], 1.0
	v_fma_f64 v[55:56], v[57:58], v[55:56], v[55:56]
	v_mul_f64 v[57:58], v[59:60], v[55:56]
	v_mul_f64 v[74:75], v[53:54], v[57:58]
	v_fma_f64 v[53:54], v[57:58], v[53:54], -v[74:75]
	v_fma_f64 v[51:52], v[57:58], v[51:52], v[53:54]
	v_add_f64 v[53:54], v[74:75], v[51:52]
	v_add_f64 v[61:62], v[59:60], -v[53:54]
	v_add_f64 v[74:75], v[53:54], -v[74:75]
	v_add_f64 v[59:60], v[59:60], -v[61:62]
	v_add_f64 v[51:52], v[74:75], -v[51:52]
	v_add_f64 v[53:54], v[59:60], -v[53:54]
	v_add_f64 v[51:52], v[51:52], v[53:54]
	v_add_f64 v[51:52], v[61:62], v[51:52]
	v_mul_f64 v[51:52], v[55:56], v[51:52]
	v_add_f64 v[53:54], v[57:58], v[51:52]
	v_mul_f64 v[55:56], v[53:54], v[53:54]
	v_fma_f64 v[59:60], v[55:56], s[22:23], v[5:6]
	v_mul_f64 v[61:62], v[53:54], v[55:56]
	v_fma_f64 v[59:60], v[55:56], v[59:60], s[24:25]
	v_fma_f64 v[59:60], v[55:56], v[59:60], s[26:27]
	;; [unrolled: 1-line block ×5, first 2 shown]
	v_ldexp_f64 v[59:60], v[53:54], 1
	v_add_f64 v[53:54], v[53:54], -v[57:58]
	v_mul_f64 v[55:56], v[61:62], v[55:56]
	v_cvt_f64_i32_e32 v[61:62], v41
	v_add_f64 v[51:52], v[51:52], -v[53:54]
	v_mul_f64 v[74:75], v[61:62], s[34:35]
	v_add_f64 v[57:58], v[59:60], v[55:56]
	v_ldexp_f64 v[51:52], v[51:52], 1
	v_add_f64 v[53:54], v[57:58], -v[59:60]
	v_fma_f64 v[59:60], v[61:62], s[34:35], -v[74:75]
	v_add_f64 v[53:54], v[55:56], -v[53:54]
	v_fma_f64 v[55:56], v[61:62], s[36:37], v[59:60]
	v_add_f64 v[51:52], v[51:52], v[53:54]
	v_add_f64 v[53:54], v[74:75], v[55:56]
	;; [unrolled: 1-line block ×3, first 2 shown]
	v_add_f64 v[74:75], v[53:54], -v[74:75]
	v_add_f64 v[61:62], v[53:54], v[59:60]
	v_add_f64 v[57:58], v[59:60], -v[57:58]
	v_add_f64 v[55:56], v[55:56], -v[74:75]
	;; [unrolled: 1-line block ×6, first 2 shown]
	v_add_f64 v[59:60], v[55:56], v[51:52]
	v_add_f64 v[53:54], v[53:54], -v[78:79]
	v_add_f64 v[53:54], v[57:58], v[53:54]
	v_add_f64 v[57:58], v[59:60], -v[55:56]
	;; [unrolled: 2-line block ×3, first 2 shown]
	v_add_f64 v[51:52], v[51:52], -v[57:58]
	v_add_f64 v[74:75], v[61:62], v[53:54]
	v_add_f64 v[55:56], v[55:56], -v[59:60]
	v_add_f64 v[57:58], v[74:75], -v[61:62]
	v_add_f64 v[51:52], v[51:52], v[55:56]
	v_fma_f64 v[55:56], |v[37:38]|, s[48:49], v[27:28]
	v_add_f64 v[53:54], v[53:54], -v[57:58]
	v_add_f64 v[51:52], v[51:52], v[53:54]
	v_fma_f64 v[53:54], |v[37:38]|, v[55:56], s[90:91]
	v_add_f64 v[51:52], v[74:75], v[51:52]
	v_fma_f64 v[53:54], |v[37:38]|, v[53:54], s[92:93]
	v_xor_b32_e32 v41, 0x80000000, v52
	v_fma_f64 v[52:53], |v[37:38]|, v[53:54], s[94:95]
	v_cndmask_b32_e32 v41, v71, v41, vcc
	s_and_b64 vcc, s[10:11], vcc
	v_cndmask_b32_e64 v55, v70, v41, s[10:11]
	v_cndmask_b32_e32 v54, 0, v51, vcc
	v_fma_f64 v[51:52], |v[37:38]|, v[52:53], v[54:55]
.LBB12_108:                             ;   in Loop: Header=BB12_4 Depth=1
	s_or_b64 exec, exec, s[12:13]
	v_cmp_le_f64_e32 vcc, 0, v[37:38]
	s_and_saveexec_b64 s[10:11], vcc
	s_xor_b64 s[12:13], exec, s[10:11]
	s_cbranch_execz .LBB12_110
; %bb.109:                              ;   in Loop: Header=BB12_4 Depth=1
	v_cmp_eq_f64_e32 vcc, 1.0, v[37:38]
	v_cmp_eq_f64_e64 s[10:11], 2.0, v[37:38]
	s_or_b64 s[10:11], vcc, s[10:11]
	v_cndmask_b32_e64 v52, v52, 0, s[10:11]
	v_cndmask_b32_e64 v51, v51, 0, s[10:11]
.LBB12_110:                             ;   in Loop: Header=BB12_4 Depth=1
	s_andn2_saveexec_b64 s[12:13], s[12:13]
	s_cbranch_execz .LBB12_114
; %bb.111:                              ;   in Loop: Header=BB12_4 Depth=1
	v_add_u32_e32 v41, 0xc32fffff, v50
	v_cmp_gt_u32_e32 vcc, s77, v41
	s_and_saveexec_b64 s[80:81], vcc
	s_cbranch_execz .LBB12_113
; %bb.112:                              ;   in Loop: Header=BB12_4 Depth=1
	v_mul_f64 v[53:54], |v[37:38]|, 0.5
	s_mov_b32 s10, 0xf99eb0bb
	s_mov_b32 s11, 0x3f3e357e
	;; [unrolled: 1-line block ×3, first 2 shown]
	v_cmp_class_f64_e64 s[82:83], v[37:38], s75
	v_fract_f64_e32 v[55:56], v[53:54]
	v_cmp_neq_f64_e64 vcc, |v[53:54]|, s[70:71]
	v_add_f64 v[55:56], v[55:56], v[55:56]
	v_cndmask_b32_e32 v41, 0, v55, vcc
	v_cndmask_b32_e32 v45, 0, v56, vcc
	v_cmp_gt_f64_e64 vcc, |v[37:38]|, 1.0
	v_cndmask_b32_e32 v54, v50, v45, vcc
	v_cndmask_b32_e32 v53, v37, v41, vcc
	v_add_f64 v[55:56], v[53:54], v[53:54]
	v_rndne_f64_e32 v[55:56], v[55:56]
	v_fma_f64 v[53:54], v[55:56], -0.5, v[53:54]
	v_cvt_i32_f64_e32 v41, v[55:56]
	v_and_b32_e32 v45, 1, v41
	v_lshlrev_b32_e32 v41, 30, v41
	v_cmp_eq_u32_e32 vcc, 0, v45
	v_mul_f64 v[57:58], v[53:54], v[53:54]
	v_xor_b32_e32 v41, v41, v38
	v_and_b32_e32 v41, 0x80000000, v41
	v_fma_f64 v[59:60], v[57:58], s[10:11], v[29:30]
	v_fma_f64 v[61:62], v[57:58], s[54:55], v[31:32]
	s_mov_b32 s10, 0xd5f14825
	s_mov_b32 s11, 0x3fb50782
	v_mul_f64 v[74:75], v[53:54], v[57:58]
	v_fma_f64 v[59:60], v[57:58], v[59:60], s[10:11]
	v_fma_f64 v[61:62], v[57:58], v[61:62], s[56:57]
	v_cmp_class_f64_e64 s[10:11], v[37:38], s33
	v_fma_f64 v[59:60], v[57:58], v[59:60], s[44:45]
	v_fma_f64 v[61:62], v[57:58], v[61:62], s[58:59]
	;; [unrolled: 1-line block ×6, first 2 shown]
	v_mul_f64 v[59:60], v[74:75], v[59:60]
	v_fma_f64 v[61:62], v[57:58], v[61:62], s[64:65]
	v_fma_f64 v[53:54], v[53:54], s[52:53], v[59:60]
	v_fma_f64 v[57:58], v[57:58], v[61:62], 1.0
	v_cndmask_b32_e32 v49, v58, v54, vcc
	v_cndmask_b32_e32 v45, v57, v53, vcc
	v_xor_b32_e32 v41, v49, v41
	v_cndmask_b32_e64 v53, 0, v45, s[10:11]
	v_cndmask_b32_e64 v54, v73, v41, s[10:11]
	v_mul_f64 v[53:54], v[37:38], v[53:54]
	v_and_b32_e32 v56, 0x7fffffff, v54
	v_mov_b32_e32 v55, v53
	v_div_scale_f64 v[57:58], s[10:11], v[55:56], v[55:56], s[52:53]
	v_div_scale_f64 v[55:56], vcc, s[52:53], v[55:56], s[52:53]
	v_rcp_f64_e32 v[59:60], v[57:58]
	v_fma_f64 v[61:62], -v[57:58], v[59:60], 1.0
	v_fma_f64 v[59:60], v[59:60], v[61:62], v[59:60]
	v_fma_f64 v[61:62], -v[57:58], v[59:60], 1.0
	v_fma_f64 v[59:60], v[59:60], v[61:62], v[59:60]
	v_mul_f64 v[61:62], v[55:56], v[59:60]
	v_fma_f64 v[55:56], -v[57:58], v[61:62], v[55:56]
	v_div_fmas_f64 v[55:56], v[55:56], v[59:60], v[61:62]
	v_div_fixup_f64 v[53:54], v[55:56], |v[53:54]|, s[52:53]
	v_frexp_mant_f64_e32 v[55:56], v[53:54]
	v_cmp_gt_f64_e32 vcc, s[68:69], v[55:56]
	v_cndmask_b32_e64 v41, 0, 1, vcc
	v_ldexp_f64 v[55:56], v[55:56], v41
	v_frexp_exp_i32_f64_e32 v41, v[53:54]
	v_add_f64 v[57:58], v[55:56], 1.0
	v_add_f64 v[74:75], v[55:56], -1.0
	v_subbrev_co_u32_e32 v41, vcc, 0, v41, vcc
	v_cmp_class_f64_e64 vcc, v[53:54], s75
	v_rcp_f64_e32 v[59:60], v[57:58]
	v_add_f64 v[76:77], v[57:58], -1.0
	v_add_f64 v[55:56], v[55:56], -v[76:77]
	v_fma_f64 v[61:62], -v[57:58], v[59:60], 1.0
	v_fma_f64 v[59:60], v[61:62], v[59:60], v[59:60]
	v_fma_f64 v[61:62], -v[57:58], v[59:60], 1.0
	v_fma_f64 v[59:60], v[61:62], v[59:60], v[59:60]
	v_mul_f64 v[61:62], v[74:75], v[59:60]
	v_mul_f64 v[78:79], v[57:58], v[61:62]
	v_fma_f64 v[57:58], v[61:62], v[57:58], -v[78:79]
	v_fma_f64 v[55:56], v[61:62], v[55:56], v[57:58]
	v_add_f64 v[57:58], v[78:79], v[55:56]
	v_add_f64 v[76:77], v[74:75], -v[57:58]
	v_add_f64 v[78:79], v[57:58], -v[78:79]
	;; [unrolled: 1-line block ×5, first 2 shown]
	v_add_f64 v[55:56], v[55:56], v[57:58]
	v_add_f64 v[55:56], v[76:77], v[55:56]
	v_mul_f64 v[55:56], v[59:60], v[55:56]
	v_add_f64 v[57:58], v[61:62], v[55:56]
	v_mul_f64 v[59:60], v[57:58], v[57:58]
	v_fma_f64 v[74:75], v[59:60], s[22:23], v[5:6]
	v_mul_f64 v[76:77], v[57:58], v[59:60]
	v_fma_f64 v[74:75], v[59:60], v[74:75], s[24:25]
	v_fma_f64 v[74:75], v[59:60], v[74:75], s[26:27]
	;; [unrolled: 1-line block ×5, first 2 shown]
	v_ldexp_f64 v[74:75], v[57:58], 1
	v_add_f64 v[57:58], v[57:58], -v[61:62]
	v_mul_f64 v[59:60], v[76:77], v[59:60]
	v_cvt_f64_i32_e32 v[76:77], v41
	v_add_f64 v[55:56], v[55:56], -v[57:58]
	v_mul_f64 v[78:79], v[76:77], s[34:35]
	v_add_f64 v[61:62], v[74:75], v[59:60]
	v_ldexp_f64 v[55:56], v[55:56], 1
	v_add_f64 v[57:58], v[61:62], -v[74:75]
	v_fma_f64 v[74:75], v[76:77], s[34:35], -v[78:79]
	v_add_f64 v[57:58], v[59:60], -v[57:58]
	v_fma_f64 v[59:60], v[76:77], s[36:37], v[74:75]
	v_add_f64 v[55:56], v[55:56], v[57:58]
	v_add_f64 v[57:58], v[78:79], v[59:60]
	;; [unrolled: 1-line block ×3, first 2 shown]
	v_add_f64 v[78:79], v[57:58], -v[78:79]
	v_add_f64 v[76:77], v[57:58], v[74:75]
	v_add_f64 v[61:62], v[74:75], -v[61:62]
	v_add_f64 v[59:60], v[59:60], -v[78:79]
	;; [unrolled: 1-line block ×6, first 2 shown]
	v_add_f64 v[74:75], v[59:60], v[55:56]
	v_add_f64 v[57:58], v[57:58], -v[82:83]
	v_add_f64 v[57:58], v[61:62], v[57:58]
	v_add_f64 v[61:62], v[74:75], -v[59:60]
	;; [unrolled: 2-line block ×3, first 2 shown]
	v_add_f64 v[55:56], v[55:56], -v[61:62]
	v_add_f64 v[78:79], v[76:77], v[57:58]
	v_add_f64 v[59:60], v[59:60], -v[74:75]
	v_add_f64 v[61:62], v[78:79], -v[76:77]
	v_add_f64 v[55:56], v[55:56], v[59:60]
	v_add_f64 v[57:58], v[57:58], -v[61:62]
	v_add_f64 v[55:56], v[55:56], v[57:58]
	v_fract_f64_e32 v[57:58], v[37:38]
	v_add_f64 v[55:56], v[78:79], v[55:56]
	v_cmp_eq_f64_e64 s[10:11], 0, v[57:58]
	v_cndmask_b32_e32 v41, v55, v53, vcc
	v_cndmask_b32_e32 v45, v56, v54, vcc
	v_cmp_neq_f64_e32 vcc, 0, v[53:54]
	v_cndmask_b32_e32 v54, v71, v45, vcc
	v_cndmask_b32_e32 v53, 0, v41, vcc
	v_add_f64 v[51:52], v[53:54], -v[51:52]
	s_or_b64 vcc, s[82:83], s[10:11]
	v_cndmask_b32_e32 v52, v52, v70, vcc
	v_cndmask_b32_e64 v51, v51, 0, vcc
.LBB12_113:                             ;   in Loop: Header=BB12_4 Depth=1
	s_or_b64 exec, exec, s[80:81]
.LBB12_114:                             ;   in Loop: Header=BB12_4 Depth=1
	s_or_b64 exec, exec, s[12:13]
	v_and_b32_e32 v54, 0x7fffffff, v34
	v_mov_b32_e32 v53, v33
	v_cmp_lt_u32_e32 vcc, s72, v54
                                        ; implicit-def: $vgpr55_vgpr56
	s_and_saveexec_b64 s[10:11], vcc
	s_xor_b64 s[80:81], exec, s[10:11]
	s_cbranch_execz .LBB12_140
; %bb.115:                              ;   in Loop: Header=BB12_4 Depth=1
	v_cmp_lt_u32_e32 vcc, s73, v54
                                        ; implicit-def: $vgpr55_vgpr56
	s_and_saveexec_b64 s[10:11], vcc
	s_xor_b64 s[12:13], exec, s[10:11]
	s_cbranch_execz .LBB12_125
; %bb.116:                              ;   in Loop: Header=BB12_4 Depth=1
	;; [unrolled: 6-line block ×3, first 2 shown]
	s_mov_b32 s10, 0x438fffff
	v_cmp_lt_u32_e32 vcc, s10, v54
                                        ; implicit-def: $vgpr55_vgpr56
	s_and_saveexec_b64 s[10:11], vcc
	s_xor_b64 s[84:85], exec, s[10:11]
	s_cbranch_execz .LBB12_119
; %bb.118:                              ;   in Loop: Header=BB12_4 Depth=1
	v_frexp_mant_f64_e64 v[55:56], |v[33:34]|
	s_mov_b32 s21, s69
	v_cmp_neq_f64_e64 s[10:11], 0, v[33:34]
	v_cmp_gt_f64_e32 vcc, s[68:69], v[55:56]
	v_cndmask_b32_e64 v41, 0, 1, vcc
	v_ldexp_f64 v[55:56], v[55:56], v41
	v_frexp_exp_i32_f64_e32 v41, v[33:34]
	v_add_f64 v[57:58], v[55:56], 1.0
	v_add_f64 v[74:75], v[55:56], -1.0
	v_subbrev_co_u32_e32 v41, vcc, 0, v41, vcc
	v_cmp_neq_f64_e64 vcc, |v[33:34]|, s[70:71]
	v_rcp_f64_e32 v[59:60], v[57:58]
	v_add_f64 v[76:77], v[57:58], -1.0
	v_add_f64 v[55:56], v[55:56], -v[76:77]
	v_fma_f64 v[61:62], -v[57:58], v[59:60], 1.0
	v_fma_f64 v[59:60], v[61:62], v[59:60], v[59:60]
	v_fma_f64 v[61:62], -v[57:58], v[59:60], 1.0
	v_fma_f64 v[59:60], v[61:62], v[59:60], v[59:60]
	v_mul_f64 v[61:62], v[74:75], v[59:60]
	v_mul_f64 v[78:79], v[57:58], v[61:62]
	v_fma_f64 v[57:58], v[61:62], v[57:58], -v[78:79]
	v_fma_f64 v[55:56], v[61:62], v[55:56], v[57:58]
	v_add_f64 v[57:58], v[78:79], v[55:56]
	v_add_f64 v[76:77], v[74:75], -v[57:58]
	v_add_f64 v[78:79], v[57:58], -v[78:79]
	;; [unrolled: 1-line block ×5, first 2 shown]
	v_add_f64 v[55:56], v[55:56], v[57:58]
	v_add_f64 v[55:56], v[76:77], v[55:56]
	v_mul_f64 v[55:56], v[59:60], v[55:56]
	v_add_f64 v[57:58], v[61:62], v[55:56]
	v_mul_f64 v[59:60], v[57:58], v[57:58]
	v_fma_f64 v[74:75], v[59:60], s[22:23], v[5:6]
	v_mul_f64 v[76:77], v[57:58], v[59:60]
	v_fma_f64 v[74:75], v[59:60], v[74:75], s[24:25]
	v_fma_f64 v[74:75], v[59:60], v[74:75], s[26:27]
	;; [unrolled: 1-line block ×5, first 2 shown]
	v_ldexp_f64 v[74:75], v[57:58], 1
	v_add_f64 v[57:58], v[57:58], -v[61:62]
	v_mul_f64 v[59:60], v[76:77], v[59:60]
	v_cvt_f64_i32_e32 v[76:77], v41
	v_add_f64 v[55:56], v[55:56], -v[57:58]
	v_mul_f64 v[78:79], v[76:77], s[34:35]
	v_add_f64 v[61:62], v[74:75], v[59:60]
	v_ldexp_f64 v[55:56], v[55:56], 1
	v_add_f64 v[57:58], v[61:62], -v[74:75]
	v_fma_f64 v[74:75], v[76:77], s[34:35], -v[78:79]
	v_add_f64 v[57:58], v[59:60], -v[57:58]
	v_fma_f64 v[59:60], v[76:77], s[36:37], v[74:75]
	v_add_f64 v[55:56], v[55:56], v[57:58]
	v_add_f64 v[57:58], v[78:79], v[59:60]
	;; [unrolled: 1-line block ×3, first 2 shown]
	v_add_f64 v[78:79], v[57:58], -v[78:79]
	v_add_f64 v[76:77], v[57:58], v[74:75]
	v_add_f64 v[61:62], v[74:75], -v[61:62]
	v_add_f64 v[59:60], v[59:60], -v[78:79]
	;; [unrolled: 1-line block ×6, first 2 shown]
	v_add_f64 v[74:75], v[59:60], v[55:56]
	v_add_f64 v[57:58], v[57:58], -v[82:83]
	v_add_f64 v[57:58], v[61:62], v[57:58]
	v_add_f64 v[61:62], v[74:75], -v[59:60]
	;; [unrolled: 2-line block ×3, first 2 shown]
	v_add_f64 v[55:56], v[55:56], -v[61:62]
	v_add_f64 v[78:79], v[76:77], v[57:58]
	v_add_f64 v[59:60], v[59:60], -v[74:75]
	v_add_f64 v[61:62], v[78:79], -v[76:77]
	v_add_f64 v[55:56], v[55:56], v[59:60]
	v_add_f64 v[57:58], v[57:58], -v[61:62]
	v_add_f64 v[55:56], v[55:56], v[57:58]
	v_add_f64 v[55:56], v[78:79], v[55:56]
	v_cndmask_b32_e32 v41, v70, v56, vcc
	s_and_b64 vcc, s[10:11], vcc
	v_cndmask_b32_e64 v56, v71, v41, s[10:11]
	v_cndmask_b32_e32 v55, 0, v55, vcc
	v_fma_f64 v[55:56], |v[33:34]|, v[55:56], -|v[33:34]|
.LBB12_119:                             ;   in Loop: Header=BB12_4 Depth=1
	s_andn2_saveexec_b64 s[84:85], s[84:85]
	s_cbranch_execz .LBB12_121
; %bb.120:                              ;   in Loop: Header=BB12_4 Depth=1
	v_mov_b32_e32 v53, v33
	v_div_scale_f64 v[55:56], s[10:11], v[53:54], v[53:54], 1.0
	s_mov_b32 s10, 0xb9e43e4
	s_mov_b32 s11, 0xbf5ab89d
	;; [unrolled: 1-line block ×3, first 2 shown]
	v_frexp_exp_i32_f64_e32 v41, v[33:34]
	v_rcp_f64_e32 v[57:58], v[55:56]
	v_fma_f64 v[59:60], -v[55:56], v[57:58], 1.0
	v_fma_f64 v[57:58], v[57:58], v[59:60], v[57:58]
	v_fma_f64 v[59:60], -v[55:56], v[57:58], 1.0
	v_fma_f64 v[57:58], v[57:58], v[59:60], v[57:58]
	v_div_scale_f64 v[59:60], vcc, 1.0, v[53:54], 1.0
	v_mul_f64 v[61:62], v[59:60], v[57:58]
	v_fma_f64 v[55:56], -v[55:56], v[61:62], v[59:60]
	s_nop 1
	v_div_fmas_f64 v[55:56], v[55:56], v[57:58], v[61:62]
	v_div_fixup_f64 v[55:56], v[55:56], |v[33:34]|, 1.0
	v_mul_f64 v[57:58], v[55:56], v[55:56]
	v_fma_f64 v[59:60], v[57:58], s[10:11], v[7:8]
	s_mov_b32 s10, 0x8c0fe741
	s_mov_b32 s11, 0xbf4380cb
	v_fma_f64 v[59:60], v[57:58], v[59:60], s[10:11]
	s_mov_b32 s10, 0x98cf38b6
	s_mov_b32 s11, 0x3f4a019f
	;; [unrolled: 3-line block ×4, first 2 shown]
	v_fma_f64 v[57:58], v[57:58], v[59:60], s[10:11]
	v_frexp_mant_f64_e64 v[59:60], |v[33:34]|
	s_mov_b32 s10, 0x90c97d69
	s_mov_b32 s11, 0x3fdacfe3
	v_fma_f64 v[55:56], v[55:56], v[57:58], s[10:11]
	v_cmp_gt_f64_e32 vcc, s[68:69], v[59:60]
	v_cmp_neq_f64_e64 s[10:11], 0, v[33:34]
	v_add_f64 v[57:58], |v[33:34]|, -0.5
	v_cndmask_b32_e64 v45, 0, 1, vcc
	v_ldexp_f64 v[59:60], v[59:60], v45
	v_subbrev_co_u32_e32 v41, vcc, 0, v41, vcc
	v_cmp_neq_f64_e64 vcc, |v[33:34]|, s[70:71]
	v_add_f64 v[74:75], v[59:60], 1.0
	v_add_f64 v[61:62], v[59:60], -1.0
	v_add_f64 v[76:77], v[74:75], -1.0
	v_add_f64 v[59:60], v[59:60], -v[76:77]
	v_rcp_f64_e32 v[76:77], v[74:75]
	v_fma_f64 v[78:79], -v[74:75], v[76:77], 1.0
	v_fma_f64 v[76:77], v[78:79], v[76:77], v[76:77]
	v_fma_f64 v[78:79], -v[74:75], v[76:77], 1.0
	v_fma_f64 v[76:77], v[78:79], v[76:77], v[76:77]
	v_mul_f64 v[78:79], v[61:62], v[76:77]
	v_mul_f64 v[80:81], v[74:75], v[78:79]
	v_fma_f64 v[74:75], v[78:79], v[74:75], -v[80:81]
	v_fma_f64 v[59:60], v[78:79], v[59:60], v[74:75]
	v_add_f64 v[74:75], v[80:81], v[59:60]
	v_add_f64 v[82:83], v[61:62], -v[74:75]
	v_add_f64 v[80:81], v[74:75], -v[80:81]
	;; [unrolled: 1-line block ×5, first 2 shown]
	v_add_f64 v[59:60], v[59:60], v[61:62]
	v_add_f64 v[59:60], v[82:83], v[59:60]
	v_mul_f64 v[59:60], v[76:77], v[59:60]
	v_add_f64 v[61:62], v[78:79], v[59:60]
	v_add_f64 v[74:75], v[61:62], -v[78:79]
	v_ldexp_f64 v[78:79], v[61:62], 1
	v_add_f64 v[59:60], v[59:60], -v[74:75]
	v_mul_f64 v[74:75], v[61:62], v[61:62]
	v_ldexp_f64 v[59:60], v[59:60], 1
	v_fma_f64 v[76:77], v[74:75], s[22:23], v[5:6]
	v_mul_f64 v[61:62], v[61:62], v[74:75]
	v_fma_f64 v[76:77], v[74:75], v[76:77], s[24:25]
	v_fma_f64 v[76:77], v[74:75], v[76:77], s[26:27]
	;; [unrolled: 1-line block ×5, first 2 shown]
	v_mul_f64 v[61:62], v[61:62], v[76:77]
	v_add_f64 v[74:75], v[78:79], v[61:62]
	v_add_f64 v[76:77], v[74:75], -v[78:79]
	v_add_f64 v[61:62], v[61:62], -v[76:77]
	v_add_f64 v[59:60], v[59:60], v[61:62]
	v_add_f64 v[61:62], v[74:75], v[59:60]
	v_add_f64 v[74:75], v[61:62], -v[74:75]
	v_add_f64 v[59:60], v[59:60], -v[74:75]
	v_cvt_f64_i32_e32 v[74:75], v41
	v_mul_f64 v[76:77], v[74:75], s[34:35]
	v_fma_f64 v[78:79], v[74:75], s[34:35], -v[76:77]
	v_fma_f64 v[74:75], v[74:75], s[36:37], v[78:79]
	v_add_f64 v[78:79], v[76:77], v[74:75]
	v_add_f64 v[76:77], v[78:79], -v[76:77]
	v_add_f64 v[74:75], v[74:75], -v[76:77]
	v_add_f64 v[76:77], v[78:79], v[61:62]
	v_add_f64 v[80:81], v[76:77], -v[78:79]
	v_add_f64 v[82:83], v[76:77], -v[80:81]
	;; [unrolled: 1-line block ×4, first 2 shown]
	v_add_f64 v[61:62], v[61:62], v[78:79]
	v_add_f64 v[78:79], v[74:75], v[59:60]
	v_add_f64 v[80:81], v[78:79], -v[74:75]
	v_add_f64 v[61:62], v[78:79], v[61:62]
	v_add_f64 v[82:83], v[78:79], -v[80:81]
	v_add_f64 v[59:60], v[59:60], -v[80:81]
	;; [unrolled: 1-line block ×3, first 2 shown]
	v_add_f64 v[59:60], v[59:60], v[74:75]
	v_add_f64 v[74:75], v[76:77], v[61:62]
	v_add_f64 v[76:77], v[74:75], -v[76:77]
	v_add_f64 v[61:62], v[61:62], -v[76:77]
	v_add_f64 v[59:60], v[59:60], v[61:62]
	v_add_f64 v[59:60], v[74:75], v[59:60]
	v_add_f64 v[59:60], v[59:60], -1.0
	v_cndmask_b32_e32 v41, v70, v60, vcc
	s_and_b64 vcc, s[10:11], vcc
	v_cndmask_b32_e32 v59, 0, v59, vcc
	v_cndmask_b32_e64 v60, v71, v41, s[10:11]
	v_fma_f64 v[55:56], v[57:58], v[59:60], v[55:56]
.LBB12_121:                             ;   in Loop: Header=BB12_4 Depth=1
	s_or_b64 exec, exec, s[84:85]
.LBB12_122:                             ;   in Loop: Header=BB12_4 Depth=1
	s_andn2_saveexec_b64 s[10:11], s[82:83]
	s_cbranch_execz .LBB12_124
; %bb.123:                              ;   in Loop: Header=BB12_4 Depth=1
	v_cvt_i32_f64_e32 v41, v[53:54]
	s_mov_b32 s82, 0x7e939961
	s_mov_b32 s83, 0x3f9b481c
	;; [unrolled: 1-line block ×3, first 2 shown]
	v_cvt_f64_i32_e32 v[55:56], v41
	s_mov_b32 s21, s69
	v_add_f64 v[57:58], |v[33:34]|, -v[55:56]
	v_fma_f64 v[55:56], v[57:58], s[42:43], v[9:10]
	v_fma_f64 v[55:56], v[57:58], v[55:56], s[82:83]
	s_mov_b32 s82, 0xbee5f2f7
	s_mov_b32 s83, 0x3fc2bb9c
	v_fma_f64 v[55:56], v[57:58], v[55:56], s[82:83]
	s_mov_b32 s82, 0x4f139f59
	s_mov_b32 s83, 0x3fd4d98f
	;; [unrolled: 3-line block ×5, first 2 shown]
	v_fma_f64 v[55:56], v[57:58], v[55:56], s[40:41]
	v_fma_f64 v[59:60], v[57:58], v[59:60], s[82:83]
	s_mov_b32 s82, 0xccfbdf27
	s_mov_b32 s83, 0x3fc601ed
	v_mul_f64 v[55:56], v[57:58], v[55:56]
	v_fma_f64 v[59:60], v[57:58], v[59:60], s[82:83]
	s_mov_b32 s82, 0x93d3dcdc
	s_mov_b32 s83, 0x3fe71a18
	v_fma_f64 v[59:60], v[57:58], v[59:60], s[82:83]
	s_mov_b32 s82, 0x62c4ab74
	s_mov_b32 s83, 0x3ff645a7
	v_fma_f64 v[59:60], v[57:58], v[59:60], s[82:83]
	v_fma_f64 v[59:60], v[57:58], v[59:60], 1.0
	v_div_scale_f64 v[61:62], s[82:83], v[59:60], v[59:60], v[55:56]
	s_mov_b32 s82, 0
	s_mov_b32 s83, 0x40080000
	v_rcp_f64_e32 v[74:75], v[61:62]
	v_fma_f64 v[76:77], -v[61:62], v[74:75], 1.0
	v_fma_f64 v[74:75], v[74:75], v[76:77], v[74:75]
	v_fma_f64 v[76:77], -v[61:62], v[74:75], 1.0
	v_fma_f64 v[74:75], v[74:75], v[76:77], v[74:75]
	v_div_scale_f64 v[76:77], vcc, v[55:56], v[59:60], v[55:56]
	v_mul_f64 v[78:79], v[76:77], v[74:75]
	v_fma_f64 v[61:62], -v[61:62], v[78:79], v[76:77]
	s_nop 1
	v_div_fmas_f64 v[61:62], v[61:62], v[74:75], v[78:79]
	v_cmp_lt_i32_e32 vcc, 2, v41
	v_add_f64 v[74:75], v[57:58], 4.0
	v_div_fixup_f64 v[55:56], v[61:62], v[59:60], v[55:56]
	v_add_f64 v[59:60], v[57:58], 2.0
	v_add_f64 v[61:62], v[57:58], s[82:83]
	s_mov_b32 s82, 0
	s_mov_b32 s83, 0x40140000
	v_add_f64 v[76:77], v[57:58], s[82:83]
	s_mov_b32 s82, 0
	s_mov_b32 s83, 0x40180000
	v_fma_f64 v[55:56], v[57:58], 0.5, v[55:56]
	v_cndmask_b32_e32 v60, v72, v60, vcc
	v_cndmask_b32_e32 v59, 0, v59, vcc
	v_cmp_lt_i32_e32 vcc, 3, v41
	v_cndmask_b32_e32 v62, v72, v62, vcc
	v_cndmask_b32_e32 v61, 0, v61, vcc
	v_mul_f64 v[59:60], v[59:60], v[61:62]
	v_cmp_lt_i32_e32 vcc, 4, v41
	v_cndmask_b32_e32 v62, v72, v75, vcc
	v_cndmask_b32_e32 v61, 0, v74, vcc
	v_cmp_lt_i32_e32 vcc, 5, v41
	v_add_f64 v[57:58], v[57:58], s[82:83]
	v_mul_f64 v[59:60], v[61:62], v[59:60]
	v_cndmask_b32_e32 v62, v72, v77, vcc
	v_cndmask_b32_e32 v61, 0, v76, vcc
	v_cmp_lt_i32_e32 vcc, 6, v41
	v_cndmask_b32_e32 v58, v72, v58, vcc
	v_cndmask_b32_e32 v57, 0, v57, vcc
	v_mul_f64 v[59:60], v[61:62], v[59:60]
	v_mul_f64 v[57:58], v[57:58], v[59:60]
	v_frexp_mant_f64_e32 v[59:60], v[57:58]
	v_frexp_exp_i32_f64_e32 v41, v[57:58]
	v_cmp_gt_f64_e32 vcc, s[68:69], v[59:60]
	v_cndmask_b32_e64 v45, 0, 1, vcc
	v_ldexp_f64 v[59:60], v[59:60], v45
	v_subbrev_co_u32_e32 v41, vcc, 0, v41, vcc
	v_cmp_class_f64_e64 vcc, v[57:58], s75
	v_add_f64 v[74:75], v[59:60], 1.0
	v_add_f64 v[61:62], v[59:60], -1.0
	v_add_f64 v[76:77], v[74:75], -1.0
	v_add_f64 v[59:60], v[59:60], -v[76:77]
	v_rcp_f64_e32 v[76:77], v[74:75]
	v_fma_f64 v[78:79], -v[74:75], v[76:77], 1.0
	v_fma_f64 v[76:77], v[78:79], v[76:77], v[76:77]
	v_fma_f64 v[78:79], -v[74:75], v[76:77], 1.0
	v_fma_f64 v[76:77], v[78:79], v[76:77], v[76:77]
	v_mul_f64 v[78:79], v[61:62], v[76:77]
	v_mul_f64 v[80:81], v[74:75], v[78:79]
	v_fma_f64 v[74:75], v[78:79], v[74:75], -v[80:81]
	v_fma_f64 v[59:60], v[78:79], v[59:60], v[74:75]
	v_add_f64 v[74:75], v[80:81], v[59:60]
	v_add_f64 v[82:83], v[61:62], -v[74:75]
	v_add_f64 v[80:81], v[74:75], -v[80:81]
	;; [unrolled: 1-line block ×5, first 2 shown]
	v_add_f64 v[59:60], v[59:60], v[61:62]
	v_add_f64 v[59:60], v[82:83], v[59:60]
	v_mul_f64 v[59:60], v[76:77], v[59:60]
	v_add_f64 v[61:62], v[78:79], v[59:60]
	v_add_f64 v[74:75], v[61:62], -v[78:79]
	v_ldexp_f64 v[78:79], v[61:62], 1
	v_add_f64 v[59:60], v[59:60], -v[74:75]
	v_mul_f64 v[74:75], v[61:62], v[61:62]
	v_ldexp_f64 v[59:60], v[59:60], 1
	v_fma_f64 v[76:77], v[74:75], s[22:23], v[5:6]
	v_mul_f64 v[61:62], v[61:62], v[74:75]
	v_fma_f64 v[76:77], v[74:75], v[76:77], s[24:25]
	v_fma_f64 v[76:77], v[74:75], v[76:77], s[26:27]
	;; [unrolled: 1-line block ×5, first 2 shown]
	v_mul_f64 v[61:62], v[61:62], v[76:77]
	v_add_f64 v[74:75], v[78:79], v[61:62]
	v_add_f64 v[76:77], v[74:75], -v[78:79]
	v_add_f64 v[61:62], v[61:62], -v[76:77]
	v_add_f64 v[59:60], v[59:60], v[61:62]
	v_add_f64 v[61:62], v[74:75], v[59:60]
	v_add_f64 v[74:75], v[61:62], -v[74:75]
	v_add_f64 v[59:60], v[59:60], -v[74:75]
	v_cvt_f64_i32_e32 v[74:75], v41
	v_mul_f64 v[76:77], v[74:75], s[34:35]
	v_fma_f64 v[78:79], v[74:75], s[34:35], -v[76:77]
	v_fma_f64 v[74:75], v[74:75], s[36:37], v[78:79]
	v_add_f64 v[78:79], v[76:77], v[74:75]
	v_add_f64 v[76:77], v[78:79], -v[76:77]
	v_add_f64 v[74:75], v[74:75], -v[76:77]
	v_add_f64 v[76:77], v[78:79], v[61:62]
	v_add_f64 v[80:81], v[76:77], -v[78:79]
	v_add_f64 v[82:83], v[76:77], -v[80:81]
	;; [unrolled: 1-line block ×4, first 2 shown]
	v_add_f64 v[61:62], v[61:62], v[78:79]
	v_add_f64 v[78:79], v[74:75], v[59:60]
	v_add_f64 v[80:81], v[78:79], -v[74:75]
	v_add_f64 v[61:62], v[78:79], v[61:62]
	v_add_f64 v[82:83], v[78:79], -v[80:81]
	v_add_f64 v[59:60], v[59:60], -v[80:81]
	;; [unrolled: 1-line block ×3, first 2 shown]
	v_add_f64 v[59:60], v[59:60], v[74:75]
	v_add_f64 v[74:75], v[76:77], v[61:62]
	v_add_f64 v[76:77], v[74:75], -v[76:77]
	v_add_f64 v[61:62], v[61:62], -v[76:77]
	v_add_f64 v[59:60], v[59:60], v[61:62]
	v_add_f64 v[59:60], v[74:75], v[59:60]
	v_cndmask_b32_e32 v41, v59, v57, vcc
	v_cndmask_b32_e32 v45, v60, v58, vcc
	v_cmp_ngt_f64_e32 vcc, 0, v[57:58]
	v_cndmask_b32_e32 v45, v73, v45, vcc
	v_cmp_nge_f64_e32 vcc, 0, v[57:58]
	v_cndmask_b32_e32 v59, 0, v41, vcc
	v_cmp_neq_f64_e32 vcc, 0, v[57:58]
	v_cndmask_b32_e32 v60, v71, v45, vcc
	v_add_f64 v[55:56], v[55:56], v[59:60]
.LBB12_124:                             ;   in Loop: Header=BB12_4 Depth=1
	s_or_b64 exec, exec, s[10:11]
.LBB12_125:                             ;   in Loop: Header=BB12_4 Depth=1
	s_andn2_saveexec_b64 s[82:83], s[12:13]
	s_cbranch_execz .LBB12_139
; %bb.126:                              ;   in Loop: Header=BB12_4 Depth=1
	v_cmp_lt_u32_e32 vcc, s76, v54
                                        ; implicit-def: $vgpr41
                                        ; implicit-def: $vgpr57_vgpr58
	s_and_saveexec_b64 s[10:11], vcc
	s_xor_b64 s[10:11], exec, s[10:11]
	s_cbranch_execz .LBB12_128
; %bb.127:                              ;   in Loop: Header=BB12_4 Depth=1
	s_mov_b32 s12, 0x6356be3f
	s_mov_b32 s13, 0xbff762d8
	v_add_f64 v[55:56], -|v[33:34]|, 2.0
	v_add_f64 v[57:58], |v[33:34]|, s[12:13]
	v_add_f64 v[59:60], |v[33:34]|, -1.0
	s_mov_b32 s12, 0x3ffbb4c3
	v_cmp_gt_u32_e32 vcc, s12, v54
	s_mov_b32 s12, 0x3ff3b4c4
	v_cndmask_b32_e64 v41, 0, 1, vcc
	v_cndmask_b32_e32 v45, v55, v57, vcc
	v_cndmask_b32_e32 v49, v56, v58, vcc
	v_cmp_gt_u32_e32 vcc, s12, v54
	v_cndmask_b32_e32 v58, v49, v60, vcc
	v_cndmask_b32_e32 v57, v45, v59, vcc
	v_cndmask_b32_e64 v41, v41, 2, vcc
.LBB12_128:                             ;   in Loop: Header=BB12_4 Depth=1
	s_or_saveexec_b64 s[84:85], s[10:11]
	v_mov_b32_e32 v55, 0
	v_mov_b32_e32 v56, 0
	s_xor_b64 exec, exec, s[84:85]
	s_cbranch_execz .LBB12_130
; %bb.129:                              ;   in Loop: Header=BB12_4 Depth=1
	v_frexp_mant_f64_e64 v[55:56], |v[33:34]|
	s_mov_b32 s21, s69
	s_mov_b32 s10, 0x8d5af8fc
	;; [unrolled: 1-line block ×4, first 2 shown]
	v_cmp_gt_u32_e64 s[12:13], s12, v54
	v_cndmask_b32_e64 v45, 0, 1, s[12:13]
	v_cmp_gt_f64_e32 vcc, s[68:69], v[55:56]
	v_cndmask_b32_e64 v41, 0, 1, vcc
	v_ldexp_f64 v[55:56], v[55:56], v41
	v_frexp_exp_i32_f64_e32 v41, v[33:34]
	v_add_f64 v[57:58], v[55:56], 1.0
	v_add_f64 v[74:75], v[55:56], -1.0
	v_subbrev_co_u32_e32 v41, vcc, 0, v41, vcc
	v_cmp_neq_f64_e64 vcc, |v[33:34]|, s[70:71]
	v_rcp_f64_e32 v[59:60], v[57:58]
	v_add_f64 v[76:77], v[57:58], -1.0
	v_add_f64 v[55:56], v[55:56], -v[76:77]
	v_fma_f64 v[61:62], -v[57:58], v[59:60], 1.0
	v_fma_f64 v[59:60], v[61:62], v[59:60], v[59:60]
	v_fma_f64 v[61:62], -v[57:58], v[59:60], 1.0
	v_fma_f64 v[59:60], v[61:62], v[59:60], v[59:60]
	v_mul_f64 v[61:62], v[74:75], v[59:60]
	v_mul_f64 v[78:79], v[57:58], v[61:62]
	v_fma_f64 v[57:58], v[61:62], v[57:58], -v[78:79]
	v_fma_f64 v[55:56], v[61:62], v[55:56], v[57:58]
	v_add_f64 v[57:58], v[78:79], v[55:56]
	v_add_f64 v[76:77], v[74:75], -v[57:58]
	v_add_f64 v[78:79], v[57:58], -v[78:79]
	;; [unrolled: 1-line block ×5, first 2 shown]
	v_add_f64 v[55:56], v[55:56], v[57:58]
	v_add_f64 v[55:56], v[76:77], v[55:56]
	v_mul_f64 v[55:56], v[59:60], v[55:56]
	v_add_f64 v[57:58], v[61:62], v[55:56]
	v_mul_f64 v[59:60], v[57:58], v[57:58]
	v_fma_f64 v[74:75], v[59:60], s[22:23], v[5:6]
	v_mul_f64 v[76:77], v[57:58], v[59:60]
	v_fma_f64 v[74:75], v[59:60], v[74:75], s[24:25]
	v_fma_f64 v[74:75], v[59:60], v[74:75], s[26:27]
	;; [unrolled: 1-line block ×5, first 2 shown]
	v_ldexp_f64 v[74:75], v[57:58], 1
	v_add_f64 v[57:58], v[57:58], -v[61:62]
	v_mul_f64 v[59:60], v[76:77], v[59:60]
	v_cvt_f64_i32_e32 v[76:77], v41
	v_add_f64 v[55:56], v[55:56], -v[57:58]
	v_mul_f64 v[78:79], v[76:77], s[34:35]
	v_add_f64 v[61:62], v[74:75], v[59:60]
	v_ldexp_f64 v[55:56], v[55:56], 1
	v_add_f64 v[57:58], v[61:62], -v[74:75]
	v_fma_f64 v[74:75], v[76:77], s[34:35], -v[78:79]
	v_add_f64 v[57:58], v[59:60], -v[57:58]
	v_fma_f64 v[59:60], v[76:77], s[36:37], v[74:75]
	v_add_f64 v[55:56], v[55:56], v[57:58]
	v_add_f64 v[57:58], v[78:79], v[59:60]
	;; [unrolled: 1-line block ×3, first 2 shown]
	v_add_f64 v[78:79], v[57:58], -v[78:79]
	v_add_f64 v[76:77], v[57:58], v[74:75]
	v_add_f64 v[61:62], v[74:75], -v[61:62]
	v_add_f64 v[59:60], v[59:60], -v[78:79]
	;; [unrolled: 1-line block ×6, first 2 shown]
	v_add_f64 v[74:75], v[59:60], v[55:56]
	v_add_f64 v[57:58], v[57:58], -v[82:83]
	v_add_f64 v[57:58], v[61:62], v[57:58]
	v_add_f64 v[61:62], v[74:75], -v[59:60]
	;; [unrolled: 2-line block ×3, first 2 shown]
	v_add_f64 v[55:56], v[55:56], -v[61:62]
	v_add_f64 v[78:79], v[76:77], v[57:58]
	v_add_f64 v[59:60], v[59:60], -v[74:75]
	v_add_f64 v[61:62], v[78:79], -v[76:77]
	v_add_f64 v[55:56], v[55:56], v[59:60]
	v_add_f64 v[59:60], |v[33:34]|, s[10:11]
	v_cmp_neq_f64_e64 s[10:11], 0, v[33:34]
	v_add_f64 v[57:58], v[57:58], -v[61:62]
	v_add_f64 v[55:56], v[55:56], v[57:58]
	v_add_f64 v[57:58], -|v[33:34]|, 1.0
	v_add_f64 v[55:56], v[78:79], v[55:56]
	v_cndmask_b32_e64 v49, v57, v59, s[12:13]
	v_cndmask_b32_e64 v53, v58, v60, s[12:13]
	s_mov_b32 s12, 0x3fcda661
	v_cmp_gt_u32_e64 s[12:13], s12, v54
	v_cndmask_b32_e64 v58, v53, v54, s[12:13]
	v_cndmask_b32_e64 v57, v49, v33, s[12:13]
	v_xor_b32_e32 v41, 0x80000000, v56
	v_cndmask_b32_e32 v41, v71, v41, vcc
	s_and_b64 vcc, s[10:11], vcc
	v_cndmask_b32_e64 v56, v70, v41, s[10:11]
	v_cndmask_b32_e32 v55, 0, v55, vcc
	v_cndmask_b32_e64 v41, v45, 2, s[12:13]
.LBB12_130:                             ;   in Loop: Header=BB12_4 Depth=1
	s_or_b64 exec, exec, s[84:85]
	v_cmp_lt_i32_e32 vcc, 1, v41
                                        ; implicit-def: $vgpr61_vgpr62
	s_and_saveexec_b64 s[10:11], vcc
	s_xor_b64 s[10:11], exec, s[10:11]
	s_cbranch_execz .LBB12_132
; %bb.131:                              ;   in Loop: Header=BB12_4 Depth=1
	s_mov_b32 s12, 0xbf2bab09
	s_mov_b32 s13, 0x3f8b678b
	v_fma_f64 v[59:60], v[57:58], s[12:13], v[13:14]
	s_mov_b32 s12, 0x57d0cf61
	s_mov_b32 s13, 0x3f6a5abb
	v_fma_f64 v[61:62], v[57:58], s[12:13], v[15:16]
	s_mov_b32 s12, 0x44ea8450
	s_mov_b32 s13, 0x3fef4976
	;; [unrolled: 1-line block ×3, first 2 shown]
                                        ; implicit-def: $vgpr41
	v_fma_f64 v[59:60], v[57:58], v[59:60], s[12:13]
	s_mov_b32 s12, 0xe45050af
	s_mov_b32 s13, 0x3fe89dfb
	v_fma_f64 v[61:62], v[57:58], v[61:62], s[12:13]
	s_mov_b32 s12, 0xd119bd6f
	s_mov_b32 s13, 0x3ff7475c
	;; [unrolled: 3-line block ×5, first 2 shown]
	v_fma_f64 v[61:62], v[57:58], v[61:62], s[12:13]
	v_fma_f64 v[59:60], v[57:58], v[59:60], s[40:41]
	v_fma_f64 v[61:62], v[57:58], v[61:62], 1.0
	v_mul_f64 v[59:60], v[57:58], v[59:60]
	v_div_scale_f64 v[74:75], s[12:13], v[61:62], v[61:62], v[59:60]
	v_div_scale_f64 v[80:81], vcc, v[59:60], v[61:62], v[59:60]
	v_rcp_f64_e32 v[76:77], v[74:75]
	v_fma_f64 v[78:79], -v[74:75], v[76:77], 1.0
	v_fma_f64 v[76:77], v[76:77], v[78:79], v[76:77]
	v_fma_f64 v[78:79], -v[74:75], v[76:77], 1.0
	v_fma_f64 v[76:77], v[76:77], v[78:79], v[76:77]
	v_mul_f64 v[78:79], v[80:81], v[76:77]
	v_fma_f64 v[74:75], -v[74:75], v[78:79], v[80:81]
	v_div_fmas_f64 v[74:75], v[74:75], v[76:77], v[78:79]
	v_div_fixup_f64 v[59:60], v[74:75], v[61:62], v[59:60]
	v_fma_f64 v[61:62], v[57:58], -0.5, v[59:60]
                                        ; implicit-def: $vgpr57_vgpr58
.LBB12_132:                             ;   in Loop: Header=BB12_4 Depth=1
	s_andn2_saveexec_b64 s[10:11], s[10:11]
	s_cbranch_execz .LBB12_138
; %bb.133:                              ;   in Loop: Header=BB12_4 Depth=1
	v_mul_f64 v[59:60], v[57:58], v[57:58]
	v_cmp_ne_u32_e32 vcc, 1, v41
                                        ; implicit-def: $vgpr61_vgpr62
	s_and_saveexec_b64 s[12:13], vcc
	s_xor_b64 s[12:13], exec, s[12:13]
	s_cbranch_execz .LBB12_135
; %bb.134:                              ;   in Loop: Header=BB12_4 Depth=1
	s_mov_b32 s84, 0x90a45837
	s_mov_b32 s85, 0x3f07858e
	v_fma_f64 v[61:62], v[59:60], s[84:85], v[19:20]
	s_mov_b32 s84, 0x428cfa52
	s_mov_b32 s85, 0x3efa7074
	v_fma_f64 v[74:75], v[59:60], s[84:85], v[17:18]
	;; [unrolled: 3-line block ×9, first 2 shown]
	v_fma_f64 v[74:75], v[59:60], v[74:75], s[78:79]
	v_mul_f64 v[59:60], v[59:60], v[61:62]
	v_fma_f64 v[59:60], v[57:58], v[74:75], v[59:60]
	v_fma_f64 v[61:62], v[57:58], -0.5, v[59:60]
                                        ; implicit-def: $vgpr57_vgpr58
                                        ; implicit-def: $vgpr59_vgpr60
.LBB12_135:                             ;   in Loop: Header=BB12_4 Depth=1
	s_andn2_saveexec_b64 s[12:13], s[12:13]
	s_cbranch_execz .LBB12_137
; %bb.136:                              ;   in Loop: Header=BB12_4 Depth=1
	v_mul_f64 v[61:62], v[57:58], v[59:60]
	s_mov_b32 s84, 0xecc38c38
	s_mov_b32 s85, 0xbf347f24
	v_fma_f64 v[74:75], v[61:62], s[84:85], v[23:24]
	s_mov_b32 s84, 0xe8c2d3f4
	s_mov_b32 s85, 0x3f35fd3e
	v_fma_f64 v[76:77], v[61:62], s[84:85], v[25:26]
	;; [unrolled: 3-line block ×12, first 2 shown]
	v_fma_f64 v[74:75], v[61:62], v[78:79], s[84:85]
	s_mov_b32 s84, 0xa48a971f
	s_mov_b32 s85, 0xbc50c7ca
	v_fma_f64 v[57:58], v[61:62], -v[57:58], s[84:85]
	s_mov_b32 s84, 0xbcc38a42
	s_mov_b32 s85, 0xbfbf19b9
	v_fma_f64 v[57:58], v[59:60], v[74:75], -v[57:58]
	v_add_f64 v[61:62], v[57:58], s[84:85]
.LBB12_137:                             ;   in Loop: Header=BB12_4 Depth=1
	s_or_b64 exec, exec, s[12:13]
.LBB12_138:                             ;   in Loop: Header=BB12_4 Depth=1
	s_or_b64 exec, exec, s[10:11]
	v_add_f64 v[55:56], v[55:56], v[61:62]
.LBB12_139:                             ;   in Loop: Header=BB12_4 Depth=1
	s_or_b64 exec, exec, s[82:83]
.LBB12_140:                             ;   in Loop: Header=BB12_4 Depth=1
	s_andn2_saveexec_b64 s[12:13], s[80:81]
	s_cbranch_execz .LBB12_142
; %bb.141:                              ;   in Loop: Header=BB12_4 Depth=1
	v_frexp_mant_f64_e64 v[55:56], |v[33:34]|
	s_mov_b32 s21, s69
	v_cmp_neq_f64_e64 s[10:11], 0, v[33:34]
	v_cmp_gt_f64_e32 vcc, s[68:69], v[55:56]
	v_cndmask_b32_e64 v41, 0, 1, vcc
	v_ldexp_f64 v[55:56], v[55:56], v41
	v_frexp_exp_i32_f64_e32 v41, v[33:34]
	v_add_f64 v[57:58], v[55:56], 1.0
	v_add_f64 v[74:75], v[55:56], -1.0
	v_subbrev_co_u32_e32 v41, vcc, 0, v41, vcc
	v_cmp_neq_f64_e64 vcc, |v[33:34]|, s[70:71]
	v_rcp_f64_e32 v[59:60], v[57:58]
	v_add_f64 v[76:77], v[57:58], -1.0
	v_add_f64 v[55:56], v[55:56], -v[76:77]
	v_fma_f64 v[61:62], -v[57:58], v[59:60], 1.0
	v_fma_f64 v[59:60], v[61:62], v[59:60], v[59:60]
	v_fma_f64 v[61:62], -v[57:58], v[59:60], 1.0
	v_fma_f64 v[59:60], v[61:62], v[59:60], v[59:60]
	v_mul_f64 v[61:62], v[74:75], v[59:60]
	v_mul_f64 v[78:79], v[57:58], v[61:62]
	v_fma_f64 v[57:58], v[61:62], v[57:58], -v[78:79]
	v_fma_f64 v[55:56], v[61:62], v[55:56], v[57:58]
	v_add_f64 v[57:58], v[78:79], v[55:56]
	v_add_f64 v[76:77], v[74:75], -v[57:58]
	v_add_f64 v[78:79], v[57:58], -v[78:79]
	;; [unrolled: 1-line block ×5, first 2 shown]
	v_add_f64 v[55:56], v[55:56], v[57:58]
	v_add_f64 v[55:56], v[76:77], v[55:56]
	v_mul_f64 v[55:56], v[59:60], v[55:56]
	v_add_f64 v[57:58], v[61:62], v[55:56]
	v_mul_f64 v[59:60], v[57:58], v[57:58]
	v_fma_f64 v[74:75], v[59:60], s[22:23], v[5:6]
	v_mul_f64 v[76:77], v[57:58], v[59:60]
	v_fma_f64 v[74:75], v[59:60], v[74:75], s[24:25]
	v_fma_f64 v[74:75], v[59:60], v[74:75], s[26:27]
	;; [unrolled: 1-line block ×5, first 2 shown]
	v_ldexp_f64 v[74:75], v[57:58], 1
	v_add_f64 v[57:58], v[57:58], -v[61:62]
	v_mul_f64 v[59:60], v[76:77], v[59:60]
	v_cvt_f64_i32_e32 v[76:77], v41
	v_add_f64 v[55:56], v[55:56], -v[57:58]
	v_mul_f64 v[78:79], v[76:77], s[34:35]
	v_add_f64 v[61:62], v[74:75], v[59:60]
	v_ldexp_f64 v[55:56], v[55:56], 1
	v_add_f64 v[57:58], v[61:62], -v[74:75]
	v_fma_f64 v[74:75], v[76:77], s[34:35], -v[78:79]
	v_add_f64 v[57:58], v[59:60], -v[57:58]
	v_fma_f64 v[59:60], v[76:77], s[36:37], v[74:75]
	v_add_f64 v[55:56], v[55:56], v[57:58]
	v_add_f64 v[57:58], v[78:79], v[59:60]
	;; [unrolled: 1-line block ×3, first 2 shown]
	v_add_f64 v[78:79], v[57:58], -v[78:79]
	v_add_f64 v[76:77], v[57:58], v[74:75]
	v_add_f64 v[61:62], v[74:75], -v[61:62]
	v_add_f64 v[59:60], v[59:60], -v[78:79]
	;; [unrolled: 1-line block ×6, first 2 shown]
	v_add_f64 v[74:75], v[59:60], v[55:56]
	v_add_f64 v[57:58], v[57:58], -v[82:83]
	v_add_f64 v[57:58], v[61:62], v[57:58]
	v_add_f64 v[61:62], v[74:75], -v[59:60]
	;; [unrolled: 2-line block ×3, first 2 shown]
	v_add_f64 v[55:56], v[55:56], -v[61:62]
	v_add_f64 v[78:79], v[76:77], v[57:58]
	v_add_f64 v[59:60], v[59:60], -v[74:75]
	v_add_f64 v[61:62], v[78:79], -v[76:77]
	v_add_f64 v[55:56], v[55:56], v[59:60]
	v_fma_f64 v[59:60], |v[33:34]|, s[48:49], v[27:28]
	v_add_f64 v[57:58], v[57:58], -v[61:62]
	v_add_f64 v[55:56], v[55:56], v[57:58]
	v_fma_f64 v[57:58], |v[33:34]|, v[59:60], s[90:91]
	v_add_f64 v[55:56], v[78:79], v[55:56]
	v_fma_f64 v[57:58], |v[33:34]|, v[57:58], s[92:93]
	v_xor_b32_e32 v41, 0x80000000, v56
	v_fma_f64 v[56:57], |v[33:34]|, v[57:58], s[94:95]
	v_cndmask_b32_e32 v41, v71, v41, vcc
	s_and_b64 vcc, s[10:11], vcc
	v_cndmask_b32_e64 v59, v70, v41, s[10:11]
	v_cndmask_b32_e32 v58, 0, v55, vcc
	v_fma_f64 v[55:56], |v[33:34]|, v[56:57], v[58:59]
.LBB12_142:                             ;   in Loop: Header=BB12_4 Depth=1
	s_or_b64 exec, exec, s[12:13]
	v_cmp_le_f64_e32 vcc, 0, v[33:34]
	s_and_saveexec_b64 s[10:11], vcc
	s_xor_b64 s[12:13], exec, s[10:11]
	s_cbranch_execnz .LBB12_148
; %bb.143:                              ;   in Loop: Header=BB12_4 Depth=1
	s_andn2_saveexec_b64 s[10:11], s[12:13]
	s_cbranch_execnz .LBB12_149
.LBB12_144:                             ;   in Loop: Header=BB12_4 Depth=1
	s_or_b64 exec, exec, s[10:11]
	s_and_saveexec_b64 s[10:11], s[8:9]
	s_xor_b64 s[12:13], exec, s[10:11]
	s_cbranch_execnz .LBB12_152
.LBB12_145:                             ;   in Loop: Header=BB12_4 Depth=1
	s_or_b64 exec, exec, s[12:13]
	s_and_saveexec_b64 s[10:11], s[6:7]
	s_cbranch_execnz .LBB12_153
.LBB12_146:                             ;   in Loop: Header=BB12_4 Depth=1
	s_or_b64 exec, exec, s[10:11]
	s_and_saveexec_b64 s[8:9], s[2:3]
	s_cbranch_execnz .LBB12_154
.LBB12_147:                             ;   in Loop: Header=BB12_4 Depth=1
	s_or_b64 exec, exec, s[8:9]
	s_and_saveexec_b64 s[6:7], s[0:1]
	s_cbranch_execz .LBB12_3
	s_branch .LBB12_155
.LBB12_148:                             ;   in Loop: Header=BB12_4 Depth=1
	v_cmp_eq_f64_e32 vcc, 1.0, v[33:34]
	v_cmp_eq_f64_e64 s[10:11], 2.0, v[33:34]
	s_or_b64 s[10:11], vcc, s[10:11]
	v_cndmask_b32_e64 v56, v56, 0, s[10:11]
	v_cndmask_b32_e64 v55, v55, 0, s[10:11]
	s_andn2_saveexec_b64 s[10:11], s[12:13]
	s_cbranch_execz .LBB12_144
.LBB12_149:                             ;   in Loop: Header=BB12_4 Depth=1
	v_add_u32_e32 v41, 0xc32fffff, v54
	v_cmp_gt_u32_e32 vcc, s77, v41
	s_and_saveexec_b64 s[12:13], vcc
	s_cbranch_execz .LBB12_151
; %bb.150:                              ;   in Loop: Header=BB12_4 Depth=1
	v_mul_f64 v[57:58], |v[33:34]|, 0.5
	s_mov_b32 s80, 0xf99eb0bb
	s_mov_b32 s81, 0x3f3e357e
	;; [unrolled: 1-line block ×3, first 2 shown]
	v_fract_f64_e32 v[59:60], v[57:58]
	v_cmp_neq_f64_e64 vcc, |v[57:58]|, s[70:71]
	v_add_f64 v[59:60], v[59:60], v[59:60]
	v_cndmask_b32_e32 v41, 0, v59, vcc
	v_cndmask_b32_e32 v45, 0, v60, vcc
	v_cmp_gt_f64_e64 vcc, |v[33:34]|, 1.0
	v_cndmask_b32_e32 v58, v54, v45, vcc
	v_cndmask_b32_e32 v57, v33, v41, vcc
	v_add_f64 v[59:60], v[57:58], v[57:58]
	v_rndne_f64_e32 v[59:60], v[59:60]
	v_fma_f64 v[57:58], v[59:60], -0.5, v[57:58]
	v_cvt_i32_f64_e32 v41, v[59:60]
	v_and_b32_e32 v45, 1, v41
	v_cmp_eq_u32_e32 vcc, 0, v45
	v_lshlrev_b32_e32 v41, 30, v41
	v_mul_f64 v[59:60], v[57:58], v[57:58]
	v_xor_b32_e32 v41, v41, v34
	v_and_b32_e32 v41, 0x80000000, v41
	v_fma_f64 v[61:62], v[59:60], s[80:81], v[29:30]
	s_mov_b32 s80, 0xd5f14825
	s_mov_b32 s81, 0x3fb50782
	v_mul_f64 v[74:75], v[57:58], v[59:60]
	v_fma_f64 v[61:62], v[59:60], v[61:62], s[80:81]
	v_fma_f64 v[61:62], v[59:60], v[61:62], s[44:45]
	;; [unrolled: 1-line block ×4, first 2 shown]
	v_mul_f64 v[61:62], v[74:75], v[61:62]
	v_fma_f64 v[57:58], v[57:58], s[52:53], v[61:62]
	v_fma_f64 v[61:62], v[59:60], s[54:55], v[31:32]
	;; [unrolled: 1-line block ×7, first 2 shown]
	v_fma_f64 v[59:60], v[59:60], v[61:62], 1.0
	v_cndmask_b32_e32 v45, v59, v57, vcc
	v_cndmask_b32_e32 v49, v60, v58, vcc
	v_cmp_class_f64_e64 vcc, v[33:34], s33
	v_xor_b32_e32 v41, v49, v41
	v_cndmask_b32_e32 v57, 0, v45, vcc
	v_cndmask_b32_e32 v58, v73, v41, vcc
	v_mul_f64 v[57:58], v[33:34], v[57:58]
	v_and_b32_e32 v60, 0x7fffffff, v58
	v_mov_b32_e32 v59, v57
	v_div_scale_f64 v[61:62], s[80:81], v[59:60], v[59:60], s[52:53]
	v_div_scale_f64 v[59:60], vcc, s[52:53], v[59:60], s[52:53]
	v_cmp_class_f64_e64 s[80:81], v[33:34], s75
	v_rcp_f64_e32 v[74:75], v[61:62]
	v_fma_f64 v[76:77], -v[61:62], v[74:75], 1.0
	v_fma_f64 v[74:75], v[74:75], v[76:77], v[74:75]
	v_fma_f64 v[76:77], -v[61:62], v[74:75], 1.0
	v_fma_f64 v[74:75], v[74:75], v[76:77], v[74:75]
	v_mul_f64 v[76:77], v[59:60], v[74:75]
	v_fma_f64 v[59:60], -v[61:62], v[76:77], v[59:60]
	v_div_fmas_f64 v[59:60], v[59:60], v[74:75], v[76:77]
	v_div_fixup_f64 v[57:58], v[59:60], |v[57:58]|, s[52:53]
	v_frexp_mant_f64_e32 v[59:60], v[57:58]
	v_frexp_exp_i32_f64_e32 v41, v[57:58]
	v_cmp_gt_f64_e32 vcc, s[68:69], v[59:60]
	v_cndmask_b32_e64 v45, 0, 1, vcc
	v_ldexp_f64 v[59:60], v[59:60], v45
	v_subbrev_co_u32_e32 v41, vcc, 0, v41, vcc
	v_cmp_class_f64_e64 vcc, v[57:58], s75
	v_add_f64 v[74:75], v[59:60], 1.0
	v_add_f64 v[61:62], v[59:60], -1.0
	v_add_f64 v[76:77], v[74:75], -1.0
	v_add_f64 v[59:60], v[59:60], -v[76:77]
	v_rcp_f64_e32 v[76:77], v[74:75]
	v_fma_f64 v[78:79], -v[74:75], v[76:77], 1.0
	v_fma_f64 v[76:77], v[78:79], v[76:77], v[76:77]
	v_fma_f64 v[78:79], -v[74:75], v[76:77], 1.0
	v_fma_f64 v[76:77], v[78:79], v[76:77], v[76:77]
	v_mul_f64 v[78:79], v[61:62], v[76:77]
	v_mul_f64 v[80:81], v[74:75], v[78:79]
	v_fma_f64 v[74:75], v[78:79], v[74:75], -v[80:81]
	v_fma_f64 v[59:60], v[78:79], v[59:60], v[74:75]
	v_add_f64 v[74:75], v[80:81], v[59:60]
	v_add_f64 v[82:83], v[61:62], -v[74:75]
	v_add_f64 v[80:81], v[74:75], -v[80:81]
	;; [unrolled: 1-line block ×5, first 2 shown]
	v_add_f64 v[59:60], v[59:60], v[61:62]
	v_add_f64 v[59:60], v[82:83], v[59:60]
	v_mul_f64 v[59:60], v[76:77], v[59:60]
	v_add_f64 v[61:62], v[78:79], v[59:60]
	v_add_f64 v[74:75], v[61:62], -v[78:79]
	v_ldexp_f64 v[78:79], v[61:62], 1
	v_add_f64 v[59:60], v[59:60], -v[74:75]
	v_mul_f64 v[74:75], v[61:62], v[61:62]
	v_ldexp_f64 v[59:60], v[59:60], 1
	v_fma_f64 v[76:77], v[74:75], s[22:23], v[5:6]
	v_mul_f64 v[61:62], v[61:62], v[74:75]
	v_fma_f64 v[76:77], v[74:75], v[76:77], s[24:25]
	v_fma_f64 v[76:77], v[74:75], v[76:77], s[26:27]
	;; [unrolled: 1-line block ×5, first 2 shown]
	v_mul_f64 v[61:62], v[61:62], v[76:77]
	v_add_f64 v[74:75], v[78:79], v[61:62]
	v_add_f64 v[76:77], v[74:75], -v[78:79]
	v_add_f64 v[61:62], v[61:62], -v[76:77]
	v_add_f64 v[59:60], v[59:60], v[61:62]
	v_add_f64 v[61:62], v[74:75], v[59:60]
	v_add_f64 v[74:75], v[61:62], -v[74:75]
	v_add_f64 v[59:60], v[59:60], -v[74:75]
	v_cvt_f64_i32_e32 v[74:75], v41
	v_mul_f64 v[76:77], v[74:75], s[34:35]
	v_fma_f64 v[78:79], v[74:75], s[34:35], -v[76:77]
	v_fma_f64 v[74:75], v[74:75], s[36:37], v[78:79]
	v_add_f64 v[78:79], v[76:77], v[74:75]
	v_add_f64 v[76:77], v[78:79], -v[76:77]
	v_add_f64 v[74:75], v[74:75], -v[76:77]
	v_add_f64 v[76:77], v[78:79], v[61:62]
	v_add_f64 v[80:81], v[76:77], -v[78:79]
	v_add_f64 v[82:83], v[76:77], -v[80:81]
	;; [unrolled: 1-line block ×4, first 2 shown]
	v_add_f64 v[61:62], v[61:62], v[78:79]
	v_add_f64 v[78:79], v[74:75], v[59:60]
	v_add_f64 v[80:81], v[78:79], -v[74:75]
	v_add_f64 v[61:62], v[78:79], v[61:62]
	v_add_f64 v[82:83], v[78:79], -v[80:81]
	v_add_f64 v[59:60], v[59:60], -v[80:81]
	;; [unrolled: 1-line block ×3, first 2 shown]
	v_add_f64 v[59:60], v[59:60], v[74:75]
	v_add_f64 v[74:75], v[76:77], v[61:62]
	v_add_f64 v[76:77], v[74:75], -v[76:77]
	v_add_f64 v[61:62], v[61:62], -v[76:77]
	v_add_f64 v[59:60], v[59:60], v[61:62]
	v_add_f64 v[59:60], v[74:75], v[59:60]
	v_cndmask_b32_e32 v41, v59, v57, vcc
	v_cndmask_b32_e32 v45, v60, v58, vcc
	v_cmp_neq_f64_e32 vcc, 0, v[57:58]
	v_cndmask_b32_e32 v58, v71, v45, vcc
	v_cndmask_b32_e32 v57, 0, v41, vcc
	v_add_f64 v[55:56], v[57:58], -v[55:56]
	v_fract_f64_e32 v[57:58], v[33:34]
	v_cmp_eq_f64_e32 vcc, 0, v[57:58]
	s_or_b64 vcc, s[80:81], vcc
	v_cndmask_b32_e32 v56, v56, v70, vcc
	v_cndmask_b32_e64 v55, v55, 0, vcc
.LBB12_151:                             ;   in Loop: Header=BB12_4 Depth=1
	s_or_b64 exec, exec, s[12:13]
	s_or_b64 exec, exec, s[10:11]
	s_and_saveexec_b64 s[10:11], s[8:9]
	s_xor_b64 s[12:13], exec, s[10:11]
	s_cbranch_execz .LBB12_145
.LBB12_152:                             ;   in Loop: Header=BB12_4 Depth=1
	v_cmp_gt_f64_e32 vcc, 0, v[39:40]
	v_cmp_class_f64_e64 s[8:9], v[39:40], v69
	v_cmp_lt_u32_e64 s[10:11], s38, v42
	s_and_b64 s[10:11], vcc, s[10:11]
	s_or_b64 vcc, s[8:9], s[10:11]
	v_cndmask_b32_e64 v41, v43, 0, vcc
	v_cndmask_b32_e32 v42, v44, v70, vcc
	v_cmp_u_f64_e32 vcc, v[39:40], v[39:40]
	v_cndmask_b32_e32 v40, v42, v40, vcc
	v_cndmask_b32_e32 v39, v41, v39, vcc
	global_store_dwordx2 v[1:2], v[39:40], off
	s_or_b64 exec, exec, s[12:13]
	s_and_saveexec_b64 s[10:11], s[6:7]
	s_cbranch_execz .LBB12_146
.LBB12_153:                             ;   in Loop: Header=BB12_4 Depth=1
	v_cmp_gt_f64_e32 vcc, 0, v[35:36]
	v_cmp_class_f64_e64 s[6:7], v[35:36], v69
	v_cmp_lt_u32_e64 s[8:9], s38, v46
	s_and_b64 s[8:9], vcc, s[8:9]
	s_or_b64 vcc, s[6:7], s[8:9]
	v_cndmask_b32_e64 v39, v47, 0, vcc
	v_cndmask_b32_e32 v40, v48, v70, vcc
	v_cmp_u_f64_e32 vcc, v[35:36], v[35:36]
	v_cndmask_b32_e32 v36, v40, v36, vcc
	v_cndmask_b32_e32 v35, v39, v35, vcc
	global_store_dwordx2 v[3:4], v[35:36], off
	s_or_b64 exec, exec, s[10:11]
	s_and_saveexec_b64 s[8:9], s[2:3]
	s_cbranch_execz .LBB12_147
.LBB12_154:                             ;   in Loop: Header=BB12_4 Depth=1
	v_cmp_gt_f64_e32 vcc, 0, v[37:38]
	v_cmp_class_f64_e64 s[2:3], v[37:38], v69
	v_cmp_lt_u32_e64 s[6:7], s38, v50
	s_and_b64 s[6:7], vcc, s[6:7]
	s_or_b64 vcc, s[2:3], s[6:7]
	v_cndmask_b32_e64 v35, v51, 0, vcc
	v_cndmask_b32_e32 v36, v52, v70, vcc
	v_cmp_u_f64_e32 vcc, v[37:38], v[37:38]
	v_cndmask_b32_e32 v36, v36, v38, vcc
	v_cndmask_b32_e32 v35, v35, v37, vcc
	v_add_co_u32_e32 v37, vcc, s89, v1
	v_addc_co_u32_e32 v38, vcc, 0, v2, vcc
	global_store_dwordx2 v[37:38], v[35:36], off
	s_or_b64 exec, exec, s[8:9]
	s_and_saveexec_b64 s[6:7], s[0:1]
	s_cbranch_execz .LBB12_3
.LBB12_155:                             ;   in Loop: Header=BB12_4 Depth=1
	v_cmp_gt_f64_e32 vcc, 0, v[33:34]
	v_cmp_class_f64_e64 s[0:1], v[33:34], v69
	v_cmp_lt_u32_e64 s[2:3], s38, v54
	s_and_b64 s[2:3], vcc, s[2:3]
	s_or_b64 vcc, s[0:1], s[2:3]
	v_cndmask_b32_e64 v35, v55, 0, vcc
	v_cndmask_b32_e32 v36, v56, v70, vcc
	v_cmp_u_f64_e32 vcc, v[33:34], v[33:34]
	v_cndmask_b32_e32 v34, v36, v34, vcc
	v_cndmask_b32_e32 v33, v35, v33, vcc
	v_add_co_u32_e32 v35, vcc, s88, v1
	v_addc_co_u32_e32 v36, vcc, 0, v2, vcc
	global_store_dwordx2 v[35:36], v[33:34], off
	s_branch .LBB12_3
.LBB12_156:
	s_cbranch_execz .LBB12_158
	s_branch .LBB12_297
.LBB12_157:
.LBB12_158:
	v_mov_b32_e32 v1, 0x10000
	v_mov_b32_e32 v2, 0
	v_cmp_lt_i64_e32 vcc, s[14:15], v[1:2]
	v_mov_b32_e32 v2, 0
	s_and_b64 s[0:1], vcc, exec
	s_cselect_b32 s13, s15, 0
	s_cselect_b32 s12, s14, 0x10000
	v_lshlrev_b32_e32 v1, 2, v0
	v_cmp_gt_i64_e32 vcc, s[12:13], v[1:2]
	s_and_saveexec_b64 s[0:1], vcc
	s_cbranch_execz .LBB12_297
; %bb.159:
	s_add_u32 s14, s4, 0xd30
	v_mov_b32_e32 v62, s39
	s_mov_b32 s62, 0x55555555
	s_mov_b32 s18, 0xbf559e2b
	;; [unrolled: 1-line block ×30, first 2 shown]
	v_mov_b32_e32 v1, v2
	s_addc_u32 s15, s5, 0
	s_mov_b32 s63, 0x3fe55555
	s_mov_b32 s19, 0x3fc3ab76
	;; [unrolled: 1-line block ×26, first 2 shown]
	v_mov_b32_e32 v63, 0x264
	v_mov_b32_e32 v10, 0x6b47b09a
	;; [unrolled: 1-line block ×33, first 2 shown]
	s_mov_b32 s33, 0x3f6fffff
	s_brev_b32 s74, -4
	s_mov_b32 s75, 0x401fffff
	s_mov_b32 s76, 0x438fffff
	s_movk_i32 s77, 0x204
	s_mov_b32 s78, 0x3feccccc
	s_mov_b32 s79, 0x3ffbb4c3
	;; [unrolled: 1-line block ×6, first 2 shown]
	s_movk_i32 s84, 0x1f8
	s_mov_b32 s85, 0x432fffff
	s_mov_b64 s[60:61], 0
	s_mov_b32 s16, 0x55555780
	s_mov_b32 s65, 0x7ff00000
	;; [unrolled: 1-line block ×6, first 2 shown]
	s_branch .LBB12_162
.LBB12_160:                             ;   in Loop: Header=BB12_162 Depth=1
	s_or_b64 exec, exec, s[4:5]
.LBB12_161:                             ;   in Loop: Header=BB12_162 Depth=1
	s_or_b64 exec, exec, s[2:3]
	v_cmp_gt_f64_e32 vcc, 0, v[2:3]
	v_cmp_class_f64_e64 s[0:1], v[2:3], v63
	v_cmp_gt_f64_e64 s[4:5], 0, v[8:9]
	v_cmp_lt_u32_e64 s[2:3], s85, v49
	v_cmp_class_f64_e64 s[6:7], v[8:9], v63
	v_cmp_lt_u32_e64 s[8:9], s85, v45
	v_cmp_class_f64_e64 s[10:11], v[4:5], v63
	s_and_b64 s[2:3], vcc, s[2:3]
	s_or_b64 vcc, s[0:1], s[2:3]
	v_cmp_gt_f64_e64 s[2:3], 0, v[6:7]
	v_cmp_class_f64_e64 s[0:1], v[6:7], v63
	s_and_b64 s[4:5], s[4:5], s[8:9]
	v_cmp_gt_f64_e64 s[8:9], 0, v[4:5]
	s_or_b64 s[4:5], s[6:7], s[4:5]
	v_cmp_lt_u32_e64 s[6:7], s85, v41
	v_cndmask_b32_e64 v45, v46, 0, s[4:5]
	v_cndmask_b32_e64 v46, v47, v64, s[4:5]
	s_and_b64 s[2:3], s[2:3], s[6:7]
	s_or_b64 s[0:1], s[0:1], s[2:3]
	v_cmp_lt_u32_e64 s[2:3], s85, v53
	s_and_b64 s[2:3], s[8:9], s[2:3]
	v_cmp_u_f64_e64 s[4:5], v[8:9], v[8:9]
	v_cndmask_b32_e64 v41, v42, 0, s[0:1]
	v_cndmask_b32_e64 v42, v43, v64, s[0:1]
	v_cmp_u_f64_e64 s[0:1], v[6:7], v[6:7]
	s_or_b64 s[2:3], s[10:11], s[2:3]
	v_cndmask_b32_e64 v40, v50, 0, vcc
	v_cndmask_b32_e32 v44, v51, v64, vcc
	v_cmp_u_f64_e32 vcc, v[2:3], v[2:3]
	v_cndmask_b32_e64 v43, v54, 0, s[2:3]
	v_cndmask_b32_e64 v47, v55, v64, s[2:3]
	v_cmp_u_f64_e64 s[2:3], v[4:5], v[4:5]
	v_cndmask_b32_e64 v9, v46, v9, s[4:5]
	v_cndmask_b32_e64 v8, v45, v8, s[4:5]
	;; [unrolled: 1-line block ×4, first 2 shown]
	v_cndmask_b32_e32 v3, v44, v3, vcc
	v_cndmask_b32_e32 v2, v40, v2, vcc
	v_cndmask_b32_e64 v5, v47, v5, s[2:3]
	v_cndmask_b32_e64 v4, v43, v4, s[2:3]
	global_store_dwordx4 v[38:39], v[6:9], off
	global_store_dwordx4 v[38:39], v[2:5], off offset:16
	s_load_dword s0, s[14:15], 0xc
	s_waitcnt lgkmcnt(0)
	s_and_b32 s0, s0, 0xffff
	v_add_co_u32_e32 v0, vcc, s0, v0
	v_addc_co_u32_e32 v1, vcc, 0, v1, vcc
	v_lshlrev_b64 v[2:3], 2, v[0:1]
	v_cmp_le_i64_e32 vcc, s[12:13], v[2:3]
	s_or_b64 s[60:61], vcc, s[60:61]
	s_andn2_b64 exec, exec, s[60:61]
	s_cbranch_execz .LBB12_297
.LBB12_162:                             ; =>This Inner Loop Header: Depth=1
	v_lshlrev_b64 v[2:3], 5, v[0:1]
	v_readlane_b32 s0, v86, 0
	v_add_co_u32_e32 v38, vcc, s0, v2
	v_addc_co_u32_e32 v39, vcc, v62, v3, vcc
	global_load_dwordx4 v[6:9], v[38:39], off
	global_load_dwordx4 v[2:5], v[38:39], off offset:16
                                        ; implicit-def: $vgpr42_vgpr43
	s_waitcnt vmcnt(1)
	v_and_b32_e32 v41, 0x7fffffff, v7
	v_mov_b32_e32 v40, v6
	v_cmp_lt_u32_e32 vcc, s33, v41
	s_and_saveexec_b64 s[0:1], vcc
	s_xor_b64 s[4:5], exec, s[0:1]
	s_cbranch_execz .LBB12_188
; %bb.163:                              ;   in Loop: Header=BB12_162 Depth=1
	v_cmp_lt_u32_e32 vcc, s74, v41
                                        ; implicit-def: $vgpr42_vgpr43
	s_and_saveexec_b64 s[0:1], vcc
	s_xor_b64 s[2:3], exec, s[0:1]
	s_cbranch_execz .LBB12_173
; %bb.164:                              ;   in Loop: Header=BB12_162 Depth=1
	v_cmp_lt_u32_e32 vcc, s75, v41
                                        ; implicit-def: $vgpr42_vgpr43
	;; [unrolled: 6-line block ×3, first 2 shown]
	s_and_saveexec_b64 s[0:1], vcc
	s_xor_b64 s[8:9], exec, s[0:1]
	s_cbranch_execz .LBB12_167
; %bb.166:                              ;   in Loop: Header=BB12_162 Depth=1
	v_frexp_mant_f64_e64 v[42:43], |v[6:7]|
	s_mov_b32 s17, s63
	v_cmp_neq_f64_e64 s[0:1], 0, v[6:7]
	v_cmp_gt_f64_e32 vcc, s[62:63], v[42:43]
	v_cndmask_b32_e64 v40, 0, 1, vcc
	v_ldexp_f64 v[42:43], v[42:43], v40
	v_frexp_exp_i32_f64_e32 v40, v[6:7]
	v_add_f64 v[44:45], v[42:43], 1.0
	v_add_f64 v[50:51], v[42:43], -1.0
	v_subbrev_co_u32_e32 v40, vcc, 0, v40, vcc
	v_cmp_neq_f64_e64 vcc, |v[6:7]|, s[64:65]
	v_rcp_f64_e32 v[46:47], v[44:45]
	v_add_f64 v[52:53], v[44:45], -1.0
	v_add_f64 v[42:43], v[42:43], -v[52:53]
	v_fma_f64 v[48:49], -v[44:45], v[46:47], 1.0
	v_fma_f64 v[46:47], v[48:49], v[46:47], v[46:47]
	v_fma_f64 v[48:49], -v[44:45], v[46:47], 1.0
	v_fma_f64 v[46:47], v[48:49], v[46:47], v[46:47]
	v_mul_f64 v[48:49], v[50:51], v[46:47]
	v_mul_f64 v[54:55], v[44:45], v[48:49]
	v_fma_f64 v[44:45], v[48:49], v[44:45], -v[54:55]
	v_fma_f64 v[42:43], v[48:49], v[42:43], v[44:45]
	v_add_f64 v[44:45], v[54:55], v[42:43]
	v_add_f64 v[52:53], v[50:51], -v[44:45]
	v_add_f64 v[54:55], v[44:45], -v[54:55]
	;; [unrolled: 1-line block ×5, first 2 shown]
	v_add_f64 v[42:43], v[42:43], v[44:45]
	v_add_f64 v[42:43], v[52:53], v[42:43]
	v_mul_f64 v[42:43], v[46:47], v[42:43]
	v_add_f64 v[44:45], v[48:49], v[42:43]
	v_mul_f64 v[46:47], v[44:45], v[44:45]
	v_fma_f64 v[50:51], v[46:47], s[18:19], v[10:11]
	v_mul_f64 v[52:53], v[44:45], v[46:47]
	v_fma_f64 v[50:51], v[46:47], v[50:51], s[20:21]
	v_fma_f64 v[50:51], v[46:47], v[50:51], s[22:23]
	;; [unrolled: 1-line block ×5, first 2 shown]
	v_ldexp_f64 v[50:51], v[44:45], 1
	v_add_f64 v[44:45], v[44:45], -v[48:49]
	v_mul_f64 v[46:47], v[52:53], v[46:47]
	v_cvt_f64_i32_e32 v[52:53], v40
	v_add_f64 v[42:43], v[42:43], -v[44:45]
	v_mul_f64 v[54:55], v[52:53], s[28:29]
	v_add_f64 v[48:49], v[50:51], v[46:47]
	v_ldexp_f64 v[42:43], v[42:43], 1
	v_add_f64 v[44:45], v[48:49], -v[50:51]
	v_fma_f64 v[50:51], v[52:53], s[28:29], -v[54:55]
	v_add_f64 v[44:45], v[46:47], -v[44:45]
	v_fma_f64 v[46:47], v[52:53], s[30:31], v[50:51]
	v_add_f64 v[42:43], v[42:43], v[44:45]
	v_add_f64 v[44:45], v[54:55], v[46:47]
	;; [unrolled: 1-line block ×3, first 2 shown]
	v_add_f64 v[54:55], v[44:45], -v[54:55]
	v_add_f64 v[52:53], v[44:45], v[50:51]
	v_add_f64 v[48:49], v[50:51], -v[48:49]
	v_add_f64 v[46:47], v[46:47], -v[54:55]
	;; [unrolled: 1-line block ×6, first 2 shown]
	v_add_f64 v[50:51], v[46:47], v[42:43]
	v_add_f64 v[44:45], v[44:45], -v[58:59]
	v_add_f64 v[44:45], v[48:49], v[44:45]
	v_add_f64 v[48:49], v[50:51], -v[46:47]
	;; [unrolled: 2-line block ×3, first 2 shown]
	v_add_f64 v[42:43], v[42:43], -v[48:49]
	v_add_f64 v[54:55], v[52:53], v[44:45]
	v_add_f64 v[46:47], v[46:47], -v[50:51]
	v_add_f64 v[48:49], v[54:55], -v[52:53]
	v_add_f64 v[42:43], v[42:43], v[46:47]
	v_add_f64 v[44:45], v[44:45], -v[48:49]
	v_add_f64 v[42:43], v[42:43], v[44:45]
	v_add_f64 v[42:43], v[54:55], v[42:43]
	v_cndmask_b32_e32 v40, v64, v43, vcc
	s_and_b64 vcc, s[0:1], vcc
	v_cndmask_b32_e64 v43, v65, v40, s[0:1]
	v_cndmask_b32_e32 v42, 0, v42, vcc
	v_fma_f64 v[42:43], |v[6:7]|, v[42:43], -|v[6:7]|
.LBB12_167:                             ;   in Loop: Header=BB12_162 Depth=1
	s_andn2_saveexec_b64 s[8:9], s[8:9]
	s_cbranch_execz .LBB12_169
; %bb.168:                              ;   in Loop: Header=BB12_162 Depth=1
	v_frexp_mant_f64_e64 v[42:43], |v[6:7]|
	s_mov_b32 s17, s63
	s_mov_b32 s10, 0x90c97d69
	;; [unrolled: 1-line block ×3, first 2 shown]
	v_cmp_gt_f64_e32 vcc, s[62:63], v[42:43]
	v_cndmask_b32_e64 v40, 0, 1, vcc
	v_ldexp_f64 v[42:43], v[42:43], v40
	v_frexp_exp_i32_f64_e32 v40, v[6:7]
	v_add_f64 v[44:45], v[42:43], 1.0
	v_add_f64 v[50:51], v[42:43], -1.0
	v_subbrev_co_u32_e32 v40, vcc, 0, v40, vcc
	v_rcp_f64_e32 v[46:47], v[44:45]
	v_add_f64 v[52:53], v[44:45], -1.0
	v_add_f64 v[42:43], v[42:43], -v[52:53]
	v_fma_f64 v[48:49], -v[44:45], v[46:47], 1.0
	v_fma_f64 v[46:47], v[48:49], v[46:47], v[46:47]
	v_fma_f64 v[48:49], -v[44:45], v[46:47], 1.0
	v_fma_f64 v[46:47], v[48:49], v[46:47], v[46:47]
	v_mul_f64 v[48:49], v[50:51], v[46:47]
	v_mul_f64 v[54:55], v[44:45], v[48:49]
	v_fma_f64 v[44:45], v[48:49], v[44:45], -v[54:55]
	v_fma_f64 v[42:43], v[48:49], v[42:43], v[44:45]
	v_add_f64 v[44:45], v[54:55], v[42:43]
	v_add_f64 v[52:53], v[50:51], -v[44:45]
	v_add_f64 v[54:55], v[44:45], -v[54:55]
	;; [unrolled: 1-line block ×5, first 2 shown]
	v_add_f64 v[42:43], v[42:43], v[44:45]
	v_add_f64 v[42:43], v[52:53], v[42:43]
	v_mul_f64 v[42:43], v[46:47], v[42:43]
	v_add_f64 v[44:45], v[48:49], v[42:43]
	v_mul_f64 v[46:47], v[44:45], v[44:45]
	v_ldexp_f64 v[56:57], v[44:45], 1
	v_fma_f64 v[50:51], v[46:47], s[18:19], v[10:11]
	v_mul_f64 v[52:53], v[44:45], v[46:47]
	v_add_f64 v[44:45], v[44:45], -v[48:49]
	v_fma_f64 v[50:51], v[46:47], v[50:51], s[20:21]
	v_add_f64 v[42:43], v[42:43], -v[44:45]
	v_fma_f64 v[50:51], v[46:47], v[50:51], s[22:23]
	v_ldexp_f64 v[42:43], v[42:43], 1
	v_fma_f64 v[50:51], v[46:47], v[50:51], s[24:25]
	v_fma_f64 v[50:51], v[46:47], v[50:51], s[26:27]
	;; [unrolled: 1-line block ×3, first 2 shown]
	v_and_b32_e32 v51, 0x7fffffff, v7
	v_mov_b32_e32 v50, v6
	v_div_scale_f64 v[54:55], s[0:1], v[50:51], v[50:51], 1.0
	v_div_scale_f64 v[50:51], vcc, 1.0, v[50:51], 1.0
	s_mov_b32 s0, 0xb9e43e4
	v_mul_f64 v[46:47], v[52:53], v[46:47]
	v_cvt_f64_i32_e32 v[52:53], v40
	s_mov_b32 s1, 0xbf5ab89d
	v_mul_f64 v[60:61], v[52:53], s[28:29]
	v_add_f64 v[48:49], v[56:57], v[46:47]
	v_rcp_f64_e32 v[58:59], v[54:55]
	v_add_f64 v[44:45], v[48:49], -v[56:57]
	v_fma_f64 v[56:57], v[52:53], s[28:29], -v[60:61]
	v_add_f64 v[44:45], v[46:47], -v[44:45]
	v_fma_f64 v[52:53], v[52:53], s[30:31], v[56:57]
	v_fma_f64 v[46:47], -v[54:55], v[58:59], 1.0
	v_add_f64 v[42:43], v[42:43], v[44:45]
	v_fma_f64 v[44:45], v[58:59], v[46:47], v[58:59]
	v_add_f64 v[46:47], v[60:61], v[52:53]
	v_add_f64 v[56:57], v[48:49], v[42:43]
	v_fma_f64 v[58:59], -v[54:55], v[44:45], 1.0
	v_add_f64 v[60:61], v[46:47], -v[60:61]
	v_add_f64 v[68:69], v[46:47], v[56:57]
	v_add_f64 v[48:49], v[56:57], -v[48:49]
	v_fma_f64 v[44:45], v[44:45], v[58:59], v[44:45]
	v_add_f64 v[52:53], v[52:53], -v[60:61]
	v_add_f64 v[58:59], v[68:69], -v[46:47]
	;; [unrolled: 1-line block ×3, first 2 shown]
	v_mul_f64 v[70:71], v[50:51], v[44:45]
	v_add_f64 v[72:73], v[68:69], -v[58:59]
	v_add_f64 v[48:49], v[56:57], -v[58:59]
	v_fma_f64 v[50:51], -v[54:55], v[70:71], v[50:51]
	v_add_f64 v[46:47], v[46:47], -v[72:73]
	v_div_fmas_f64 v[44:45], v[50:51], v[44:45], v[70:71]
	v_add_f64 v[50:51], v[52:53], v[42:43]
	v_cmp_neq_f64_e64 vcc, |v[6:7]|, s[64:65]
	v_add_f64 v[46:47], v[48:49], v[46:47]
	v_add_f64 v[48:49], v[50:51], -v[52:53]
	v_add_f64 v[46:47], v[50:51], v[46:47]
	v_div_fixup_f64 v[44:45], v[44:45], |v[6:7]|, 1.0
	v_add_f64 v[50:51], v[50:51], -v[48:49]
	v_add_f64 v[42:43], v[42:43], -v[48:49]
	v_add_f64 v[54:55], v[68:69], v[46:47]
	v_mul_f64 v[56:57], v[44:45], v[44:45]
	v_add_f64 v[48:49], v[52:53], -v[50:51]
	v_add_f64 v[50:51], v[54:55], -v[68:69]
	v_fma_f64 v[52:53], v[56:57], s[0:1], v[12:13]
	s_mov_b32 s0, 0x8c0fe741
	s_mov_b32 s1, 0xbf4380cb
	v_add_f64 v[42:43], v[42:43], v[48:49]
	v_add_f64 v[46:47], v[46:47], -v[50:51]
	v_fma_f64 v[48:49], v[56:57], v[52:53], s[0:1]
	s_mov_b32 s0, 0x98cf38b6
	s_mov_b32 s1, 0x3f4a019f
	v_add_f64 v[42:43], v[42:43], v[46:47]
	v_fma_f64 v[46:47], v[56:57], v[48:49], s[0:1]
	s_mov_b32 s0, 0x16b02e5c
	s_mov_b32 s1, 0xbf66c16c
	v_add_f64 v[48:49], |v[6:7]|, -0.5
	v_add_f64 v[42:43], v[54:55], v[42:43]
	v_fma_f64 v[46:47], v[56:57], v[46:47], s[0:1]
	s_mov_b32 s0, 0x5555553b
	s_mov_b32 s1, 0x3fb55555
	v_add_f64 v[42:43], v[42:43], -1.0
	v_fma_f64 v[46:47], v[56:57], v[46:47], s[0:1]
	v_cmp_neq_f64_e64 s[0:1], 0, v[6:7]
	v_cndmask_b32_e32 v40, v64, v43, vcc
	v_fma_f64 v[43:44], v[44:45], v[46:47], s[10:11]
	s_and_b64 vcc, s[0:1], vcc
	v_cndmask_b32_e64 v46, v65, v40, s[0:1]
	v_cndmask_b32_e32 v45, 0, v42, vcc
	v_fma_f64 v[42:43], v[48:49], v[45:46], v[43:44]
.LBB12_169:                             ;   in Loop: Header=BB12_162 Depth=1
	s_or_b64 exec, exec, s[8:9]
.LBB12_170:                             ;   in Loop: Header=BB12_162 Depth=1
	s_andn2_saveexec_b64 s[0:1], s[6:7]
	s_cbranch_execz .LBB12_172
; %bb.171:                              ;   in Loop: Header=BB12_162 Depth=1
	v_cvt_i32_f64_e32 v40, v[40:41]
	s_mov_b32 s6, 0xdd17e945
	s_mov_b32 s7, 0x3f00bfec
	;; [unrolled: 1-line block ×3, first 2 shown]
	v_cvt_f64_i32_e32 v[42:43], v40
	v_cmp_lt_i32_e32 vcc, 2, v40
	s_mov_b32 s56, s72
	v_add_f64 v[42:43], |v[6:7]|, -v[42:43]
	v_add_f64 v[44:45], v[42:43], 2.0
	v_add_f64 v[46:47], v[42:43], s[66:67]
	v_add_f64 v[48:49], v[42:43], 4.0
	v_cndmask_b32_e32 v45, v66, v45, vcc
	v_cndmask_b32_e32 v44, 0, v44, vcc
	v_cmp_lt_i32_e32 vcc, 3, v40
	v_cndmask_b32_e32 v47, v66, v47, vcc
	v_cndmask_b32_e32 v46, 0, v46, vcc
	v_mul_f64 v[44:45], v[44:45], v[46:47]
	v_cmp_lt_i32_e32 vcc, 4, v40
	v_add_f64 v[46:47], v[42:43], s[68:69]
	v_cndmask_b32_e32 v49, v66, v49, vcc
	v_cndmask_b32_e32 v48, 0, v48, vcc
	v_cmp_lt_i32_e32 vcc, 5, v40
	v_mul_f64 v[44:45], v[48:49], v[44:45]
	v_add_f64 v[48:49], v[42:43], s[70:71]
	v_cndmask_b32_e32 v47, v66, v47, vcc
	v_cndmask_b32_e32 v46, 0, v46, vcc
	v_cmp_lt_i32_e32 vcc, 6, v40
	v_mul_f64 v[44:45], v[46:47], v[44:45]
	v_cndmask_b32_e32 v47, v66, v49, vcc
	v_cndmask_b32_e32 v46, 0, v48, vcc
	v_mul_f64 v[44:45], v[46:47], v[44:45]
	v_frexp_mant_f64_e32 v[46:47], v[44:45]
	v_cmp_gt_f64_e32 vcc, s[62:63], v[46:47]
	v_cndmask_b32_e64 v40, 0, 1, vcc
	v_ldexp_f64 v[46:47], v[46:47], v40
	v_frexp_exp_i32_f64_e32 v40, v[44:45]
	v_add_f64 v[48:49], v[46:47], 1.0
	v_add_f64 v[54:55], v[46:47], -1.0
	v_subbrev_co_u32_e32 v40, vcc, 0, v40, vcc
	v_rcp_f64_e32 v[50:51], v[48:49]
	v_add_f64 v[56:57], v[48:49], -1.0
	v_add_f64 v[46:47], v[46:47], -v[56:57]
	v_fma_f64 v[52:53], -v[48:49], v[50:51], 1.0
	v_fma_f64 v[50:51], v[52:53], v[50:51], v[50:51]
	v_fma_f64 v[52:53], -v[48:49], v[50:51], 1.0
	v_fma_f64 v[50:51], v[52:53], v[50:51], v[50:51]
	v_mul_f64 v[52:53], v[54:55], v[50:51]
	v_mul_f64 v[58:59], v[48:49], v[52:53]
	v_fma_f64 v[48:49], v[52:53], v[48:49], -v[58:59]
	v_fma_f64 v[46:47], v[52:53], v[46:47], v[48:49]
	v_add_f64 v[48:49], v[58:59], v[46:47]
	v_add_f64 v[56:57], v[54:55], -v[48:49]
	v_add_f64 v[58:59], v[48:49], -v[58:59]
	;; [unrolled: 1-line block ×5, first 2 shown]
	v_add_f64 v[46:47], v[46:47], v[48:49]
	v_add_f64 v[46:47], v[56:57], v[46:47]
	v_fma_f64 v[56:57], v[42:43], s[6:7], v[14:15]
	s_mov_b32 s6, 0xa5b38140
	s_mov_b32 s7, 0x3edebaf7
	v_fma_f64 v[58:59], v[42:43], s[6:7], v[16:17]
	s_mov_b32 s6, 0x7e939961
	s_mov_b32 s7, 0x3f9b481c
	v_mul_f64 v[46:47], v[50:51], v[46:47]
	v_fma_f64 v[56:57], v[42:43], v[56:57], s[6:7]
	s_mov_b32 s6, 0x742ed475
	s_mov_b32 s7, 0x3f9317ea
	v_fma_f64 v[58:59], v[42:43], v[58:59], s[6:7]
	s_mov_b32 s6, 0xbee5f2f7
	s_mov_b32 s7, 0x3fc2bb9c
	v_add_f64 v[48:49], v[52:53], v[46:47]
	v_fma_f64 v[56:57], v[42:43], v[56:57], s[6:7]
	s_mov_b32 s6, 0xccfbdf27
	s_mov_b32 s7, 0x3fc601ed
	v_mul_f64 v[50:51], v[48:49], v[48:49]
	v_fma_f64 v[54:55], v[50:51], s[18:19], v[10:11]
	v_mul_f64 v[60:61], v[48:49], v[50:51]
	v_fma_f64 v[54:55], v[50:51], v[54:55], s[20:21]
	v_fma_f64 v[54:55], v[50:51], v[54:55], s[22:23]
	;; [unrolled: 1-line block ×6, first 2 shown]
	s_mov_b32 s6, 0x4f139f59
	s_mov_b32 s7, 0x3fd4d98f
	v_fma_f64 v[56:57], v[42:43], v[56:57], s[6:7]
	v_ldexp_f64 v[58:59], v[48:49], 1
	s_mov_b32 s6, 0x93d3dcdc
	s_mov_b32 s7, 0x3fe71a18
	v_mul_f64 v[50:51], v[60:61], v[50:51]
	v_fma_f64 v[54:55], v[42:43], v[54:55], s[6:7]
	s_mov_b32 s6, 0x36e20878
	s_mov_b32 s7, 0x3fcb848b
	v_fma_f64 v[56:57], v[42:43], v[56:57], s[6:7]
	v_add_f64 v[48:49], v[48:49], -v[52:53]
	v_cvt_f64_i32_e32 v[60:61], v40
	s_mov_b32 s6, 0x62c4ab74
	v_add_f64 v[52:53], v[58:59], v[50:51]
	s_mov_b32 s7, 0x3ff645a7
	v_fma_f64 v[54:55], v[42:43], v[54:55], s[6:7]
	v_mul_f64 v[68:69], v[60:61], s[28:29]
	v_fma_f64 v[56:57], v[42:43], v[56:57], s[56:57]
	v_add_f64 v[46:47], v[46:47], -v[48:49]
	v_add_f64 v[48:49], v[52:53], -v[58:59]
	v_fma_f64 v[54:55], v[42:43], v[54:55], 1.0
	v_fma_f64 v[58:59], v[60:61], s[28:29], -v[68:69]
	v_mul_f64 v[56:57], v[42:43], v[56:57]
	v_ldexp_f64 v[46:47], v[46:47], 1
	v_add_f64 v[48:49], v[50:51], -v[48:49]
	v_fma_f64 v[58:59], v[60:61], s[30:31], v[58:59]
	v_div_scale_f64 v[50:51], s[6:7], v[54:55], v[54:55], v[56:57]
	v_add_f64 v[46:47], v[46:47], v[48:49]
	v_add_f64 v[48:49], v[68:69], v[58:59]
	;; [unrolled: 1-line block ×3, first 2 shown]
	v_add_f64 v[68:69], v[48:49], -v[68:69]
	v_rcp_f64_e32 v[70:71], v[50:51]
	v_add_f64 v[72:73], v[48:49], v[60:61]
	v_add_f64 v[52:53], v[60:61], -v[52:53]
	v_add_f64 v[58:59], v[58:59], -v[68:69]
	;; [unrolled: 1-line block ×4, first 2 shown]
	v_fma_f64 v[76:77], -v[50:51], v[70:71], 1.0
	v_add_f64 v[78:79], v[72:73], -v[74:75]
	v_add_f64 v[52:53], v[60:61], -v[74:75]
	v_div_scale_f64 v[60:61], vcc, v[56:57], v[54:55], v[56:57]
	v_fma_f64 v[70:71], v[70:71], v[76:77], v[70:71]
	v_add_f64 v[74:75], v[58:59], v[46:47]
	v_add_f64 v[48:49], v[48:49], -v[78:79]
	v_fma_f64 v[68:69], -v[50:51], v[70:71], 1.0
	v_add_f64 v[48:49], v[52:53], v[48:49]
	v_fma_f64 v[52:53], v[70:71], v[68:69], v[70:71]
	v_add_f64 v[68:69], v[74:75], -v[58:59]
	v_add_f64 v[48:49], v[74:75], v[48:49]
	v_mul_f64 v[70:71], v[60:61], v[52:53]
	v_add_f64 v[74:75], v[74:75], -v[68:69]
	v_add_f64 v[46:47], v[46:47], -v[68:69]
	v_add_f64 v[76:77], v[72:73], v[48:49]
	v_fma_f64 v[50:51], -v[50:51], v[70:71], v[60:61]
	v_add_f64 v[58:59], v[58:59], -v[74:75]
	v_add_f64 v[60:61], v[76:77], -v[72:73]
	v_div_fmas_f64 v[50:51], v[50:51], v[52:53], v[70:71]
	v_add_f64 v[46:47], v[46:47], v[58:59]
	v_cmp_class_f64_e64 vcc, v[44:45], s77
	v_add_f64 v[48:49], v[48:49], -v[60:61]
	v_add_f64 v[46:47], v[46:47], v[48:49]
	v_div_fixup_f64 v[48:49], v[50:51], v[54:55], v[56:57]
	v_add_f64 v[46:47], v[76:77], v[46:47]
	v_fma_f64 v[42:43], v[42:43], 0.5, v[48:49]
	v_cndmask_b32_e32 v40, v46, v44, vcc
	v_cndmask_b32_e32 v46, v47, v45, vcc
	v_cmp_ngt_f64_e32 vcc, 0, v[44:45]
	v_cndmask_b32_e32 v47, v67, v46, vcc
	v_cmp_nge_f64_e32 vcc, 0, v[44:45]
	v_cndmask_b32_e32 v46, 0, v40, vcc
	v_cmp_neq_f64_e32 vcc, 0, v[44:45]
	v_cndmask_b32_e32 v47, v65, v47, vcc
	v_add_f64 v[42:43], v[42:43], v[46:47]
.LBB12_172:                             ;   in Loop: Header=BB12_162 Depth=1
	s_or_b64 exec, exec, s[0:1]
.LBB12_173:                             ;   in Loop: Header=BB12_162 Depth=1
	s_andn2_saveexec_b64 s[6:7], s[2:3]
	s_cbranch_execz .LBB12_187
; %bb.174:                              ;   in Loop: Header=BB12_162 Depth=1
	v_cmp_lt_u32_e32 vcc, s78, v41
                                        ; implicit-def: $vgpr40
                                        ; implicit-def: $vgpr44_vgpr45
	s_and_saveexec_b64 s[0:1], vcc
	s_xor_b64 s[0:1], exec, s[0:1]
	s_cbranch_execz .LBB12_176
; %bb.175:                              ;   in Loop: Header=BB12_162 Depth=1
	s_mov_b32 s2, 0x6356be3f
	s_mov_b32 s3, 0xbff762d8
	v_add_f64 v[42:43], -|v[6:7]|, 2.0
	v_add_f64 v[44:45], |v[6:7]|, s[2:3]
	v_add_f64 v[46:47], |v[6:7]|, -1.0
	v_cmp_gt_u32_e32 vcc, s79, v41
	v_cndmask_b32_e64 v40, 0, 1, vcc
	v_cndmask_b32_e32 v42, v42, v44, vcc
	v_cndmask_b32_e32 v43, v43, v45, vcc
	v_cmp_gt_u32_e32 vcc, s80, v41
	v_cndmask_b32_e32 v45, v43, v47, vcc
	v_cndmask_b32_e32 v44, v42, v46, vcc
	v_cndmask_b32_e64 v40, v40, 2, vcc
.LBB12_176:                             ;   in Loop: Header=BB12_162 Depth=1
	s_or_saveexec_b64 s[8:9], s[0:1]
	v_mov_b32_e32 v42, 0
	v_mov_b32_e32 v43, 0
	s_xor_b64 exec, exec, s[8:9]
	s_cbranch_execz .LBB12_178
; %bb.177:                              ;   in Loop: Header=BB12_162 Depth=1
	v_frexp_mant_f64_e64 v[42:43], |v[6:7]|
	s_mov_b32 s17, s63
	s_mov_b32 s0, 0x8d5af8fc
	;; [unrolled: 1-line block ×3, first 2 shown]
	v_cmp_gt_u32_e64 s[2:3], s81, v41
	v_cmp_gt_f64_e32 vcc, s[62:63], v[42:43]
	v_cndmask_b32_e64 v40, 0, 1, vcc
	v_ldexp_f64 v[42:43], v[42:43], v40
	v_frexp_exp_i32_f64_e32 v40, v[6:7]
	v_add_f64 v[44:45], v[42:43], 1.0
	v_add_f64 v[50:51], v[42:43], -1.0
	v_subbrev_co_u32_e32 v40, vcc, 0, v40, vcc
	v_cmp_neq_f64_e64 vcc, |v[6:7]|, s[64:65]
	v_rcp_f64_e32 v[46:47], v[44:45]
	v_add_f64 v[52:53], v[44:45], -1.0
	v_add_f64 v[42:43], v[42:43], -v[52:53]
	v_fma_f64 v[48:49], -v[44:45], v[46:47], 1.0
	v_fma_f64 v[46:47], v[48:49], v[46:47], v[46:47]
	v_fma_f64 v[48:49], -v[44:45], v[46:47], 1.0
	v_fma_f64 v[46:47], v[48:49], v[46:47], v[46:47]
	v_mul_f64 v[48:49], v[50:51], v[46:47]
	v_mul_f64 v[54:55], v[44:45], v[48:49]
	v_fma_f64 v[44:45], v[48:49], v[44:45], -v[54:55]
	v_fma_f64 v[42:43], v[48:49], v[42:43], v[44:45]
	v_add_f64 v[44:45], v[54:55], v[42:43]
	v_add_f64 v[52:53], v[50:51], -v[44:45]
	v_add_f64 v[54:55], v[44:45], -v[54:55]
	;; [unrolled: 1-line block ×5, first 2 shown]
	v_add_f64 v[42:43], v[42:43], v[44:45]
	v_add_f64 v[42:43], v[52:53], v[42:43]
	v_mul_f64 v[42:43], v[46:47], v[42:43]
	v_add_f64 v[44:45], v[48:49], v[42:43]
	v_mul_f64 v[46:47], v[44:45], v[44:45]
	v_fma_f64 v[50:51], v[46:47], s[18:19], v[10:11]
	v_mul_f64 v[52:53], v[44:45], v[46:47]
	v_fma_f64 v[50:51], v[46:47], v[50:51], s[20:21]
	v_fma_f64 v[50:51], v[46:47], v[50:51], s[22:23]
	v_fma_f64 v[50:51], v[46:47], v[50:51], s[24:25]
	v_fma_f64 v[50:51], v[46:47], v[50:51], s[26:27]
	v_fma_f64 v[46:47], v[46:47], v[50:51], s[16:17]
	v_ldexp_f64 v[50:51], v[44:45], 1
	v_add_f64 v[44:45], v[44:45], -v[48:49]
	v_mul_f64 v[46:47], v[52:53], v[46:47]
	v_cvt_f64_i32_e32 v[52:53], v40
	v_add_f64 v[42:43], v[42:43], -v[44:45]
	v_and_b32_e32 v40, 0x7fffffff, v7
	v_mul_f64 v[54:55], v[52:53], s[28:29]
	v_add_f64 v[48:49], v[50:51], v[46:47]
	v_ldexp_f64 v[42:43], v[42:43], 1
	v_add_f64 v[44:45], v[48:49], -v[50:51]
	v_fma_f64 v[50:51], v[52:53], s[28:29], -v[54:55]
	v_add_f64 v[44:45], v[46:47], -v[44:45]
	v_fma_f64 v[46:47], v[52:53], s[30:31], v[50:51]
	v_add_f64 v[42:43], v[42:43], v[44:45]
	v_add_f64 v[44:45], v[54:55], v[46:47]
	v_add_f64 v[50:51], v[48:49], v[42:43]
	v_add_f64 v[54:55], v[44:45], -v[54:55]
	v_add_f64 v[52:53], v[44:45], v[50:51]
	v_add_f64 v[48:49], v[50:51], -v[48:49]
	v_add_f64 v[46:47], v[46:47], -v[54:55]
	;; [unrolled: 1-line block ×6, first 2 shown]
	v_add_f64 v[50:51], v[46:47], v[42:43]
	v_add_f64 v[44:45], v[44:45], -v[58:59]
	v_add_f64 v[44:45], v[48:49], v[44:45]
	v_add_f64 v[48:49], v[50:51], -v[46:47]
	;; [unrolled: 2-line block ×3, first 2 shown]
	v_add_f64 v[42:43], v[42:43], -v[48:49]
	v_add_f64 v[54:55], v[52:53], v[44:45]
	v_add_f64 v[46:47], v[46:47], -v[50:51]
	v_add_f64 v[48:49], v[54:55], -v[52:53]
	v_add_f64 v[42:43], v[42:43], v[46:47]
	v_add_f64 v[46:47], |v[6:7]|, s[0:1]
	v_cmp_neq_f64_e64 s[0:1], 0, v[6:7]
	v_add_f64 v[44:45], v[44:45], -v[48:49]
	v_cndmask_b32_e64 v48, 0, 1, s[2:3]
	v_add_f64 v[42:43], v[42:43], v[44:45]
	v_add_f64 v[44:45], -|v[6:7]|, 1.0
	v_add_f64 v[42:43], v[54:55], v[42:43]
	v_cndmask_b32_e64 v44, v44, v46, s[2:3]
	v_cndmask_b32_e64 v45, v45, v47, s[2:3]
	v_cmp_gt_u32_e64 s[2:3], s82, v41
	v_cndmask_b32_e64 v45, v45, v40, s[2:3]
	v_cndmask_b32_e64 v44, v44, v6, s[2:3]
	;; [unrolled: 1-line block ×3, first 2 shown]
	v_xor_b32_e32 v43, 0x80000000, v43
	v_cndmask_b32_e32 v43, v65, v43, vcc
	s_and_b64 vcc, s[0:1], vcc
	v_cndmask_b32_e64 v43, v64, v43, s[0:1]
	v_cndmask_b32_e32 v42, 0, v42, vcc
.LBB12_178:                             ;   in Loop: Header=BB12_162 Depth=1
	s_or_b64 exec, exec, s[8:9]
	v_cmp_lt_i32_e32 vcc, 1, v40
                                        ; implicit-def: $vgpr48_vgpr49
	s_and_saveexec_b64 s[0:1], vcc
	s_xor_b64 s[0:1], exec, s[0:1]
	s_cbranch_execz .LBB12_180
; %bb.179:                              ;   in Loop: Header=BB12_162 Depth=1
	s_mov_b32 s2, 0xbf2bab09
	s_mov_b32 s3, 0x3f8b678b
	v_fma_f64 v[46:47], v[44:45], s[2:3], v[18:19]
	s_mov_b32 s2, 0x57d0cf61
	s_mov_b32 s3, 0x3f6a5abb
	v_fma_f64 v[48:49], v[44:45], s[2:3], v[20:21]
	s_mov_b32 s2, 0x44ea8450
	s_mov_b32 s3, 0x3fef4976
	;; [unrolled: 1-line block ×3, first 2 shown]
                                        ; implicit-def: $vgpr40
	v_fma_f64 v[46:47], v[44:45], v[46:47], s[2:3]
	s_mov_b32 s2, 0xe45050af
	s_mov_b32 s3, 0x3fe89dfb
	v_fma_f64 v[48:49], v[44:45], v[48:49], s[2:3]
	s_mov_b32 s2, 0xd119bd6f
	s_mov_b32 s3, 0x3ff7475c
	v_fma_f64 v[46:47], v[44:45], v[46:47], s[2:3]
	s_mov_b32 s2, 0xa42b18f5
	s_mov_b32 s3, 0x40010725
	v_fma_f64 v[48:49], v[44:45], v[48:49], s[2:3]
	s_mov_b32 s2, 0x8b005dff
	s_mov_b32 s3, 0x3fe4401e
	v_fma_f64 v[46:47], v[44:45], v[46:47], s[2:3]
	v_fma_f64 v[48:49], v[44:45], v[48:49], s[86:87]
	;; [unrolled: 1-line block ×3, first 2 shown]
	v_fma_f64 v[48:49], v[44:45], v[48:49], 1.0
	v_mul_f64 v[46:47], v[44:45], v[46:47]
	v_div_scale_f64 v[50:51], s[2:3], v[48:49], v[48:49], v[46:47]
	v_div_scale_f64 v[56:57], vcc, v[46:47], v[48:49], v[46:47]
	v_rcp_f64_e32 v[52:53], v[50:51]
	v_fma_f64 v[54:55], -v[50:51], v[52:53], 1.0
	v_fma_f64 v[52:53], v[52:53], v[54:55], v[52:53]
	v_fma_f64 v[54:55], -v[50:51], v[52:53], 1.0
	v_fma_f64 v[52:53], v[52:53], v[54:55], v[52:53]
	v_mul_f64 v[54:55], v[56:57], v[52:53]
	v_fma_f64 v[50:51], -v[50:51], v[54:55], v[56:57]
	v_div_fmas_f64 v[50:51], v[50:51], v[52:53], v[54:55]
	v_div_fixup_f64 v[46:47], v[50:51], v[48:49], v[46:47]
	v_fma_f64 v[48:49], v[44:45], -0.5, v[46:47]
                                        ; implicit-def: $vgpr44_vgpr45
.LBB12_180:                             ;   in Loop: Header=BB12_162 Depth=1
	s_andn2_saveexec_b64 s[0:1], s[0:1]
	s_cbranch_execz .LBB12_186
; %bb.181:                              ;   in Loop: Header=BB12_162 Depth=1
	v_mul_f64 v[46:47], v[44:45], v[44:45]
	v_cmp_ne_u32_e32 vcc, 1, v40
                                        ; implicit-def: $vgpr48_vgpr49
	s_and_saveexec_b64 s[2:3], vcc
	s_xor_b64 s[2:3], exec, s[2:3]
	s_cbranch_execz .LBB12_183
; %bb.182:                              ;   in Loop: Header=BB12_162 Depth=1
	s_mov_b32 s8, 0x90a45837
	s_mov_b32 s9, 0x3f07858e
	v_fma_f64 v[48:49], v[46:47], s[8:9], v[24:25]
	s_mov_b32 s8, 0x428cfa52
	s_mov_b32 s9, 0x3efa7074
	v_fma_f64 v[50:51], v[46:47], s[8:9], v[22:23]
	;; [unrolled: 3-line block ×9, first 2 shown]
	v_fma_f64 v[50:51], v[46:47], v[50:51], s[72:73]
	v_mul_f64 v[46:47], v[46:47], v[48:49]
	v_fma_f64 v[46:47], v[44:45], v[50:51], v[46:47]
	v_fma_f64 v[48:49], v[44:45], -0.5, v[46:47]
                                        ; implicit-def: $vgpr44_vgpr45
                                        ; implicit-def: $vgpr46_vgpr47
.LBB12_183:                             ;   in Loop: Header=BB12_162 Depth=1
	s_andn2_saveexec_b64 s[2:3], s[2:3]
	s_cbranch_execz .LBB12_185
; %bb.184:                              ;   in Loop: Header=BB12_162 Depth=1
	v_mul_f64 v[48:49], v[44:45], v[46:47]
	s_mov_b32 s8, 0xecc38c38
	s_mov_b32 s9, 0xbf347f24
	v_fma_f64 v[50:51], v[48:49], s[8:9], v[28:29]
	s_mov_b32 s8, 0xe8c2d3f4
	s_mov_b32 s9, 0x3f35fd3e
	v_fma_f64 v[52:53], v[48:49], s[8:9], v[30:31]
	;; [unrolled: 3-line block ×12, first 2 shown]
	v_fma_f64 v[50:51], v[48:49], v[54:55], s[8:9]
	s_mov_b32 s8, 0xa48a971f
	s_mov_b32 s9, 0xbc50c7ca
	v_fma_f64 v[44:45], v[48:49], -v[44:45], s[8:9]
	s_mov_b32 s8, 0xbcc38a42
	s_mov_b32 s9, 0xbfbf19b9
	v_fma_f64 v[44:45], v[46:47], v[50:51], -v[44:45]
	v_add_f64 v[48:49], v[44:45], s[8:9]
.LBB12_185:                             ;   in Loop: Header=BB12_162 Depth=1
	s_or_b64 exec, exec, s[2:3]
.LBB12_186:                             ;   in Loop: Header=BB12_162 Depth=1
	s_or_b64 exec, exec, s[0:1]
	v_add_f64 v[42:43], v[42:43], v[48:49]
.LBB12_187:                             ;   in Loop: Header=BB12_162 Depth=1
	s_or_b64 exec, exec, s[6:7]
.LBB12_188:                             ;   in Loop: Header=BB12_162 Depth=1
	s_andn2_saveexec_b64 s[2:3], s[4:5]
	s_cbranch_execz .LBB12_190
; %bb.189:                              ;   in Loop: Header=BB12_162 Depth=1
	v_frexp_mant_f64_e64 v[42:43], |v[6:7]|
	s_mov_b32 s17, s63
	v_cmp_neq_f64_e64 s[0:1], 0, v[6:7]
	v_cmp_gt_f64_e32 vcc, s[62:63], v[42:43]
	v_cndmask_b32_e64 v40, 0, 1, vcc
	v_ldexp_f64 v[42:43], v[42:43], v40
	v_frexp_exp_i32_f64_e32 v40, v[6:7]
	v_add_f64 v[44:45], v[42:43], 1.0
	v_add_f64 v[50:51], v[42:43], -1.0
	v_subbrev_co_u32_e32 v40, vcc, 0, v40, vcc
	v_cmp_neq_f64_e64 vcc, |v[6:7]|, s[64:65]
	v_rcp_f64_e32 v[46:47], v[44:45]
	v_add_f64 v[52:53], v[44:45], -1.0
	v_add_f64 v[42:43], v[42:43], -v[52:53]
	v_fma_f64 v[48:49], -v[44:45], v[46:47], 1.0
	v_fma_f64 v[46:47], v[48:49], v[46:47], v[46:47]
	v_fma_f64 v[48:49], -v[44:45], v[46:47], 1.0
	v_fma_f64 v[46:47], v[48:49], v[46:47], v[46:47]
	v_mul_f64 v[48:49], v[50:51], v[46:47]
	v_mul_f64 v[54:55], v[44:45], v[48:49]
	v_fma_f64 v[44:45], v[48:49], v[44:45], -v[54:55]
	v_fma_f64 v[42:43], v[48:49], v[42:43], v[44:45]
	v_add_f64 v[44:45], v[54:55], v[42:43]
	v_add_f64 v[52:53], v[50:51], -v[44:45]
	v_add_f64 v[54:55], v[44:45], -v[54:55]
	;; [unrolled: 1-line block ×5, first 2 shown]
	v_add_f64 v[42:43], v[42:43], v[44:45]
	v_add_f64 v[42:43], v[52:53], v[42:43]
	v_mul_f64 v[42:43], v[46:47], v[42:43]
	v_add_f64 v[44:45], v[48:49], v[42:43]
	v_mul_f64 v[46:47], v[44:45], v[44:45]
	v_fma_f64 v[50:51], v[46:47], s[18:19], v[10:11]
	v_mul_f64 v[52:53], v[44:45], v[46:47]
	v_fma_f64 v[50:51], v[46:47], v[50:51], s[20:21]
	v_fma_f64 v[50:51], v[46:47], v[50:51], s[22:23]
	;; [unrolled: 1-line block ×5, first 2 shown]
	v_ldexp_f64 v[50:51], v[44:45], 1
	v_add_f64 v[44:45], v[44:45], -v[48:49]
	v_mul_f64 v[46:47], v[52:53], v[46:47]
	v_cvt_f64_i32_e32 v[52:53], v40
	v_add_f64 v[42:43], v[42:43], -v[44:45]
	v_mul_f64 v[54:55], v[52:53], s[28:29]
	v_add_f64 v[48:49], v[50:51], v[46:47]
	v_ldexp_f64 v[42:43], v[42:43], 1
	v_add_f64 v[44:45], v[48:49], -v[50:51]
	v_fma_f64 v[50:51], v[52:53], s[28:29], -v[54:55]
	v_add_f64 v[44:45], v[46:47], -v[44:45]
	v_fma_f64 v[46:47], v[52:53], s[30:31], v[50:51]
	v_add_f64 v[42:43], v[42:43], v[44:45]
	v_add_f64 v[44:45], v[54:55], v[46:47]
	;; [unrolled: 1-line block ×3, first 2 shown]
	v_add_f64 v[54:55], v[44:45], -v[54:55]
	v_add_f64 v[52:53], v[44:45], v[50:51]
	v_add_f64 v[48:49], v[50:51], -v[48:49]
	v_add_f64 v[46:47], v[46:47], -v[54:55]
	v_add_f64 v[56:57], v[52:53], -v[44:45]
	v_add_f64 v[42:43], v[42:43], -v[48:49]
	v_add_f64 v[58:59], v[52:53], -v[56:57]
	v_add_f64 v[48:49], v[50:51], -v[56:57]
	v_add_f64 v[50:51], v[46:47], v[42:43]
	v_add_f64 v[44:45], v[44:45], -v[58:59]
	v_add_f64 v[44:45], v[48:49], v[44:45]
	v_add_f64 v[48:49], v[50:51], -v[46:47]
	;; [unrolled: 2-line block ×3, first 2 shown]
	v_add_f64 v[42:43], v[42:43], -v[48:49]
	v_add_f64 v[54:55], v[52:53], v[44:45]
	v_add_f64 v[46:47], v[46:47], -v[50:51]
	v_add_f64 v[48:49], v[54:55], -v[52:53]
	v_add_f64 v[42:43], v[42:43], v[46:47]
	v_fma_f64 v[46:47], |v[6:7]|, s[94:95], v[32:33]
	v_add_f64 v[44:45], v[44:45], -v[48:49]
	v_add_f64 v[42:43], v[42:43], v[44:45]
	v_fma_f64 v[44:45], |v[6:7]|, v[46:47], s[34:35]
	v_add_f64 v[42:43], v[54:55], v[42:43]
	v_fma_f64 v[44:45], |v[6:7]|, v[44:45], s[36:37]
	v_xor_b32_e32 v40, 0x80000000, v43
	v_fma_f64 v[43:44], |v[6:7]|, v[44:45], s[38:39]
	v_cndmask_b32_e32 v40, v65, v40, vcc
	s_and_b64 vcc, s[0:1], vcc
	v_cndmask_b32_e64 v46, v64, v40, s[0:1]
	v_cndmask_b32_e32 v45, 0, v42, vcc
	v_fma_f64 v[42:43], |v[6:7]|, v[43:44], v[45:46]
.LBB12_190:                             ;   in Loop: Header=BB12_162 Depth=1
	s_or_b64 exec, exec, s[2:3]
	v_cmp_le_f64_e32 vcc, 0, v[6:7]
	s_and_saveexec_b64 s[0:1], vcc
	s_xor_b64 s[2:3], exec, s[0:1]
	s_cbranch_execz .LBB12_192
; %bb.191:                              ;   in Loop: Header=BB12_162 Depth=1
	v_cmp_eq_f64_e32 vcc, 1.0, v[6:7]
	v_cmp_eq_f64_e64 s[0:1], 2.0, v[6:7]
	s_or_b64 s[0:1], vcc, s[0:1]
	v_cndmask_b32_e64 v43, v43, 0, s[0:1]
	v_cndmask_b32_e64 v42, v42, 0, s[0:1]
.LBB12_192:                             ;   in Loop: Header=BB12_162 Depth=1
	s_andn2_saveexec_b64 s[2:3], s[2:3]
	s_cbranch_execz .LBB12_196
; %bb.193:                              ;   in Loop: Header=BB12_162 Depth=1
	v_add_u32_e32 v40, 0xc32fffff, v41
	v_cmp_gt_u32_e32 vcc, s83, v40
	s_and_saveexec_b64 s[4:5], vcc
	s_cbranch_execz .LBB12_195
; %bb.194:                              ;   in Loop: Header=BB12_162 Depth=1
	v_mul_f64 v[44:45], |v[6:7]|, 0.5
	v_and_b32_e32 v40, 0x7fffffff, v7
	v_cmp_class_f64_e64 s[0:1], v[6:7], s84
	s_mov_b32 s17, s63
	v_cmp_class_f64_e64 s[6:7], v[6:7], s77
	v_fract_f64_e32 v[46:47], v[44:45]
	v_cmp_neq_f64_e64 vcc, |v[44:45]|, s[64:65]
	v_add_f64 v[46:47], v[46:47], v[46:47]
	v_cndmask_b32_e32 v44, 0, v46, vcc
	v_cndmask_b32_e32 v45, 0, v47, vcc
	v_cmp_gt_f64_e64 vcc, |v[6:7]|, 1.0
	v_cndmask_b32_e32 v45, v40, v45, vcc
	v_cndmask_b32_e32 v44, v6, v44, vcc
	v_add_f64 v[46:47], v[44:45], v[44:45]
	v_rndne_f64_e32 v[46:47], v[46:47]
	v_fma_f64 v[44:45], v[46:47], -0.5, v[44:45]
	v_cvt_i32_f64_e32 v40, v[46:47]
	v_and_b32_e32 v46, 1, v40
	v_lshlrev_b32_e32 v40, 30, v40
	v_cmp_eq_u32_e32 vcc, 0, v46
	v_mul_f64 v[48:49], v[44:45], v[44:45]
	v_xor_b32_e32 v40, v40, v7
	v_and_b32_e32 v40, 0x80000000, v40
	v_fma_f64 v[50:51], v[48:49], s[40:41], v[34:35]
	v_fma_f64 v[52:53], v[48:49], s[46:47], v[36:37]
	v_mul_f64 v[54:55], v[44:45], v[48:49]
	v_fma_f64 v[50:51], v[48:49], v[50:51], s[42:43]
	v_fma_f64 v[52:53], v[48:49], v[52:53], s[48:49]
	;; [unrolled: 1-line block ×8, first 2 shown]
	v_mul_f64 v[50:51], v[54:55], v[50:51]
	v_fma_f64 v[52:53], v[48:49], v[52:53], s[58:59]
	v_fma_f64 v[44:45], v[44:45], s[92:93], v[50:51]
	v_fma_f64 v[48:49], v[48:49], v[52:53], 1.0
	v_cndmask_b32_e32 v45, v49, v45, vcc
	v_cndmask_b32_e32 v44, v48, v44, vcc
	v_xor_b32_e32 v40, v45, v40
	v_cndmask_b32_e64 v44, 0, v44, s[0:1]
	v_cndmask_b32_e64 v45, v67, v40, s[0:1]
	v_mul_f64 v[44:45], v[6:7], v[44:45]
	v_and_b32_e32 v47, 0x7fffffff, v45
	v_mov_b32_e32 v46, v44
	v_div_scale_f64 v[48:49], s[0:1], v[46:47], v[46:47], s[92:93]
	v_div_scale_f64 v[46:47], vcc, s[92:93], v[46:47], s[92:93]
	v_rcp_f64_e32 v[50:51], v[48:49]
	v_fma_f64 v[52:53], -v[48:49], v[50:51], 1.0
	v_fma_f64 v[50:51], v[50:51], v[52:53], v[50:51]
	v_fma_f64 v[52:53], -v[48:49], v[50:51], 1.0
	v_fma_f64 v[50:51], v[50:51], v[52:53], v[50:51]
	v_mul_f64 v[52:53], v[46:47], v[50:51]
	v_fma_f64 v[46:47], -v[48:49], v[52:53], v[46:47]
	v_div_fmas_f64 v[46:47], v[46:47], v[50:51], v[52:53]
	v_div_fixup_f64 v[44:45], v[46:47], |v[44:45]|, s[92:93]
	v_frexp_mant_f64_e32 v[46:47], v[44:45]
	v_cmp_gt_f64_e32 vcc, s[62:63], v[46:47]
	v_cndmask_b32_e64 v40, 0, 1, vcc
	v_ldexp_f64 v[46:47], v[46:47], v40
	v_frexp_exp_i32_f64_e32 v40, v[44:45]
	v_add_f64 v[48:49], v[46:47], 1.0
	v_add_f64 v[54:55], v[46:47], -1.0
	v_subbrev_co_u32_e32 v40, vcc, 0, v40, vcc
	v_cmp_class_f64_e64 vcc, v[44:45], s77
	v_rcp_f64_e32 v[50:51], v[48:49]
	v_add_f64 v[56:57], v[48:49], -1.0
	v_add_f64 v[46:47], v[46:47], -v[56:57]
	v_fma_f64 v[52:53], -v[48:49], v[50:51], 1.0
	v_fma_f64 v[50:51], v[52:53], v[50:51], v[50:51]
	v_fma_f64 v[52:53], -v[48:49], v[50:51], 1.0
	v_fma_f64 v[50:51], v[52:53], v[50:51], v[50:51]
	v_mul_f64 v[52:53], v[54:55], v[50:51]
	v_mul_f64 v[58:59], v[48:49], v[52:53]
	v_fma_f64 v[48:49], v[52:53], v[48:49], -v[58:59]
	v_fma_f64 v[46:47], v[52:53], v[46:47], v[48:49]
	v_add_f64 v[48:49], v[58:59], v[46:47]
	v_add_f64 v[56:57], v[54:55], -v[48:49]
	v_add_f64 v[58:59], v[48:49], -v[58:59]
	;; [unrolled: 1-line block ×5, first 2 shown]
	v_add_f64 v[46:47], v[46:47], v[48:49]
	v_add_f64 v[46:47], v[56:57], v[46:47]
	v_mul_f64 v[46:47], v[50:51], v[46:47]
	v_add_f64 v[48:49], v[52:53], v[46:47]
	v_mul_f64 v[50:51], v[48:49], v[48:49]
	v_fma_f64 v[54:55], v[50:51], s[18:19], v[10:11]
	v_mul_f64 v[56:57], v[48:49], v[50:51]
	v_fma_f64 v[54:55], v[50:51], v[54:55], s[20:21]
	v_fma_f64 v[54:55], v[50:51], v[54:55], s[22:23]
	v_fma_f64 v[54:55], v[50:51], v[54:55], s[24:25]
	v_fma_f64 v[54:55], v[50:51], v[54:55], s[26:27]
	v_fma_f64 v[50:51], v[50:51], v[54:55], s[16:17]
	v_ldexp_f64 v[54:55], v[48:49], 1
	v_add_f64 v[48:49], v[48:49], -v[52:53]
	v_mul_f64 v[50:51], v[56:57], v[50:51]
	v_cvt_f64_i32_e32 v[56:57], v40
	v_add_f64 v[46:47], v[46:47], -v[48:49]
	v_mul_f64 v[58:59], v[56:57], s[28:29]
	v_add_f64 v[52:53], v[54:55], v[50:51]
	v_ldexp_f64 v[46:47], v[46:47], 1
	v_add_f64 v[48:49], v[52:53], -v[54:55]
	v_fma_f64 v[54:55], v[56:57], s[28:29], -v[58:59]
	v_add_f64 v[48:49], v[50:51], -v[48:49]
	v_fma_f64 v[50:51], v[56:57], s[30:31], v[54:55]
	v_add_f64 v[46:47], v[46:47], v[48:49]
	v_add_f64 v[48:49], v[58:59], v[50:51]
	;; [unrolled: 1-line block ×3, first 2 shown]
	v_add_f64 v[58:59], v[48:49], -v[58:59]
	v_add_f64 v[56:57], v[48:49], v[54:55]
	v_add_f64 v[52:53], v[54:55], -v[52:53]
	v_add_f64 v[50:51], v[50:51], -v[58:59]
	;; [unrolled: 1-line block ×6, first 2 shown]
	v_add_f64 v[54:55], v[50:51], v[46:47]
	v_add_f64 v[48:49], v[48:49], -v[68:69]
	v_add_f64 v[48:49], v[52:53], v[48:49]
	v_add_f64 v[52:53], v[54:55], -v[50:51]
	;; [unrolled: 2-line block ×3, first 2 shown]
	v_add_f64 v[46:47], v[46:47], -v[52:53]
	v_add_f64 v[58:59], v[56:57], v[48:49]
	v_add_f64 v[50:51], v[50:51], -v[54:55]
	v_add_f64 v[52:53], v[58:59], -v[56:57]
	v_add_f64 v[46:47], v[46:47], v[50:51]
	v_add_f64 v[48:49], v[48:49], -v[52:53]
	v_add_f64 v[46:47], v[46:47], v[48:49]
	v_fract_f64_e32 v[48:49], v[6:7]
	v_add_f64 v[46:47], v[58:59], v[46:47]
	v_cmp_eq_f64_e64 s[0:1], 0, v[48:49]
	v_cndmask_b32_e32 v40, v46, v44, vcc
	v_cndmask_b32_e32 v46, v47, v45, vcc
	v_cmp_neq_f64_e32 vcc, 0, v[44:45]
	v_cndmask_b32_e32 v45, v65, v46, vcc
	v_cndmask_b32_e32 v44, 0, v40, vcc
	v_add_f64 v[42:43], v[44:45], -v[42:43]
	s_or_b64 vcc, s[6:7], s[0:1]
	v_cndmask_b32_e32 v43, v43, v64, vcc
	v_cndmask_b32_e64 v42, v42, 0, vcc
.LBB12_195:                             ;   in Loop: Header=BB12_162 Depth=1
	s_or_b64 exec, exec, s[4:5]
.LBB12_196:                             ;   in Loop: Header=BB12_162 Depth=1
	s_or_b64 exec, exec, s[2:3]
	v_and_b32_e32 v45, 0x7fffffff, v9
	v_mov_b32_e32 v44, v8
	v_cmp_lt_u32_e32 vcc, s33, v45
                                        ; implicit-def: $vgpr46_vgpr47
	s_and_saveexec_b64 s[0:1], vcc
	s_xor_b64 s[4:5], exec, s[0:1]
	s_cbranch_execz .LBB12_222
; %bb.197:                              ;   in Loop: Header=BB12_162 Depth=1
	v_cmp_lt_u32_e32 vcc, s74, v45
                                        ; implicit-def: $vgpr46_vgpr47
	s_and_saveexec_b64 s[0:1], vcc
	s_xor_b64 s[2:3], exec, s[0:1]
	s_cbranch_execz .LBB12_207
; %bb.198:                              ;   in Loop: Header=BB12_162 Depth=1
	;; [unrolled: 6-line block ×4, first 2 shown]
	v_frexp_mant_f64_e64 v[46:47], |v[8:9]|
	s_mov_b32 s17, s63
	v_cmp_neq_f64_e64 s[0:1], 0, v[8:9]
	v_cmp_gt_f64_e32 vcc, s[62:63], v[46:47]
	v_cndmask_b32_e64 v40, 0, 1, vcc
	v_ldexp_f64 v[46:47], v[46:47], v40
	v_frexp_exp_i32_f64_e32 v40, v[8:9]
	v_add_f64 v[48:49], v[46:47], 1.0
	v_add_f64 v[54:55], v[46:47], -1.0
	v_subbrev_co_u32_e32 v40, vcc, 0, v40, vcc
	v_cmp_neq_f64_e64 vcc, |v[8:9]|, s[64:65]
	v_rcp_f64_e32 v[50:51], v[48:49]
	v_add_f64 v[56:57], v[48:49], -1.0
	v_add_f64 v[46:47], v[46:47], -v[56:57]
	v_fma_f64 v[52:53], -v[48:49], v[50:51], 1.0
	v_fma_f64 v[50:51], v[52:53], v[50:51], v[50:51]
	v_fma_f64 v[52:53], -v[48:49], v[50:51], 1.0
	v_fma_f64 v[50:51], v[52:53], v[50:51], v[50:51]
	v_mul_f64 v[52:53], v[54:55], v[50:51]
	v_mul_f64 v[58:59], v[48:49], v[52:53]
	v_fma_f64 v[48:49], v[52:53], v[48:49], -v[58:59]
	v_fma_f64 v[46:47], v[52:53], v[46:47], v[48:49]
	v_add_f64 v[48:49], v[58:59], v[46:47]
	v_add_f64 v[56:57], v[54:55], -v[48:49]
	v_add_f64 v[58:59], v[48:49], -v[58:59]
	;; [unrolled: 1-line block ×5, first 2 shown]
	v_add_f64 v[46:47], v[46:47], v[48:49]
	v_add_f64 v[46:47], v[56:57], v[46:47]
	v_mul_f64 v[46:47], v[50:51], v[46:47]
	v_add_f64 v[48:49], v[52:53], v[46:47]
	v_mul_f64 v[50:51], v[48:49], v[48:49]
	v_fma_f64 v[54:55], v[50:51], s[18:19], v[10:11]
	v_mul_f64 v[56:57], v[48:49], v[50:51]
	v_fma_f64 v[54:55], v[50:51], v[54:55], s[20:21]
	v_fma_f64 v[54:55], v[50:51], v[54:55], s[22:23]
	;; [unrolled: 1-line block ×5, first 2 shown]
	v_ldexp_f64 v[54:55], v[48:49], 1
	v_add_f64 v[48:49], v[48:49], -v[52:53]
	v_mul_f64 v[50:51], v[56:57], v[50:51]
	v_cvt_f64_i32_e32 v[56:57], v40
	v_add_f64 v[46:47], v[46:47], -v[48:49]
	v_mul_f64 v[58:59], v[56:57], s[28:29]
	v_add_f64 v[52:53], v[54:55], v[50:51]
	v_ldexp_f64 v[46:47], v[46:47], 1
	v_add_f64 v[48:49], v[52:53], -v[54:55]
	v_fma_f64 v[54:55], v[56:57], s[28:29], -v[58:59]
	v_add_f64 v[48:49], v[50:51], -v[48:49]
	v_fma_f64 v[50:51], v[56:57], s[30:31], v[54:55]
	v_add_f64 v[46:47], v[46:47], v[48:49]
	v_add_f64 v[48:49], v[58:59], v[50:51]
	;; [unrolled: 1-line block ×3, first 2 shown]
	v_add_f64 v[58:59], v[48:49], -v[58:59]
	v_add_f64 v[56:57], v[48:49], v[54:55]
	v_add_f64 v[52:53], v[54:55], -v[52:53]
	v_add_f64 v[50:51], v[50:51], -v[58:59]
	;; [unrolled: 1-line block ×6, first 2 shown]
	v_add_f64 v[54:55], v[50:51], v[46:47]
	v_add_f64 v[48:49], v[48:49], -v[68:69]
	v_add_f64 v[48:49], v[52:53], v[48:49]
	v_add_f64 v[52:53], v[54:55], -v[50:51]
	;; [unrolled: 2-line block ×3, first 2 shown]
	v_add_f64 v[46:47], v[46:47], -v[52:53]
	v_add_f64 v[58:59], v[56:57], v[48:49]
	v_add_f64 v[50:51], v[50:51], -v[54:55]
	v_add_f64 v[52:53], v[58:59], -v[56:57]
	v_add_f64 v[46:47], v[46:47], v[50:51]
	v_add_f64 v[48:49], v[48:49], -v[52:53]
	v_add_f64 v[46:47], v[46:47], v[48:49]
	v_add_f64 v[46:47], v[58:59], v[46:47]
	v_cndmask_b32_e32 v40, v64, v47, vcc
	s_and_b64 vcc, s[0:1], vcc
	v_cndmask_b32_e64 v47, v65, v40, s[0:1]
	v_cndmask_b32_e32 v46, 0, v46, vcc
	v_fma_f64 v[46:47], |v[8:9]|, v[46:47], -|v[8:9]|
.LBB12_201:                             ;   in Loop: Header=BB12_162 Depth=1
	s_andn2_saveexec_b64 s[8:9], s[8:9]
	s_cbranch_execz .LBB12_203
; %bb.202:                              ;   in Loop: Header=BB12_162 Depth=1
	v_frexp_mant_f64_e64 v[46:47], |v[8:9]|
	s_mov_b32 s17, s63
	s_mov_b32 s10, 0x90c97d69
	;; [unrolled: 1-line block ×3, first 2 shown]
	v_cmp_gt_f64_e32 vcc, s[62:63], v[46:47]
	v_cndmask_b32_e64 v40, 0, 1, vcc
	v_ldexp_f64 v[46:47], v[46:47], v40
	v_frexp_exp_i32_f64_e32 v40, v[8:9]
	v_add_f64 v[48:49], v[46:47], 1.0
	v_add_f64 v[54:55], v[46:47], -1.0
	v_subbrev_co_u32_e32 v40, vcc, 0, v40, vcc
	v_rcp_f64_e32 v[50:51], v[48:49]
	v_add_f64 v[56:57], v[48:49], -1.0
	v_add_f64 v[46:47], v[46:47], -v[56:57]
	v_fma_f64 v[52:53], -v[48:49], v[50:51], 1.0
	v_fma_f64 v[50:51], v[52:53], v[50:51], v[50:51]
	v_fma_f64 v[52:53], -v[48:49], v[50:51], 1.0
	v_fma_f64 v[50:51], v[52:53], v[50:51], v[50:51]
	v_mul_f64 v[52:53], v[54:55], v[50:51]
	v_mul_f64 v[58:59], v[48:49], v[52:53]
	v_fma_f64 v[48:49], v[52:53], v[48:49], -v[58:59]
	v_fma_f64 v[46:47], v[52:53], v[46:47], v[48:49]
	v_add_f64 v[48:49], v[58:59], v[46:47]
	v_add_f64 v[56:57], v[54:55], -v[48:49]
	v_add_f64 v[58:59], v[48:49], -v[58:59]
	;; [unrolled: 1-line block ×5, first 2 shown]
	v_add_f64 v[46:47], v[46:47], v[48:49]
	v_add_f64 v[46:47], v[56:57], v[46:47]
	v_mul_f64 v[46:47], v[50:51], v[46:47]
	v_add_f64 v[48:49], v[52:53], v[46:47]
	v_mul_f64 v[50:51], v[48:49], v[48:49]
	v_ldexp_f64 v[60:61], v[48:49], 1
	v_fma_f64 v[54:55], v[50:51], s[18:19], v[10:11]
	v_mul_f64 v[56:57], v[48:49], v[50:51]
	v_add_f64 v[48:49], v[48:49], -v[52:53]
	v_fma_f64 v[54:55], v[50:51], v[54:55], s[20:21]
	v_add_f64 v[46:47], v[46:47], -v[48:49]
	v_fma_f64 v[54:55], v[50:51], v[54:55], s[22:23]
	v_ldexp_f64 v[46:47], v[46:47], 1
	v_fma_f64 v[54:55], v[50:51], v[54:55], s[24:25]
	v_fma_f64 v[54:55], v[50:51], v[54:55], s[26:27]
	;; [unrolled: 1-line block ×3, first 2 shown]
	v_and_b32_e32 v55, 0x7fffffff, v9
	v_mov_b32_e32 v54, v8
	v_div_scale_f64 v[58:59], s[0:1], v[54:55], v[54:55], 1.0
	v_div_scale_f64 v[54:55], vcc, 1.0, v[54:55], 1.0
	s_mov_b32 s0, 0xb9e43e4
	v_mul_f64 v[50:51], v[56:57], v[50:51]
	v_cvt_f64_i32_e32 v[56:57], v40
	s_mov_b32 s1, 0xbf5ab89d
	v_mul_f64 v[70:71], v[56:57], s[28:29]
	v_add_f64 v[52:53], v[60:61], v[50:51]
	v_rcp_f64_e32 v[68:69], v[58:59]
	v_add_f64 v[48:49], v[52:53], -v[60:61]
	v_fma_f64 v[60:61], v[56:57], s[28:29], -v[70:71]
	v_add_f64 v[48:49], v[50:51], -v[48:49]
	v_fma_f64 v[56:57], v[56:57], s[30:31], v[60:61]
	v_fma_f64 v[50:51], -v[58:59], v[68:69], 1.0
	v_add_f64 v[46:47], v[46:47], v[48:49]
	v_fma_f64 v[48:49], v[68:69], v[50:51], v[68:69]
	v_add_f64 v[50:51], v[70:71], v[56:57]
	v_add_f64 v[60:61], v[52:53], v[46:47]
	v_fma_f64 v[68:69], -v[58:59], v[48:49], 1.0
	v_add_f64 v[70:71], v[50:51], -v[70:71]
	v_add_f64 v[72:73], v[50:51], v[60:61]
	v_add_f64 v[52:53], v[60:61], -v[52:53]
	v_fma_f64 v[48:49], v[48:49], v[68:69], v[48:49]
	v_add_f64 v[56:57], v[56:57], -v[70:71]
	v_add_f64 v[68:69], v[72:73], -v[50:51]
	;; [unrolled: 1-line block ×3, first 2 shown]
	v_mul_f64 v[74:75], v[54:55], v[48:49]
	v_add_f64 v[76:77], v[72:73], -v[68:69]
	v_add_f64 v[52:53], v[60:61], -v[68:69]
	v_fma_f64 v[54:55], -v[58:59], v[74:75], v[54:55]
	v_add_f64 v[50:51], v[50:51], -v[76:77]
	v_div_fmas_f64 v[48:49], v[54:55], v[48:49], v[74:75]
	v_add_f64 v[54:55], v[56:57], v[46:47]
	v_cmp_neq_f64_e64 vcc, |v[8:9]|, s[64:65]
	v_add_f64 v[50:51], v[52:53], v[50:51]
	v_add_f64 v[52:53], v[54:55], -v[56:57]
	v_add_f64 v[50:51], v[54:55], v[50:51]
	v_div_fixup_f64 v[48:49], v[48:49], |v[8:9]|, 1.0
	v_add_f64 v[54:55], v[54:55], -v[52:53]
	v_add_f64 v[46:47], v[46:47], -v[52:53]
	v_add_f64 v[58:59], v[72:73], v[50:51]
	v_mul_f64 v[60:61], v[48:49], v[48:49]
	v_add_f64 v[52:53], v[56:57], -v[54:55]
	v_add_f64 v[54:55], v[58:59], -v[72:73]
	v_fma_f64 v[56:57], v[60:61], s[0:1], v[12:13]
	s_mov_b32 s0, 0x8c0fe741
	s_mov_b32 s1, 0xbf4380cb
	v_add_f64 v[46:47], v[46:47], v[52:53]
	v_add_f64 v[50:51], v[50:51], -v[54:55]
	v_fma_f64 v[52:53], v[60:61], v[56:57], s[0:1]
	s_mov_b32 s0, 0x98cf38b6
	s_mov_b32 s1, 0x3f4a019f
	v_add_f64 v[46:47], v[46:47], v[50:51]
	v_fma_f64 v[50:51], v[60:61], v[52:53], s[0:1]
	s_mov_b32 s0, 0x16b02e5c
	s_mov_b32 s1, 0xbf66c16c
	v_add_f64 v[52:53], |v[8:9]|, -0.5
	v_add_f64 v[46:47], v[58:59], v[46:47]
	v_fma_f64 v[50:51], v[60:61], v[50:51], s[0:1]
	s_mov_b32 s0, 0x5555553b
	s_mov_b32 s1, 0x3fb55555
	v_add_f64 v[46:47], v[46:47], -1.0
	v_fma_f64 v[50:51], v[60:61], v[50:51], s[0:1]
	v_cmp_neq_f64_e64 s[0:1], 0, v[8:9]
	v_cndmask_b32_e32 v40, v64, v47, vcc
	v_fma_f64 v[47:48], v[48:49], v[50:51], s[10:11]
	s_and_b64 vcc, s[0:1], vcc
	v_cndmask_b32_e64 v50, v65, v40, s[0:1]
	v_cndmask_b32_e32 v49, 0, v46, vcc
	v_fma_f64 v[46:47], v[52:53], v[49:50], v[47:48]
.LBB12_203:                             ;   in Loop: Header=BB12_162 Depth=1
	s_or_b64 exec, exec, s[8:9]
.LBB12_204:                             ;   in Loop: Header=BB12_162 Depth=1
	s_andn2_saveexec_b64 s[0:1], s[6:7]
	s_cbranch_execz .LBB12_206
; %bb.205:                              ;   in Loop: Header=BB12_162 Depth=1
	v_cvt_i32_f64_e32 v40, v[44:45]
	s_mov_b32 s6, 0xdd17e945
	s_mov_b32 s7, 0x3f00bfec
	;; [unrolled: 1-line block ×3, first 2 shown]
	v_cvt_f64_i32_e32 v[46:47], v40
	v_cmp_lt_i32_e32 vcc, 2, v40
	s_mov_b32 s56, s72
	v_add_f64 v[46:47], |v[8:9]|, -v[46:47]
	v_add_f64 v[48:49], v[46:47], 2.0
	v_add_f64 v[50:51], v[46:47], s[66:67]
	v_add_f64 v[52:53], v[46:47], 4.0
	v_cndmask_b32_e32 v49, v66, v49, vcc
	v_cndmask_b32_e32 v48, 0, v48, vcc
	v_cmp_lt_i32_e32 vcc, 3, v40
	v_cndmask_b32_e32 v51, v66, v51, vcc
	v_cndmask_b32_e32 v50, 0, v50, vcc
	v_mul_f64 v[48:49], v[48:49], v[50:51]
	v_cmp_lt_i32_e32 vcc, 4, v40
	v_add_f64 v[50:51], v[46:47], s[68:69]
	v_cndmask_b32_e32 v53, v66, v53, vcc
	v_cndmask_b32_e32 v52, 0, v52, vcc
	v_cmp_lt_i32_e32 vcc, 5, v40
	v_mul_f64 v[48:49], v[52:53], v[48:49]
	v_add_f64 v[52:53], v[46:47], s[70:71]
	v_cndmask_b32_e32 v51, v66, v51, vcc
	v_cndmask_b32_e32 v50, 0, v50, vcc
	v_cmp_lt_i32_e32 vcc, 6, v40
	v_mul_f64 v[48:49], v[50:51], v[48:49]
	v_cndmask_b32_e32 v51, v66, v53, vcc
	v_cndmask_b32_e32 v50, 0, v52, vcc
	v_mul_f64 v[48:49], v[50:51], v[48:49]
	v_frexp_mant_f64_e32 v[50:51], v[48:49]
	v_cmp_gt_f64_e32 vcc, s[62:63], v[50:51]
	v_cndmask_b32_e64 v40, 0, 1, vcc
	v_ldexp_f64 v[50:51], v[50:51], v40
	v_frexp_exp_i32_f64_e32 v40, v[48:49]
	v_add_f64 v[52:53], v[50:51], 1.0
	v_add_f64 v[58:59], v[50:51], -1.0
	v_subbrev_co_u32_e32 v40, vcc, 0, v40, vcc
	v_rcp_f64_e32 v[54:55], v[52:53]
	v_add_f64 v[60:61], v[52:53], -1.0
	v_add_f64 v[50:51], v[50:51], -v[60:61]
	v_fma_f64 v[56:57], -v[52:53], v[54:55], 1.0
	v_fma_f64 v[54:55], v[56:57], v[54:55], v[54:55]
	v_fma_f64 v[56:57], -v[52:53], v[54:55], 1.0
	v_fma_f64 v[54:55], v[56:57], v[54:55], v[54:55]
	v_mul_f64 v[56:57], v[58:59], v[54:55]
	v_mul_f64 v[68:69], v[52:53], v[56:57]
	v_fma_f64 v[52:53], v[56:57], v[52:53], -v[68:69]
	v_fma_f64 v[50:51], v[56:57], v[50:51], v[52:53]
	v_add_f64 v[52:53], v[68:69], v[50:51]
	v_add_f64 v[60:61], v[58:59], -v[52:53]
	v_add_f64 v[68:69], v[52:53], -v[68:69]
	;; [unrolled: 1-line block ×5, first 2 shown]
	v_add_f64 v[50:51], v[50:51], v[52:53]
	v_add_f64 v[50:51], v[60:61], v[50:51]
	v_fma_f64 v[60:61], v[46:47], s[6:7], v[14:15]
	s_mov_b32 s6, 0xa5b38140
	s_mov_b32 s7, 0x3edebaf7
	v_fma_f64 v[68:69], v[46:47], s[6:7], v[16:17]
	s_mov_b32 s6, 0x7e939961
	s_mov_b32 s7, 0x3f9b481c
	v_mul_f64 v[50:51], v[54:55], v[50:51]
	v_fma_f64 v[60:61], v[46:47], v[60:61], s[6:7]
	s_mov_b32 s6, 0x742ed475
	s_mov_b32 s7, 0x3f9317ea
	v_fma_f64 v[68:69], v[46:47], v[68:69], s[6:7]
	s_mov_b32 s6, 0xbee5f2f7
	s_mov_b32 s7, 0x3fc2bb9c
	v_add_f64 v[52:53], v[56:57], v[50:51]
	v_fma_f64 v[60:61], v[46:47], v[60:61], s[6:7]
	s_mov_b32 s6, 0xccfbdf27
	s_mov_b32 s7, 0x3fc601ed
	v_mul_f64 v[54:55], v[52:53], v[52:53]
	v_fma_f64 v[58:59], v[54:55], s[18:19], v[10:11]
	v_mul_f64 v[70:71], v[52:53], v[54:55]
	v_fma_f64 v[58:59], v[54:55], v[58:59], s[20:21]
	v_fma_f64 v[58:59], v[54:55], v[58:59], s[22:23]
	;; [unrolled: 1-line block ×6, first 2 shown]
	s_mov_b32 s6, 0x4f139f59
	s_mov_b32 s7, 0x3fd4d98f
	v_fma_f64 v[60:61], v[46:47], v[60:61], s[6:7]
	v_ldexp_f64 v[68:69], v[52:53], 1
	s_mov_b32 s6, 0x93d3dcdc
	s_mov_b32 s7, 0x3fe71a18
	v_mul_f64 v[54:55], v[70:71], v[54:55]
	v_fma_f64 v[58:59], v[46:47], v[58:59], s[6:7]
	s_mov_b32 s6, 0x36e20878
	s_mov_b32 s7, 0x3fcb848b
	v_fma_f64 v[60:61], v[46:47], v[60:61], s[6:7]
	v_add_f64 v[52:53], v[52:53], -v[56:57]
	v_cvt_f64_i32_e32 v[70:71], v40
	s_mov_b32 s6, 0x62c4ab74
	v_add_f64 v[56:57], v[68:69], v[54:55]
	s_mov_b32 s7, 0x3ff645a7
	v_fma_f64 v[58:59], v[46:47], v[58:59], s[6:7]
	v_mul_f64 v[72:73], v[70:71], s[28:29]
	v_fma_f64 v[60:61], v[46:47], v[60:61], s[56:57]
	v_add_f64 v[50:51], v[50:51], -v[52:53]
	v_add_f64 v[52:53], v[56:57], -v[68:69]
	v_fma_f64 v[58:59], v[46:47], v[58:59], 1.0
	v_fma_f64 v[68:69], v[70:71], s[28:29], -v[72:73]
	v_mul_f64 v[60:61], v[46:47], v[60:61]
	v_ldexp_f64 v[50:51], v[50:51], 1
	v_add_f64 v[52:53], v[54:55], -v[52:53]
	v_fma_f64 v[68:69], v[70:71], s[30:31], v[68:69]
	v_div_scale_f64 v[54:55], s[6:7], v[58:59], v[58:59], v[60:61]
	v_add_f64 v[50:51], v[50:51], v[52:53]
	v_add_f64 v[52:53], v[72:73], v[68:69]
	;; [unrolled: 1-line block ×3, first 2 shown]
	v_add_f64 v[72:73], v[52:53], -v[72:73]
	v_rcp_f64_e32 v[74:75], v[54:55]
	v_add_f64 v[76:77], v[52:53], v[70:71]
	v_add_f64 v[56:57], v[70:71], -v[56:57]
	v_add_f64 v[68:69], v[68:69], -v[72:73]
	;; [unrolled: 1-line block ×4, first 2 shown]
	v_fma_f64 v[80:81], -v[54:55], v[74:75], 1.0
	v_add_f64 v[82:83], v[76:77], -v[78:79]
	v_add_f64 v[56:57], v[70:71], -v[78:79]
	v_div_scale_f64 v[70:71], vcc, v[60:61], v[58:59], v[60:61]
	v_fma_f64 v[74:75], v[74:75], v[80:81], v[74:75]
	v_add_f64 v[78:79], v[68:69], v[50:51]
	v_add_f64 v[52:53], v[52:53], -v[82:83]
	v_fma_f64 v[72:73], -v[54:55], v[74:75], 1.0
	v_add_f64 v[52:53], v[56:57], v[52:53]
	v_fma_f64 v[56:57], v[74:75], v[72:73], v[74:75]
	v_add_f64 v[72:73], v[78:79], -v[68:69]
	v_add_f64 v[52:53], v[78:79], v[52:53]
	v_mul_f64 v[74:75], v[70:71], v[56:57]
	v_add_f64 v[78:79], v[78:79], -v[72:73]
	v_add_f64 v[50:51], v[50:51], -v[72:73]
	v_add_f64 v[80:81], v[76:77], v[52:53]
	v_fma_f64 v[54:55], -v[54:55], v[74:75], v[70:71]
	v_add_f64 v[68:69], v[68:69], -v[78:79]
	v_add_f64 v[70:71], v[80:81], -v[76:77]
	v_div_fmas_f64 v[54:55], v[54:55], v[56:57], v[74:75]
	v_add_f64 v[50:51], v[50:51], v[68:69]
	v_cmp_class_f64_e64 vcc, v[48:49], s77
	v_add_f64 v[52:53], v[52:53], -v[70:71]
	v_add_f64 v[50:51], v[50:51], v[52:53]
	v_div_fixup_f64 v[52:53], v[54:55], v[58:59], v[60:61]
	v_add_f64 v[50:51], v[80:81], v[50:51]
	v_fma_f64 v[46:47], v[46:47], 0.5, v[52:53]
	v_cndmask_b32_e32 v40, v50, v48, vcc
	v_cndmask_b32_e32 v44, v51, v49, vcc
	v_cmp_ngt_f64_e32 vcc, 0, v[48:49]
	v_cndmask_b32_e32 v44, v67, v44, vcc
	v_cmp_nge_f64_e32 vcc, 0, v[48:49]
	v_cndmask_b32_e32 v50, 0, v40, vcc
	v_cmp_neq_f64_e32 vcc, 0, v[48:49]
	v_cndmask_b32_e32 v51, v65, v44, vcc
	v_add_f64 v[46:47], v[46:47], v[50:51]
.LBB12_206:                             ;   in Loop: Header=BB12_162 Depth=1
	s_or_b64 exec, exec, s[0:1]
.LBB12_207:                             ;   in Loop: Header=BB12_162 Depth=1
	s_andn2_saveexec_b64 s[6:7], s[2:3]
	s_cbranch_execz .LBB12_221
; %bb.208:                              ;   in Loop: Header=BB12_162 Depth=1
	v_cmp_lt_u32_e32 vcc, s78, v45
                                        ; implicit-def: $vgpr40
                                        ; implicit-def: $vgpr48_vgpr49
	s_and_saveexec_b64 s[0:1], vcc
	s_xor_b64 s[0:1], exec, s[0:1]
	s_cbranch_execz .LBB12_210
; %bb.209:                              ;   in Loop: Header=BB12_162 Depth=1
	s_mov_b32 s2, 0x6356be3f
	s_mov_b32 s3, 0xbff762d8
	v_add_f64 v[46:47], -|v[8:9]|, 2.0
	v_add_f64 v[48:49], |v[8:9]|, s[2:3]
	v_add_f64 v[50:51], |v[8:9]|, -1.0
	v_cmp_gt_u32_e32 vcc, s79, v45
	v_cndmask_b32_e64 v40, 0, 1, vcc
	v_cndmask_b32_e32 v44, v46, v48, vcc
	v_cndmask_b32_e32 v46, v47, v49, vcc
	v_cmp_gt_u32_e32 vcc, s80, v45
	v_cndmask_b32_e32 v49, v46, v51, vcc
	v_cndmask_b32_e32 v48, v44, v50, vcc
	v_cndmask_b32_e64 v40, v40, 2, vcc
.LBB12_210:                             ;   in Loop: Header=BB12_162 Depth=1
	s_or_saveexec_b64 s[8:9], s[0:1]
	v_mov_b32_e32 v46, 0
	v_mov_b32_e32 v47, 0
	s_xor_b64 exec, exec, s[8:9]
	s_cbranch_execz .LBB12_212
; %bb.211:                              ;   in Loop: Header=BB12_162 Depth=1
	v_frexp_mant_f64_e64 v[46:47], |v[8:9]|
	s_mov_b32 s17, s63
	s_mov_b32 s0, 0x8d5af8fc
	;; [unrolled: 1-line block ×3, first 2 shown]
	v_cmp_gt_u32_e64 s[2:3], s81, v45
	v_cmp_gt_f64_e32 vcc, s[62:63], v[46:47]
	v_cndmask_b32_e64 v40, 0, 1, vcc
	v_ldexp_f64 v[46:47], v[46:47], v40
	v_frexp_exp_i32_f64_e32 v40, v[8:9]
	v_add_f64 v[48:49], v[46:47], 1.0
	v_add_f64 v[54:55], v[46:47], -1.0
	v_subbrev_co_u32_e32 v40, vcc, 0, v40, vcc
	v_cmp_neq_f64_e64 vcc, |v[8:9]|, s[64:65]
	v_rcp_f64_e32 v[50:51], v[48:49]
	v_add_f64 v[56:57], v[48:49], -1.0
	v_add_f64 v[46:47], v[46:47], -v[56:57]
	v_fma_f64 v[52:53], -v[48:49], v[50:51], 1.0
	v_fma_f64 v[50:51], v[52:53], v[50:51], v[50:51]
	v_fma_f64 v[52:53], -v[48:49], v[50:51], 1.0
	v_fma_f64 v[50:51], v[52:53], v[50:51], v[50:51]
	v_mul_f64 v[52:53], v[54:55], v[50:51]
	v_mul_f64 v[58:59], v[48:49], v[52:53]
	v_fma_f64 v[48:49], v[52:53], v[48:49], -v[58:59]
	v_fma_f64 v[46:47], v[52:53], v[46:47], v[48:49]
	v_add_f64 v[48:49], v[58:59], v[46:47]
	v_add_f64 v[56:57], v[54:55], -v[48:49]
	v_add_f64 v[58:59], v[48:49], -v[58:59]
	;; [unrolled: 1-line block ×5, first 2 shown]
	v_add_f64 v[46:47], v[46:47], v[48:49]
	v_add_f64 v[46:47], v[56:57], v[46:47]
	v_mul_f64 v[46:47], v[50:51], v[46:47]
	v_add_f64 v[48:49], v[52:53], v[46:47]
	v_mul_f64 v[50:51], v[48:49], v[48:49]
	v_fma_f64 v[54:55], v[50:51], s[18:19], v[10:11]
	v_mul_f64 v[56:57], v[48:49], v[50:51]
	v_fma_f64 v[54:55], v[50:51], v[54:55], s[20:21]
	v_fma_f64 v[54:55], v[50:51], v[54:55], s[22:23]
	;; [unrolled: 1-line block ×5, first 2 shown]
	v_ldexp_f64 v[54:55], v[48:49], 1
	v_add_f64 v[48:49], v[48:49], -v[52:53]
	v_mul_f64 v[50:51], v[56:57], v[50:51]
	v_cvt_f64_i32_e32 v[56:57], v40
	v_add_f64 v[46:47], v[46:47], -v[48:49]
	v_and_b32_e32 v40, 0x7fffffff, v9
	v_mul_f64 v[58:59], v[56:57], s[28:29]
	v_add_f64 v[52:53], v[54:55], v[50:51]
	v_ldexp_f64 v[46:47], v[46:47], 1
	v_add_f64 v[48:49], v[52:53], -v[54:55]
	v_fma_f64 v[54:55], v[56:57], s[28:29], -v[58:59]
	v_add_f64 v[48:49], v[50:51], -v[48:49]
	v_fma_f64 v[50:51], v[56:57], s[30:31], v[54:55]
	v_add_f64 v[46:47], v[46:47], v[48:49]
	v_add_f64 v[48:49], v[58:59], v[50:51]
	;; [unrolled: 1-line block ×3, first 2 shown]
	v_add_f64 v[58:59], v[48:49], -v[58:59]
	v_add_f64 v[56:57], v[48:49], v[54:55]
	v_add_f64 v[52:53], v[54:55], -v[52:53]
	v_add_f64 v[50:51], v[50:51], -v[58:59]
	v_add_f64 v[60:61], v[56:57], -v[48:49]
	v_add_f64 v[46:47], v[46:47], -v[52:53]
	v_add_f64 v[68:69], v[56:57], -v[60:61]
	v_add_f64 v[52:53], v[54:55], -v[60:61]
	v_add_f64 v[54:55], v[50:51], v[46:47]
	v_add_f64 v[48:49], v[48:49], -v[68:69]
	v_add_f64 v[48:49], v[52:53], v[48:49]
	v_add_f64 v[52:53], v[54:55], -v[50:51]
	;; [unrolled: 2-line block ×3, first 2 shown]
	v_add_f64 v[46:47], v[46:47], -v[52:53]
	v_add_f64 v[58:59], v[56:57], v[48:49]
	v_add_f64 v[50:51], v[50:51], -v[54:55]
	v_add_f64 v[52:53], v[58:59], -v[56:57]
	v_add_f64 v[46:47], v[46:47], v[50:51]
	v_add_f64 v[50:51], |v[8:9]|, s[0:1]
	v_cmp_neq_f64_e64 s[0:1], 0, v[8:9]
	v_add_f64 v[48:49], v[48:49], -v[52:53]
	v_cndmask_b32_e64 v52, 0, 1, s[2:3]
	v_add_f64 v[46:47], v[46:47], v[48:49]
	v_add_f64 v[48:49], -|v[8:9]|, 1.0
	v_add_f64 v[46:47], v[58:59], v[46:47]
	v_xor_b32_e32 v44, 0x80000000, v47
	v_cndmask_b32_e32 v44, v65, v44, vcc
	v_cndmask_b32_e64 v47, v48, v50, s[2:3]
	v_cndmask_b32_e64 v48, v49, v51, s[2:3]
	v_cmp_gt_u32_e64 s[2:3], s82, v45
	s_and_b64 vcc, s[0:1], vcc
	v_cndmask_b32_e64 v49, v48, v40, s[2:3]
	v_cndmask_b32_e64 v48, v47, v8, s[2:3]
	;; [unrolled: 1-line block ×3, first 2 shown]
	v_cndmask_b32_e32 v46, 0, v46, vcc
	v_cndmask_b32_e64 v40, v52, 2, s[2:3]
.LBB12_212:                             ;   in Loop: Header=BB12_162 Depth=1
	s_or_b64 exec, exec, s[8:9]
	v_cmp_lt_i32_e32 vcc, 1, v40
                                        ; implicit-def: $vgpr52_vgpr53
	s_and_saveexec_b64 s[0:1], vcc
	s_xor_b64 s[0:1], exec, s[0:1]
	s_cbranch_execz .LBB12_214
; %bb.213:                              ;   in Loop: Header=BB12_162 Depth=1
	s_mov_b32 s2, 0xbf2bab09
	s_mov_b32 s3, 0x3f8b678b
	v_fma_f64 v[50:51], v[48:49], s[2:3], v[18:19]
	s_mov_b32 s2, 0x57d0cf61
	s_mov_b32 s3, 0x3f6a5abb
	v_fma_f64 v[52:53], v[48:49], s[2:3], v[20:21]
	s_mov_b32 s2, 0x44ea8450
	s_mov_b32 s3, 0x3fef4976
	;; [unrolled: 1-line block ×3, first 2 shown]
                                        ; implicit-def: $vgpr40
	v_fma_f64 v[50:51], v[48:49], v[50:51], s[2:3]
	s_mov_b32 s2, 0xe45050af
	s_mov_b32 s3, 0x3fe89dfb
	v_fma_f64 v[52:53], v[48:49], v[52:53], s[2:3]
	s_mov_b32 s2, 0xd119bd6f
	s_mov_b32 s3, 0x3ff7475c
	;; [unrolled: 3-line block ×4, first 2 shown]
	v_fma_f64 v[50:51], v[48:49], v[50:51], s[2:3]
	v_fma_f64 v[52:53], v[48:49], v[52:53], s[86:87]
	;; [unrolled: 1-line block ×3, first 2 shown]
	v_fma_f64 v[52:53], v[48:49], v[52:53], 1.0
	v_mul_f64 v[50:51], v[48:49], v[50:51]
	v_div_scale_f64 v[54:55], s[2:3], v[52:53], v[52:53], v[50:51]
	v_div_scale_f64 v[60:61], vcc, v[50:51], v[52:53], v[50:51]
	v_rcp_f64_e32 v[56:57], v[54:55]
	v_fma_f64 v[58:59], -v[54:55], v[56:57], 1.0
	v_fma_f64 v[56:57], v[56:57], v[58:59], v[56:57]
	v_fma_f64 v[58:59], -v[54:55], v[56:57], 1.0
	v_fma_f64 v[56:57], v[56:57], v[58:59], v[56:57]
	v_mul_f64 v[58:59], v[60:61], v[56:57]
	v_fma_f64 v[54:55], -v[54:55], v[58:59], v[60:61]
	v_div_fmas_f64 v[54:55], v[54:55], v[56:57], v[58:59]
	v_div_fixup_f64 v[50:51], v[54:55], v[52:53], v[50:51]
	v_fma_f64 v[52:53], v[48:49], -0.5, v[50:51]
                                        ; implicit-def: $vgpr48_vgpr49
.LBB12_214:                             ;   in Loop: Header=BB12_162 Depth=1
	s_andn2_saveexec_b64 s[0:1], s[0:1]
	s_cbranch_execz .LBB12_220
; %bb.215:                              ;   in Loop: Header=BB12_162 Depth=1
	v_mul_f64 v[50:51], v[48:49], v[48:49]
	v_cmp_ne_u32_e32 vcc, 1, v40
                                        ; implicit-def: $vgpr52_vgpr53
	s_and_saveexec_b64 s[2:3], vcc
	s_xor_b64 s[2:3], exec, s[2:3]
	s_cbranch_execz .LBB12_217
; %bb.216:                              ;   in Loop: Header=BB12_162 Depth=1
	s_mov_b32 s8, 0x90a45837
	s_mov_b32 s9, 0x3f07858e
	v_fma_f64 v[52:53], v[50:51], s[8:9], v[24:25]
	s_mov_b32 s8, 0x428cfa52
	s_mov_b32 s9, 0x3efa7074
	v_fma_f64 v[54:55], v[50:51], s[8:9], v[22:23]
	;; [unrolled: 3-line block ×9, first 2 shown]
	v_fma_f64 v[54:55], v[50:51], v[54:55], s[72:73]
	v_mul_f64 v[50:51], v[50:51], v[52:53]
	v_fma_f64 v[50:51], v[48:49], v[54:55], v[50:51]
	v_fma_f64 v[52:53], v[48:49], -0.5, v[50:51]
                                        ; implicit-def: $vgpr48_vgpr49
                                        ; implicit-def: $vgpr50_vgpr51
.LBB12_217:                             ;   in Loop: Header=BB12_162 Depth=1
	s_andn2_saveexec_b64 s[2:3], s[2:3]
	s_cbranch_execz .LBB12_219
; %bb.218:                              ;   in Loop: Header=BB12_162 Depth=1
	v_mul_f64 v[52:53], v[48:49], v[50:51]
	s_mov_b32 s8, 0xecc38c38
	s_mov_b32 s9, 0xbf347f24
	v_fma_f64 v[54:55], v[52:53], s[8:9], v[28:29]
	s_mov_b32 s8, 0xe8c2d3f4
	s_mov_b32 s9, 0x3f35fd3e
	v_fma_f64 v[56:57], v[52:53], s[8:9], v[30:31]
	;; [unrolled: 3-line block ×12, first 2 shown]
	v_fma_f64 v[54:55], v[52:53], v[58:59], s[8:9]
	s_mov_b32 s8, 0xa48a971f
	s_mov_b32 s9, 0xbc50c7ca
	v_fma_f64 v[48:49], v[52:53], -v[48:49], s[8:9]
	s_mov_b32 s8, 0xbcc38a42
	s_mov_b32 s9, 0xbfbf19b9
	v_fma_f64 v[48:49], v[50:51], v[54:55], -v[48:49]
	v_add_f64 v[52:53], v[48:49], s[8:9]
.LBB12_219:                             ;   in Loop: Header=BB12_162 Depth=1
	s_or_b64 exec, exec, s[2:3]
.LBB12_220:                             ;   in Loop: Header=BB12_162 Depth=1
	s_or_b64 exec, exec, s[0:1]
	v_add_f64 v[46:47], v[46:47], v[52:53]
.LBB12_221:                             ;   in Loop: Header=BB12_162 Depth=1
	s_or_b64 exec, exec, s[6:7]
.LBB12_222:                             ;   in Loop: Header=BB12_162 Depth=1
	s_andn2_saveexec_b64 s[2:3], s[4:5]
	s_cbranch_execz .LBB12_224
; %bb.223:                              ;   in Loop: Header=BB12_162 Depth=1
	v_frexp_mant_f64_e64 v[46:47], |v[8:9]|
	s_mov_b32 s17, s63
	v_cmp_neq_f64_e64 s[0:1], 0, v[8:9]
	v_cmp_gt_f64_e32 vcc, s[62:63], v[46:47]
	v_cndmask_b32_e64 v40, 0, 1, vcc
	v_ldexp_f64 v[46:47], v[46:47], v40
	v_frexp_exp_i32_f64_e32 v40, v[8:9]
	v_add_f64 v[48:49], v[46:47], 1.0
	v_add_f64 v[54:55], v[46:47], -1.0
	v_subbrev_co_u32_e32 v40, vcc, 0, v40, vcc
	v_cmp_neq_f64_e64 vcc, |v[8:9]|, s[64:65]
	v_rcp_f64_e32 v[50:51], v[48:49]
	v_add_f64 v[56:57], v[48:49], -1.0
	v_add_f64 v[46:47], v[46:47], -v[56:57]
	v_fma_f64 v[52:53], -v[48:49], v[50:51], 1.0
	v_fma_f64 v[50:51], v[52:53], v[50:51], v[50:51]
	v_fma_f64 v[52:53], -v[48:49], v[50:51], 1.0
	v_fma_f64 v[50:51], v[52:53], v[50:51], v[50:51]
	v_mul_f64 v[52:53], v[54:55], v[50:51]
	v_mul_f64 v[58:59], v[48:49], v[52:53]
	v_fma_f64 v[48:49], v[52:53], v[48:49], -v[58:59]
	v_fma_f64 v[46:47], v[52:53], v[46:47], v[48:49]
	v_add_f64 v[48:49], v[58:59], v[46:47]
	v_add_f64 v[56:57], v[54:55], -v[48:49]
	v_add_f64 v[58:59], v[48:49], -v[58:59]
	;; [unrolled: 1-line block ×5, first 2 shown]
	v_add_f64 v[46:47], v[46:47], v[48:49]
	v_add_f64 v[46:47], v[56:57], v[46:47]
	v_mul_f64 v[46:47], v[50:51], v[46:47]
	v_add_f64 v[48:49], v[52:53], v[46:47]
	v_mul_f64 v[50:51], v[48:49], v[48:49]
	v_fma_f64 v[54:55], v[50:51], s[18:19], v[10:11]
	v_mul_f64 v[56:57], v[48:49], v[50:51]
	v_fma_f64 v[54:55], v[50:51], v[54:55], s[20:21]
	v_fma_f64 v[54:55], v[50:51], v[54:55], s[22:23]
	;; [unrolled: 1-line block ×5, first 2 shown]
	v_ldexp_f64 v[54:55], v[48:49], 1
	v_add_f64 v[48:49], v[48:49], -v[52:53]
	v_mul_f64 v[50:51], v[56:57], v[50:51]
	v_cvt_f64_i32_e32 v[56:57], v40
	v_add_f64 v[46:47], v[46:47], -v[48:49]
	v_mul_f64 v[58:59], v[56:57], s[28:29]
	v_add_f64 v[52:53], v[54:55], v[50:51]
	v_ldexp_f64 v[46:47], v[46:47], 1
	v_add_f64 v[48:49], v[52:53], -v[54:55]
	v_fma_f64 v[54:55], v[56:57], s[28:29], -v[58:59]
	v_add_f64 v[48:49], v[50:51], -v[48:49]
	v_fma_f64 v[50:51], v[56:57], s[30:31], v[54:55]
	v_add_f64 v[46:47], v[46:47], v[48:49]
	v_add_f64 v[48:49], v[58:59], v[50:51]
	;; [unrolled: 1-line block ×3, first 2 shown]
	v_add_f64 v[58:59], v[48:49], -v[58:59]
	v_add_f64 v[56:57], v[48:49], v[54:55]
	v_add_f64 v[52:53], v[54:55], -v[52:53]
	v_add_f64 v[50:51], v[50:51], -v[58:59]
	;; [unrolled: 1-line block ×6, first 2 shown]
	v_add_f64 v[54:55], v[50:51], v[46:47]
	v_add_f64 v[48:49], v[48:49], -v[68:69]
	v_add_f64 v[48:49], v[52:53], v[48:49]
	v_add_f64 v[52:53], v[54:55], -v[50:51]
	v_add_f64 v[48:49], v[54:55], v[48:49]
	v_add_f64 v[54:55], v[54:55], -v[52:53]
	v_add_f64 v[46:47], v[46:47], -v[52:53]
	v_add_f64 v[58:59], v[56:57], v[48:49]
	v_add_f64 v[50:51], v[50:51], -v[54:55]
	v_add_f64 v[52:53], v[58:59], -v[56:57]
	v_add_f64 v[46:47], v[46:47], v[50:51]
	v_fma_f64 v[50:51], |v[8:9]|, s[94:95], v[32:33]
	v_add_f64 v[48:49], v[48:49], -v[52:53]
	v_add_f64 v[46:47], v[46:47], v[48:49]
	v_fma_f64 v[48:49], |v[8:9]|, v[50:51], s[34:35]
	v_add_f64 v[46:47], v[58:59], v[46:47]
	v_fma_f64 v[48:49], |v[8:9]|, v[48:49], s[36:37]
	v_xor_b32_e32 v40, 0x80000000, v47
	v_fma_f64 v[47:48], |v[8:9]|, v[48:49], s[38:39]
	v_cndmask_b32_e32 v40, v65, v40, vcc
	s_and_b64 vcc, s[0:1], vcc
	v_cndmask_b32_e64 v50, v64, v40, s[0:1]
	v_cndmask_b32_e32 v49, 0, v46, vcc
	v_fma_f64 v[46:47], |v[8:9]|, v[47:48], v[49:50]
.LBB12_224:                             ;   in Loop: Header=BB12_162 Depth=1
	s_or_b64 exec, exec, s[2:3]
	v_cmp_le_f64_e32 vcc, 0, v[8:9]
	s_and_saveexec_b64 s[0:1], vcc
	s_xor_b64 s[2:3], exec, s[0:1]
	s_cbranch_execz .LBB12_226
; %bb.225:                              ;   in Loop: Header=BB12_162 Depth=1
	v_cmp_eq_f64_e32 vcc, 1.0, v[8:9]
	v_cmp_eq_f64_e64 s[0:1], 2.0, v[8:9]
	s_or_b64 s[0:1], vcc, s[0:1]
	v_cndmask_b32_e64 v47, v47, 0, s[0:1]
	v_cndmask_b32_e64 v46, v46, 0, s[0:1]
.LBB12_226:                             ;   in Loop: Header=BB12_162 Depth=1
	s_andn2_saveexec_b64 s[2:3], s[2:3]
	s_cbranch_execz .LBB12_230
; %bb.227:                              ;   in Loop: Header=BB12_162 Depth=1
	v_add_u32_e32 v40, 0xc32fffff, v45
	v_cmp_gt_u32_e32 vcc, s83, v40
	s_and_saveexec_b64 s[4:5], vcc
	s_cbranch_execz .LBB12_229
; %bb.228:                              ;   in Loop: Header=BB12_162 Depth=1
	v_mul_f64 v[48:49], |v[8:9]|, 0.5
	v_and_b32_e32 v40, 0x7fffffff, v9
	v_cmp_class_f64_e64 s[0:1], v[8:9], s84
	s_mov_b32 s17, s63
	v_cmp_class_f64_e64 s[6:7], v[8:9], s77
	v_fract_f64_e32 v[50:51], v[48:49]
	v_cmp_neq_f64_e64 vcc, |v[48:49]|, s[64:65]
	v_add_f64 v[50:51], v[50:51], v[50:51]
	v_cndmask_b32_e32 v44, 0, v50, vcc
	v_cndmask_b32_e32 v48, 0, v51, vcc
	v_cmp_gt_f64_e64 vcc, |v[8:9]|, 1.0
	v_cndmask_b32_e32 v49, v40, v48, vcc
	v_cndmask_b32_e32 v48, v8, v44, vcc
	v_add_f64 v[50:51], v[48:49], v[48:49]
	v_rndne_f64_e32 v[50:51], v[50:51]
	v_fma_f64 v[48:49], v[50:51], -0.5, v[48:49]
	v_cvt_i32_f64_e32 v40, v[50:51]
	v_and_b32_e32 v44, 1, v40
	v_lshlrev_b32_e32 v40, 30, v40
	v_cmp_eq_u32_e32 vcc, 0, v44
	v_mul_f64 v[52:53], v[48:49], v[48:49]
	v_xor_b32_e32 v40, v40, v9
	v_and_b32_e32 v40, 0x80000000, v40
	v_fma_f64 v[54:55], v[52:53], s[40:41], v[34:35]
	v_fma_f64 v[56:57], v[52:53], s[46:47], v[36:37]
	v_mul_f64 v[58:59], v[48:49], v[52:53]
	v_fma_f64 v[54:55], v[52:53], v[54:55], s[42:43]
	v_fma_f64 v[56:57], v[52:53], v[56:57], s[48:49]
	;; [unrolled: 1-line block ×8, first 2 shown]
	v_mul_f64 v[54:55], v[58:59], v[54:55]
	v_fma_f64 v[56:57], v[52:53], v[56:57], s[58:59]
	v_fma_f64 v[48:49], v[48:49], s[92:93], v[54:55]
	v_fma_f64 v[52:53], v[52:53], v[56:57], 1.0
	v_cndmask_b32_e32 v44, v52, v48, vcc
	v_cndmask_b32_e32 v48, v53, v49, vcc
	v_xor_b32_e32 v40, v48, v40
	v_cndmask_b32_e64 v48, 0, v44, s[0:1]
	v_cndmask_b32_e64 v49, v67, v40, s[0:1]
	v_mul_f64 v[48:49], v[8:9], v[48:49]
	v_and_b32_e32 v51, 0x7fffffff, v49
	v_mov_b32_e32 v50, v48
	v_div_scale_f64 v[52:53], s[0:1], v[50:51], v[50:51], s[92:93]
	v_div_scale_f64 v[50:51], vcc, s[92:93], v[50:51], s[92:93]
	v_rcp_f64_e32 v[54:55], v[52:53]
	v_fma_f64 v[56:57], -v[52:53], v[54:55], 1.0
	v_fma_f64 v[54:55], v[54:55], v[56:57], v[54:55]
	v_fma_f64 v[56:57], -v[52:53], v[54:55], 1.0
	v_fma_f64 v[54:55], v[54:55], v[56:57], v[54:55]
	v_mul_f64 v[56:57], v[50:51], v[54:55]
	v_fma_f64 v[50:51], -v[52:53], v[56:57], v[50:51]
	v_div_fmas_f64 v[50:51], v[50:51], v[54:55], v[56:57]
	v_div_fixup_f64 v[48:49], v[50:51], |v[48:49]|, s[92:93]
	v_frexp_mant_f64_e32 v[50:51], v[48:49]
	v_cmp_gt_f64_e32 vcc, s[62:63], v[50:51]
	v_cndmask_b32_e64 v40, 0, 1, vcc
	v_ldexp_f64 v[50:51], v[50:51], v40
	v_frexp_exp_i32_f64_e32 v40, v[48:49]
	v_add_f64 v[52:53], v[50:51], 1.0
	v_add_f64 v[58:59], v[50:51], -1.0
	v_subbrev_co_u32_e32 v40, vcc, 0, v40, vcc
	v_cmp_class_f64_e64 vcc, v[48:49], s77
	v_rcp_f64_e32 v[54:55], v[52:53]
	v_add_f64 v[60:61], v[52:53], -1.0
	v_add_f64 v[50:51], v[50:51], -v[60:61]
	v_fma_f64 v[56:57], -v[52:53], v[54:55], 1.0
	v_fma_f64 v[54:55], v[56:57], v[54:55], v[54:55]
	v_fma_f64 v[56:57], -v[52:53], v[54:55], 1.0
	v_fma_f64 v[54:55], v[56:57], v[54:55], v[54:55]
	v_mul_f64 v[56:57], v[58:59], v[54:55]
	v_mul_f64 v[68:69], v[52:53], v[56:57]
	v_fma_f64 v[52:53], v[56:57], v[52:53], -v[68:69]
	v_fma_f64 v[50:51], v[56:57], v[50:51], v[52:53]
	v_add_f64 v[52:53], v[68:69], v[50:51]
	v_add_f64 v[60:61], v[58:59], -v[52:53]
	v_add_f64 v[68:69], v[52:53], -v[68:69]
	;; [unrolled: 1-line block ×5, first 2 shown]
	v_add_f64 v[50:51], v[50:51], v[52:53]
	v_add_f64 v[50:51], v[60:61], v[50:51]
	v_mul_f64 v[50:51], v[54:55], v[50:51]
	v_add_f64 v[52:53], v[56:57], v[50:51]
	v_mul_f64 v[54:55], v[52:53], v[52:53]
	v_fma_f64 v[58:59], v[54:55], s[18:19], v[10:11]
	v_mul_f64 v[60:61], v[52:53], v[54:55]
	v_fma_f64 v[58:59], v[54:55], v[58:59], s[20:21]
	v_fma_f64 v[58:59], v[54:55], v[58:59], s[22:23]
	;; [unrolled: 1-line block ×5, first 2 shown]
	v_ldexp_f64 v[58:59], v[52:53], 1
	v_add_f64 v[52:53], v[52:53], -v[56:57]
	v_mul_f64 v[54:55], v[60:61], v[54:55]
	v_cvt_f64_i32_e32 v[60:61], v40
	v_add_f64 v[50:51], v[50:51], -v[52:53]
	v_mul_f64 v[68:69], v[60:61], s[28:29]
	v_add_f64 v[56:57], v[58:59], v[54:55]
	v_ldexp_f64 v[50:51], v[50:51], 1
	v_add_f64 v[52:53], v[56:57], -v[58:59]
	v_fma_f64 v[58:59], v[60:61], s[28:29], -v[68:69]
	v_add_f64 v[52:53], v[54:55], -v[52:53]
	v_fma_f64 v[54:55], v[60:61], s[30:31], v[58:59]
	v_add_f64 v[50:51], v[50:51], v[52:53]
	v_add_f64 v[52:53], v[68:69], v[54:55]
	;; [unrolled: 1-line block ×3, first 2 shown]
	v_add_f64 v[68:69], v[52:53], -v[68:69]
	v_add_f64 v[60:61], v[52:53], v[58:59]
	v_add_f64 v[56:57], v[58:59], -v[56:57]
	v_add_f64 v[54:55], v[54:55], -v[68:69]
	;; [unrolled: 1-line block ×6, first 2 shown]
	v_add_f64 v[58:59], v[54:55], v[50:51]
	v_add_f64 v[52:53], v[52:53], -v[72:73]
	v_add_f64 v[52:53], v[56:57], v[52:53]
	v_add_f64 v[56:57], v[58:59], -v[54:55]
	;; [unrolled: 2-line block ×3, first 2 shown]
	v_add_f64 v[50:51], v[50:51], -v[56:57]
	v_add_f64 v[68:69], v[60:61], v[52:53]
	v_add_f64 v[54:55], v[54:55], -v[58:59]
	v_add_f64 v[56:57], v[68:69], -v[60:61]
	v_add_f64 v[50:51], v[50:51], v[54:55]
	v_add_f64 v[52:53], v[52:53], -v[56:57]
	v_add_f64 v[50:51], v[50:51], v[52:53]
	v_fract_f64_e32 v[52:53], v[8:9]
	v_add_f64 v[50:51], v[68:69], v[50:51]
	v_cmp_eq_f64_e64 s[0:1], 0, v[52:53]
	v_cndmask_b32_e32 v40, v50, v48, vcc
	v_cndmask_b32_e32 v44, v51, v49, vcc
	v_cmp_neq_f64_e32 vcc, 0, v[48:49]
	v_cndmask_b32_e32 v49, v65, v44, vcc
	v_cndmask_b32_e32 v48, 0, v40, vcc
	v_add_f64 v[46:47], v[48:49], -v[46:47]
	s_or_b64 vcc, s[6:7], s[0:1]
	v_cndmask_b32_e32 v47, v47, v64, vcc
	v_cndmask_b32_e64 v46, v46, 0, vcc
.LBB12_229:                             ;   in Loop: Header=BB12_162 Depth=1
	s_or_b64 exec, exec, s[4:5]
.LBB12_230:                             ;   in Loop: Header=BB12_162 Depth=1
	s_or_b64 exec, exec, s[2:3]
	s_waitcnt vmcnt(0)
	v_and_b32_e32 v49, 0x7fffffff, v3
	v_mov_b32_e32 v48, v2
	v_cmp_lt_u32_e32 vcc, s33, v49
                                        ; implicit-def: $vgpr50_vgpr51
	s_and_saveexec_b64 s[0:1], vcc
	s_xor_b64 s[4:5], exec, s[0:1]
	s_cbranch_execz .LBB12_256
; %bb.231:                              ;   in Loop: Header=BB12_162 Depth=1
	v_cmp_lt_u32_e32 vcc, s74, v49
                                        ; implicit-def: $vgpr50_vgpr51
	s_and_saveexec_b64 s[0:1], vcc
	s_xor_b64 s[2:3], exec, s[0:1]
	s_cbranch_execz .LBB12_241
; %bb.232:                              ;   in Loop: Header=BB12_162 Depth=1
	;; [unrolled: 6-line block ×4, first 2 shown]
	v_frexp_mant_f64_e64 v[50:51], |v[2:3]|
	s_mov_b32 s17, s63
	v_cmp_neq_f64_e64 s[0:1], 0, v[2:3]
	v_cmp_gt_f64_e32 vcc, s[62:63], v[50:51]
	v_cndmask_b32_e64 v40, 0, 1, vcc
	v_ldexp_f64 v[50:51], v[50:51], v40
	v_frexp_exp_i32_f64_e32 v40, v[2:3]
	v_add_f64 v[52:53], v[50:51], 1.0
	v_add_f64 v[58:59], v[50:51], -1.0
	v_subbrev_co_u32_e32 v40, vcc, 0, v40, vcc
	v_cmp_neq_f64_e64 vcc, |v[2:3]|, s[64:65]
	v_rcp_f64_e32 v[54:55], v[52:53]
	v_add_f64 v[60:61], v[52:53], -1.0
	v_add_f64 v[50:51], v[50:51], -v[60:61]
	v_fma_f64 v[56:57], -v[52:53], v[54:55], 1.0
	v_fma_f64 v[54:55], v[56:57], v[54:55], v[54:55]
	v_fma_f64 v[56:57], -v[52:53], v[54:55], 1.0
	v_fma_f64 v[54:55], v[56:57], v[54:55], v[54:55]
	v_mul_f64 v[56:57], v[58:59], v[54:55]
	v_mul_f64 v[68:69], v[52:53], v[56:57]
	v_fma_f64 v[52:53], v[56:57], v[52:53], -v[68:69]
	v_fma_f64 v[50:51], v[56:57], v[50:51], v[52:53]
	v_add_f64 v[52:53], v[68:69], v[50:51]
	v_add_f64 v[60:61], v[58:59], -v[52:53]
	v_add_f64 v[68:69], v[52:53], -v[68:69]
	;; [unrolled: 1-line block ×5, first 2 shown]
	v_add_f64 v[50:51], v[50:51], v[52:53]
	v_add_f64 v[50:51], v[60:61], v[50:51]
	v_mul_f64 v[50:51], v[54:55], v[50:51]
	v_add_f64 v[52:53], v[56:57], v[50:51]
	v_mul_f64 v[54:55], v[52:53], v[52:53]
	v_fma_f64 v[58:59], v[54:55], s[18:19], v[10:11]
	v_mul_f64 v[60:61], v[52:53], v[54:55]
	v_fma_f64 v[58:59], v[54:55], v[58:59], s[20:21]
	v_fma_f64 v[58:59], v[54:55], v[58:59], s[22:23]
	;; [unrolled: 1-line block ×5, first 2 shown]
	v_ldexp_f64 v[58:59], v[52:53], 1
	v_add_f64 v[52:53], v[52:53], -v[56:57]
	v_mul_f64 v[54:55], v[60:61], v[54:55]
	v_cvt_f64_i32_e32 v[60:61], v40
	v_add_f64 v[50:51], v[50:51], -v[52:53]
	v_mul_f64 v[68:69], v[60:61], s[28:29]
	v_add_f64 v[56:57], v[58:59], v[54:55]
	v_ldexp_f64 v[50:51], v[50:51], 1
	v_add_f64 v[52:53], v[56:57], -v[58:59]
	v_fma_f64 v[58:59], v[60:61], s[28:29], -v[68:69]
	v_add_f64 v[52:53], v[54:55], -v[52:53]
	v_fma_f64 v[54:55], v[60:61], s[30:31], v[58:59]
	v_add_f64 v[50:51], v[50:51], v[52:53]
	v_add_f64 v[52:53], v[68:69], v[54:55]
	;; [unrolled: 1-line block ×3, first 2 shown]
	v_add_f64 v[68:69], v[52:53], -v[68:69]
	v_add_f64 v[60:61], v[52:53], v[58:59]
	v_add_f64 v[56:57], v[58:59], -v[56:57]
	v_add_f64 v[54:55], v[54:55], -v[68:69]
	;; [unrolled: 1-line block ×6, first 2 shown]
	v_add_f64 v[58:59], v[54:55], v[50:51]
	v_add_f64 v[52:53], v[52:53], -v[72:73]
	v_add_f64 v[52:53], v[56:57], v[52:53]
	v_add_f64 v[56:57], v[58:59], -v[54:55]
	;; [unrolled: 2-line block ×3, first 2 shown]
	v_add_f64 v[50:51], v[50:51], -v[56:57]
	v_add_f64 v[68:69], v[60:61], v[52:53]
	v_add_f64 v[54:55], v[54:55], -v[58:59]
	v_add_f64 v[56:57], v[68:69], -v[60:61]
	v_add_f64 v[50:51], v[50:51], v[54:55]
	v_add_f64 v[52:53], v[52:53], -v[56:57]
	v_add_f64 v[50:51], v[50:51], v[52:53]
	v_add_f64 v[50:51], v[68:69], v[50:51]
	v_cndmask_b32_e32 v40, v64, v51, vcc
	s_and_b64 vcc, s[0:1], vcc
	v_cndmask_b32_e64 v51, v65, v40, s[0:1]
	v_cndmask_b32_e32 v50, 0, v50, vcc
	v_fma_f64 v[50:51], |v[2:3]|, v[50:51], -|v[2:3]|
.LBB12_235:                             ;   in Loop: Header=BB12_162 Depth=1
	s_andn2_saveexec_b64 s[8:9], s[8:9]
	s_cbranch_execz .LBB12_237
; %bb.236:                              ;   in Loop: Header=BB12_162 Depth=1
	v_frexp_mant_f64_e64 v[50:51], |v[2:3]|
	s_mov_b32 s17, s63
	s_mov_b32 s10, 0x90c97d69
	;; [unrolled: 1-line block ×3, first 2 shown]
	v_cmp_gt_f64_e32 vcc, s[62:63], v[50:51]
	v_cndmask_b32_e64 v40, 0, 1, vcc
	v_ldexp_f64 v[50:51], v[50:51], v40
	v_frexp_exp_i32_f64_e32 v40, v[2:3]
	v_add_f64 v[52:53], v[50:51], 1.0
	v_add_f64 v[58:59], v[50:51], -1.0
	v_subbrev_co_u32_e32 v40, vcc, 0, v40, vcc
	v_rcp_f64_e32 v[54:55], v[52:53]
	v_add_f64 v[60:61], v[52:53], -1.0
	v_add_f64 v[50:51], v[50:51], -v[60:61]
	v_fma_f64 v[56:57], -v[52:53], v[54:55], 1.0
	v_fma_f64 v[54:55], v[56:57], v[54:55], v[54:55]
	v_fma_f64 v[56:57], -v[52:53], v[54:55], 1.0
	v_fma_f64 v[54:55], v[56:57], v[54:55], v[54:55]
	v_mul_f64 v[56:57], v[58:59], v[54:55]
	v_mul_f64 v[68:69], v[52:53], v[56:57]
	v_fma_f64 v[52:53], v[56:57], v[52:53], -v[68:69]
	v_fma_f64 v[50:51], v[56:57], v[50:51], v[52:53]
	v_add_f64 v[52:53], v[68:69], v[50:51]
	v_add_f64 v[60:61], v[58:59], -v[52:53]
	v_add_f64 v[68:69], v[52:53], -v[68:69]
	;; [unrolled: 1-line block ×5, first 2 shown]
	v_add_f64 v[50:51], v[50:51], v[52:53]
	v_add_f64 v[50:51], v[60:61], v[50:51]
	v_mul_f64 v[50:51], v[54:55], v[50:51]
	v_add_f64 v[52:53], v[56:57], v[50:51]
	v_mul_f64 v[54:55], v[52:53], v[52:53]
	v_ldexp_f64 v[70:71], v[52:53], 1
	v_fma_f64 v[58:59], v[54:55], s[18:19], v[10:11]
	v_mul_f64 v[60:61], v[52:53], v[54:55]
	v_add_f64 v[52:53], v[52:53], -v[56:57]
	v_fma_f64 v[58:59], v[54:55], v[58:59], s[20:21]
	v_add_f64 v[50:51], v[50:51], -v[52:53]
	v_fma_f64 v[58:59], v[54:55], v[58:59], s[22:23]
	v_ldexp_f64 v[50:51], v[50:51], 1
	v_fma_f64 v[58:59], v[54:55], v[58:59], s[24:25]
	v_fma_f64 v[58:59], v[54:55], v[58:59], s[26:27]
	v_fma_f64 v[54:55], v[54:55], v[58:59], s[16:17]
	v_and_b32_e32 v59, 0x7fffffff, v3
	v_mov_b32_e32 v58, v2
	v_div_scale_f64 v[68:69], s[0:1], v[58:59], v[58:59], 1.0
	v_div_scale_f64 v[58:59], vcc, 1.0, v[58:59], 1.0
	s_mov_b32 s0, 0xb9e43e4
	v_mul_f64 v[54:55], v[60:61], v[54:55]
	v_cvt_f64_i32_e32 v[60:61], v40
	s_mov_b32 s1, 0xbf5ab89d
	v_mul_f64 v[74:75], v[60:61], s[28:29]
	v_add_f64 v[56:57], v[70:71], v[54:55]
	v_rcp_f64_e32 v[72:73], v[68:69]
	v_add_f64 v[52:53], v[56:57], -v[70:71]
	v_fma_f64 v[70:71], v[60:61], s[28:29], -v[74:75]
	v_add_f64 v[52:53], v[54:55], -v[52:53]
	v_fma_f64 v[60:61], v[60:61], s[30:31], v[70:71]
	v_fma_f64 v[54:55], -v[68:69], v[72:73], 1.0
	v_add_f64 v[50:51], v[50:51], v[52:53]
	v_fma_f64 v[52:53], v[72:73], v[54:55], v[72:73]
	v_add_f64 v[54:55], v[74:75], v[60:61]
	v_add_f64 v[70:71], v[56:57], v[50:51]
	v_fma_f64 v[72:73], -v[68:69], v[52:53], 1.0
	v_add_f64 v[74:75], v[54:55], -v[74:75]
	v_add_f64 v[76:77], v[54:55], v[70:71]
	v_add_f64 v[56:57], v[70:71], -v[56:57]
	v_fma_f64 v[52:53], v[52:53], v[72:73], v[52:53]
	v_add_f64 v[60:61], v[60:61], -v[74:75]
	v_add_f64 v[72:73], v[76:77], -v[54:55]
	;; [unrolled: 1-line block ×3, first 2 shown]
	v_mul_f64 v[78:79], v[58:59], v[52:53]
	v_add_f64 v[80:81], v[76:77], -v[72:73]
	v_add_f64 v[56:57], v[70:71], -v[72:73]
	v_fma_f64 v[58:59], -v[68:69], v[78:79], v[58:59]
	v_add_f64 v[54:55], v[54:55], -v[80:81]
	v_div_fmas_f64 v[52:53], v[58:59], v[52:53], v[78:79]
	v_add_f64 v[58:59], v[60:61], v[50:51]
	v_cmp_neq_f64_e64 vcc, |v[2:3]|, s[64:65]
	v_add_f64 v[54:55], v[56:57], v[54:55]
	v_add_f64 v[56:57], v[58:59], -v[60:61]
	v_add_f64 v[54:55], v[58:59], v[54:55]
	v_div_fixup_f64 v[52:53], v[52:53], |v[2:3]|, 1.0
	v_add_f64 v[58:59], v[58:59], -v[56:57]
	v_add_f64 v[50:51], v[50:51], -v[56:57]
	v_add_f64 v[68:69], v[76:77], v[54:55]
	v_mul_f64 v[70:71], v[52:53], v[52:53]
	v_add_f64 v[56:57], v[60:61], -v[58:59]
	v_add_f64 v[58:59], v[68:69], -v[76:77]
	v_fma_f64 v[60:61], v[70:71], s[0:1], v[12:13]
	s_mov_b32 s0, 0x8c0fe741
	s_mov_b32 s1, 0xbf4380cb
	v_add_f64 v[50:51], v[50:51], v[56:57]
	v_add_f64 v[54:55], v[54:55], -v[58:59]
	v_fma_f64 v[56:57], v[70:71], v[60:61], s[0:1]
	s_mov_b32 s0, 0x98cf38b6
	s_mov_b32 s1, 0x3f4a019f
	v_add_f64 v[50:51], v[50:51], v[54:55]
	v_fma_f64 v[54:55], v[70:71], v[56:57], s[0:1]
	s_mov_b32 s0, 0x16b02e5c
	s_mov_b32 s1, 0xbf66c16c
	v_add_f64 v[56:57], |v[2:3]|, -0.5
	v_add_f64 v[50:51], v[68:69], v[50:51]
	v_fma_f64 v[54:55], v[70:71], v[54:55], s[0:1]
	s_mov_b32 s0, 0x5555553b
	s_mov_b32 s1, 0x3fb55555
	v_add_f64 v[50:51], v[50:51], -1.0
	v_fma_f64 v[54:55], v[70:71], v[54:55], s[0:1]
	v_cmp_neq_f64_e64 s[0:1], 0, v[2:3]
	v_cndmask_b32_e32 v40, v64, v51, vcc
	v_fma_f64 v[51:52], v[52:53], v[54:55], s[10:11]
	s_and_b64 vcc, s[0:1], vcc
	v_cndmask_b32_e64 v54, v65, v40, s[0:1]
	v_cndmask_b32_e32 v53, 0, v50, vcc
	v_fma_f64 v[50:51], v[56:57], v[53:54], v[51:52]
.LBB12_237:                             ;   in Loop: Header=BB12_162 Depth=1
	s_or_b64 exec, exec, s[8:9]
.LBB12_238:                             ;   in Loop: Header=BB12_162 Depth=1
	s_andn2_saveexec_b64 s[0:1], s[6:7]
	s_cbranch_execz .LBB12_240
; %bb.239:                              ;   in Loop: Header=BB12_162 Depth=1
	v_cvt_i32_f64_e32 v40, v[48:49]
	s_mov_b32 s6, 0xdd17e945
	s_mov_b32 s7, 0x3f00bfec
	;; [unrolled: 1-line block ×3, first 2 shown]
	v_cvt_f64_i32_e32 v[50:51], v40
	s_mov_b32 s17, s63
	v_add_f64 v[52:53], |v[2:3]|, -v[50:51]
	v_fma_f64 v[50:51], v[52:53], s[6:7], v[14:15]
	s_mov_b32 s6, 0x7e939961
	s_mov_b32 s7, 0x3f9b481c
	v_fma_f64 v[50:51], v[52:53], v[50:51], s[6:7]
	s_mov_b32 s6, 0xbee5f2f7
	s_mov_b32 s7, 0x3fc2bb9c
	v_fma_f64 v[50:51], v[52:53], v[50:51], s[6:7]
	s_mov_b32 s6, 0x4f139f59
	s_mov_b32 s7, 0x3fd4d98f
	v_fma_f64 v[50:51], v[52:53], v[50:51], s[6:7]
	s_mov_b32 s6, 0x36e20878
	s_mov_b32 s7, 0x3fcb848b
	v_fma_f64 v[50:51], v[52:53], v[50:51], s[6:7]
	s_mov_b32 s6, 0xa5b38140
	s_mov_b32 s7, 0x3edebaf7
	v_fma_f64 v[54:55], v[52:53], s[6:7], v[16:17]
	s_mov_b32 s6, 0x742ed475
	s_mov_b32 s7, 0x3f9317ea
	v_fma_f64 v[50:51], v[52:53], v[50:51], s[56:57]
	v_fma_f64 v[54:55], v[52:53], v[54:55], s[6:7]
	s_mov_b32 s6, 0xccfbdf27
	s_mov_b32 s7, 0x3fc601ed
	v_mul_f64 v[50:51], v[52:53], v[50:51]
	v_fma_f64 v[54:55], v[52:53], v[54:55], s[6:7]
	s_mov_b32 s6, 0x93d3dcdc
	s_mov_b32 s7, 0x3fe71a18
	v_fma_f64 v[54:55], v[52:53], v[54:55], s[6:7]
	s_mov_b32 s6, 0x62c4ab74
	s_mov_b32 s7, 0x3ff645a7
	v_fma_f64 v[54:55], v[52:53], v[54:55], s[6:7]
	v_fma_f64 v[54:55], v[52:53], v[54:55], 1.0
	v_div_scale_f64 v[56:57], s[6:7], v[54:55], v[54:55], v[50:51]
	v_rcp_f64_e32 v[58:59], v[56:57]
	v_fma_f64 v[60:61], -v[56:57], v[58:59], 1.0
	v_fma_f64 v[58:59], v[58:59], v[60:61], v[58:59]
	v_fma_f64 v[60:61], -v[56:57], v[58:59], 1.0
	v_fma_f64 v[58:59], v[58:59], v[60:61], v[58:59]
	v_div_scale_f64 v[60:61], vcc, v[50:51], v[54:55], v[50:51]
	v_mul_f64 v[68:69], v[60:61], v[58:59]
	v_fma_f64 v[56:57], -v[56:57], v[68:69], v[60:61]
	v_add_f64 v[60:61], v[52:53], s[68:69]
	s_nop 0
	v_div_fmas_f64 v[56:57], v[56:57], v[58:59], v[68:69]
	v_cmp_lt_i32_e32 vcc, 2, v40
	v_add_f64 v[58:59], v[52:53], 4.0
	v_div_fixup_f64 v[50:51], v[56:57], v[54:55], v[50:51]
	v_add_f64 v[54:55], v[52:53], 2.0
	v_add_f64 v[56:57], v[52:53], s[66:67]
	v_fma_f64 v[50:51], v[52:53], 0.5, v[50:51]
	v_cndmask_b32_e32 v55, v66, v55, vcc
	v_cndmask_b32_e32 v54, 0, v54, vcc
	v_cmp_lt_i32_e32 vcc, 3, v40
	v_cndmask_b32_e32 v57, v66, v57, vcc
	v_cndmask_b32_e32 v56, 0, v56, vcc
	v_mul_f64 v[54:55], v[54:55], v[56:57]
	v_cmp_lt_i32_e32 vcc, 4, v40
	v_cndmask_b32_e32 v57, v66, v59, vcc
	v_cndmask_b32_e32 v56, 0, v58, vcc
	v_cmp_lt_i32_e32 vcc, 5, v40
	v_add_f64 v[52:53], v[52:53], s[70:71]
	v_mul_f64 v[54:55], v[56:57], v[54:55]
	v_cndmask_b32_e32 v57, v66, v61, vcc
	v_cndmask_b32_e32 v56, 0, v60, vcc
	v_cmp_lt_i32_e32 vcc, 6, v40
	v_cndmask_b32_e32 v53, v66, v53, vcc
	v_cndmask_b32_e32 v52, 0, v52, vcc
	v_mul_f64 v[54:55], v[56:57], v[54:55]
	v_mul_f64 v[52:53], v[52:53], v[54:55]
	v_frexp_mant_f64_e32 v[54:55], v[52:53]
	v_frexp_exp_i32_f64_e32 v40, v[52:53]
	v_cmp_gt_f64_e32 vcc, s[62:63], v[54:55]
	v_cndmask_b32_e64 v44, 0, 1, vcc
	v_ldexp_f64 v[54:55], v[54:55], v44
	v_subbrev_co_u32_e32 v40, vcc, 0, v40, vcc
	v_cmp_class_f64_e64 vcc, v[52:53], s77
	v_add_f64 v[58:59], v[54:55], 1.0
	v_add_f64 v[56:57], v[54:55], -1.0
	v_add_f64 v[60:61], v[58:59], -1.0
	v_add_f64 v[54:55], v[54:55], -v[60:61]
	v_rcp_f64_e32 v[60:61], v[58:59]
	v_fma_f64 v[68:69], -v[58:59], v[60:61], 1.0
	v_fma_f64 v[60:61], v[68:69], v[60:61], v[60:61]
	v_fma_f64 v[68:69], -v[58:59], v[60:61], 1.0
	v_fma_f64 v[60:61], v[68:69], v[60:61], v[60:61]
	v_mul_f64 v[68:69], v[56:57], v[60:61]
	v_mul_f64 v[70:71], v[58:59], v[68:69]
	v_fma_f64 v[58:59], v[68:69], v[58:59], -v[70:71]
	v_fma_f64 v[54:55], v[68:69], v[54:55], v[58:59]
	v_add_f64 v[58:59], v[70:71], v[54:55]
	v_add_f64 v[72:73], v[56:57], -v[58:59]
	v_add_f64 v[70:71], v[58:59], -v[70:71]
	;; [unrolled: 1-line block ×5, first 2 shown]
	v_add_f64 v[54:55], v[54:55], v[56:57]
	v_add_f64 v[54:55], v[72:73], v[54:55]
	v_mul_f64 v[54:55], v[60:61], v[54:55]
	v_add_f64 v[56:57], v[68:69], v[54:55]
	v_add_f64 v[58:59], v[56:57], -v[68:69]
	v_ldexp_f64 v[68:69], v[56:57], 1
	v_add_f64 v[54:55], v[54:55], -v[58:59]
	v_mul_f64 v[58:59], v[56:57], v[56:57]
	v_ldexp_f64 v[54:55], v[54:55], 1
	v_fma_f64 v[60:61], v[58:59], s[18:19], v[10:11]
	v_mul_f64 v[56:57], v[56:57], v[58:59]
	v_fma_f64 v[60:61], v[58:59], v[60:61], s[20:21]
	v_fma_f64 v[60:61], v[58:59], v[60:61], s[22:23]
	;; [unrolled: 1-line block ×5, first 2 shown]
	v_mul_f64 v[56:57], v[56:57], v[60:61]
	v_add_f64 v[58:59], v[68:69], v[56:57]
	v_add_f64 v[60:61], v[58:59], -v[68:69]
	v_add_f64 v[56:57], v[56:57], -v[60:61]
	v_add_f64 v[54:55], v[54:55], v[56:57]
	v_add_f64 v[56:57], v[58:59], v[54:55]
	v_add_f64 v[58:59], v[56:57], -v[58:59]
	v_add_f64 v[54:55], v[54:55], -v[58:59]
	v_cvt_f64_i32_e32 v[58:59], v40
	v_mul_f64 v[60:61], v[58:59], s[28:29]
	v_fma_f64 v[68:69], v[58:59], s[28:29], -v[60:61]
	v_fma_f64 v[58:59], v[58:59], s[30:31], v[68:69]
	v_add_f64 v[68:69], v[60:61], v[58:59]
	v_add_f64 v[60:61], v[68:69], -v[60:61]
	v_add_f64 v[58:59], v[58:59], -v[60:61]
	v_add_f64 v[60:61], v[68:69], v[56:57]
	v_add_f64 v[70:71], v[60:61], -v[68:69]
	v_add_f64 v[72:73], v[60:61], -v[70:71]
	;; [unrolled: 1-line block ×4, first 2 shown]
	v_add_f64 v[56:57], v[56:57], v[68:69]
	v_add_f64 v[68:69], v[58:59], v[54:55]
	v_add_f64 v[70:71], v[68:69], -v[58:59]
	v_add_f64 v[56:57], v[68:69], v[56:57]
	v_add_f64 v[72:73], v[68:69], -v[70:71]
	v_add_f64 v[54:55], v[54:55], -v[70:71]
	;; [unrolled: 1-line block ×3, first 2 shown]
	v_add_f64 v[54:55], v[54:55], v[58:59]
	v_add_f64 v[58:59], v[60:61], v[56:57]
	v_add_f64 v[60:61], v[58:59], -v[60:61]
	v_add_f64 v[56:57], v[56:57], -v[60:61]
	v_add_f64 v[54:55], v[54:55], v[56:57]
	v_add_f64 v[54:55], v[58:59], v[54:55]
	v_cndmask_b32_e32 v40, v54, v52, vcc
	v_cndmask_b32_e32 v44, v55, v53, vcc
	v_cmp_ngt_f64_e32 vcc, 0, v[52:53]
	v_cndmask_b32_e32 v44, v67, v44, vcc
	v_cmp_nge_f64_e32 vcc, 0, v[52:53]
	v_cndmask_b32_e32 v54, 0, v40, vcc
	v_cmp_neq_f64_e32 vcc, 0, v[52:53]
	v_cndmask_b32_e32 v55, v65, v44, vcc
	v_add_f64 v[50:51], v[50:51], v[54:55]
.LBB12_240:                             ;   in Loop: Header=BB12_162 Depth=1
	s_or_b64 exec, exec, s[0:1]
.LBB12_241:                             ;   in Loop: Header=BB12_162 Depth=1
	s_andn2_saveexec_b64 s[6:7], s[2:3]
	s_cbranch_execz .LBB12_255
; %bb.242:                              ;   in Loop: Header=BB12_162 Depth=1
	v_cmp_lt_u32_e32 vcc, s78, v49
                                        ; implicit-def: $vgpr40
                                        ; implicit-def: $vgpr52_vgpr53
	s_and_saveexec_b64 s[0:1], vcc
	s_xor_b64 s[0:1], exec, s[0:1]
	s_cbranch_execz .LBB12_244
; %bb.243:                              ;   in Loop: Header=BB12_162 Depth=1
	s_mov_b32 s2, 0x6356be3f
	s_mov_b32 s3, 0xbff762d8
	v_add_f64 v[50:51], -|v[2:3]|, 2.0
	v_add_f64 v[52:53], |v[2:3]|, s[2:3]
	v_add_f64 v[54:55], |v[2:3]|, -1.0
	v_cmp_gt_u32_e32 vcc, s79, v49
	v_cndmask_b32_e64 v40, 0, 1, vcc
	v_cndmask_b32_e32 v44, v50, v52, vcc
	v_cndmask_b32_e32 v48, v51, v53, vcc
	v_cmp_gt_u32_e32 vcc, s80, v49
	v_cndmask_b32_e32 v53, v48, v55, vcc
	v_cndmask_b32_e32 v52, v44, v54, vcc
	v_cndmask_b32_e64 v40, v40, 2, vcc
.LBB12_244:                             ;   in Loop: Header=BB12_162 Depth=1
	s_or_saveexec_b64 s[8:9], s[0:1]
	v_mov_b32_e32 v50, 0
	v_mov_b32_e32 v51, 0
	s_xor_b64 exec, exec, s[8:9]
	s_cbranch_execz .LBB12_246
; %bb.245:                              ;   in Loop: Header=BB12_162 Depth=1
	v_frexp_mant_f64_e64 v[50:51], |v[2:3]|
	s_mov_b32 s17, s63
	s_mov_b32 s0, 0x8d5af8fc
	;; [unrolled: 1-line block ×3, first 2 shown]
	v_cmp_gt_u32_e64 s[2:3], s81, v49
	v_cndmask_b32_e64 v48, 0, 1, s[2:3]
	v_cmp_gt_f64_e32 vcc, s[62:63], v[50:51]
	v_cndmask_b32_e64 v40, 0, 1, vcc
	v_ldexp_f64 v[50:51], v[50:51], v40
	v_frexp_exp_i32_f64_e32 v40, v[2:3]
	v_add_f64 v[52:53], v[50:51], 1.0
	v_add_f64 v[58:59], v[50:51], -1.0
	v_subbrev_co_u32_e32 v40, vcc, 0, v40, vcc
	v_cmp_neq_f64_e64 vcc, |v[2:3]|, s[64:65]
	v_rcp_f64_e32 v[54:55], v[52:53]
	v_add_f64 v[60:61], v[52:53], -1.0
	v_add_f64 v[50:51], v[50:51], -v[60:61]
	v_fma_f64 v[56:57], -v[52:53], v[54:55], 1.0
	v_fma_f64 v[54:55], v[56:57], v[54:55], v[54:55]
	v_fma_f64 v[56:57], -v[52:53], v[54:55], 1.0
	v_fma_f64 v[54:55], v[56:57], v[54:55], v[54:55]
	v_mul_f64 v[56:57], v[58:59], v[54:55]
	v_mul_f64 v[68:69], v[52:53], v[56:57]
	v_fma_f64 v[52:53], v[56:57], v[52:53], -v[68:69]
	v_fma_f64 v[50:51], v[56:57], v[50:51], v[52:53]
	v_add_f64 v[52:53], v[68:69], v[50:51]
	v_add_f64 v[60:61], v[58:59], -v[52:53]
	v_add_f64 v[68:69], v[52:53], -v[68:69]
	;; [unrolled: 1-line block ×5, first 2 shown]
	v_add_f64 v[50:51], v[50:51], v[52:53]
	v_add_f64 v[50:51], v[60:61], v[50:51]
	v_mul_f64 v[50:51], v[54:55], v[50:51]
	v_add_f64 v[52:53], v[56:57], v[50:51]
	v_mul_f64 v[54:55], v[52:53], v[52:53]
	v_fma_f64 v[58:59], v[54:55], s[18:19], v[10:11]
	v_mul_f64 v[60:61], v[52:53], v[54:55]
	v_fma_f64 v[58:59], v[54:55], v[58:59], s[20:21]
	v_fma_f64 v[58:59], v[54:55], v[58:59], s[22:23]
	;; [unrolled: 1-line block ×5, first 2 shown]
	v_ldexp_f64 v[58:59], v[52:53], 1
	v_add_f64 v[52:53], v[52:53], -v[56:57]
	v_mul_f64 v[54:55], v[60:61], v[54:55]
	v_cvt_f64_i32_e32 v[60:61], v40
	v_add_f64 v[50:51], v[50:51], -v[52:53]
	v_and_b32_e32 v40, 0x7fffffff, v3
	v_mul_f64 v[68:69], v[60:61], s[28:29]
	v_add_f64 v[56:57], v[58:59], v[54:55]
	v_ldexp_f64 v[50:51], v[50:51], 1
	v_add_f64 v[52:53], v[56:57], -v[58:59]
	v_fma_f64 v[58:59], v[60:61], s[28:29], -v[68:69]
	v_add_f64 v[52:53], v[54:55], -v[52:53]
	v_fma_f64 v[54:55], v[60:61], s[30:31], v[58:59]
	v_add_f64 v[50:51], v[50:51], v[52:53]
	v_add_f64 v[52:53], v[68:69], v[54:55]
	;; [unrolled: 1-line block ×3, first 2 shown]
	v_add_f64 v[68:69], v[52:53], -v[68:69]
	v_add_f64 v[60:61], v[52:53], v[58:59]
	v_add_f64 v[56:57], v[58:59], -v[56:57]
	v_add_f64 v[54:55], v[54:55], -v[68:69]
	;; [unrolled: 1-line block ×6, first 2 shown]
	v_add_f64 v[58:59], v[54:55], v[50:51]
	v_add_f64 v[52:53], v[52:53], -v[72:73]
	v_add_f64 v[52:53], v[56:57], v[52:53]
	v_add_f64 v[56:57], v[58:59], -v[54:55]
	;; [unrolled: 2-line block ×3, first 2 shown]
	v_add_f64 v[50:51], v[50:51], -v[56:57]
	v_add_f64 v[68:69], v[60:61], v[52:53]
	v_add_f64 v[54:55], v[54:55], -v[58:59]
	v_add_f64 v[56:57], v[68:69], -v[60:61]
	v_add_f64 v[50:51], v[50:51], v[54:55]
	v_add_f64 v[54:55], |v[2:3]|, s[0:1]
	v_cmp_neq_f64_e64 s[0:1], 0, v[2:3]
	v_add_f64 v[52:53], v[52:53], -v[56:57]
	v_add_f64 v[50:51], v[50:51], v[52:53]
	v_add_f64 v[52:53], -|v[2:3]|, 1.0
	v_add_f64 v[50:51], v[68:69], v[50:51]
	v_xor_b32_e32 v44, 0x80000000, v51
	v_cndmask_b32_e32 v44, v65, v44, vcc
	v_cndmask_b32_e64 v51, v52, v54, s[2:3]
	v_cndmask_b32_e64 v52, v53, v55, s[2:3]
	v_cmp_gt_u32_e64 s[2:3], s82, v49
	s_and_b64 vcc, s[0:1], vcc
	v_cndmask_b32_e64 v53, v52, v40, s[2:3]
	v_cndmask_b32_e64 v52, v51, v2, s[2:3]
	;; [unrolled: 1-line block ×3, first 2 shown]
	v_cndmask_b32_e32 v50, 0, v50, vcc
	v_cndmask_b32_e64 v40, v48, 2, s[2:3]
.LBB12_246:                             ;   in Loop: Header=BB12_162 Depth=1
	s_or_b64 exec, exec, s[8:9]
	v_cmp_lt_i32_e32 vcc, 1, v40
                                        ; implicit-def: $vgpr56_vgpr57
	s_and_saveexec_b64 s[0:1], vcc
	s_xor_b64 s[0:1], exec, s[0:1]
	s_cbranch_execz .LBB12_248
; %bb.247:                              ;   in Loop: Header=BB12_162 Depth=1
	s_mov_b32 s2, 0xbf2bab09
	s_mov_b32 s3, 0x3f8b678b
	v_fma_f64 v[54:55], v[52:53], s[2:3], v[18:19]
	s_mov_b32 s2, 0x57d0cf61
	s_mov_b32 s3, 0x3f6a5abb
	v_fma_f64 v[56:57], v[52:53], s[2:3], v[20:21]
	s_mov_b32 s2, 0x44ea8450
	s_mov_b32 s3, 0x3fef4976
	;; [unrolled: 1-line block ×3, first 2 shown]
                                        ; implicit-def: $vgpr40
	v_fma_f64 v[54:55], v[52:53], v[54:55], s[2:3]
	s_mov_b32 s2, 0xe45050af
	s_mov_b32 s3, 0x3fe89dfb
	v_fma_f64 v[56:57], v[52:53], v[56:57], s[2:3]
	s_mov_b32 s2, 0xd119bd6f
	s_mov_b32 s3, 0x3ff7475c
	;; [unrolled: 3-line block ×4, first 2 shown]
	v_fma_f64 v[54:55], v[52:53], v[54:55], s[2:3]
	v_fma_f64 v[56:57], v[52:53], v[56:57], s[86:87]
	;; [unrolled: 1-line block ×3, first 2 shown]
	v_fma_f64 v[56:57], v[52:53], v[56:57], 1.0
	v_mul_f64 v[54:55], v[52:53], v[54:55]
	v_div_scale_f64 v[58:59], s[2:3], v[56:57], v[56:57], v[54:55]
	v_div_scale_f64 v[70:71], vcc, v[54:55], v[56:57], v[54:55]
	v_rcp_f64_e32 v[60:61], v[58:59]
	v_fma_f64 v[68:69], -v[58:59], v[60:61], 1.0
	v_fma_f64 v[60:61], v[60:61], v[68:69], v[60:61]
	v_fma_f64 v[68:69], -v[58:59], v[60:61], 1.0
	v_fma_f64 v[60:61], v[60:61], v[68:69], v[60:61]
	v_mul_f64 v[68:69], v[70:71], v[60:61]
	v_fma_f64 v[58:59], -v[58:59], v[68:69], v[70:71]
	v_div_fmas_f64 v[58:59], v[58:59], v[60:61], v[68:69]
	v_div_fixup_f64 v[54:55], v[58:59], v[56:57], v[54:55]
	v_fma_f64 v[56:57], v[52:53], -0.5, v[54:55]
                                        ; implicit-def: $vgpr52_vgpr53
.LBB12_248:                             ;   in Loop: Header=BB12_162 Depth=1
	s_andn2_saveexec_b64 s[0:1], s[0:1]
	s_cbranch_execz .LBB12_254
; %bb.249:                              ;   in Loop: Header=BB12_162 Depth=1
	v_mul_f64 v[54:55], v[52:53], v[52:53]
	v_cmp_ne_u32_e32 vcc, 1, v40
                                        ; implicit-def: $vgpr56_vgpr57
	s_and_saveexec_b64 s[2:3], vcc
	s_xor_b64 s[2:3], exec, s[2:3]
	s_cbranch_execz .LBB12_251
; %bb.250:                              ;   in Loop: Header=BB12_162 Depth=1
	s_mov_b32 s8, 0x90a45837
	s_mov_b32 s9, 0x3f07858e
	v_fma_f64 v[56:57], v[54:55], s[8:9], v[24:25]
	s_mov_b32 s8, 0x428cfa52
	s_mov_b32 s9, 0x3efa7074
	v_fma_f64 v[58:59], v[54:55], s[8:9], v[22:23]
	;; [unrolled: 3-line block ×9, first 2 shown]
	v_fma_f64 v[58:59], v[54:55], v[58:59], s[72:73]
	v_mul_f64 v[54:55], v[54:55], v[56:57]
	v_fma_f64 v[54:55], v[52:53], v[58:59], v[54:55]
	v_fma_f64 v[56:57], v[52:53], -0.5, v[54:55]
                                        ; implicit-def: $vgpr52_vgpr53
                                        ; implicit-def: $vgpr54_vgpr55
.LBB12_251:                             ;   in Loop: Header=BB12_162 Depth=1
	s_andn2_saveexec_b64 s[2:3], s[2:3]
	s_cbranch_execz .LBB12_253
; %bb.252:                              ;   in Loop: Header=BB12_162 Depth=1
	v_mul_f64 v[56:57], v[52:53], v[54:55]
	s_mov_b32 s8, 0xecc38c38
	s_mov_b32 s9, 0xbf347f24
	v_fma_f64 v[58:59], v[56:57], s[8:9], v[28:29]
	s_mov_b32 s8, 0xe8c2d3f4
	s_mov_b32 s9, 0x3f35fd3e
	v_fma_f64 v[60:61], v[56:57], s[8:9], v[30:31]
	;; [unrolled: 3-line block ×12, first 2 shown]
	v_fma_f64 v[58:59], v[56:57], v[68:69], s[8:9]
	s_mov_b32 s8, 0xa48a971f
	s_mov_b32 s9, 0xbc50c7ca
	v_fma_f64 v[52:53], v[56:57], -v[52:53], s[8:9]
	s_mov_b32 s8, 0xbcc38a42
	s_mov_b32 s9, 0xbfbf19b9
	v_fma_f64 v[52:53], v[54:55], v[58:59], -v[52:53]
	v_add_f64 v[56:57], v[52:53], s[8:9]
.LBB12_253:                             ;   in Loop: Header=BB12_162 Depth=1
	s_or_b64 exec, exec, s[2:3]
.LBB12_254:                             ;   in Loop: Header=BB12_162 Depth=1
	s_or_b64 exec, exec, s[0:1]
	v_add_f64 v[50:51], v[50:51], v[56:57]
.LBB12_255:                             ;   in Loop: Header=BB12_162 Depth=1
	s_or_b64 exec, exec, s[6:7]
.LBB12_256:                             ;   in Loop: Header=BB12_162 Depth=1
	s_andn2_saveexec_b64 s[2:3], s[4:5]
	s_cbranch_execz .LBB12_258
; %bb.257:                              ;   in Loop: Header=BB12_162 Depth=1
	v_frexp_mant_f64_e64 v[50:51], |v[2:3]|
	s_mov_b32 s17, s63
	v_cmp_neq_f64_e64 s[0:1], 0, v[2:3]
	v_cmp_gt_f64_e32 vcc, s[62:63], v[50:51]
	v_cndmask_b32_e64 v40, 0, 1, vcc
	v_ldexp_f64 v[50:51], v[50:51], v40
	v_frexp_exp_i32_f64_e32 v40, v[2:3]
	v_add_f64 v[52:53], v[50:51], 1.0
	v_add_f64 v[58:59], v[50:51], -1.0
	v_subbrev_co_u32_e32 v40, vcc, 0, v40, vcc
	v_cmp_neq_f64_e64 vcc, |v[2:3]|, s[64:65]
	v_rcp_f64_e32 v[54:55], v[52:53]
	v_add_f64 v[60:61], v[52:53], -1.0
	v_add_f64 v[50:51], v[50:51], -v[60:61]
	v_fma_f64 v[56:57], -v[52:53], v[54:55], 1.0
	v_fma_f64 v[54:55], v[56:57], v[54:55], v[54:55]
	v_fma_f64 v[56:57], -v[52:53], v[54:55], 1.0
	v_fma_f64 v[54:55], v[56:57], v[54:55], v[54:55]
	v_mul_f64 v[56:57], v[58:59], v[54:55]
	v_mul_f64 v[68:69], v[52:53], v[56:57]
	v_fma_f64 v[52:53], v[56:57], v[52:53], -v[68:69]
	v_fma_f64 v[50:51], v[56:57], v[50:51], v[52:53]
	v_add_f64 v[52:53], v[68:69], v[50:51]
	v_add_f64 v[60:61], v[58:59], -v[52:53]
	v_add_f64 v[68:69], v[52:53], -v[68:69]
	;; [unrolled: 1-line block ×5, first 2 shown]
	v_add_f64 v[50:51], v[50:51], v[52:53]
	v_add_f64 v[50:51], v[60:61], v[50:51]
	v_mul_f64 v[50:51], v[54:55], v[50:51]
	v_add_f64 v[52:53], v[56:57], v[50:51]
	v_mul_f64 v[54:55], v[52:53], v[52:53]
	v_fma_f64 v[58:59], v[54:55], s[18:19], v[10:11]
	v_mul_f64 v[60:61], v[52:53], v[54:55]
	v_fma_f64 v[58:59], v[54:55], v[58:59], s[20:21]
	v_fma_f64 v[58:59], v[54:55], v[58:59], s[22:23]
	;; [unrolled: 1-line block ×5, first 2 shown]
	v_ldexp_f64 v[58:59], v[52:53], 1
	v_add_f64 v[52:53], v[52:53], -v[56:57]
	v_mul_f64 v[54:55], v[60:61], v[54:55]
	v_cvt_f64_i32_e32 v[60:61], v40
	v_add_f64 v[50:51], v[50:51], -v[52:53]
	v_mul_f64 v[68:69], v[60:61], s[28:29]
	v_add_f64 v[56:57], v[58:59], v[54:55]
	v_ldexp_f64 v[50:51], v[50:51], 1
	v_add_f64 v[52:53], v[56:57], -v[58:59]
	v_fma_f64 v[58:59], v[60:61], s[28:29], -v[68:69]
	v_add_f64 v[52:53], v[54:55], -v[52:53]
	v_fma_f64 v[54:55], v[60:61], s[30:31], v[58:59]
	v_add_f64 v[50:51], v[50:51], v[52:53]
	v_add_f64 v[52:53], v[68:69], v[54:55]
	;; [unrolled: 1-line block ×3, first 2 shown]
	v_add_f64 v[68:69], v[52:53], -v[68:69]
	v_add_f64 v[60:61], v[52:53], v[58:59]
	v_add_f64 v[56:57], v[58:59], -v[56:57]
	v_add_f64 v[54:55], v[54:55], -v[68:69]
	;; [unrolled: 1-line block ×6, first 2 shown]
	v_add_f64 v[58:59], v[54:55], v[50:51]
	v_add_f64 v[52:53], v[52:53], -v[72:73]
	v_add_f64 v[52:53], v[56:57], v[52:53]
	v_add_f64 v[56:57], v[58:59], -v[54:55]
	;; [unrolled: 2-line block ×3, first 2 shown]
	v_add_f64 v[50:51], v[50:51], -v[56:57]
	v_add_f64 v[68:69], v[60:61], v[52:53]
	v_add_f64 v[54:55], v[54:55], -v[58:59]
	v_add_f64 v[56:57], v[68:69], -v[60:61]
	v_add_f64 v[50:51], v[50:51], v[54:55]
	v_fma_f64 v[54:55], |v[2:3]|, s[94:95], v[32:33]
	v_add_f64 v[52:53], v[52:53], -v[56:57]
	v_add_f64 v[50:51], v[50:51], v[52:53]
	v_fma_f64 v[52:53], |v[2:3]|, v[54:55], s[34:35]
	v_add_f64 v[50:51], v[68:69], v[50:51]
	v_fma_f64 v[52:53], |v[2:3]|, v[52:53], s[36:37]
	v_xor_b32_e32 v40, 0x80000000, v51
	v_fma_f64 v[51:52], |v[2:3]|, v[52:53], s[38:39]
	v_cndmask_b32_e32 v40, v65, v40, vcc
	s_and_b64 vcc, s[0:1], vcc
	v_cndmask_b32_e64 v54, v64, v40, s[0:1]
	v_cndmask_b32_e32 v53, 0, v50, vcc
	v_fma_f64 v[50:51], |v[2:3]|, v[51:52], v[53:54]
.LBB12_258:                             ;   in Loop: Header=BB12_162 Depth=1
	s_or_b64 exec, exec, s[2:3]
	v_cmp_le_f64_e32 vcc, 0, v[2:3]
	s_and_saveexec_b64 s[0:1], vcc
	s_xor_b64 s[2:3], exec, s[0:1]
	s_cbranch_execz .LBB12_260
; %bb.259:                              ;   in Loop: Header=BB12_162 Depth=1
	v_cmp_eq_f64_e32 vcc, 1.0, v[2:3]
	v_cmp_eq_f64_e64 s[0:1], 2.0, v[2:3]
	s_or_b64 s[0:1], vcc, s[0:1]
	v_cndmask_b32_e64 v51, v51, 0, s[0:1]
	v_cndmask_b32_e64 v50, v50, 0, s[0:1]
.LBB12_260:                             ;   in Loop: Header=BB12_162 Depth=1
	s_andn2_saveexec_b64 s[2:3], s[2:3]
	s_cbranch_execz .LBB12_264
; %bb.261:                              ;   in Loop: Header=BB12_162 Depth=1
	v_add_u32_e32 v40, 0xc32fffff, v49
	v_cmp_gt_u32_e32 vcc, s83, v40
	s_and_saveexec_b64 s[4:5], vcc
	s_cbranch_execz .LBB12_263
; %bb.262:                              ;   in Loop: Header=BB12_162 Depth=1
	v_mul_f64 v[52:53], |v[2:3]|, 0.5
	v_and_b32_e32 v40, 0x7fffffff, v3
	v_cmp_class_f64_e64 s[0:1], v[2:3], s84
	s_mov_b32 s17, s63
	v_cmp_class_f64_e64 s[6:7], v[2:3], s77
	v_fract_f64_e32 v[54:55], v[52:53]
	v_cmp_neq_f64_e64 vcc, |v[52:53]|, s[64:65]
	v_add_f64 v[54:55], v[54:55], v[54:55]
	v_cndmask_b32_e32 v44, 0, v54, vcc
	v_cndmask_b32_e32 v48, 0, v55, vcc
	v_cmp_gt_f64_e64 vcc, |v[2:3]|, 1.0
	v_cndmask_b32_e32 v53, v40, v48, vcc
	v_cndmask_b32_e32 v52, v2, v44, vcc
	v_add_f64 v[54:55], v[52:53], v[52:53]
	v_rndne_f64_e32 v[54:55], v[54:55]
	v_fma_f64 v[52:53], v[54:55], -0.5, v[52:53]
	v_cvt_i32_f64_e32 v40, v[54:55]
	v_and_b32_e32 v44, 1, v40
	v_lshlrev_b32_e32 v40, 30, v40
	v_cmp_eq_u32_e32 vcc, 0, v44
	v_mul_f64 v[56:57], v[52:53], v[52:53]
	v_xor_b32_e32 v40, v40, v3
	v_and_b32_e32 v40, 0x80000000, v40
	v_fma_f64 v[58:59], v[56:57], s[40:41], v[34:35]
	v_fma_f64 v[60:61], v[56:57], s[46:47], v[36:37]
	v_mul_f64 v[68:69], v[52:53], v[56:57]
	v_fma_f64 v[58:59], v[56:57], v[58:59], s[42:43]
	v_fma_f64 v[60:61], v[56:57], v[60:61], s[48:49]
	;; [unrolled: 1-line block ×8, first 2 shown]
	v_mul_f64 v[58:59], v[68:69], v[58:59]
	v_fma_f64 v[60:61], v[56:57], v[60:61], s[58:59]
	v_fma_f64 v[52:53], v[52:53], s[92:93], v[58:59]
	v_fma_f64 v[56:57], v[56:57], v[60:61], 1.0
	v_cndmask_b32_e32 v48, v57, v53, vcc
	v_cndmask_b32_e32 v44, v56, v52, vcc
	v_xor_b32_e32 v40, v48, v40
	v_cndmask_b32_e64 v52, 0, v44, s[0:1]
	v_cndmask_b32_e64 v53, v67, v40, s[0:1]
	v_mul_f64 v[52:53], v[2:3], v[52:53]
	v_and_b32_e32 v55, 0x7fffffff, v53
	v_mov_b32_e32 v54, v52
	v_div_scale_f64 v[56:57], s[0:1], v[54:55], v[54:55], s[92:93]
	v_div_scale_f64 v[54:55], vcc, s[92:93], v[54:55], s[92:93]
	v_rcp_f64_e32 v[58:59], v[56:57]
	v_fma_f64 v[60:61], -v[56:57], v[58:59], 1.0
	v_fma_f64 v[58:59], v[58:59], v[60:61], v[58:59]
	v_fma_f64 v[60:61], -v[56:57], v[58:59], 1.0
	v_fma_f64 v[58:59], v[58:59], v[60:61], v[58:59]
	v_mul_f64 v[60:61], v[54:55], v[58:59]
	v_fma_f64 v[54:55], -v[56:57], v[60:61], v[54:55]
	v_div_fmas_f64 v[54:55], v[54:55], v[58:59], v[60:61]
	v_div_fixup_f64 v[52:53], v[54:55], |v[52:53]|, s[92:93]
	v_frexp_mant_f64_e32 v[54:55], v[52:53]
	v_cmp_gt_f64_e32 vcc, s[62:63], v[54:55]
	v_cndmask_b32_e64 v40, 0, 1, vcc
	v_ldexp_f64 v[54:55], v[54:55], v40
	v_frexp_exp_i32_f64_e32 v40, v[52:53]
	v_add_f64 v[56:57], v[54:55], 1.0
	v_add_f64 v[68:69], v[54:55], -1.0
	v_subbrev_co_u32_e32 v40, vcc, 0, v40, vcc
	v_cmp_class_f64_e64 vcc, v[52:53], s77
	v_rcp_f64_e32 v[58:59], v[56:57]
	v_add_f64 v[70:71], v[56:57], -1.0
	v_add_f64 v[54:55], v[54:55], -v[70:71]
	v_fma_f64 v[60:61], -v[56:57], v[58:59], 1.0
	v_fma_f64 v[58:59], v[60:61], v[58:59], v[58:59]
	v_fma_f64 v[60:61], -v[56:57], v[58:59], 1.0
	v_fma_f64 v[58:59], v[60:61], v[58:59], v[58:59]
	v_mul_f64 v[60:61], v[68:69], v[58:59]
	v_mul_f64 v[72:73], v[56:57], v[60:61]
	v_fma_f64 v[56:57], v[60:61], v[56:57], -v[72:73]
	v_fma_f64 v[54:55], v[60:61], v[54:55], v[56:57]
	v_add_f64 v[56:57], v[72:73], v[54:55]
	v_add_f64 v[70:71], v[68:69], -v[56:57]
	v_add_f64 v[72:73], v[56:57], -v[72:73]
	;; [unrolled: 1-line block ×5, first 2 shown]
	v_add_f64 v[54:55], v[54:55], v[56:57]
	v_add_f64 v[54:55], v[70:71], v[54:55]
	v_mul_f64 v[54:55], v[58:59], v[54:55]
	v_add_f64 v[56:57], v[60:61], v[54:55]
	v_mul_f64 v[58:59], v[56:57], v[56:57]
	v_fma_f64 v[68:69], v[58:59], s[18:19], v[10:11]
	v_mul_f64 v[70:71], v[56:57], v[58:59]
	v_fma_f64 v[68:69], v[58:59], v[68:69], s[20:21]
	v_fma_f64 v[68:69], v[58:59], v[68:69], s[22:23]
	;; [unrolled: 1-line block ×5, first 2 shown]
	v_ldexp_f64 v[68:69], v[56:57], 1
	v_add_f64 v[56:57], v[56:57], -v[60:61]
	v_mul_f64 v[58:59], v[70:71], v[58:59]
	v_cvt_f64_i32_e32 v[70:71], v40
	v_add_f64 v[54:55], v[54:55], -v[56:57]
	v_mul_f64 v[72:73], v[70:71], s[28:29]
	v_add_f64 v[60:61], v[68:69], v[58:59]
	v_ldexp_f64 v[54:55], v[54:55], 1
	v_add_f64 v[56:57], v[60:61], -v[68:69]
	v_fma_f64 v[68:69], v[70:71], s[28:29], -v[72:73]
	v_add_f64 v[56:57], v[58:59], -v[56:57]
	v_fma_f64 v[58:59], v[70:71], s[30:31], v[68:69]
	v_add_f64 v[54:55], v[54:55], v[56:57]
	v_add_f64 v[56:57], v[72:73], v[58:59]
	;; [unrolled: 1-line block ×3, first 2 shown]
	v_add_f64 v[72:73], v[56:57], -v[72:73]
	v_add_f64 v[70:71], v[56:57], v[68:69]
	v_add_f64 v[60:61], v[68:69], -v[60:61]
	v_add_f64 v[58:59], v[58:59], -v[72:73]
	;; [unrolled: 1-line block ×6, first 2 shown]
	v_add_f64 v[68:69], v[58:59], v[54:55]
	v_add_f64 v[56:57], v[56:57], -v[76:77]
	v_add_f64 v[56:57], v[60:61], v[56:57]
	v_add_f64 v[60:61], v[68:69], -v[58:59]
	;; [unrolled: 2-line block ×3, first 2 shown]
	v_add_f64 v[54:55], v[54:55], -v[60:61]
	v_add_f64 v[72:73], v[70:71], v[56:57]
	v_add_f64 v[58:59], v[58:59], -v[68:69]
	v_add_f64 v[60:61], v[72:73], -v[70:71]
	v_add_f64 v[54:55], v[54:55], v[58:59]
	v_add_f64 v[56:57], v[56:57], -v[60:61]
	v_add_f64 v[54:55], v[54:55], v[56:57]
	v_fract_f64_e32 v[56:57], v[2:3]
	v_add_f64 v[54:55], v[72:73], v[54:55]
	v_cmp_eq_f64_e64 s[0:1], 0, v[56:57]
	v_cndmask_b32_e32 v40, v54, v52, vcc
	v_cndmask_b32_e32 v44, v55, v53, vcc
	v_cmp_neq_f64_e32 vcc, 0, v[52:53]
	v_cndmask_b32_e32 v53, v65, v44, vcc
	v_cndmask_b32_e32 v52, 0, v40, vcc
	v_add_f64 v[50:51], v[52:53], -v[50:51]
	s_or_b64 vcc, s[6:7], s[0:1]
	v_cndmask_b32_e32 v51, v51, v64, vcc
	v_cndmask_b32_e64 v50, v50, 0, vcc
.LBB12_263:                             ;   in Loop: Header=BB12_162 Depth=1
	s_or_b64 exec, exec, s[4:5]
.LBB12_264:                             ;   in Loop: Header=BB12_162 Depth=1
	s_or_b64 exec, exec, s[2:3]
	v_and_b32_e32 v53, 0x7fffffff, v5
	v_mov_b32_e32 v52, v4
	v_cmp_lt_u32_e32 vcc, s33, v53
                                        ; implicit-def: $vgpr54_vgpr55
	s_and_saveexec_b64 s[0:1], vcc
	s_xor_b64 s[4:5], exec, s[0:1]
	s_cbranch_execz .LBB12_290
; %bb.265:                              ;   in Loop: Header=BB12_162 Depth=1
	v_cmp_lt_u32_e32 vcc, s74, v53
                                        ; implicit-def: $vgpr54_vgpr55
	s_and_saveexec_b64 s[0:1], vcc
	s_xor_b64 s[2:3], exec, s[0:1]
	s_cbranch_execz .LBB12_275
; %bb.266:                              ;   in Loop: Header=BB12_162 Depth=1
	;; [unrolled: 6-line block ×4, first 2 shown]
	v_frexp_mant_f64_e64 v[54:55], |v[4:5]|
	s_mov_b32 s17, s63
	v_cmp_neq_f64_e64 s[0:1], 0, v[4:5]
	v_cmp_gt_f64_e32 vcc, s[62:63], v[54:55]
	v_cndmask_b32_e64 v40, 0, 1, vcc
	v_ldexp_f64 v[54:55], v[54:55], v40
	v_frexp_exp_i32_f64_e32 v40, v[4:5]
	v_add_f64 v[56:57], v[54:55], 1.0
	v_add_f64 v[68:69], v[54:55], -1.0
	v_subbrev_co_u32_e32 v40, vcc, 0, v40, vcc
	v_cmp_neq_f64_e64 vcc, |v[4:5]|, s[64:65]
	v_rcp_f64_e32 v[58:59], v[56:57]
	v_add_f64 v[70:71], v[56:57], -1.0
	v_add_f64 v[54:55], v[54:55], -v[70:71]
	v_fma_f64 v[60:61], -v[56:57], v[58:59], 1.0
	v_fma_f64 v[58:59], v[60:61], v[58:59], v[58:59]
	v_fma_f64 v[60:61], -v[56:57], v[58:59], 1.0
	v_fma_f64 v[58:59], v[60:61], v[58:59], v[58:59]
	v_mul_f64 v[60:61], v[68:69], v[58:59]
	v_mul_f64 v[72:73], v[56:57], v[60:61]
	v_fma_f64 v[56:57], v[60:61], v[56:57], -v[72:73]
	v_fma_f64 v[54:55], v[60:61], v[54:55], v[56:57]
	v_add_f64 v[56:57], v[72:73], v[54:55]
	v_add_f64 v[70:71], v[68:69], -v[56:57]
	v_add_f64 v[72:73], v[56:57], -v[72:73]
	;; [unrolled: 1-line block ×5, first 2 shown]
	v_add_f64 v[54:55], v[54:55], v[56:57]
	v_add_f64 v[54:55], v[70:71], v[54:55]
	v_mul_f64 v[54:55], v[58:59], v[54:55]
	v_add_f64 v[56:57], v[60:61], v[54:55]
	v_mul_f64 v[58:59], v[56:57], v[56:57]
	v_fma_f64 v[68:69], v[58:59], s[18:19], v[10:11]
	v_mul_f64 v[70:71], v[56:57], v[58:59]
	v_fma_f64 v[68:69], v[58:59], v[68:69], s[20:21]
	v_fma_f64 v[68:69], v[58:59], v[68:69], s[22:23]
	;; [unrolled: 1-line block ×5, first 2 shown]
	v_ldexp_f64 v[68:69], v[56:57], 1
	v_add_f64 v[56:57], v[56:57], -v[60:61]
	v_mul_f64 v[58:59], v[70:71], v[58:59]
	v_cvt_f64_i32_e32 v[70:71], v40
	v_add_f64 v[54:55], v[54:55], -v[56:57]
	v_mul_f64 v[72:73], v[70:71], s[28:29]
	v_add_f64 v[60:61], v[68:69], v[58:59]
	v_ldexp_f64 v[54:55], v[54:55], 1
	v_add_f64 v[56:57], v[60:61], -v[68:69]
	v_fma_f64 v[68:69], v[70:71], s[28:29], -v[72:73]
	v_add_f64 v[56:57], v[58:59], -v[56:57]
	v_fma_f64 v[58:59], v[70:71], s[30:31], v[68:69]
	v_add_f64 v[54:55], v[54:55], v[56:57]
	v_add_f64 v[56:57], v[72:73], v[58:59]
	;; [unrolled: 1-line block ×3, first 2 shown]
	v_add_f64 v[72:73], v[56:57], -v[72:73]
	v_add_f64 v[70:71], v[56:57], v[68:69]
	v_add_f64 v[60:61], v[68:69], -v[60:61]
	v_add_f64 v[58:59], v[58:59], -v[72:73]
	;; [unrolled: 1-line block ×6, first 2 shown]
	v_add_f64 v[68:69], v[58:59], v[54:55]
	v_add_f64 v[56:57], v[56:57], -v[76:77]
	v_add_f64 v[56:57], v[60:61], v[56:57]
	v_add_f64 v[60:61], v[68:69], -v[58:59]
	;; [unrolled: 2-line block ×3, first 2 shown]
	v_add_f64 v[54:55], v[54:55], -v[60:61]
	v_add_f64 v[72:73], v[70:71], v[56:57]
	v_add_f64 v[58:59], v[58:59], -v[68:69]
	v_add_f64 v[60:61], v[72:73], -v[70:71]
	v_add_f64 v[54:55], v[54:55], v[58:59]
	v_add_f64 v[56:57], v[56:57], -v[60:61]
	v_add_f64 v[54:55], v[54:55], v[56:57]
	v_add_f64 v[54:55], v[72:73], v[54:55]
	v_cndmask_b32_e32 v40, v64, v55, vcc
	s_and_b64 vcc, s[0:1], vcc
	v_cndmask_b32_e64 v55, v65, v40, s[0:1]
	v_cndmask_b32_e32 v54, 0, v54, vcc
	v_fma_f64 v[54:55], |v[4:5]|, v[54:55], -|v[4:5]|
.LBB12_269:                             ;   in Loop: Header=BB12_162 Depth=1
	s_andn2_saveexec_b64 s[8:9], s[8:9]
	s_cbranch_execz .LBB12_271
; %bb.270:                              ;   in Loop: Header=BB12_162 Depth=1
	v_frexp_mant_f64_e64 v[54:55], |v[4:5]|
	s_mov_b32 s17, s63
	s_mov_b32 s10, 0x90c97d69
	;; [unrolled: 1-line block ×3, first 2 shown]
	v_cmp_gt_f64_e32 vcc, s[62:63], v[54:55]
	v_cndmask_b32_e64 v40, 0, 1, vcc
	v_ldexp_f64 v[54:55], v[54:55], v40
	v_frexp_exp_i32_f64_e32 v40, v[4:5]
	v_add_f64 v[56:57], v[54:55], 1.0
	v_add_f64 v[68:69], v[54:55], -1.0
	v_subbrev_co_u32_e32 v40, vcc, 0, v40, vcc
	v_rcp_f64_e32 v[58:59], v[56:57]
	v_add_f64 v[70:71], v[56:57], -1.0
	v_add_f64 v[54:55], v[54:55], -v[70:71]
	v_fma_f64 v[60:61], -v[56:57], v[58:59], 1.0
	v_fma_f64 v[58:59], v[60:61], v[58:59], v[58:59]
	v_fma_f64 v[60:61], -v[56:57], v[58:59], 1.0
	v_fma_f64 v[58:59], v[60:61], v[58:59], v[58:59]
	v_mul_f64 v[60:61], v[68:69], v[58:59]
	v_mul_f64 v[72:73], v[56:57], v[60:61]
	v_fma_f64 v[56:57], v[60:61], v[56:57], -v[72:73]
	v_fma_f64 v[54:55], v[60:61], v[54:55], v[56:57]
	v_add_f64 v[56:57], v[72:73], v[54:55]
	v_add_f64 v[70:71], v[68:69], -v[56:57]
	v_add_f64 v[72:73], v[56:57], -v[72:73]
	;; [unrolled: 1-line block ×5, first 2 shown]
	v_add_f64 v[54:55], v[54:55], v[56:57]
	v_add_f64 v[54:55], v[70:71], v[54:55]
	v_mul_f64 v[54:55], v[58:59], v[54:55]
	v_add_f64 v[56:57], v[60:61], v[54:55]
	v_mul_f64 v[58:59], v[56:57], v[56:57]
	v_ldexp_f64 v[74:75], v[56:57], 1
	v_fma_f64 v[68:69], v[58:59], s[18:19], v[10:11]
	v_mul_f64 v[70:71], v[56:57], v[58:59]
	v_add_f64 v[56:57], v[56:57], -v[60:61]
	v_fma_f64 v[68:69], v[58:59], v[68:69], s[20:21]
	v_add_f64 v[54:55], v[54:55], -v[56:57]
	v_fma_f64 v[68:69], v[58:59], v[68:69], s[22:23]
	v_ldexp_f64 v[54:55], v[54:55], 1
	v_fma_f64 v[68:69], v[58:59], v[68:69], s[24:25]
	v_fma_f64 v[68:69], v[58:59], v[68:69], s[26:27]
	v_fma_f64 v[58:59], v[58:59], v[68:69], s[16:17]
	v_and_b32_e32 v69, 0x7fffffff, v5
	v_mov_b32_e32 v68, v4
	v_div_scale_f64 v[72:73], s[0:1], v[68:69], v[68:69], 1.0
	v_div_scale_f64 v[68:69], vcc, 1.0, v[68:69], 1.0
	s_mov_b32 s0, 0xb9e43e4
	v_mul_f64 v[58:59], v[70:71], v[58:59]
	v_cvt_f64_i32_e32 v[70:71], v40
	s_mov_b32 s1, 0xbf5ab89d
	v_mul_f64 v[78:79], v[70:71], s[28:29]
	v_add_f64 v[60:61], v[74:75], v[58:59]
	v_rcp_f64_e32 v[76:77], v[72:73]
	v_add_f64 v[56:57], v[60:61], -v[74:75]
	v_fma_f64 v[74:75], v[70:71], s[28:29], -v[78:79]
	v_add_f64 v[56:57], v[58:59], -v[56:57]
	v_fma_f64 v[70:71], v[70:71], s[30:31], v[74:75]
	v_fma_f64 v[58:59], -v[72:73], v[76:77], 1.0
	v_add_f64 v[54:55], v[54:55], v[56:57]
	v_fma_f64 v[56:57], v[76:77], v[58:59], v[76:77]
	v_add_f64 v[58:59], v[78:79], v[70:71]
	v_add_f64 v[74:75], v[60:61], v[54:55]
	v_fma_f64 v[76:77], -v[72:73], v[56:57], 1.0
	v_add_f64 v[78:79], v[58:59], -v[78:79]
	v_add_f64 v[80:81], v[58:59], v[74:75]
	v_add_f64 v[60:61], v[74:75], -v[60:61]
	v_fma_f64 v[56:57], v[56:57], v[76:77], v[56:57]
	v_add_f64 v[70:71], v[70:71], -v[78:79]
	v_add_f64 v[76:77], v[80:81], -v[58:59]
	;; [unrolled: 1-line block ×3, first 2 shown]
	v_mul_f64 v[82:83], v[68:69], v[56:57]
	v_add_f64 v[84:85], v[80:81], -v[76:77]
	v_add_f64 v[60:61], v[74:75], -v[76:77]
	v_fma_f64 v[68:69], -v[72:73], v[82:83], v[68:69]
	v_add_f64 v[58:59], v[58:59], -v[84:85]
	v_div_fmas_f64 v[56:57], v[68:69], v[56:57], v[82:83]
	v_add_f64 v[68:69], v[70:71], v[54:55]
	v_cmp_neq_f64_e64 vcc, |v[4:5]|, s[64:65]
	v_add_f64 v[58:59], v[60:61], v[58:59]
	v_add_f64 v[60:61], v[68:69], -v[70:71]
	v_add_f64 v[58:59], v[68:69], v[58:59]
	v_div_fixup_f64 v[56:57], v[56:57], |v[4:5]|, 1.0
	v_add_f64 v[68:69], v[68:69], -v[60:61]
	v_add_f64 v[54:55], v[54:55], -v[60:61]
	v_add_f64 v[72:73], v[80:81], v[58:59]
	v_mul_f64 v[74:75], v[56:57], v[56:57]
	v_add_f64 v[60:61], v[70:71], -v[68:69]
	v_add_f64 v[68:69], v[72:73], -v[80:81]
	v_fma_f64 v[70:71], v[74:75], s[0:1], v[12:13]
	s_mov_b32 s0, 0x8c0fe741
	s_mov_b32 s1, 0xbf4380cb
	v_add_f64 v[54:55], v[54:55], v[60:61]
	v_add_f64 v[58:59], v[58:59], -v[68:69]
	v_fma_f64 v[60:61], v[74:75], v[70:71], s[0:1]
	s_mov_b32 s0, 0x98cf38b6
	s_mov_b32 s1, 0x3f4a019f
	v_add_f64 v[54:55], v[54:55], v[58:59]
	v_fma_f64 v[58:59], v[74:75], v[60:61], s[0:1]
	s_mov_b32 s0, 0x16b02e5c
	s_mov_b32 s1, 0xbf66c16c
	v_add_f64 v[60:61], |v[4:5]|, -0.5
	v_add_f64 v[54:55], v[72:73], v[54:55]
	v_fma_f64 v[58:59], v[74:75], v[58:59], s[0:1]
	s_mov_b32 s0, 0x5555553b
	s_mov_b32 s1, 0x3fb55555
	v_add_f64 v[54:55], v[54:55], -1.0
	v_fma_f64 v[58:59], v[74:75], v[58:59], s[0:1]
	v_cmp_neq_f64_e64 s[0:1], 0, v[4:5]
	v_cndmask_b32_e32 v40, v64, v55, vcc
	v_fma_f64 v[55:56], v[56:57], v[58:59], s[10:11]
	s_and_b64 vcc, s[0:1], vcc
	v_cndmask_b32_e64 v58, v65, v40, s[0:1]
	v_cndmask_b32_e32 v57, 0, v54, vcc
	v_fma_f64 v[54:55], v[60:61], v[57:58], v[55:56]
.LBB12_271:                             ;   in Loop: Header=BB12_162 Depth=1
	s_or_b64 exec, exec, s[8:9]
.LBB12_272:                             ;   in Loop: Header=BB12_162 Depth=1
	s_andn2_saveexec_b64 s[0:1], s[6:7]
	s_cbranch_execz .LBB12_274
; %bb.273:                              ;   in Loop: Header=BB12_162 Depth=1
	v_cvt_i32_f64_e32 v40, v[52:53]
	s_mov_b32 s6, 0xdd17e945
	s_mov_b32 s7, 0x3f00bfec
	;; [unrolled: 1-line block ×3, first 2 shown]
	v_cvt_f64_i32_e32 v[54:55], v40
	s_mov_b32 s17, s63
	v_add_f64 v[56:57], |v[4:5]|, -v[54:55]
	v_fma_f64 v[54:55], v[56:57], s[6:7], v[14:15]
	s_mov_b32 s6, 0x7e939961
	s_mov_b32 s7, 0x3f9b481c
	v_fma_f64 v[54:55], v[56:57], v[54:55], s[6:7]
	s_mov_b32 s6, 0xbee5f2f7
	s_mov_b32 s7, 0x3fc2bb9c
	v_fma_f64 v[54:55], v[56:57], v[54:55], s[6:7]
	s_mov_b32 s6, 0x4f139f59
	s_mov_b32 s7, 0x3fd4d98f
	v_fma_f64 v[54:55], v[56:57], v[54:55], s[6:7]
	s_mov_b32 s6, 0x36e20878
	s_mov_b32 s7, 0x3fcb848b
	v_fma_f64 v[54:55], v[56:57], v[54:55], s[6:7]
	s_mov_b32 s6, 0xa5b38140
	s_mov_b32 s7, 0x3edebaf7
	v_fma_f64 v[58:59], v[56:57], s[6:7], v[16:17]
	s_mov_b32 s6, 0x742ed475
	s_mov_b32 s7, 0x3f9317ea
	v_fma_f64 v[54:55], v[56:57], v[54:55], s[56:57]
	v_fma_f64 v[58:59], v[56:57], v[58:59], s[6:7]
	s_mov_b32 s6, 0xccfbdf27
	s_mov_b32 s7, 0x3fc601ed
	v_mul_f64 v[54:55], v[56:57], v[54:55]
	v_fma_f64 v[58:59], v[56:57], v[58:59], s[6:7]
	s_mov_b32 s6, 0x93d3dcdc
	s_mov_b32 s7, 0x3fe71a18
	v_fma_f64 v[58:59], v[56:57], v[58:59], s[6:7]
	s_mov_b32 s6, 0x62c4ab74
	s_mov_b32 s7, 0x3ff645a7
	v_fma_f64 v[58:59], v[56:57], v[58:59], s[6:7]
	v_fma_f64 v[58:59], v[56:57], v[58:59], 1.0
	v_div_scale_f64 v[60:61], s[6:7], v[58:59], v[58:59], v[54:55]
	v_rcp_f64_e32 v[68:69], v[60:61]
	v_fma_f64 v[70:71], -v[60:61], v[68:69], 1.0
	v_fma_f64 v[68:69], v[68:69], v[70:71], v[68:69]
	v_fma_f64 v[70:71], -v[60:61], v[68:69], 1.0
	v_fma_f64 v[68:69], v[68:69], v[70:71], v[68:69]
	v_div_scale_f64 v[70:71], vcc, v[54:55], v[58:59], v[54:55]
	v_mul_f64 v[72:73], v[70:71], v[68:69]
	v_fma_f64 v[60:61], -v[60:61], v[72:73], v[70:71]
	v_add_f64 v[70:71], v[56:57], s[68:69]
	s_nop 0
	v_div_fmas_f64 v[60:61], v[60:61], v[68:69], v[72:73]
	v_cmp_lt_i32_e32 vcc, 2, v40
	v_add_f64 v[68:69], v[56:57], 4.0
	v_div_fixup_f64 v[54:55], v[60:61], v[58:59], v[54:55]
	v_add_f64 v[58:59], v[56:57], 2.0
	v_add_f64 v[60:61], v[56:57], s[66:67]
	v_fma_f64 v[54:55], v[56:57], 0.5, v[54:55]
	v_cndmask_b32_e32 v59, v66, v59, vcc
	v_cndmask_b32_e32 v58, 0, v58, vcc
	v_cmp_lt_i32_e32 vcc, 3, v40
	v_cndmask_b32_e32 v61, v66, v61, vcc
	v_cndmask_b32_e32 v60, 0, v60, vcc
	v_mul_f64 v[58:59], v[58:59], v[60:61]
	v_cmp_lt_i32_e32 vcc, 4, v40
	v_cndmask_b32_e32 v61, v66, v69, vcc
	v_cndmask_b32_e32 v60, 0, v68, vcc
	v_cmp_lt_i32_e32 vcc, 5, v40
	v_add_f64 v[56:57], v[56:57], s[70:71]
	v_mul_f64 v[58:59], v[60:61], v[58:59]
	v_cndmask_b32_e32 v61, v66, v71, vcc
	v_cndmask_b32_e32 v60, 0, v70, vcc
	v_cmp_lt_i32_e32 vcc, 6, v40
	v_cndmask_b32_e32 v57, v66, v57, vcc
	v_cndmask_b32_e32 v56, 0, v56, vcc
	v_mul_f64 v[58:59], v[60:61], v[58:59]
	v_mul_f64 v[56:57], v[56:57], v[58:59]
	v_frexp_mant_f64_e32 v[58:59], v[56:57]
	v_frexp_exp_i32_f64_e32 v40, v[56:57]
	v_cmp_gt_f64_e32 vcc, s[62:63], v[58:59]
	v_cndmask_b32_e64 v44, 0, 1, vcc
	v_ldexp_f64 v[58:59], v[58:59], v44
	v_subbrev_co_u32_e32 v40, vcc, 0, v40, vcc
	v_cmp_class_f64_e64 vcc, v[56:57], s77
	v_add_f64 v[68:69], v[58:59], 1.0
	v_add_f64 v[60:61], v[58:59], -1.0
	v_add_f64 v[70:71], v[68:69], -1.0
	v_add_f64 v[58:59], v[58:59], -v[70:71]
	v_rcp_f64_e32 v[70:71], v[68:69]
	v_fma_f64 v[72:73], -v[68:69], v[70:71], 1.0
	v_fma_f64 v[70:71], v[72:73], v[70:71], v[70:71]
	v_fma_f64 v[72:73], -v[68:69], v[70:71], 1.0
	v_fma_f64 v[70:71], v[72:73], v[70:71], v[70:71]
	v_mul_f64 v[72:73], v[60:61], v[70:71]
	v_mul_f64 v[74:75], v[68:69], v[72:73]
	v_fma_f64 v[68:69], v[72:73], v[68:69], -v[74:75]
	v_fma_f64 v[58:59], v[72:73], v[58:59], v[68:69]
	v_add_f64 v[68:69], v[74:75], v[58:59]
	v_add_f64 v[76:77], v[60:61], -v[68:69]
	v_add_f64 v[74:75], v[68:69], -v[74:75]
	;; [unrolled: 1-line block ×5, first 2 shown]
	v_add_f64 v[58:59], v[58:59], v[60:61]
	v_add_f64 v[58:59], v[76:77], v[58:59]
	v_mul_f64 v[58:59], v[70:71], v[58:59]
	v_add_f64 v[60:61], v[72:73], v[58:59]
	v_add_f64 v[68:69], v[60:61], -v[72:73]
	v_ldexp_f64 v[72:73], v[60:61], 1
	v_add_f64 v[58:59], v[58:59], -v[68:69]
	v_mul_f64 v[68:69], v[60:61], v[60:61]
	v_ldexp_f64 v[58:59], v[58:59], 1
	v_fma_f64 v[70:71], v[68:69], s[18:19], v[10:11]
	v_mul_f64 v[60:61], v[60:61], v[68:69]
	v_fma_f64 v[70:71], v[68:69], v[70:71], s[20:21]
	v_fma_f64 v[70:71], v[68:69], v[70:71], s[22:23]
	;; [unrolled: 1-line block ×5, first 2 shown]
	v_mul_f64 v[60:61], v[60:61], v[70:71]
	v_add_f64 v[68:69], v[72:73], v[60:61]
	v_add_f64 v[70:71], v[68:69], -v[72:73]
	v_add_f64 v[60:61], v[60:61], -v[70:71]
	v_add_f64 v[58:59], v[58:59], v[60:61]
	v_add_f64 v[60:61], v[68:69], v[58:59]
	v_add_f64 v[68:69], v[60:61], -v[68:69]
	v_add_f64 v[58:59], v[58:59], -v[68:69]
	v_cvt_f64_i32_e32 v[68:69], v40
	v_mul_f64 v[70:71], v[68:69], s[28:29]
	v_fma_f64 v[72:73], v[68:69], s[28:29], -v[70:71]
	v_fma_f64 v[68:69], v[68:69], s[30:31], v[72:73]
	v_add_f64 v[72:73], v[70:71], v[68:69]
	v_add_f64 v[70:71], v[72:73], -v[70:71]
	v_add_f64 v[68:69], v[68:69], -v[70:71]
	v_add_f64 v[70:71], v[72:73], v[60:61]
	v_add_f64 v[74:75], v[70:71], -v[72:73]
	v_add_f64 v[76:77], v[70:71], -v[74:75]
	;; [unrolled: 1-line block ×4, first 2 shown]
	v_add_f64 v[60:61], v[60:61], v[72:73]
	v_add_f64 v[72:73], v[68:69], v[58:59]
	v_add_f64 v[74:75], v[72:73], -v[68:69]
	v_add_f64 v[60:61], v[72:73], v[60:61]
	v_add_f64 v[76:77], v[72:73], -v[74:75]
	v_add_f64 v[58:59], v[58:59], -v[74:75]
	;; [unrolled: 1-line block ×3, first 2 shown]
	v_add_f64 v[58:59], v[58:59], v[68:69]
	v_add_f64 v[68:69], v[70:71], v[60:61]
	v_add_f64 v[70:71], v[68:69], -v[70:71]
	v_add_f64 v[60:61], v[60:61], -v[70:71]
	v_add_f64 v[58:59], v[58:59], v[60:61]
	v_add_f64 v[58:59], v[68:69], v[58:59]
	v_cndmask_b32_e32 v40, v58, v56, vcc
	v_cndmask_b32_e32 v44, v59, v57, vcc
	v_cmp_ngt_f64_e32 vcc, 0, v[56:57]
	v_cndmask_b32_e32 v44, v67, v44, vcc
	v_cmp_nge_f64_e32 vcc, 0, v[56:57]
	v_cndmask_b32_e32 v58, 0, v40, vcc
	v_cmp_neq_f64_e32 vcc, 0, v[56:57]
	v_cndmask_b32_e32 v59, v65, v44, vcc
	v_add_f64 v[54:55], v[54:55], v[58:59]
.LBB12_274:                             ;   in Loop: Header=BB12_162 Depth=1
	s_or_b64 exec, exec, s[0:1]
.LBB12_275:                             ;   in Loop: Header=BB12_162 Depth=1
	s_andn2_saveexec_b64 s[6:7], s[2:3]
	s_cbranch_execz .LBB12_289
; %bb.276:                              ;   in Loop: Header=BB12_162 Depth=1
	v_cmp_lt_u32_e32 vcc, s78, v53
                                        ; implicit-def: $vgpr40
                                        ; implicit-def: $vgpr56_vgpr57
	s_and_saveexec_b64 s[0:1], vcc
	s_xor_b64 s[0:1], exec, s[0:1]
	s_cbranch_execz .LBB12_278
; %bb.277:                              ;   in Loop: Header=BB12_162 Depth=1
	s_mov_b32 s2, 0x6356be3f
	s_mov_b32 s3, 0xbff762d8
	v_add_f64 v[54:55], -|v[4:5]|, 2.0
	v_add_f64 v[56:57], |v[4:5]|, s[2:3]
	v_add_f64 v[58:59], |v[4:5]|, -1.0
	v_cmp_gt_u32_e32 vcc, s79, v53
	v_cndmask_b32_e64 v40, 0, 1, vcc
	v_cndmask_b32_e32 v44, v54, v56, vcc
	v_cndmask_b32_e32 v48, v55, v57, vcc
	v_cmp_gt_u32_e32 vcc, s80, v53
	v_cndmask_b32_e32 v57, v48, v59, vcc
	v_cndmask_b32_e32 v56, v44, v58, vcc
	v_cndmask_b32_e64 v40, v40, 2, vcc
.LBB12_278:                             ;   in Loop: Header=BB12_162 Depth=1
	s_or_saveexec_b64 s[8:9], s[0:1]
	v_mov_b32_e32 v54, 0
	v_mov_b32_e32 v55, 0
	s_xor_b64 exec, exec, s[8:9]
	s_cbranch_execz .LBB12_280
; %bb.279:                              ;   in Loop: Header=BB12_162 Depth=1
	v_frexp_mant_f64_e64 v[54:55], |v[4:5]|
	s_mov_b32 s17, s63
	s_mov_b32 s0, 0x8d5af8fc
	;; [unrolled: 1-line block ×3, first 2 shown]
	v_cmp_gt_u32_e64 s[2:3], s81, v53
	v_cndmask_b32_e64 v48, 0, 1, s[2:3]
	v_cmp_gt_f64_e32 vcc, s[62:63], v[54:55]
	v_cndmask_b32_e64 v40, 0, 1, vcc
	v_ldexp_f64 v[54:55], v[54:55], v40
	v_frexp_exp_i32_f64_e32 v40, v[4:5]
	v_add_f64 v[56:57], v[54:55], 1.0
	v_add_f64 v[68:69], v[54:55], -1.0
	v_subbrev_co_u32_e32 v40, vcc, 0, v40, vcc
	v_cmp_neq_f64_e64 vcc, |v[4:5]|, s[64:65]
	v_rcp_f64_e32 v[58:59], v[56:57]
	v_add_f64 v[70:71], v[56:57], -1.0
	v_add_f64 v[54:55], v[54:55], -v[70:71]
	v_fma_f64 v[60:61], -v[56:57], v[58:59], 1.0
	v_fma_f64 v[58:59], v[60:61], v[58:59], v[58:59]
	v_fma_f64 v[60:61], -v[56:57], v[58:59], 1.0
	v_fma_f64 v[58:59], v[60:61], v[58:59], v[58:59]
	v_mul_f64 v[60:61], v[68:69], v[58:59]
	v_mul_f64 v[72:73], v[56:57], v[60:61]
	v_fma_f64 v[56:57], v[60:61], v[56:57], -v[72:73]
	v_fma_f64 v[54:55], v[60:61], v[54:55], v[56:57]
	v_add_f64 v[56:57], v[72:73], v[54:55]
	v_add_f64 v[70:71], v[68:69], -v[56:57]
	v_add_f64 v[72:73], v[56:57], -v[72:73]
	;; [unrolled: 1-line block ×5, first 2 shown]
	v_add_f64 v[54:55], v[54:55], v[56:57]
	v_add_f64 v[54:55], v[70:71], v[54:55]
	v_mul_f64 v[54:55], v[58:59], v[54:55]
	v_add_f64 v[56:57], v[60:61], v[54:55]
	v_mul_f64 v[58:59], v[56:57], v[56:57]
	v_fma_f64 v[68:69], v[58:59], s[18:19], v[10:11]
	v_mul_f64 v[70:71], v[56:57], v[58:59]
	v_fma_f64 v[68:69], v[58:59], v[68:69], s[20:21]
	v_fma_f64 v[68:69], v[58:59], v[68:69], s[22:23]
	;; [unrolled: 1-line block ×5, first 2 shown]
	v_ldexp_f64 v[68:69], v[56:57], 1
	v_add_f64 v[56:57], v[56:57], -v[60:61]
	v_mul_f64 v[58:59], v[70:71], v[58:59]
	v_cvt_f64_i32_e32 v[70:71], v40
	v_add_f64 v[54:55], v[54:55], -v[56:57]
	v_and_b32_e32 v40, 0x7fffffff, v5
	v_mul_f64 v[72:73], v[70:71], s[28:29]
	v_add_f64 v[60:61], v[68:69], v[58:59]
	v_ldexp_f64 v[54:55], v[54:55], 1
	v_add_f64 v[56:57], v[60:61], -v[68:69]
	v_fma_f64 v[68:69], v[70:71], s[28:29], -v[72:73]
	v_add_f64 v[56:57], v[58:59], -v[56:57]
	v_fma_f64 v[58:59], v[70:71], s[30:31], v[68:69]
	v_add_f64 v[54:55], v[54:55], v[56:57]
	v_add_f64 v[56:57], v[72:73], v[58:59]
	;; [unrolled: 1-line block ×3, first 2 shown]
	v_add_f64 v[72:73], v[56:57], -v[72:73]
	v_add_f64 v[70:71], v[56:57], v[68:69]
	v_add_f64 v[60:61], v[68:69], -v[60:61]
	v_add_f64 v[58:59], v[58:59], -v[72:73]
	;; [unrolled: 1-line block ×6, first 2 shown]
	v_add_f64 v[68:69], v[58:59], v[54:55]
	v_add_f64 v[56:57], v[56:57], -v[76:77]
	v_add_f64 v[56:57], v[60:61], v[56:57]
	v_add_f64 v[60:61], v[68:69], -v[58:59]
	;; [unrolled: 2-line block ×3, first 2 shown]
	v_add_f64 v[54:55], v[54:55], -v[60:61]
	v_add_f64 v[72:73], v[70:71], v[56:57]
	v_add_f64 v[58:59], v[58:59], -v[68:69]
	v_add_f64 v[60:61], v[72:73], -v[70:71]
	v_add_f64 v[54:55], v[54:55], v[58:59]
	v_add_f64 v[58:59], |v[4:5]|, s[0:1]
	v_cmp_neq_f64_e64 s[0:1], 0, v[4:5]
	v_add_f64 v[56:57], v[56:57], -v[60:61]
	v_add_f64 v[54:55], v[54:55], v[56:57]
	v_add_f64 v[56:57], -|v[4:5]|, 1.0
	v_add_f64 v[54:55], v[72:73], v[54:55]
	v_cndmask_b32_e64 v52, v56, v58, s[2:3]
	v_xor_b32_e32 v44, 0x80000000, v55
	v_cndmask_b32_e32 v44, v65, v44, vcc
	v_cndmask_b32_e64 v55, v57, v59, s[2:3]
	v_cmp_gt_u32_e64 s[2:3], s82, v53
	s_and_b64 vcc, s[0:1], vcc
	v_cndmask_b32_e64 v57, v55, v40, s[2:3]
	v_cndmask_b32_e64 v56, v52, v4, s[2:3]
	;; [unrolled: 1-line block ×3, first 2 shown]
	v_cndmask_b32_e32 v54, 0, v54, vcc
	v_cndmask_b32_e64 v40, v48, 2, s[2:3]
.LBB12_280:                             ;   in Loop: Header=BB12_162 Depth=1
	s_or_b64 exec, exec, s[8:9]
	v_cmp_lt_i32_e32 vcc, 1, v40
                                        ; implicit-def: $vgpr60_vgpr61
	s_and_saveexec_b64 s[0:1], vcc
	s_xor_b64 s[0:1], exec, s[0:1]
	s_cbranch_execz .LBB12_282
; %bb.281:                              ;   in Loop: Header=BB12_162 Depth=1
	s_mov_b32 s2, 0xbf2bab09
	s_mov_b32 s3, 0x3f8b678b
	v_fma_f64 v[58:59], v[56:57], s[2:3], v[18:19]
	s_mov_b32 s2, 0x57d0cf61
	s_mov_b32 s3, 0x3f6a5abb
	v_fma_f64 v[60:61], v[56:57], s[2:3], v[20:21]
	s_mov_b32 s2, 0x44ea8450
	s_mov_b32 s3, 0x3fef4976
	;; [unrolled: 1-line block ×3, first 2 shown]
                                        ; implicit-def: $vgpr40
	v_fma_f64 v[58:59], v[56:57], v[58:59], s[2:3]
	s_mov_b32 s2, 0xe45050af
	s_mov_b32 s3, 0x3fe89dfb
	v_fma_f64 v[60:61], v[56:57], v[60:61], s[2:3]
	s_mov_b32 s2, 0xd119bd6f
	s_mov_b32 s3, 0x3ff7475c
	;; [unrolled: 3-line block ×4, first 2 shown]
	v_fma_f64 v[58:59], v[56:57], v[58:59], s[2:3]
	v_fma_f64 v[60:61], v[56:57], v[60:61], s[86:87]
	;; [unrolled: 1-line block ×3, first 2 shown]
	v_fma_f64 v[60:61], v[56:57], v[60:61], 1.0
	v_mul_f64 v[58:59], v[56:57], v[58:59]
	v_div_scale_f64 v[68:69], s[2:3], v[60:61], v[60:61], v[58:59]
	v_div_scale_f64 v[74:75], vcc, v[58:59], v[60:61], v[58:59]
	v_rcp_f64_e32 v[70:71], v[68:69]
	v_fma_f64 v[72:73], -v[68:69], v[70:71], 1.0
	v_fma_f64 v[70:71], v[70:71], v[72:73], v[70:71]
	v_fma_f64 v[72:73], -v[68:69], v[70:71], 1.0
	v_fma_f64 v[70:71], v[70:71], v[72:73], v[70:71]
	v_mul_f64 v[72:73], v[74:75], v[70:71]
	v_fma_f64 v[68:69], -v[68:69], v[72:73], v[74:75]
	v_div_fmas_f64 v[68:69], v[68:69], v[70:71], v[72:73]
	v_div_fixup_f64 v[58:59], v[68:69], v[60:61], v[58:59]
	v_fma_f64 v[60:61], v[56:57], -0.5, v[58:59]
                                        ; implicit-def: $vgpr56_vgpr57
.LBB12_282:                             ;   in Loop: Header=BB12_162 Depth=1
	s_andn2_saveexec_b64 s[0:1], s[0:1]
	s_cbranch_execz .LBB12_288
; %bb.283:                              ;   in Loop: Header=BB12_162 Depth=1
	v_mul_f64 v[58:59], v[56:57], v[56:57]
	v_cmp_ne_u32_e32 vcc, 1, v40
                                        ; implicit-def: $vgpr60_vgpr61
	s_and_saveexec_b64 s[2:3], vcc
	s_xor_b64 s[2:3], exec, s[2:3]
	s_cbranch_execz .LBB12_285
; %bb.284:                              ;   in Loop: Header=BB12_162 Depth=1
	s_mov_b32 s8, 0x90a45837
	s_mov_b32 s9, 0x3f07858e
	v_fma_f64 v[60:61], v[58:59], s[8:9], v[24:25]
	s_mov_b32 s8, 0x428cfa52
	s_mov_b32 s9, 0x3efa7074
	v_fma_f64 v[68:69], v[58:59], s[8:9], v[22:23]
	;; [unrolled: 3-line block ×9, first 2 shown]
	v_fma_f64 v[68:69], v[58:59], v[68:69], s[72:73]
	v_mul_f64 v[58:59], v[58:59], v[60:61]
	v_fma_f64 v[58:59], v[56:57], v[68:69], v[58:59]
	v_fma_f64 v[60:61], v[56:57], -0.5, v[58:59]
                                        ; implicit-def: $vgpr56_vgpr57
                                        ; implicit-def: $vgpr58_vgpr59
.LBB12_285:                             ;   in Loop: Header=BB12_162 Depth=1
	s_andn2_saveexec_b64 s[2:3], s[2:3]
	s_cbranch_execz .LBB12_287
; %bb.286:                              ;   in Loop: Header=BB12_162 Depth=1
	v_mul_f64 v[60:61], v[56:57], v[58:59]
	s_mov_b32 s8, 0xecc38c38
	s_mov_b32 s9, 0xbf347f24
	v_fma_f64 v[68:69], v[60:61], s[8:9], v[28:29]
	s_mov_b32 s8, 0xe8c2d3f4
	s_mov_b32 s9, 0x3f35fd3e
	v_fma_f64 v[70:71], v[60:61], s[8:9], v[30:31]
	;; [unrolled: 3-line block ×12, first 2 shown]
	v_fma_f64 v[68:69], v[60:61], v[72:73], s[8:9]
	s_mov_b32 s8, 0xa48a971f
	s_mov_b32 s9, 0xbc50c7ca
	v_fma_f64 v[56:57], v[60:61], -v[56:57], s[8:9]
	s_mov_b32 s8, 0xbcc38a42
	s_mov_b32 s9, 0xbfbf19b9
	v_fma_f64 v[56:57], v[58:59], v[68:69], -v[56:57]
	v_add_f64 v[60:61], v[56:57], s[8:9]
.LBB12_287:                             ;   in Loop: Header=BB12_162 Depth=1
	s_or_b64 exec, exec, s[2:3]
.LBB12_288:                             ;   in Loop: Header=BB12_162 Depth=1
	s_or_b64 exec, exec, s[0:1]
	v_add_f64 v[54:55], v[54:55], v[60:61]
.LBB12_289:                             ;   in Loop: Header=BB12_162 Depth=1
	s_or_b64 exec, exec, s[6:7]
.LBB12_290:                             ;   in Loop: Header=BB12_162 Depth=1
	s_andn2_saveexec_b64 s[2:3], s[4:5]
	s_cbranch_execz .LBB12_292
; %bb.291:                              ;   in Loop: Header=BB12_162 Depth=1
	v_frexp_mant_f64_e64 v[54:55], |v[4:5]|
	s_mov_b32 s17, s63
	v_cmp_neq_f64_e64 s[0:1], 0, v[4:5]
	v_cmp_gt_f64_e32 vcc, s[62:63], v[54:55]
	v_cndmask_b32_e64 v40, 0, 1, vcc
	v_ldexp_f64 v[54:55], v[54:55], v40
	v_frexp_exp_i32_f64_e32 v40, v[4:5]
	v_add_f64 v[56:57], v[54:55], 1.0
	v_add_f64 v[68:69], v[54:55], -1.0
	v_subbrev_co_u32_e32 v40, vcc, 0, v40, vcc
	v_cmp_neq_f64_e64 vcc, |v[4:5]|, s[64:65]
	v_rcp_f64_e32 v[58:59], v[56:57]
	v_add_f64 v[70:71], v[56:57], -1.0
	v_add_f64 v[54:55], v[54:55], -v[70:71]
	v_fma_f64 v[60:61], -v[56:57], v[58:59], 1.0
	v_fma_f64 v[58:59], v[60:61], v[58:59], v[58:59]
	v_fma_f64 v[60:61], -v[56:57], v[58:59], 1.0
	v_fma_f64 v[58:59], v[60:61], v[58:59], v[58:59]
	v_mul_f64 v[60:61], v[68:69], v[58:59]
	v_mul_f64 v[72:73], v[56:57], v[60:61]
	v_fma_f64 v[56:57], v[60:61], v[56:57], -v[72:73]
	v_fma_f64 v[54:55], v[60:61], v[54:55], v[56:57]
	v_add_f64 v[56:57], v[72:73], v[54:55]
	v_add_f64 v[70:71], v[68:69], -v[56:57]
	v_add_f64 v[72:73], v[56:57], -v[72:73]
	;; [unrolled: 1-line block ×5, first 2 shown]
	v_add_f64 v[54:55], v[54:55], v[56:57]
	v_add_f64 v[54:55], v[70:71], v[54:55]
	v_mul_f64 v[54:55], v[58:59], v[54:55]
	v_add_f64 v[56:57], v[60:61], v[54:55]
	v_mul_f64 v[58:59], v[56:57], v[56:57]
	v_fma_f64 v[68:69], v[58:59], s[18:19], v[10:11]
	v_mul_f64 v[70:71], v[56:57], v[58:59]
	v_fma_f64 v[68:69], v[58:59], v[68:69], s[20:21]
	v_fma_f64 v[68:69], v[58:59], v[68:69], s[22:23]
	;; [unrolled: 1-line block ×5, first 2 shown]
	v_ldexp_f64 v[68:69], v[56:57], 1
	v_add_f64 v[56:57], v[56:57], -v[60:61]
	v_mul_f64 v[58:59], v[70:71], v[58:59]
	v_cvt_f64_i32_e32 v[70:71], v40
	v_add_f64 v[54:55], v[54:55], -v[56:57]
	v_mul_f64 v[72:73], v[70:71], s[28:29]
	v_add_f64 v[60:61], v[68:69], v[58:59]
	v_ldexp_f64 v[54:55], v[54:55], 1
	v_add_f64 v[56:57], v[60:61], -v[68:69]
	v_fma_f64 v[68:69], v[70:71], s[28:29], -v[72:73]
	v_add_f64 v[56:57], v[58:59], -v[56:57]
	v_fma_f64 v[58:59], v[70:71], s[30:31], v[68:69]
	v_add_f64 v[54:55], v[54:55], v[56:57]
	v_add_f64 v[56:57], v[72:73], v[58:59]
	;; [unrolled: 1-line block ×3, first 2 shown]
	v_add_f64 v[72:73], v[56:57], -v[72:73]
	v_add_f64 v[70:71], v[56:57], v[68:69]
	v_add_f64 v[60:61], v[68:69], -v[60:61]
	v_add_f64 v[58:59], v[58:59], -v[72:73]
	;; [unrolled: 1-line block ×6, first 2 shown]
	v_add_f64 v[68:69], v[58:59], v[54:55]
	v_add_f64 v[56:57], v[56:57], -v[76:77]
	v_add_f64 v[56:57], v[60:61], v[56:57]
	v_add_f64 v[60:61], v[68:69], -v[58:59]
	;; [unrolled: 2-line block ×3, first 2 shown]
	v_add_f64 v[54:55], v[54:55], -v[60:61]
	v_add_f64 v[72:73], v[70:71], v[56:57]
	v_add_f64 v[58:59], v[58:59], -v[68:69]
	v_add_f64 v[60:61], v[72:73], -v[70:71]
	v_add_f64 v[54:55], v[54:55], v[58:59]
	v_fma_f64 v[58:59], |v[4:5]|, s[94:95], v[32:33]
	v_add_f64 v[56:57], v[56:57], -v[60:61]
	v_add_f64 v[54:55], v[54:55], v[56:57]
	v_fma_f64 v[56:57], |v[4:5]|, v[58:59], s[34:35]
	v_add_f64 v[54:55], v[72:73], v[54:55]
	v_fma_f64 v[56:57], |v[4:5]|, v[56:57], s[36:37]
	v_xor_b32_e32 v40, 0x80000000, v55
	v_fma_f64 v[55:56], |v[4:5]|, v[56:57], s[38:39]
	v_cndmask_b32_e32 v40, v65, v40, vcc
	s_and_b64 vcc, s[0:1], vcc
	v_cndmask_b32_e64 v58, v64, v40, s[0:1]
	v_cndmask_b32_e32 v57, 0, v54, vcc
	v_fma_f64 v[54:55], |v[4:5]|, v[55:56], v[57:58]
.LBB12_292:                             ;   in Loop: Header=BB12_162 Depth=1
	s_or_b64 exec, exec, s[2:3]
	v_cmp_le_f64_e32 vcc, 0, v[4:5]
	s_and_saveexec_b64 s[0:1], vcc
	s_xor_b64 s[2:3], exec, s[0:1]
	s_cbranch_execz .LBB12_294
; %bb.293:                              ;   in Loop: Header=BB12_162 Depth=1
	v_cmp_eq_f64_e32 vcc, 1.0, v[4:5]
	v_cmp_eq_f64_e64 s[0:1], 2.0, v[4:5]
	s_or_b64 s[0:1], vcc, s[0:1]
	v_cndmask_b32_e64 v55, v55, 0, s[0:1]
	v_cndmask_b32_e64 v54, v54, 0, s[0:1]
.LBB12_294:                             ;   in Loop: Header=BB12_162 Depth=1
	s_andn2_saveexec_b64 s[2:3], s[2:3]
	s_cbranch_execz .LBB12_161
; %bb.295:                              ;   in Loop: Header=BB12_162 Depth=1
	v_add_u32_e32 v40, 0xc32fffff, v53
	v_cmp_gt_u32_e32 vcc, s83, v40
	s_and_saveexec_b64 s[4:5], vcc
	s_cbranch_execz .LBB12_160
; %bb.296:                              ;   in Loop: Header=BB12_162 Depth=1
	v_mul_f64 v[56:57], |v[4:5]|, 0.5
	v_and_b32_e32 v40, 0x7fffffff, v5
	v_cmp_class_f64_e64 s[0:1], v[4:5], s84
	s_mov_b32 s17, s63
	v_cmp_class_f64_e64 s[6:7], v[4:5], s77
	v_fract_f64_e32 v[58:59], v[56:57]
	v_cmp_neq_f64_e64 vcc, |v[56:57]|, s[64:65]
	v_add_f64 v[58:59], v[58:59], v[58:59]
	v_cndmask_b32_e32 v44, 0, v58, vcc
	v_cndmask_b32_e32 v48, 0, v59, vcc
	v_cmp_gt_f64_e64 vcc, |v[4:5]|, 1.0
	v_cndmask_b32_e32 v57, v40, v48, vcc
	v_cndmask_b32_e32 v56, v4, v44, vcc
	v_add_f64 v[58:59], v[56:57], v[56:57]
	v_rndne_f64_e32 v[58:59], v[58:59]
	v_fma_f64 v[56:57], v[58:59], -0.5, v[56:57]
	v_cvt_i32_f64_e32 v40, v[58:59]
	v_and_b32_e32 v44, 1, v40
	v_lshlrev_b32_e32 v40, 30, v40
	v_cmp_eq_u32_e32 vcc, 0, v44
	v_mul_f64 v[60:61], v[56:57], v[56:57]
	v_xor_b32_e32 v40, v40, v5
	v_and_b32_e32 v40, 0x80000000, v40
	v_fma_f64 v[68:69], v[60:61], s[40:41], v[34:35]
	v_fma_f64 v[70:71], v[60:61], s[46:47], v[36:37]
	v_mul_f64 v[72:73], v[56:57], v[60:61]
	v_fma_f64 v[68:69], v[60:61], v[68:69], s[42:43]
	v_fma_f64 v[70:71], v[60:61], v[70:71], s[48:49]
	;; [unrolled: 1-line block ×8, first 2 shown]
	v_mul_f64 v[68:69], v[72:73], v[68:69]
	v_fma_f64 v[70:71], v[60:61], v[70:71], s[58:59]
	v_fma_f64 v[56:57], v[56:57], s[92:93], v[68:69]
	v_fma_f64 v[60:61], v[60:61], v[70:71], 1.0
	v_cndmask_b32_e32 v48, v61, v57, vcc
	v_cndmask_b32_e32 v44, v60, v56, vcc
	v_xor_b32_e32 v40, v48, v40
	v_cndmask_b32_e64 v56, 0, v44, s[0:1]
	v_cndmask_b32_e64 v57, v67, v40, s[0:1]
	v_mul_f64 v[56:57], v[4:5], v[56:57]
	v_and_b32_e32 v59, 0x7fffffff, v57
	v_mov_b32_e32 v58, v56
	v_div_scale_f64 v[60:61], s[0:1], v[58:59], v[58:59], s[92:93]
	v_div_scale_f64 v[58:59], vcc, s[92:93], v[58:59], s[92:93]
	v_rcp_f64_e32 v[68:69], v[60:61]
	v_fma_f64 v[70:71], -v[60:61], v[68:69], 1.0
	v_fma_f64 v[68:69], v[68:69], v[70:71], v[68:69]
	v_fma_f64 v[70:71], -v[60:61], v[68:69], 1.0
	v_fma_f64 v[68:69], v[68:69], v[70:71], v[68:69]
	v_mul_f64 v[70:71], v[58:59], v[68:69]
	v_fma_f64 v[58:59], -v[60:61], v[70:71], v[58:59]
	v_div_fmas_f64 v[58:59], v[58:59], v[68:69], v[70:71]
	v_div_fixup_f64 v[56:57], v[58:59], |v[56:57]|, s[92:93]
	v_frexp_mant_f64_e32 v[58:59], v[56:57]
	v_cmp_gt_f64_e32 vcc, s[62:63], v[58:59]
	v_cndmask_b32_e64 v40, 0, 1, vcc
	v_ldexp_f64 v[58:59], v[58:59], v40
	v_frexp_exp_i32_f64_e32 v40, v[56:57]
	v_add_f64 v[60:61], v[58:59], 1.0
	v_add_f64 v[72:73], v[58:59], -1.0
	v_subbrev_co_u32_e32 v40, vcc, 0, v40, vcc
	v_cmp_class_f64_e64 vcc, v[56:57], s77
	v_rcp_f64_e32 v[68:69], v[60:61]
	v_add_f64 v[74:75], v[60:61], -1.0
	v_add_f64 v[58:59], v[58:59], -v[74:75]
	v_fma_f64 v[70:71], -v[60:61], v[68:69], 1.0
	v_fma_f64 v[68:69], v[70:71], v[68:69], v[68:69]
	v_fma_f64 v[70:71], -v[60:61], v[68:69], 1.0
	v_fma_f64 v[68:69], v[70:71], v[68:69], v[68:69]
	v_mul_f64 v[70:71], v[72:73], v[68:69]
	v_mul_f64 v[76:77], v[60:61], v[70:71]
	v_fma_f64 v[60:61], v[70:71], v[60:61], -v[76:77]
	v_fma_f64 v[58:59], v[70:71], v[58:59], v[60:61]
	v_add_f64 v[60:61], v[76:77], v[58:59]
	v_add_f64 v[74:75], v[72:73], -v[60:61]
	v_add_f64 v[76:77], v[60:61], -v[76:77]
	;; [unrolled: 1-line block ×5, first 2 shown]
	v_add_f64 v[58:59], v[58:59], v[60:61]
	v_add_f64 v[58:59], v[74:75], v[58:59]
	v_mul_f64 v[58:59], v[68:69], v[58:59]
	v_add_f64 v[60:61], v[70:71], v[58:59]
	v_mul_f64 v[68:69], v[60:61], v[60:61]
	v_fma_f64 v[72:73], v[68:69], s[18:19], v[10:11]
	v_mul_f64 v[74:75], v[60:61], v[68:69]
	v_fma_f64 v[72:73], v[68:69], v[72:73], s[20:21]
	v_fma_f64 v[72:73], v[68:69], v[72:73], s[22:23]
	v_fma_f64 v[72:73], v[68:69], v[72:73], s[24:25]
	v_fma_f64 v[72:73], v[68:69], v[72:73], s[26:27]
	v_fma_f64 v[68:69], v[68:69], v[72:73], s[16:17]
	v_ldexp_f64 v[72:73], v[60:61], 1
	v_add_f64 v[60:61], v[60:61], -v[70:71]
	v_mul_f64 v[68:69], v[74:75], v[68:69]
	v_cvt_f64_i32_e32 v[74:75], v40
	v_add_f64 v[58:59], v[58:59], -v[60:61]
	v_mul_f64 v[76:77], v[74:75], s[28:29]
	v_add_f64 v[70:71], v[72:73], v[68:69]
	v_ldexp_f64 v[58:59], v[58:59], 1
	v_add_f64 v[60:61], v[70:71], -v[72:73]
	v_fma_f64 v[72:73], v[74:75], s[28:29], -v[76:77]
	v_add_f64 v[60:61], v[68:69], -v[60:61]
	v_fma_f64 v[68:69], v[74:75], s[30:31], v[72:73]
	v_add_f64 v[58:59], v[58:59], v[60:61]
	v_add_f64 v[60:61], v[76:77], v[68:69]
	;; [unrolled: 1-line block ×3, first 2 shown]
	v_add_f64 v[76:77], v[60:61], -v[76:77]
	v_add_f64 v[74:75], v[60:61], v[72:73]
	v_add_f64 v[70:71], v[72:73], -v[70:71]
	v_add_f64 v[68:69], v[68:69], -v[76:77]
	;; [unrolled: 1-line block ×6, first 2 shown]
	v_add_f64 v[72:73], v[68:69], v[58:59]
	v_add_f64 v[60:61], v[60:61], -v[80:81]
	v_add_f64 v[60:61], v[70:71], v[60:61]
	v_add_f64 v[70:71], v[72:73], -v[68:69]
	v_add_f64 v[60:61], v[72:73], v[60:61]
	v_add_f64 v[72:73], v[72:73], -v[70:71]
	v_add_f64 v[58:59], v[58:59], -v[70:71]
	v_add_f64 v[76:77], v[74:75], v[60:61]
	v_add_f64 v[68:69], v[68:69], -v[72:73]
	v_add_f64 v[70:71], v[76:77], -v[74:75]
	v_add_f64 v[58:59], v[58:59], v[68:69]
	v_add_f64 v[60:61], v[60:61], -v[70:71]
	v_add_f64 v[58:59], v[58:59], v[60:61]
	v_fract_f64_e32 v[60:61], v[4:5]
	v_add_f64 v[58:59], v[76:77], v[58:59]
	v_cmp_eq_f64_e64 s[0:1], 0, v[60:61]
	v_cndmask_b32_e32 v40, v58, v56, vcc
	v_cndmask_b32_e32 v44, v59, v57, vcc
	v_cmp_neq_f64_e32 vcc, 0, v[56:57]
	v_cndmask_b32_e32 v57, v65, v44, vcc
	v_cndmask_b32_e32 v56, 0, v40, vcc
	v_add_f64 v[54:55], v[56:57], -v[54:55]
	s_or_b64 vcc, s[6:7], s[0:1]
	v_cndmask_b32_e32 v55, v55, v64, vcc
	v_cndmask_b32_e64 v54, v54, 0, vcc
	s_branch .LBB12_160
.LBB12_297:
	s_endpgm
	.section	.rodata,"a",@progbits
	.p2align	6, 0x0
	.amdhsa_kernel _ZN2at6native12_GLOBAL__N_125multi_tensor_apply_kernelINS1_18TensorListMetadataILi1EEENS1_14UnaryOpFunctorIdLi1ELi1ELi0EEEJNS0_6LgammaIdEEEEEvT_T0_DpT1_
		.amdhsa_group_segment_fixed_size 0
		.amdhsa_private_segment_fixed_size 0
		.amdhsa_kernarg_size 3632
		.amdhsa_user_sgpr_count 6
		.amdhsa_user_sgpr_private_segment_buffer 1
		.amdhsa_user_sgpr_dispatch_ptr 0
		.amdhsa_user_sgpr_queue_ptr 0
		.amdhsa_user_sgpr_kernarg_segment_ptr 1
		.amdhsa_user_sgpr_dispatch_id 0
		.amdhsa_user_sgpr_flat_scratch_init 0
		.amdhsa_user_sgpr_private_segment_size 0
		.amdhsa_uses_dynamic_stack 0
		.amdhsa_system_sgpr_private_segment_wavefront_offset 0
		.amdhsa_system_sgpr_workgroup_id_x 1
		.amdhsa_system_sgpr_workgroup_id_y 0
		.amdhsa_system_sgpr_workgroup_id_z 0
		.amdhsa_system_sgpr_workgroup_info 0
		.amdhsa_system_vgpr_workitem_id 0
		.amdhsa_next_free_vgpr 87
		.amdhsa_next_free_sgpr 96
		.amdhsa_reserve_vcc 1
		.amdhsa_reserve_flat_scratch 0
		.amdhsa_float_round_mode_32 0
		.amdhsa_float_round_mode_16_64 0
		.amdhsa_float_denorm_mode_32 3
		.amdhsa_float_denorm_mode_16_64 3
		.amdhsa_dx10_clamp 1
		.amdhsa_ieee_mode 1
		.amdhsa_fp16_overflow 0
		.amdhsa_exception_fp_ieee_invalid_op 0
		.amdhsa_exception_fp_denorm_src 0
		.amdhsa_exception_fp_ieee_div_zero 0
		.amdhsa_exception_fp_ieee_overflow 0
		.amdhsa_exception_fp_ieee_underflow 0
		.amdhsa_exception_fp_ieee_inexact 0
		.amdhsa_exception_int_div_zero 0
	.end_amdhsa_kernel
	.section	.text._ZN2at6native12_GLOBAL__N_125multi_tensor_apply_kernelINS1_18TensorListMetadataILi1EEENS1_14UnaryOpFunctorIdLi1ELi1ELi0EEEJNS0_6LgammaIdEEEEEvT_T0_DpT1_,"axG",@progbits,_ZN2at6native12_GLOBAL__N_125multi_tensor_apply_kernelINS1_18TensorListMetadataILi1EEENS1_14UnaryOpFunctorIdLi1ELi1ELi0EEEJNS0_6LgammaIdEEEEEvT_T0_DpT1_,comdat
.Lfunc_end12:
	.size	_ZN2at6native12_GLOBAL__N_125multi_tensor_apply_kernelINS1_18TensorListMetadataILi1EEENS1_14UnaryOpFunctorIdLi1ELi1ELi0EEEJNS0_6LgammaIdEEEEEvT_T0_DpT1_, .Lfunc_end12-_ZN2at6native12_GLOBAL__N_125multi_tensor_apply_kernelINS1_18TensorListMetadataILi1EEENS1_14UnaryOpFunctorIdLi1ELi1ELi0EEEJNS0_6LgammaIdEEEEEvT_T0_DpT1_
                                        ; -- End function
	.set _ZN2at6native12_GLOBAL__N_125multi_tensor_apply_kernelINS1_18TensorListMetadataILi1EEENS1_14UnaryOpFunctorIdLi1ELi1ELi0EEEJNS0_6LgammaIdEEEEEvT_T0_DpT1_.num_vgpr, 87
	.set _ZN2at6native12_GLOBAL__N_125multi_tensor_apply_kernelINS1_18TensorListMetadataILi1EEENS1_14UnaryOpFunctorIdLi1ELi1ELi0EEEJNS0_6LgammaIdEEEEEvT_T0_DpT1_.num_agpr, 0
	.set _ZN2at6native12_GLOBAL__N_125multi_tensor_apply_kernelINS1_18TensorListMetadataILi1EEENS1_14UnaryOpFunctorIdLi1ELi1ELi0EEEJNS0_6LgammaIdEEEEEvT_T0_DpT1_.numbered_sgpr, 96
	.set _ZN2at6native12_GLOBAL__N_125multi_tensor_apply_kernelINS1_18TensorListMetadataILi1EEENS1_14UnaryOpFunctorIdLi1ELi1ELi0EEEJNS0_6LgammaIdEEEEEvT_T0_DpT1_.num_named_barrier, 0
	.set _ZN2at6native12_GLOBAL__N_125multi_tensor_apply_kernelINS1_18TensorListMetadataILi1EEENS1_14UnaryOpFunctorIdLi1ELi1ELi0EEEJNS0_6LgammaIdEEEEEvT_T0_DpT1_.private_seg_size, 0
	.set _ZN2at6native12_GLOBAL__N_125multi_tensor_apply_kernelINS1_18TensorListMetadataILi1EEENS1_14UnaryOpFunctorIdLi1ELi1ELi0EEEJNS0_6LgammaIdEEEEEvT_T0_DpT1_.uses_vcc, 1
	.set _ZN2at6native12_GLOBAL__N_125multi_tensor_apply_kernelINS1_18TensorListMetadataILi1EEENS1_14UnaryOpFunctorIdLi1ELi1ELi0EEEJNS0_6LgammaIdEEEEEvT_T0_DpT1_.uses_flat_scratch, 0
	.set _ZN2at6native12_GLOBAL__N_125multi_tensor_apply_kernelINS1_18TensorListMetadataILi1EEENS1_14UnaryOpFunctorIdLi1ELi1ELi0EEEJNS0_6LgammaIdEEEEEvT_T0_DpT1_.has_dyn_sized_stack, 0
	.set _ZN2at6native12_GLOBAL__N_125multi_tensor_apply_kernelINS1_18TensorListMetadataILi1EEENS1_14UnaryOpFunctorIdLi1ELi1ELi0EEEJNS0_6LgammaIdEEEEEvT_T0_DpT1_.has_recursion, 0
	.set _ZN2at6native12_GLOBAL__N_125multi_tensor_apply_kernelINS1_18TensorListMetadataILi1EEENS1_14UnaryOpFunctorIdLi1ELi1ELi0EEEJNS0_6LgammaIdEEEEEvT_T0_DpT1_.has_indirect_call, 0
	.section	.AMDGPU.csdata,"",@progbits
; Kernel info:
; codeLenInByte = 54128
; TotalNumSgprs: 100
; NumVgprs: 87
; ScratchSize: 0
; MemoryBound: 1
; FloatMode: 240
; IeeeMode: 1
; LDSByteSize: 0 bytes/workgroup (compile time only)
; SGPRBlocks: 12
; VGPRBlocks: 21
; NumSGPRsForWavesPerEU: 100
; NumVGPRsForWavesPerEU: 87
; Occupancy: 2
; WaveLimiterHint : 0
; COMPUTE_PGM_RSRC2:SCRATCH_EN: 0
; COMPUTE_PGM_RSRC2:USER_SGPR: 6
; COMPUTE_PGM_RSRC2:TRAP_HANDLER: 0
; COMPUTE_PGM_RSRC2:TGID_X_EN: 1
; COMPUTE_PGM_RSRC2:TGID_Y_EN: 0
; COMPUTE_PGM_RSRC2:TGID_Z_EN: 0
; COMPUTE_PGM_RSRC2:TIDIG_COMP_CNT: 0
	.section	.text._ZN2at6native12_GLOBAL__N_125multi_tensor_apply_kernelINS1_18TensorListMetadataILi1EEENS1_14UnaryOpFunctorIfLi1ELi1ELi0EEEJNS0_6LgammaIfEEEEEvT_T0_DpT1_,"axG",@progbits,_ZN2at6native12_GLOBAL__N_125multi_tensor_apply_kernelINS1_18TensorListMetadataILi1EEENS1_14UnaryOpFunctorIfLi1ELi1ELi0EEEJNS0_6LgammaIfEEEEEvT_T0_DpT1_,comdat
	.globl	_ZN2at6native12_GLOBAL__N_125multi_tensor_apply_kernelINS1_18TensorListMetadataILi1EEENS1_14UnaryOpFunctorIfLi1ELi1ELi0EEEJNS0_6LgammaIfEEEEEvT_T0_DpT1_ ; -- Begin function _ZN2at6native12_GLOBAL__N_125multi_tensor_apply_kernelINS1_18TensorListMetadataILi1EEENS1_14UnaryOpFunctorIfLi1ELi1ELi0EEEJNS0_6LgammaIfEEEEEvT_T0_DpT1_
	.p2align	8
	.type	_ZN2at6native12_GLOBAL__N_125multi_tensor_apply_kernelINS1_18TensorListMetadataILi1EEENS1_14UnaryOpFunctorIfLi1ELi1ELi0EEEJNS0_6LgammaIfEEEEEvT_T0_DpT1_,@function
_ZN2at6native12_GLOBAL__N_125multi_tensor_apply_kernelINS1_18TensorListMetadataILi1EEENS1_14UnaryOpFunctorIfLi1ELi1ELi0EEEJNS0_6LgammaIfEEEEEvT_T0_DpT1_: ; @_ZN2at6native12_GLOBAL__N_125multi_tensor_apply_kernelINS1_18TensorListMetadataILi1EEENS1_14UnaryOpFunctorIfLi1ELi1ELi0EEEJNS0_6LgammaIfEEEEEvT_T0_DpT1_
; %bb.0:
	v_mov_b32_e32 v1, s6
	global_load_ubyte v1, v1, s[4:5] offset:1760
	s_add_u32 s0, s4, s6
	s_mul_hi_u32 s1, s6, 3
	s_mul_i32 s6, s6, 3
	s_addc_u32 s2, s5, 0
	s_add_u32 s0, s0, s6
	s_addc_u32 s1, s2, s1
	s_load_dword s0, s[0:1], 0x820
	s_mov_b32 s7, 0
	s_waitcnt vmcnt(0)
	v_readfirstlane_b32 s1, v1
	s_lshl_b32 s1, s1, 3
	s_load_dwordx2 s[2:3], s[4:5], s1 offset:0x370
	s_load_dwordx2 s[20:21], s[4:5], s1 offset:0x0
	s_waitcnt lgkmcnt(0)
	s_ashr_i32 s1, s0, 31
	s_lshl_b64 s[22:23], s[0:1], 18
	s_lshl_b64 s[0:1], s[0:1], 16
	s_and_b32 s6, s20, 15
	s_sub_u32 s24, s2, s0
	s_subb_u32 s25, s3, s1
	s_and_b32 s0, s2, 3
	s_mov_b32 s1, s7
	s_or_b64 s[0:1], s[6:7], s[0:1]
	s_cmp_eq_u64 s[0:1], 0
	s_cbranch_scc1 .LBB13_173
; %bb.1:
	v_cmp_lt_i64_e64 s[0:1], s[24:25], 1
	s_and_b64 vcc, exec, s[0:1]
	s_cbranch_vccnz .LBB13_172
; %bb.2:
	v_mov_b32_e32 v1, 0x10000
	s_load_dword s2, s[4:5], 0xd3c
	v_mov_b32_e32 v2, 0
	v_cmp_lt_i64_e32 vcc, s[24:25], v[1:2]
	s_mov_b64 s[30:31], 0
	s_and_b64 s[0:1], vcc, exec
	v_cmp_lt_u64_e32 vcc, s[24:25], v[1:2]
	s_cselect_b32 s27, s25, 0
	s_cselect_b32 s26, s24, 0x10000
	s_waitcnt lgkmcnt(0)
	s_and_b32 s2, s2, 0xffff
	s_and_b64 s[0:1], vcc, exec
	s_cselect_b32 s29, s25, 0
	s_cselect_b32 s28, s24, 0x10000
	s_lshl_b32 s3, s2, 1
	s_lshl_b32 s33, s2, 2
	s_add_u32 s6, s20, s22
	v_lshlrev_b32_e32 v1, 2, v0
	s_addc_u32 s7, s21, s23
	v_mov_b32_e32 v2, s7
	v_add_co_u32_e32 v1, vcc, s6, v1
	s_mul_i32 s0, s2, 3
	v_addc_co_u32_e32 v2, vcc, 0, v2, vcc
	v_add_co_u32_e32 v5, vcc, s0, v0
	v_addc_co_u32_e64 v6, s[0:1], 0, 0, vcc
	v_add_co_u32_e32 v7, vcc, s3, v0
	v_addc_co_u32_e64 v8, s[0:1], 0, 0, vcc
	v_add_co_u32_e32 v9, vcc, s2, v0
	v_lshlrev_b32_e32 v3, 2, v9
	v_addc_co_u32_e64 v10, s[0:1], 0, 0, vcc
	v_mov_b32_e32 v4, s7
	v_add_co_u32_e32 v3, vcc, s6, v3
	s_lshl_b32 s40, s2, 4
	s_mul_i32 s41, s2, 12
	s_lshl_b32 s42, s2, 3
	v_addc_co_u32_e32 v4, vcc, 0, v4, vcc
	s_mov_b32 s43, 0x3c800000
	s_mov_b32 s44, 0x41000000
	;; [unrolled: 1-line block ×6, first 2 shown]
	v_mov_b32_e32 v11, 0xba1c065c
	v_mov_b32_e32 v12, 0x3a500cfd
	;; [unrolled: 1-line block ×8, first 2 shown]
	s_mov_b32 s49, 0x3f666666
	s_mov_b32 s50, 0x3f3b4a23
	;; [unrolled: 1-line block ×13, first 2 shown]
	v_mov_b32_e32 v19, 0x3e5c245a
	v_mov_b32_e32 v20, 0xbd9e233f
	;; [unrolled: 1-line block ×38, first 2 shown]
	s_branch .LBB13_4
.LBB13_3:                               ;   in Loop: Header=BB13_4 Depth=1
	s_or_b64 exec, exec, s[0:1]
	s_add_u32 s30, s30, s33
	v_add_co_u32_e32 v1, vcc, s40, v1
	v_mov_b32_e32 v58, s27
	s_addc_u32 s31, s31, 0
	v_addc_co_u32_e32 v2, vcc, 0, v2, vcc
	v_mov_b32_e32 v57, s26
	v_cmp_ge_i64_e32 vcc, s[30:31], v[57:58]
	v_add_co_u32_e64 v3, s[0:1], s40, v3
	v_addc_co_u32_e64 v4, s[0:1], 0, v4, s[0:1]
	s_cbranch_vccnz .LBB13_172
.LBB13_4:                               ; =>This Inner Loop Header: Depth=1
	v_mov_b32_e32 v58, s31
	v_add_co_u32_e32 v57, vcc, s30, v0
	v_addc_co_u32_e32 v58, vcc, 0, v58, vcc
	v_cmp_gt_u64_e32 vcc, s[28:29], v[57:58]
	v_mov_b32_e32 v58, 0
	s_and_saveexec_b64 s[0:1], vcc
	s_cbranch_execz .LBB13_6
; %bb.5:                                ;   in Loop: Header=BB13_4 Depth=1
	global_load_dword v58, v[1:2], off
.LBB13_6:                               ;   in Loop: Header=BB13_4 Depth=1
	s_or_b64 exec, exec, s[0:1]
	v_mov_b32_e32 v57, s31
	v_add_co_u32_e64 v59, s[0:1], s30, v9
	v_addc_co_u32_e64 v60, s[0:1], v10, v57, s[0:1]
	v_cmp_gt_u64_e64 s[0:1], s[28:29], v[59:60]
	v_mov_b32_e32 v57, 0
	v_mov_b32_e32 v59, 0
	s_and_saveexec_b64 s[2:3], s[0:1]
	s_cbranch_execz .LBB13_8
; %bb.7:                                ;   in Loop: Header=BB13_4 Depth=1
	global_load_dword v59, v[3:4], off
.LBB13_8:                               ;   in Loop: Header=BB13_4 Depth=1
	s_or_b64 exec, exec, s[2:3]
	v_mov_b32_e32 v61, s31
	v_add_co_u32_e64 v60, s[2:3], s30, v7
	v_addc_co_u32_e64 v61, s[2:3], v8, v61, s[2:3]
	v_cmp_gt_u64_e64 s[2:3], s[28:29], v[60:61]
	s_and_saveexec_b64 s[8:9], s[2:3]
	s_cbranch_execz .LBB13_10
; %bb.9:                                ;   in Loop: Header=BB13_4 Depth=1
	v_add_co_u32_e64 v60, s[6:7], s42, v1
	v_addc_co_u32_e64 v61, s[6:7], 0, v2, s[6:7]
	global_load_dword v57, v[60:61], off
.LBB13_10:                              ;   in Loop: Header=BB13_4 Depth=1
	s_or_b64 exec, exec, s[8:9]
	v_mov_b32_e32 v61, s31
	v_add_co_u32_e64 v60, s[6:7], s30, v5
	v_addc_co_u32_e64 v61, s[6:7], v6, v61, s[6:7]
	v_cmp_gt_u64_e64 s[6:7], s[28:29], v[60:61]
	v_mov_b32_e32 v60, 0
	s_and_saveexec_b64 s[10:11], s[6:7]
	s_cbranch_execz .LBB13_12
; %bb.11:                               ;   in Loop: Header=BB13_4 Depth=1
	v_add_co_u32_e64 v60, s[8:9], s41, v1
	v_addc_co_u32_e64 v61, s[8:9], 0, v2, s[8:9]
	global_load_dword v60, v[60:61], off
.LBB13_12:                              ;   in Loop: Header=BB13_4 Depth=1
	s_or_b64 exec, exec, s[10:11]
	s_waitcnt vmcnt(0)
	v_and_b32_e32 v62, 0x7fffffff, v58
	v_cmp_nlt_f32_e64 s[8:9], |v58|, s43
                                        ; implicit-def: $vgpr61
	s_and_saveexec_b64 s[10:11], s[8:9]
	s_xor_b64 s[12:13], exec, s[10:11]
	s_cbranch_execz .LBB13_42
; %bb.13:                               ;   in Loop: Header=BB13_4 Depth=1
	v_cmp_nlt_f32_e64 s[8:9], |v58|, 2.0
                                        ; implicit-def: $vgpr61
	s_and_saveexec_b64 s[10:11], s[8:9]
	s_xor_b64 s[14:15], exec, s[10:11]
	s_cbranch_execz .LBB13_23
; %bb.14:                               ;   in Loop: Header=BB13_4 Depth=1
	v_cmp_nlt_f32_e64 s[8:9], |v58|, s44
                                        ; implicit-def: $vgpr61
	s_and_saveexec_b64 s[10:11], s[8:9]
	s_xor_b64 s[16:17], exec, s[10:11]
	s_cbranch_execz .LBB13_20
; %bb.15:                               ;   in Loop: Header=BB13_4 Depth=1
	v_cmp_nlt_f32_e64 s[8:9], |v58|, s45
                                        ; implicit-def: $vgpr61
	s_and_saveexec_b64 s[10:11], s[8:9]
	s_xor_b64 s[18:19], exec, s[10:11]
	s_cbranch_execz .LBB13_17
; %bb.16:                               ;   in Loop: Header=BB13_4 Depth=1
	v_cmp_lt_f32_e64 s[8:9], |v58|, s46
	v_cndmask_b32_e64 v61, 0, 32, s[8:9]
	v_ldexp_f32 v61, |v58|, v61
	v_log_f32_e32 v61, v61
	v_mul_f32_e32 v63, 0x3f317217, v61
	v_fma_f32 v64, v61, s47, -v63
	v_fmac_f32_e32 v64, 0x3377d1cf, v61
	v_add_f32_e32 v63, v63, v64
	v_cmp_lt_f32_e64 s[10:11], |v61|, s48
	v_cndmask_b32_e64 v61, v61, v63, s[10:11]
	v_cndmask_b32_e64 v63, 0, v54, s[8:9]
	v_sub_f32_e32 v61, v61, v63
	v_fma_f32 v61, |v58|, v61, -|v58|
.LBB13_17:                              ;   in Loop: Header=BB13_4 Depth=1
	s_andn2_saveexec_b64 s[18:19], s[18:19]
	s_cbranch_execz .LBB13_19
; %bb.18:                               ;   in Loop: Header=BB13_4 Depth=1
	v_rcp_f32_e64 v61, |v58|
	v_cmp_lt_f32_e64 s[8:9], |v58|, s46
	v_cndmask_b32_e64 v64, 0, 32, s[8:9]
	v_mov_b32_e32 v63, 0x3a5b3dd2
	v_mul_f32_e32 v65, v61, v61
	v_ldexp_f32 v64, |v58|, v64
	v_fmac_f32_e32 v63, 0xbad5c4e8, v65
	v_log_f32_e32 v64, v64
	v_fma_f32 v63, v65, v63, v11
	v_fma_f32 v63, v65, v63, v12
	v_fma_f32 v63, v65, v63, v13
	v_fma_f32 v63, v65, v63, v14
	v_mul_f32_e32 v65, 0x3f317217, v64
	v_fma_f32 v66, v64, s47, -v65
	v_fmac_f32_e32 v66, 0x3377d1cf, v64
	v_add_f32_e32 v65, v65, v66
	v_cmp_lt_f32_e64 s[10:11], |v64|, s48
	v_cndmask_b32_e64 v64, v64, v65, s[10:11]
	v_cndmask_b32_e64 v65, 0, v54, s[8:9]
	v_sub_f32_e32 v64, v64, v65
	v_fma_f32 v61, v61, v63, v15
	v_add_f32_e64 v63, |v58|, -0.5
	v_add_f32_e32 v64, -1.0, v64
	v_fmac_f32_e32 v61, v63, v64
.LBB13_19:                              ;   in Loop: Header=BB13_4 Depth=1
	s_or_b64 exec, exec, s[18:19]
.LBB13_20:                              ;   in Loop: Header=BB13_4 Depth=1
	s_andn2_saveexec_b64 s[16:17], s[16:17]
	s_cbranch_execz .LBB13_22
; %bb.21:                               ;   in Loop: Header=BB13_4 Depth=1
	v_cvt_i32_f32_e32 v61, v62
	v_mov_b32_e32 v65, 0x3a4beed6
	v_mov_b32_e32 v64, 0x3af135b4
	v_cvt_f32_i32_e32 v63, v61
	v_cmp_lt_i32_e64 s[8:9], 2, v61
	v_sub_f32_e64 v63, |v58|, v63
	v_add_f32_e32 v66, 2.0, v63
	v_add_f32_e32 v67, 0x40400000, v63
	v_cndmask_b32_e64 v66, 1.0, v66, s[8:9]
	v_cmp_lt_i32_e64 s[8:9], 3, v61
	v_add_f32_e32 v68, 4.0, v63
	v_cndmask_b32_e64 v67, 1.0, v67, s[8:9]
	v_cmp_lt_i32_e64 s[8:9], 4, v61
	v_fmac_f32_e32 v65, 0x36f5d7bd, v63
	v_add_f32_e32 v69, 0x40a00000, v63
	v_mul_f32_e32 v66, v66, v67
	v_cndmask_b32_e64 v67, 1.0, v68, s[8:9]
	v_cmp_lt_i32_e64 s[8:9], 5, v61
	v_fma_f32 v65, v63, v65, v21
	v_add_f32_e32 v70, 0x40c00000, v63
	v_mul_f32_e32 v66, v67, v66
	v_cndmask_b32_e64 v67, 1.0, v69, s[8:9]
	v_cmp_lt_i32_e64 s[8:9], 6, v61
	v_fma_f32 v65, v63, v65, v22
	v_mul_f32_e32 v66, v67, v66
	v_cndmask_b32_e64 v61, 1.0, v70, s[8:9]
	v_fmac_f32_e32 v64, 0x3805ff67, v63
	v_fma_f32 v65, v63, v65, v23
	v_mul_f32_e32 v61, v61, v66
	v_fma_f32 v64, v63, v64, v16
	v_fma_f32 v65, v63, v65, v24
	v_cmp_gt_f32_e64 s[8:9], s46, v61
	v_fma_f32 v64, v63, v64, v17
	v_fma_f32 v65, v63, v65, 1.0
	v_cndmask_b32_e64 v66, 0, 32, s[8:9]
	v_fma_f32 v64, v63, v64, v18
	v_rcp_f32_e32 v65, v65
	v_ldexp_f32 v61, v61, v66
	v_fma_f32 v64, v63, v64, v19
	v_log_f32_e32 v61, v61
	v_fma_f32 v64, v63, v64, v20
	v_mul_f32_e32 v64, v63, v64
	v_mul_f32_e32 v64, v64, v65
	v_fmac_f32_e32 v64, 0.5, v63
	v_mul_f32_e32 v63, 0x3f317217, v61
	v_fma_f32 v65, v61, s47, -v63
	v_fmac_f32_e32 v65, 0x3377d1cf, v61
	v_add_f32_e32 v63, v63, v65
	v_cmp_lt_f32_e64 s[10:11], |v61|, s48
	v_cndmask_b32_e64 v61, v61, v63, s[10:11]
	v_cndmask_b32_e64 v63, 0, v54, s[8:9]
	v_sub_f32_e32 v61, v61, v63
	v_add_f32_e32 v61, v61, v64
.LBB13_22:                              ;   in Loop: Header=BB13_4 Depth=1
	s_or_b64 exec, exec, s[16:17]
.LBB13_23:                              ;   in Loop: Header=BB13_4 Depth=1
	s_andn2_saveexec_b64 s[10:11], s[14:15]
	s_cbranch_execz .LBB13_41
; %bb.24:                               ;   in Loop: Header=BB13_4 Depth=1
	v_cmp_le_f32_e64 s[8:9], |v58|, s49
                                        ; implicit-def: $vgpr61
                                        ; implicit-def: $vgpr64
                                        ; implicit-def: $vgpr63
	s_and_saveexec_b64 s[14:15], s[8:9]
	s_xor_b64 s[14:15], exec, s[14:15]
	s_cbranch_execz .LBB13_26
; %bb.25:                               ;   in Loop: Header=BB13_4 Depth=1
	v_cmp_lt_f32_e64 s[8:9], |v58|, s46
	v_cndmask_b32_e64 v61, 0, 32, s[8:9]
	v_ldexp_f32 v61, |v58|, v61
	v_log_f32_e32 v61, v61
	v_cndmask_b32_e64 v63, 0, v54, s[8:9]
	v_mul_f32_e32 v64, 0x3f317217, v61
	v_fma_f32 v65, v61, s47, -v64
	v_fmac_f32_e32 v65, 0x3377d1cf, v61
	v_add_f32_e32 v64, v64, v65
	v_cmp_lt_f32_e64 s[8:9], |v61|, s48
	v_cndmask_b32_e64 v61, v61, v64, s[8:9]
	v_sub_f32_e32 v61, v61, v63
	v_sub_f32_e64 v63, 1.0, |v58|
	v_add_f32_e64 v64, |v58|, s51
	v_cmp_lt_f32_e64 s[8:9], |v58|, s50
	v_cndmask_b32_e64 v63, v63, v64, s[8:9]
	v_cndmask_b32_e64 v64, 0, 1, s[8:9]
	v_cmp_lt_f32_e64 s[8:9], |v58|, s52
	v_xor_b32_e32 v61, 0x80000000, v61
	v_cndmask_b32_e64 v63, v63, |v58|, s[8:9]
	v_cndmask_b32_e64 v64, v64, 2, s[8:9]
.LBB13_26:                              ;   in Loop: Header=BB13_4 Depth=1
	s_andn2_saveexec_b64 s[14:15], s[14:15]
	s_cbranch_execz .LBB13_28
; %bb.27:                               ;   in Loop: Header=BB13_4 Depth=1
	v_sub_f32_e64 v61, 2.0, |v58|
	v_add_f32_e64 v63, |v58|, s54
	v_cmp_lt_f32_e64 s[8:9], |v58|, s53
	v_cndmask_b32_e64 v63, v61, v63, s[8:9]
	v_cndmask_b32_e64 v61, v61, 1.0, s[8:9]
	v_cvt_i32_f32_e32 v61, v61
	v_add_f32_e64 v64, |v58|, -1.0
	v_cmp_lt_f32_e64 s[8:9], |v58|, s55
	v_cndmask_b32_e64 v63, v63, v64, s[8:9]
	v_cndmask_b32_e64 v64, v61, 2, s[8:9]
	v_mov_b32_e32 v61, 0
.LBB13_28:                              ;   in Loop: Header=BB13_4 Depth=1
	s_or_b64 exec, exec, s[14:15]
	v_cmp_lt_i32_e64 s[8:9], 0, v64
	s_and_saveexec_b64 s[14:15], s[8:9]
	s_xor_b64 s[14:15], exec, s[14:15]
	s_cbranch_execz .LBB13_36
; %bb.29:                               ;   in Loop: Header=BB13_4 Depth=1
	v_cmp_lt_i32_e64 s[8:9], 1, v64
	s_and_saveexec_b64 s[16:17], s[8:9]
	s_xor_b64 s[16:17], exec, s[16:17]
	s_cbranch_execz .LBB13_33
; %bb.30:                               ;   in Loop: Header=BB13_4 Depth=1
	v_cmp_eq_u32_e64 s[8:9], 2, v64
	s_and_saveexec_b64 s[18:19], s[8:9]
	s_cbranch_execz .LBB13_32
; %bb.31:                               ;   in Loop: Header=BB13_4 Depth=1
	v_mov_b32_e32 v65, 0x3dd572af
	v_fmac_f32_e32 v65, 0x3b52d5db, v63
	v_fma_f32 v65, v63, v65, v28
	v_mov_b32_e32 v64, 0x3e6a7578
	v_fma_f32 v65, v63, v65, v29
	v_fmac_f32_e32 v64, 0x3c5b3c5e, v63
	v_fma_f32 v65, v63, v65, v30
	v_fma_f32 v64, v63, v64, v25
	v_fma_f32 v65, v63, v65, 1.0
	v_fma_f32 v64, v63, v64, v26
	v_rcp_f32_e32 v65, v65
	v_fma_f32 v64, v63, v64, v27
	v_fma_f32 v64, v63, v64, v20
	v_mul_f32_e32 v64, v63, v64
	v_mul_f32_e32 v64, v64, v65
	v_fmac_f32_e32 v64, -0.5, v63
	v_add_f32_e32 v61, v61, v64
.LBB13_32:                              ;   in Loop: Header=BB13_4 Depth=1
	s_or_b64 exec, exec, s[18:19]
                                        ; implicit-def: $vgpr63
.LBB13_33:                              ;   in Loop: Header=BB13_4 Depth=1
	s_andn2_saveexec_b64 s[8:9], s[16:17]
	s_cbranch_execz .LBB13_35
; %bb.34:                               ;   in Loop: Header=BB13_4 Depth=1
	v_mul_f32_e32 v64, v63, v63
	v_mul_f32_e32 v65, v63, v64
	v_mov_b32_e32 v67, 0x3a66f867
	v_mov_b32_e32 v68, 0xba0d3085
	v_fmac_f32_e32 v67, 0xb9a3f927, v65
	v_fmac_f32_e32 v68, 0x39afe9f7, v65
	v_mov_b32_e32 v66, 0xbab7f476
	v_fma_f32 v67, v65, v67, v34
	v_fma_f32 v68, v65, v68, v37
	v_fmac_f32_e32 v66, 0x39a57b6b, v65
	v_fma_f32 v67, v65, v67, v35
	v_fma_f32 v68, v65, v68, v38
	;; [unrolled: 1-line block ×6, first 2 shown]
	v_fmac_f32_e32 v67, v63, v68
	v_fma_f32 v66, v65, v66, v33
	v_fma_f32 v63, v65, -v67, s56
	v_fma_f32 v63, v64, v66, -v63
	v_add_f32_e32 v63, 0xbdf8cdce, v63
	v_add_f32_e32 v61, v61, v63
.LBB13_35:                              ;   in Loop: Header=BB13_4 Depth=1
	s_or_b64 exec, exec, s[8:9]
                                        ; implicit-def: $vgpr64
                                        ; implicit-def: $vgpr63
.LBB13_36:                              ;   in Loop: Header=BB13_4 Depth=1
	s_andn2_saveexec_b64 s[14:15], s[14:15]
	s_cbranch_execz .LBB13_40
; %bb.37:                               ;   in Loop: Header=BB13_4 Depth=1
	v_cmp_eq_u32_e64 s[8:9], 0, v64
	s_and_saveexec_b64 s[16:17], s[8:9]
	s_cbranch_execz .LBB13_39
; %bb.38:                               ;   in Loop: Header=BB13_4 Depth=1
	v_mul_f32_e32 v64, v63, v63
	v_mov_b32_e32 v66, 0x38e28445
	v_mov_b32_e32 v65, 0x39679767
	v_fmac_f32_e32 v66, 0x383c2c75, v64
	v_fmac_f32_e32 v65, 0x37d383a2, v64
	v_fma_f32 v66, v64, v66, v44
	v_fma_f32 v65, v64, v65, v40
	;; [unrolled: 1-line block ×8, first 2 shown]
	v_mul_f32_e32 v64, v64, v66
	v_fmac_f32_e32 v64, v63, v65
	v_fmac_f32_e32 v64, -0.5, v63
	v_add_f32_e32 v61, v61, v64
.LBB13_39:                              ;   in Loop: Header=BB13_4 Depth=1
	s_or_b64 exec, exec, s[16:17]
.LBB13_40:                              ;   in Loop: Header=BB13_4 Depth=1
	s_or_b64 exec, exec, s[14:15]
.LBB13_41:                              ;   in Loop: Header=BB13_4 Depth=1
	s_or_b64 exec, exec, s[10:11]
.LBB13_42:                              ;   in Loop: Header=BB13_4 Depth=1
	s_andn2_saveexec_b64 s[12:13], s[12:13]
	s_cbranch_execz .LBB13_44
; %bb.43:                               ;   in Loop: Header=BB13_4 Depth=1
	v_cmp_lt_f32_e64 s[8:9], |v58|, s46
	v_cndmask_b32_e64 v61, 0, 32, s[8:9]
	v_ldexp_f32 v61, |v58|, v61
	v_log_f32_e32 v61, v61
	v_fma_f32 v63, |v58|, s57, v55
	v_fma_f32 v63, |v58|, v63, s58
	;; [unrolled: 1-line block ×3, first 2 shown]
	v_mul_f32_e32 v64, 0x3f317217, v61
	v_fma_f32 v65, v61, s47, -v64
	v_fmac_f32_e32 v65, 0x3377d1cf, v61
	v_add_f32_e32 v64, v64, v65
	v_cmp_lt_f32_e64 s[10:11], |v61|, s48
	v_cndmask_b32_e64 v61, v61, v64, s[10:11]
	v_cndmask_b32_e64 v64, 0, v54, s[8:9]
	v_sub_f32_e32 v61, v61, v64
	v_fma_f32 v61, |v58|, v63, -v61
.LBB13_44:                              ;   in Loop: Header=BB13_4 Depth=1
	s_or_b64 exec, exec, s[12:13]
	v_cmp_le_f32_e64 s[8:9], 0, v58
	v_cmp_nle_f32_e64 s[10:11], 0, v58
	s_and_saveexec_b64 s[12:13], s[10:11]
	s_xor_b64 s[14:15], exec, s[12:13]
	s_cbranch_execz .LBB13_48
; %bb.45:                               ;   in Loop: Header=BB13_4 Depth=1
	v_cmp_lt_f32_e64 s[10:11], |v58|, s60
	v_cmp_gt_f32_e64 s[12:13], |v58|, s61
	s_and_b64 s[10:11], s[10:11], s[12:13]
	s_and_saveexec_b64 s[16:17], s[10:11]
	s_cbranch_execz .LBB13_47
; %bb.46:                               ;   in Loop: Header=BB13_4 Depth=1
	v_mul_f32_e64 v63, |v58|, 0.5
	v_floor_f32_e32 v64, v63
	v_sub_f32_e32 v64, v63, v64
	v_min_f32_e32 v64, 0x3f7fffff, v64
	v_add_f32_e32 v64, v64, v64
	v_cmp_neq_f32_e64 s[10:11], s48, v63
	v_cndmask_b32_e64 v63, 0, v64, s[10:11]
	v_cmp_gt_f32_e64 s[10:11], |v58|, 1.0
	v_cndmask_b32_e64 v63, |v58|, v63, s[10:11]
	v_add_f32_e32 v64, v63, v63
	v_rndne_f32_e32 v64, v64
	v_fmac_f32_e32 v63, -0.5, v64
	v_mul_f32_e32 v65, v63, v63
	v_mov_b32_e32 v66, 0xbf1f24be
	v_fmac_f32_e32 v66, 0x3e75aa41, v65
	v_fma_f32 v66, v65, v66, v48
	v_fma_f32 v66, v65, v66, v49
	v_mul_f32_e32 v67, v63, v65
	v_mul_f32_e32 v66, v67, v66
	v_fmac_f32_e32 v66, 0x40490fdb, v63
	v_mov_b32_e32 v63, 0x3e642e9d
	v_cvt_i32_f32_e32 v64, v64
	v_fmac_f32_e32 v63, 0x3d4be544, v65
	v_fma_f32 v63, v65, v63, v50
	v_fma_f32 v63, v65, v63, v51
	;; [unrolled: 1-line block ×3, first 2 shown]
	v_fma_f32 v63, v65, v63, 1.0
	v_and_b32_e32 v65, 1, v64
	v_lshlrev_b32_e32 v64, 30, v64
	v_cmp_eq_u32_e64 s[10:11], 0, v65
	v_and_b32_e32 v64, 0x80000000, v64
	v_xor_b32_e32 v62, v62, v58
	v_cndmask_b32_e64 v63, v63, v66, s[10:11]
	v_xor_b32_e32 v62, v62, v64
	v_xor_b32_e32 v62, v62, v63
	v_mul_f32_e32 v62, v58, v62
	v_frexp_mant_f32_e64 v63, |v62|
	v_rcp_f32_e32 v63, v63
	v_frexp_exp_i32_f32_e32 v62, v62
	v_sub_u32_e32 v62, 2, v62
	v_mul_f32_e32 v63, 0x3f490fdb, v63
	v_ldexp_f32 v62, v63, v62
	v_cmp_gt_f32_e64 s[10:11], s46, v62
	v_cndmask_b32_e64 v63, 0, 32, s[10:11]
	v_ldexp_f32 v62, v62, v63
	v_log_f32_e32 v62, v62
	v_mul_f32_e32 v63, 0x3f317217, v62
	v_fma_f32 v64, v62, s47, -v63
	v_fmac_f32_e32 v64, 0x3377d1cf, v62
	v_add_f32_e32 v63, v63, v64
	v_cmp_lt_f32_e64 s[12:13], |v62|, s48
	v_cndmask_b32_e64 v62, v62, v63, s[12:13]
	v_cndmask_b32_e64 v63, 0, v54, s[10:11]
	v_sub_f32_e32 v62, v62, v63
	v_sub_f32_e32 v61, v62, v61
	v_floor_f32_e32 v62, v58
	v_sub_f32_e32 v62, v58, v62
	v_min_f32_e32 v62, 0x3f7fffff, v62
	v_cmp_neq_f32_e64 s[10:11], 0, v62
	v_cndmask_b32_e64 v61, v56, v61, s[10:11]
.LBB13_47:                              ;   in Loop: Header=BB13_4 Depth=1
	s_or_b64 exec, exec, s[16:17]
.LBB13_48:                              ;   in Loop: Header=BB13_4 Depth=1
	s_andn2_saveexec_b64 s[14:15], s[14:15]
; %bb.49:                               ;   in Loop: Header=BB13_4 Depth=1
	v_cmp_eq_f32_e64 s[10:11], 1.0, v58
	v_cmp_eq_f32_e64 s[12:13], 2.0, v58
	s_or_b64 s[10:11], s[10:11], s[12:13]
	v_cndmask_b32_e64 v61, v61, 0, s[10:11]
; %bb.50:                               ;   in Loop: Header=BB13_4 Depth=1
	s_or_b64 exec, exec, s[14:15]
	v_and_b32_e32 v63, 0x7fffffff, v59
	v_cmp_nlt_f32_e64 s[10:11], |v59|, s43
                                        ; implicit-def: $vgpr62
	s_and_saveexec_b64 s[12:13], s[10:11]
	s_xor_b64 s[14:15], exec, s[12:13]
	s_cbranch_execz .LBB13_80
; %bb.51:                               ;   in Loop: Header=BB13_4 Depth=1
	v_cmp_nlt_f32_e64 s[10:11], |v59|, 2.0
                                        ; implicit-def: $vgpr62
	s_and_saveexec_b64 s[12:13], s[10:11]
	s_xor_b64 s[16:17], exec, s[12:13]
	s_cbranch_execz .LBB13_61
; %bb.52:                               ;   in Loop: Header=BB13_4 Depth=1
	v_cmp_nlt_f32_e64 s[10:11], |v59|, s44
                                        ; implicit-def: $vgpr62
	s_and_saveexec_b64 s[12:13], s[10:11]
	s_xor_b64 s[18:19], exec, s[12:13]
	s_cbranch_execz .LBB13_58
; %bb.53:                               ;   in Loop: Header=BB13_4 Depth=1
	v_cmp_nlt_f32_e64 s[10:11], |v59|, s45
                                        ; implicit-def: $vgpr62
	s_and_saveexec_b64 s[12:13], s[10:11]
	s_xor_b64 s[34:35], exec, s[12:13]
	s_cbranch_execz .LBB13_55
; %bb.54:                               ;   in Loop: Header=BB13_4 Depth=1
	v_cmp_lt_f32_e64 s[10:11], |v59|, s46
	v_cndmask_b32_e64 v62, 0, 32, s[10:11]
	v_ldexp_f32 v62, |v59|, v62
	v_log_f32_e32 v62, v62
	v_mul_f32_e32 v64, 0x3f317217, v62
	v_fma_f32 v65, v62, s47, -v64
	v_fmac_f32_e32 v65, 0x3377d1cf, v62
	v_add_f32_e32 v64, v64, v65
	v_cmp_lt_f32_e64 s[12:13], |v62|, s48
	v_cndmask_b32_e64 v62, v62, v64, s[12:13]
	v_cndmask_b32_e64 v64, 0, v54, s[10:11]
	v_sub_f32_e32 v62, v62, v64
	v_fma_f32 v62, |v59|, v62, -|v59|
.LBB13_55:                              ;   in Loop: Header=BB13_4 Depth=1
	s_andn2_saveexec_b64 s[34:35], s[34:35]
	s_cbranch_execz .LBB13_57
; %bb.56:                               ;   in Loop: Header=BB13_4 Depth=1
	v_rcp_f32_e64 v62, |v59|
	v_cmp_lt_f32_e64 s[10:11], |v59|, s46
	v_cndmask_b32_e64 v65, 0, 32, s[10:11]
	v_mov_b32_e32 v64, 0x3a5b3dd2
	v_mul_f32_e32 v66, v62, v62
	v_ldexp_f32 v65, |v59|, v65
	v_fmac_f32_e32 v64, 0xbad5c4e8, v66
	v_log_f32_e32 v65, v65
	v_fma_f32 v64, v66, v64, v11
	v_fma_f32 v64, v66, v64, v12
	;; [unrolled: 1-line block ×4, first 2 shown]
	v_mul_f32_e32 v66, 0x3f317217, v65
	v_fma_f32 v67, v65, s47, -v66
	v_fmac_f32_e32 v67, 0x3377d1cf, v65
	v_add_f32_e32 v66, v66, v67
	v_cmp_lt_f32_e64 s[12:13], |v65|, s48
	v_cndmask_b32_e64 v65, v65, v66, s[12:13]
	v_cndmask_b32_e64 v66, 0, v54, s[10:11]
	v_sub_f32_e32 v65, v65, v66
	v_fma_f32 v62, v62, v64, v15
	v_add_f32_e64 v64, |v59|, -0.5
	v_add_f32_e32 v65, -1.0, v65
	v_fmac_f32_e32 v62, v64, v65
.LBB13_57:                              ;   in Loop: Header=BB13_4 Depth=1
	s_or_b64 exec, exec, s[34:35]
.LBB13_58:                              ;   in Loop: Header=BB13_4 Depth=1
	s_andn2_saveexec_b64 s[18:19], s[18:19]
	s_cbranch_execz .LBB13_60
; %bb.59:                               ;   in Loop: Header=BB13_4 Depth=1
	v_cvt_i32_f32_e32 v62, v63
	v_mov_b32_e32 v66, 0x3a4beed6
	v_mov_b32_e32 v65, 0x3af135b4
	v_cvt_f32_i32_e32 v64, v62
	v_cmp_lt_i32_e64 s[10:11], 2, v62
	v_sub_f32_e64 v64, |v59|, v64
	v_add_f32_e32 v67, 2.0, v64
	v_add_f32_e32 v68, 0x40400000, v64
	v_cndmask_b32_e64 v67, 1.0, v67, s[10:11]
	v_cmp_lt_i32_e64 s[10:11], 3, v62
	v_add_f32_e32 v69, 4.0, v64
	v_cndmask_b32_e64 v68, 1.0, v68, s[10:11]
	v_cmp_lt_i32_e64 s[10:11], 4, v62
	v_fmac_f32_e32 v66, 0x36f5d7bd, v64
	v_add_f32_e32 v70, 0x40a00000, v64
	v_mul_f32_e32 v67, v67, v68
	v_cndmask_b32_e64 v68, 1.0, v69, s[10:11]
	v_cmp_lt_i32_e64 s[10:11], 5, v62
	v_fma_f32 v66, v64, v66, v21
	v_add_f32_e32 v71, 0x40c00000, v64
	v_mul_f32_e32 v67, v68, v67
	v_cndmask_b32_e64 v68, 1.0, v70, s[10:11]
	v_cmp_lt_i32_e64 s[10:11], 6, v62
	v_fma_f32 v66, v64, v66, v22
	v_mul_f32_e32 v67, v68, v67
	v_cndmask_b32_e64 v62, 1.0, v71, s[10:11]
	v_fmac_f32_e32 v65, 0x3805ff67, v64
	v_fma_f32 v66, v64, v66, v23
	v_mul_f32_e32 v62, v62, v67
	v_fma_f32 v65, v64, v65, v16
	v_fma_f32 v66, v64, v66, v24
	v_cmp_gt_f32_e64 s[10:11], s46, v62
	v_fma_f32 v65, v64, v65, v17
	v_fma_f32 v66, v64, v66, 1.0
	v_cndmask_b32_e64 v67, 0, 32, s[10:11]
	v_fma_f32 v65, v64, v65, v18
	v_rcp_f32_e32 v66, v66
	v_ldexp_f32 v62, v62, v67
	v_fma_f32 v65, v64, v65, v19
	v_log_f32_e32 v62, v62
	v_fma_f32 v65, v64, v65, v20
	v_mul_f32_e32 v65, v64, v65
	v_mul_f32_e32 v65, v65, v66
	v_fmac_f32_e32 v65, 0.5, v64
	v_mul_f32_e32 v64, 0x3f317217, v62
	v_fma_f32 v66, v62, s47, -v64
	v_fmac_f32_e32 v66, 0x3377d1cf, v62
	v_add_f32_e32 v64, v64, v66
	v_cmp_lt_f32_e64 s[12:13], |v62|, s48
	v_cndmask_b32_e64 v62, v62, v64, s[12:13]
	v_cndmask_b32_e64 v64, 0, v54, s[10:11]
	v_sub_f32_e32 v62, v62, v64
	v_add_f32_e32 v62, v62, v65
.LBB13_60:                              ;   in Loop: Header=BB13_4 Depth=1
	s_or_b64 exec, exec, s[18:19]
.LBB13_61:                              ;   in Loop: Header=BB13_4 Depth=1
	s_andn2_saveexec_b64 s[12:13], s[16:17]
	s_cbranch_execz .LBB13_79
; %bb.62:                               ;   in Loop: Header=BB13_4 Depth=1
	v_cmp_le_f32_e64 s[10:11], |v59|, s49
                                        ; implicit-def: $vgpr62
                                        ; implicit-def: $vgpr65
                                        ; implicit-def: $vgpr64
	s_and_saveexec_b64 s[16:17], s[10:11]
	s_xor_b64 s[16:17], exec, s[16:17]
	s_cbranch_execz .LBB13_64
; %bb.63:                               ;   in Loop: Header=BB13_4 Depth=1
	v_cmp_lt_f32_e64 s[10:11], |v59|, s46
	v_cndmask_b32_e64 v62, 0, 32, s[10:11]
	v_ldexp_f32 v62, |v59|, v62
	v_log_f32_e32 v62, v62
	v_cndmask_b32_e64 v64, 0, v54, s[10:11]
	v_mul_f32_e32 v65, 0x3f317217, v62
	v_fma_f32 v66, v62, s47, -v65
	v_fmac_f32_e32 v66, 0x3377d1cf, v62
	v_add_f32_e32 v65, v65, v66
	v_cmp_lt_f32_e64 s[10:11], |v62|, s48
	v_cndmask_b32_e64 v62, v62, v65, s[10:11]
	v_sub_f32_e32 v62, v62, v64
	v_sub_f32_e64 v64, 1.0, |v59|
	v_add_f32_e64 v65, |v59|, s51
	v_cmp_lt_f32_e64 s[10:11], |v59|, s50
	v_cndmask_b32_e64 v64, v64, v65, s[10:11]
	v_cndmask_b32_e64 v65, 0, 1, s[10:11]
	v_cmp_lt_f32_e64 s[10:11], |v59|, s52
	v_xor_b32_e32 v62, 0x80000000, v62
	v_cndmask_b32_e64 v64, v64, |v59|, s[10:11]
	v_cndmask_b32_e64 v65, v65, 2, s[10:11]
.LBB13_64:                              ;   in Loop: Header=BB13_4 Depth=1
	s_andn2_saveexec_b64 s[16:17], s[16:17]
	s_cbranch_execz .LBB13_66
; %bb.65:                               ;   in Loop: Header=BB13_4 Depth=1
	v_sub_f32_e64 v62, 2.0, |v59|
	v_add_f32_e64 v64, |v59|, s54
	v_cmp_lt_f32_e64 s[10:11], |v59|, s53
	v_cndmask_b32_e64 v64, v62, v64, s[10:11]
	v_cndmask_b32_e64 v62, v62, 1.0, s[10:11]
	v_cvt_i32_f32_e32 v62, v62
	v_add_f32_e64 v65, |v59|, -1.0
	v_cmp_lt_f32_e64 s[10:11], |v59|, s55
	v_cndmask_b32_e64 v64, v64, v65, s[10:11]
	v_cndmask_b32_e64 v65, v62, 2, s[10:11]
	v_mov_b32_e32 v62, 0
.LBB13_66:                              ;   in Loop: Header=BB13_4 Depth=1
	s_or_b64 exec, exec, s[16:17]
	v_cmp_lt_i32_e64 s[10:11], 0, v65
	s_and_saveexec_b64 s[16:17], s[10:11]
	s_xor_b64 s[16:17], exec, s[16:17]
	s_cbranch_execz .LBB13_74
; %bb.67:                               ;   in Loop: Header=BB13_4 Depth=1
	v_cmp_lt_i32_e64 s[10:11], 1, v65
	s_and_saveexec_b64 s[18:19], s[10:11]
	s_xor_b64 s[18:19], exec, s[18:19]
	s_cbranch_execz .LBB13_71
; %bb.68:                               ;   in Loop: Header=BB13_4 Depth=1
	v_cmp_eq_u32_e64 s[10:11], 2, v65
	s_and_saveexec_b64 s[34:35], s[10:11]
	s_cbranch_execz .LBB13_70
; %bb.69:                               ;   in Loop: Header=BB13_4 Depth=1
	v_mov_b32_e32 v66, 0x3dd572af
	v_fmac_f32_e32 v66, 0x3b52d5db, v64
	v_fma_f32 v66, v64, v66, v28
	v_mov_b32_e32 v65, 0x3e6a7578
	v_fma_f32 v66, v64, v66, v29
	v_fmac_f32_e32 v65, 0x3c5b3c5e, v64
	v_fma_f32 v66, v64, v66, v30
	v_fma_f32 v65, v64, v65, v25
	v_fma_f32 v66, v64, v66, 1.0
	v_fma_f32 v65, v64, v65, v26
	v_rcp_f32_e32 v66, v66
	v_fma_f32 v65, v64, v65, v27
	v_fma_f32 v65, v64, v65, v20
	v_mul_f32_e32 v65, v64, v65
	v_mul_f32_e32 v65, v65, v66
	v_fmac_f32_e32 v65, -0.5, v64
	v_add_f32_e32 v62, v62, v65
.LBB13_70:                              ;   in Loop: Header=BB13_4 Depth=1
	s_or_b64 exec, exec, s[34:35]
                                        ; implicit-def: $vgpr64
.LBB13_71:                              ;   in Loop: Header=BB13_4 Depth=1
	s_andn2_saveexec_b64 s[10:11], s[18:19]
	s_cbranch_execz .LBB13_73
; %bb.72:                               ;   in Loop: Header=BB13_4 Depth=1
	v_mul_f32_e32 v65, v64, v64
	v_mul_f32_e32 v66, v64, v65
	v_mov_b32_e32 v68, 0x3a66f867
	v_mov_b32_e32 v69, 0xba0d3085
	v_fmac_f32_e32 v68, 0xb9a3f927, v66
	v_fmac_f32_e32 v69, 0x39afe9f7, v66
	v_mov_b32_e32 v67, 0xbab7f476
	v_fma_f32 v68, v66, v68, v34
	v_fma_f32 v69, v66, v69, v37
	v_fmac_f32_e32 v67, 0x39a57b6b, v66
	v_fma_f32 v68, v66, v68, v35
	v_fma_f32 v69, v66, v69, v38
	;; [unrolled: 1-line block ×6, first 2 shown]
	v_fmac_f32_e32 v68, v64, v69
	v_fma_f32 v67, v66, v67, v33
	v_fma_f32 v64, v66, -v68, s56
	v_fma_f32 v64, v65, v67, -v64
	v_add_f32_e32 v64, 0xbdf8cdce, v64
	v_add_f32_e32 v62, v62, v64
.LBB13_73:                              ;   in Loop: Header=BB13_4 Depth=1
	s_or_b64 exec, exec, s[10:11]
                                        ; implicit-def: $vgpr65
                                        ; implicit-def: $vgpr64
.LBB13_74:                              ;   in Loop: Header=BB13_4 Depth=1
	s_andn2_saveexec_b64 s[16:17], s[16:17]
	s_cbranch_execz .LBB13_78
; %bb.75:                               ;   in Loop: Header=BB13_4 Depth=1
	v_cmp_eq_u32_e64 s[10:11], 0, v65
	s_and_saveexec_b64 s[18:19], s[10:11]
	s_cbranch_execz .LBB13_77
; %bb.76:                               ;   in Loop: Header=BB13_4 Depth=1
	v_mul_f32_e32 v65, v64, v64
	v_mov_b32_e32 v67, 0x38e28445
	v_mov_b32_e32 v66, 0x39679767
	v_fmac_f32_e32 v67, 0x383c2c75, v65
	v_fmac_f32_e32 v66, 0x37d383a2, v65
	v_fma_f32 v67, v65, v67, v44
	v_fma_f32 v66, v65, v66, v40
	;; [unrolled: 1-line block ×8, first 2 shown]
	v_mul_f32_e32 v65, v65, v67
	v_fmac_f32_e32 v65, v64, v66
	v_fmac_f32_e32 v65, -0.5, v64
	v_add_f32_e32 v62, v62, v65
.LBB13_77:                              ;   in Loop: Header=BB13_4 Depth=1
	s_or_b64 exec, exec, s[18:19]
.LBB13_78:                              ;   in Loop: Header=BB13_4 Depth=1
	s_or_b64 exec, exec, s[16:17]
.LBB13_79:                              ;   in Loop: Header=BB13_4 Depth=1
	s_or_b64 exec, exec, s[12:13]
.LBB13_80:                              ;   in Loop: Header=BB13_4 Depth=1
	s_andn2_saveexec_b64 s[14:15], s[14:15]
	s_cbranch_execz .LBB13_82
; %bb.81:                               ;   in Loop: Header=BB13_4 Depth=1
	v_cmp_lt_f32_e64 s[10:11], |v59|, s46
	v_cndmask_b32_e64 v62, 0, 32, s[10:11]
	v_ldexp_f32 v62, |v59|, v62
	v_log_f32_e32 v62, v62
	v_fma_f32 v64, |v59|, s57, v55
	v_fma_f32 v64, |v59|, v64, s58
	;; [unrolled: 1-line block ×3, first 2 shown]
	v_mul_f32_e32 v65, 0x3f317217, v62
	v_fma_f32 v66, v62, s47, -v65
	v_fmac_f32_e32 v66, 0x3377d1cf, v62
	v_add_f32_e32 v65, v65, v66
	v_cmp_lt_f32_e64 s[12:13], |v62|, s48
	v_cndmask_b32_e64 v62, v62, v65, s[12:13]
	v_cndmask_b32_e64 v65, 0, v54, s[10:11]
	v_sub_f32_e32 v62, v62, v65
	v_fma_f32 v62, |v59|, v64, -v62
.LBB13_82:                              ;   in Loop: Header=BB13_4 Depth=1
	s_or_b64 exec, exec, s[14:15]
	v_cmp_le_f32_e64 s[10:11], 0, v59
	v_cmp_nle_f32_e64 s[12:13], 0, v59
	s_and_saveexec_b64 s[14:15], s[12:13]
	s_xor_b64 s[16:17], exec, s[14:15]
	s_cbranch_execz .LBB13_86
; %bb.83:                               ;   in Loop: Header=BB13_4 Depth=1
	v_cmp_lt_f32_e64 s[12:13], |v59|, s60
	v_cmp_gt_f32_e64 s[14:15], |v59|, s61
	s_and_b64 s[12:13], s[12:13], s[14:15]
	s_and_saveexec_b64 s[18:19], s[12:13]
	s_cbranch_execz .LBB13_85
; %bb.84:                               ;   in Loop: Header=BB13_4 Depth=1
	v_mul_f32_e64 v64, |v59|, 0.5
	v_floor_f32_e32 v65, v64
	v_sub_f32_e32 v65, v64, v65
	v_min_f32_e32 v65, 0x3f7fffff, v65
	v_add_f32_e32 v65, v65, v65
	v_cmp_neq_f32_e64 s[12:13], s48, v64
	v_cndmask_b32_e64 v64, 0, v65, s[12:13]
	v_cmp_gt_f32_e64 s[12:13], |v59|, 1.0
	v_cndmask_b32_e64 v64, |v59|, v64, s[12:13]
	v_add_f32_e32 v65, v64, v64
	v_rndne_f32_e32 v65, v65
	v_fmac_f32_e32 v64, -0.5, v65
	v_mul_f32_e32 v66, v64, v64
	v_mov_b32_e32 v67, 0xbf1f24be
	v_fmac_f32_e32 v67, 0x3e75aa41, v66
	v_fma_f32 v67, v66, v67, v48
	v_fma_f32 v67, v66, v67, v49
	v_mul_f32_e32 v68, v64, v66
	v_mul_f32_e32 v67, v68, v67
	v_fmac_f32_e32 v67, 0x40490fdb, v64
	v_mov_b32_e32 v64, 0x3e642e9d
	v_cvt_i32_f32_e32 v65, v65
	v_fmac_f32_e32 v64, 0x3d4be544, v66
	v_fma_f32 v64, v66, v64, v50
	v_fma_f32 v64, v66, v64, v51
	;; [unrolled: 1-line block ×3, first 2 shown]
	v_fma_f32 v64, v66, v64, 1.0
	v_and_b32_e32 v66, 1, v65
	v_lshlrev_b32_e32 v65, 30, v65
	v_cmp_eq_u32_e64 s[12:13], 0, v66
	v_and_b32_e32 v65, 0x80000000, v65
	v_xor_b32_e32 v63, v63, v59
	v_cndmask_b32_e64 v64, v64, v67, s[12:13]
	v_xor_b32_e32 v63, v63, v65
	v_xor_b32_e32 v63, v63, v64
	v_mul_f32_e32 v63, v59, v63
	v_frexp_mant_f32_e64 v64, |v63|
	v_rcp_f32_e32 v64, v64
	v_frexp_exp_i32_f32_e32 v63, v63
	v_sub_u32_e32 v63, 2, v63
	v_mul_f32_e32 v64, 0x3f490fdb, v64
	v_ldexp_f32 v63, v64, v63
	v_cmp_gt_f32_e64 s[12:13], s46, v63
	v_cndmask_b32_e64 v64, 0, 32, s[12:13]
	v_ldexp_f32 v63, v63, v64
	v_log_f32_e32 v63, v63
	v_mul_f32_e32 v64, 0x3f317217, v63
	v_fma_f32 v65, v63, s47, -v64
	v_fmac_f32_e32 v65, 0x3377d1cf, v63
	v_add_f32_e32 v64, v64, v65
	v_cmp_lt_f32_e64 s[14:15], |v63|, s48
	v_cndmask_b32_e64 v63, v63, v64, s[14:15]
	v_cndmask_b32_e64 v64, 0, v54, s[12:13]
	v_sub_f32_e32 v63, v63, v64
	v_sub_f32_e32 v62, v63, v62
	v_floor_f32_e32 v63, v59
	v_sub_f32_e32 v63, v59, v63
	v_min_f32_e32 v63, 0x3f7fffff, v63
	v_cmp_neq_f32_e64 s[12:13], 0, v63
	v_cndmask_b32_e64 v62, v56, v62, s[12:13]
.LBB13_85:                              ;   in Loop: Header=BB13_4 Depth=1
	s_or_b64 exec, exec, s[18:19]
.LBB13_86:                              ;   in Loop: Header=BB13_4 Depth=1
	s_andn2_saveexec_b64 s[16:17], s[16:17]
; %bb.87:                               ;   in Loop: Header=BB13_4 Depth=1
	v_cmp_eq_f32_e64 s[12:13], 1.0, v59
	v_cmp_eq_f32_e64 s[14:15], 2.0, v59
	s_or_b64 s[12:13], s[12:13], s[14:15]
	v_cndmask_b32_e64 v62, v62, 0, s[12:13]
; %bb.88:                               ;   in Loop: Header=BB13_4 Depth=1
	s_or_b64 exec, exec, s[16:17]
	v_and_b32_e32 v64, 0x7fffffff, v57
	v_cmp_nlt_f32_e64 s[12:13], |v57|, s43
                                        ; implicit-def: $vgpr63
	s_and_saveexec_b64 s[14:15], s[12:13]
	s_xor_b64 s[16:17], exec, s[14:15]
	s_cbranch_execz .LBB13_118
; %bb.89:                               ;   in Loop: Header=BB13_4 Depth=1
	v_cmp_nlt_f32_e64 s[12:13], |v57|, 2.0
                                        ; implicit-def: $vgpr63
	s_and_saveexec_b64 s[14:15], s[12:13]
	s_xor_b64 s[18:19], exec, s[14:15]
	s_cbranch_execz .LBB13_99
; %bb.90:                               ;   in Loop: Header=BB13_4 Depth=1
	v_cmp_nlt_f32_e64 s[12:13], |v57|, s44
                                        ; implicit-def: $vgpr63
	s_and_saveexec_b64 s[14:15], s[12:13]
	s_xor_b64 s[34:35], exec, s[14:15]
	s_cbranch_execz .LBB13_96
; %bb.91:                               ;   in Loop: Header=BB13_4 Depth=1
	v_cmp_nlt_f32_e64 s[12:13], |v57|, s45
                                        ; implicit-def: $vgpr63
	s_and_saveexec_b64 s[14:15], s[12:13]
	s_xor_b64 s[36:37], exec, s[14:15]
	s_cbranch_execz .LBB13_93
; %bb.92:                               ;   in Loop: Header=BB13_4 Depth=1
	v_cmp_lt_f32_e64 s[12:13], |v57|, s46
	v_cndmask_b32_e64 v63, 0, 32, s[12:13]
	v_ldexp_f32 v63, |v57|, v63
	v_log_f32_e32 v63, v63
	v_mul_f32_e32 v65, 0x3f317217, v63
	v_fma_f32 v66, v63, s47, -v65
	v_fmac_f32_e32 v66, 0x3377d1cf, v63
	v_add_f32_e32 v65, v65, v66
	v_cmp_lt_f32_e64 s[14:15], |v63|, s48
	v_cndmask_b32_e64 v63, v63, v65, s[14:15]
	v_cndmask_b32_e64 v65, 0, v54, s[12:13]
	v_sub_f32_e32 v63, v63, v65
	v_fma_f32 v63, |v57|, v63, -|v57|
.LBB13_93:                              ;   in Loop: Header=BB13_4 Depth=1
	s_andn2_saveexec_b64 s[36:37], s[36:37]
	s_cbranch_execz .LBB13_95
; %bb.94:                               ;   in Loop: Header=BB13_4 Depth=1
	v_rcp_f32_e64 v63, |v57|
	v_cmp_lt_f32_e64 s[12:13], |v57|, s46
	v_cndmask_b32_e64 v66, 0, 32, s[12:13]
	v_mov_b32_e32 v65, 0x3a5b3dd2
	v_mul_f32_e32 v67, v63, v63
	v_ldexp_f32 v66, |v57|, v66
	v_fmac_f32_e32 v65, 0xbad5c4e8, v67
	v_log_f32_e32 v66, v66
	v_fma_f32 v65, v67, v65, v11
	v_fma_f32 v65, v67, v65, v12
	;; [unrolled: 1-line block ×4, first 2 shown]
	v_mul_f32_e32 v67, 0x3f317217, v66
	v_fma_f32 v68, v66, s47, -v67
	v_fmac_f32_e32 v68, 0x3377d1cf, v66
	v_add_f32_e32 v67, v67, v68
	v_cmp_lt_f32_e64 s[14:15], |v66|, s48
	v_cndmask_b32_e64 v66, v66, v67, s[14:15]
	v_cndmask_b32_e64 v67, 0, v54, s[12:13]
	v_sub_f32_e32 v66, v66, v67
	v_fma_f32 v63, v63, v65, v15
	v_add_f32_e64 v65, |v57|, -0.5
	v_add_f32_e32 v66, -1.0, v66
	v_fmac_f32_e32 v63, v65, v66
.LBB13_95:                              ;   in Loop: Header=BB13_4 Depth=1
	s_or_b64 exec, exec, s[36:37]
.LBB13_96:                              ;   in Loop: Header=BB13_4 Depth=1
	s_andn2_saveexec_b64 s[34:35], s[34:35]
	s_cbranch_execz .LBB13_98
; %bb.97:                               ;   in Loop: Header=BB13_4 Depth=1
	v_cvt_i32_f32_e32 v63, v64
	v_mov_b32_e32 v67, 0x3a4beed6
	v_mov_b32_e32 v66, 0x3af135b4
	v_cvt_f32_i32_e32 v65, v63
	v_cmp_lt_i32_e64 s[12:13], 2, v63
	v_sub_f32_e64 v65, |v57|, v65
	v_add_f32_e32 v68, 2.0, v65
	v_add_f32_e32 v69, 0x40400000, v65
	v_cndmask_b32_e64 v68, 1.0, v68, s[12:13]
	v_cmp_lt_i32_e64 s[12:13], 3, v63
	v_add_f32_e32 v70, 4.0, v65
	v_cndmask_b32_e64 v69, 1.0, v69, s[12:13]
	v_cmp_lt_i32_e64 s[12:13], 4, v63
	v_fmac_f32_e32 v67, 0x36f5d7bd, v65
	v_add_f32_e32 v71, 0x40a00000, v65
	v_mul_f32_e32 v68, v68, v69
	v_cndmask_b32_e64 v69, 1.0, v70, s[12:13]
	v_cmp_lt_i32_e64 s[12:13], 5, v63
	v_fma_f32 v67, v65, v67, v21
	v_add_f32_e32 v72, 0x40c00000, v65
	v_mul_f32_e32 v68, v69, v68
	v_cndmask_b32_e64 v69, 1.0, v71, s[12:13]
	v_cmp_lt_i32_e64 s[12:13], 6, v63
	v_fma_f32 v67, v65, v67, v22
	v_mul_f32_e32 v68, v69, v68
	v_cndmask_b32_e64 v63, 1.0, v72, s[12:13]
	v_fmac_f32_e32 v66, 0x3805ff67, v65
	v_fma_f32 v67, v65, v67, v23
	v_mul_f32_e32 v63, v63, v68
	v_fma_f32 v66, v65, v66, v16
	v_fma_f32 v67, v65, v67, v24
	v_cmp_gt_f32_e64 s[12:13], s46, v63
	v_fma_f32 v66, v65, v66, v17
	v_fma_f32 v67, v65, v67, 1.0
	v_cndmask_b32_e64 v68, 0, 32, s[12:13]
	v_fma_f32 v66, v65, v66, v18
	v_rcp_f32_e32 v67, v67
	v_ldexp_f32 v63, v63, v68
	v_fma_f32 v66, v65, v66, v19
	v_log_f32_e32 v63, v63
	v_fma_f32 v66, v65, v66, v20
	v_mul_f32_e32 v66, v65, v66
	v_mul_f32_e32 v66, v66, v67
	v_fmac_f32_e32 v66, 0.5, v65
	v_mul_f32_e32 v65, 0x3f317217, v63
	v_fma_f32 v67, v63, s47, -v65
	v_fmac_f32_e32 v67, 0x3377d1cf, v63
	v_add_f32_e32 v65, v65, v67
	v_cmp_lt_f32_e64 s[14:15], |v63|, s48
	v_cndmask_b32_e64 v63, v63, v65, s[14:15]
	v_cndmask_b32_e64 v65, 0, v54, s[12:13]
	v_sub_f32_e32 v63, v63, v65
	v_add_f32_e32 v63, v63, v66
.LBB13_98:                              ;   in Loop: Header=BB13_4 Depth=1
	s_or_b64 exec, exec, s[34:35]
.LBB13_99:                              ;   in Loop: Header=BB13_4 Depth=1
	s_andn2_saveexec_b64 s[14:15], s[18:19]
	s_cbranch_execz .LBB13_117
; %bb.100:                              ;   in Loop: Header=BB13_4 Depth=1
	v_cmp_le_f32_e64 s[12:13], |v57|, s49
                                        ; implicit-def: $vgpr63
                                        ; implicit-def: $vgpr66
                                        ; implicit-def: $vgpr65
	s_and_saveexec_b64 s[18:19], s[12:13]
	s_xor_b64 s[18:19], exec, s[18:19]
	s_cbranch_execz .LBB13_102
; %bb.101:                              ;   in Loop: Header=BB13_4 Depth=1
	v_cmp_lt_f32_e64 s[12:13], |v57|, s46
	v_cndmask_b32_e64 v63, 0, 32, s[12:13]
	v_ldexp_f32 v63, |v57|, v63
	v_log_f32_e32 v63, v63
	v_cndmask_b32_e64 v65, 0, v54, s[12:13]
	v_mul_f32_e32 v66, 0x3f317217, v63
	v_fma_f32 v67, v63, s47, -v66
	v_fmac_f32_e32 v67, 0x3377d1cf, v63
	v_add_f32_e32 v66, v66, v67
	v_cmp_lt_f32_e64 s[12:13], |v63|, s48
	v_cndmask_b32_e64 v63, v63, v66, s[12:13]
	v_sub_f32_e32 v63, v63, v65
	v_sub_f32_e64 v65, 1.0, |v57|
	v_add_f32_e64 v66, |v57|, s51
	v_cmp_lt_f32_e64 s[12:13], |v57|, s50
	v_cndmask_b32_e64 v65, v65, v66, s[12:13]
	v_cndmask_b32_e64 v66, 0, 1, s[12:13]
	v_cmp_lt_f32_e64 s[12:13], |v57|, s52
	v_xor_b32_e32 v63, 0x80000000, v63
	v_cndmask_b32_e64 v65, v65, |v57|, s[12:13]
	v_cndmask_b32_e64 v66, v66, 2, s[12:13]
.LBB13_102:                             ;   in Loop: Header=BB13_4 Depth=1
	s_andn2_saveexec_b64 s[18:19], s[18:19]
	s_cbranch_execz .LBB13_104
; %bb.103:                              ;   in Loop: Header=BB13_4 Depth=1
	v_sub_f32_e64 v63, 2.0, |v57|
	v_add_f32_e64 v65, |v57|, s54
	v_cmp_lt_f32_e64 s[12:13], |v57|, s53
	v_cndmask_b32_e64 v65, v63, v65, s[12:13]
	v_cndmask_b32_e64 v63, v63, 1.0, s[12:13]
	v_cvt_i32_f32_e32 v63, v63
	v_add_f32_e64 v66, |v57|, -1.0
	v_cmp_lt_f32_e64 s[12:13], |v57|, s55
	v_cndmask_b32_e64 v65, v65, v66, s[12:13]
	v_cndmask_b32_e64 v66, v63, 2, s[12:13]
	v_mov_b32_e32 v63, 0
.LBB13_104:                             ;   in Loop: Header=BB13_4 Depth=1
	s_or_b64 exec, exec, s[18:19]
	v_cmp_lt_i32_e64 s[12:13], 0, v66
	s_and_saveexec_b64 s[18:19], s[12:13]
	s_xor_b64 s[18:19], exec, s[18:19]
	s_cbranch_execz .LBB13_112
; %bb.105:                              ;   in Loop: Header=BB13_4 Depth=1
	v_cmp_lt_i32_e64 s[12:13], 1, v66
	s_and_saveexec_b64 s[34:35], s[12:13]
	s_xor_b64 s[34:35], exec, s[34:35]
	s_cbranch_execz .LBB13_109
; %bb.106:                              ;   in Loop: Header=BB13_4 Depth=1
	v_cmp_eq_u32_e64 s[12:13], 2, v66
	s_and_saveexec_b64 s[36:37], s[12:13]
	s_cbranch_execz .LBB13_108
; %bb.107:                              ;   in Loop: Header=BB13_4 Depth=1
	v_mov_b32_e32 v67, 0x3dd572af
	v_fmac_f32_e32 v67, 0x3b52d5db, v65
	v_fma_f32 v67, v65, v67, v28
	v_mov_b32_e32 v66, 0x3e6a7578
	v_fma_f32 v67, v65, v67, v29
	v_fmac_f32_e32 v66, 0x3c5b3c5e, v65
	v_fma_f32 v67, v65, v67, v30
	v_fma_f32 v66, v65, v66, v25
	v_fma_f32 v67, v65, v67, 1.0
	v_fma_f32 v66, v65, v66, v26
	v_rcp_f32_e32 v67, v67
	v_fma_f32 v66, v65, v66, v27
	v_fma_f32 v66, v65, v66, v20
	v_mul_f32_e32 v66, v65, v66
	v_mul_f32_e32 v66, v66, v67
	v_fmac_f32_e32 v66, -0.5, v65
	v_add_f32_e32 v63, v63, v66
.LBB13_108:                             ;   in Loop: Header=BB13_4 Depth=1
	s_or_b64 exec, exec, s[36:37]
                                        ; implicit-def: $vgpr65
.LBB13_109:                             ;   in Loop: Header=BB13_4 Depth=1
	s_andn2_saveexec_b64 s[12:13], s[34:35]
	s_cbranch_execz .LBB13_111
; %bb.110:                              ;   in Loop: Header=BB13_4 Depth=1
	v_mul_f32_e32 v66, v65, v65
	v_mul_f32_e32 v67, v65, v66
	v_mov_b32_e32 v69, 0x3a66f867
	v_mov_b32_e32 v70, 0xba0d3085
	v_fmac_f32_e32 v69, 0xb9a3f927, v67
	v_fmac_f32_e32 v70, 0x39afe9f7, v67
	v_mov_b32_e32 v68, 0xbab7f476
	v_fma_f32 v69, v67, v69, v34
	v_fma_f32 v70, v67, v70, v37
	v_fmac_f32_e32 v68, 0x39a57b6b, v67
	v_fma_f32 v69, v67, v69, v35
	v_fma_f32 v70, v67, v70, v38
	;; [unrolled: 1-line block ×6, first 2 shown]
	v_fmac_f32_e32 v69, v65, v70
	v_fma_f32 v68, v67, v68, v33
	v_fma_f32 v65, v67, -v69, s56
	v_fma_f32 v65, v66, v68, -v65
	v_add_f32_e32 v65, 0xbdf8cdce, v65
	v_add_f32_e32 v63, v63, v65
.LBB13_111:                             ;   in Loop: Header=BB13_4 Depth=1
	s_or_b64 exec, exec, s[12:13]
                                        ; implicit-def: $vgpr66
                                        ; implicit-def: $vgpr65
.LBB13_112:                             ;   in Loop: Header=BB13_4 Depth=1
	s_andn2_saveexec_b64 s[18:19], s[18:19]
	s_cbranch_execz .LBB13_116
; %bb.113:                              ;   in Loop: Header=BB13_4 Depth=1
	v_cmp_eq_u32_e64 s[12:13], 0, v66
	s_and_saveexec_b64 s[34:35], s[12:13]
	s_cbranch_execz .LBB13_115
; %bb.114:                              ;   in Loop: Header=BB13_4 Depth=1
	v_mul_f32_e32 v66, v65, v65
	v_mov_b32_e32 v68, 0x38e28445
	v_mov_b32_e32 v67, 0x39679767
	v_fmac_f32_e32 v68, 0x383c2c75, v66
	v_fmac_f32_e32 v67, 0x37d383a2, v66
	v_fma_f32 v68, v66, v68, v44
	v_fma_f32 v67, v66, v67, v40
	;; [unrolled: 1-line block ×8, first 2 shown]
	v_mul_f32_e32 v66, v66, v68
	v_fmac_f32_e32 v66, v65, v67
	v_fmac_f32_e32 v66, -0.5, v65
	v_add_f32_e32 v63, v63, v66
.LBB13_115:                             ;   in Loop: Header=BB13_4 Depth=1
	s_or_b64 exec, exec, s[34:35]
.LBB13_116:                             ;   in Loop: Header=BB13_4 Depth=1
	s_or_b64 exec, exec, s[18:19]
.LBB13_117:                             ;   in Loop: Header=BB13_4 Depth=1
	s_or_b64 exec, exec, s[14:15]
.LBB13_118:                             ;   in Loop: Header=BB13_4 Depth=1
	s_andn2_saveexec_b64 s[16:17], s[16:17]
	s_cbranch_execz .LBB13_120
; %bb.119:                              ;   in Loop: Header=BB13_4 Depth=1
	v_cmp_lt_f32_e64 s[12:13], |v57|, s46
	v_cndmask_b32_e64 v63, 0, 32, s[12:13]
	v_ldexp_f32 v63, |v57|, v63
	v_log_f32_e32 v63, v63
	v_fma_f32 v65, |v57|, s57, v55
	v_fma_f32 v65, |v57|, v65, s58
	;; [unrolled: 1-line block ×3, first 2 shown]
	v_mul_f32_e32 v66, 0x3f317217, v63
	v_fma_f32 v67, v63, s47, -v66
	v_fmac_f32_e32 v67, 0x3377d1cf, v63
	v_add_f32_e32 v66, v66, v67
	v_cmp_lt_f32_e64 s[14:15], |v63|, s48
	v_cndmask_b32_e64 v63, v63, v66, s[14:15]
	v_cndmask_b32_e64 v66, 0, v54, s[12:13]
	v_sub_f32_e32 v63, v63, v66
	v_fma_f32 v63, |v57|, v65, -v63
.LBB13_120:                             ;   in Loop: Header=BB13_4 Depth=1
	s_or_b64 exec, exec, s[16:17]
	v_cmp_le_f32_e64 s[12:13], 0, v57
	v_cmp_nle_f32_e64 s[14:15], 0, v57
	s_and_saveexec_b64 s[16:17], s[14:15]
	s_xor_b64 s[18:19], exec, s[16:17]
	s_cbranch_execz .LBB13_124
; %bb.121:                              ;   in Loop: Header=BB13_4 Depth=1
	v_cmp_lt_f32_e64 s[14:15], |v57|, s60
	v_cmp_gt_f32_e64 s[16:17], |v57|, s61
	s_and_b64 s[14:15], s[14:15], s[16:17]
	s_and_saveexec_b64 s[34:35], s[14:15]
	s_cbranch_execz .LBB13_123
; %bb.122:                              ;   in Loop: Header=BB13_4 Depth=1
	v_mul_f32_e64 v65, |v57|, 0.5
	v_floor_f32_e32 v66, v65
	v_sub_f32_e32 v66, v65, v66
	v_min_f32_e32 v66, 0x3f7fffff, v66
	v_add_f32_e32 v66, v66, v66
	v_cmp_neq_f32_e64 s[14:15], s48, v65
	v_cndmask_b32_e64 v65, 0, v66, s[14:15]
	v_cmp_gt_f32_e64 s[14:15], |v57|, 1.0
	v_cndmask_b32_e64 v65, |v57|, v65, s[14:15]
	v_add_f32_e32 v66, v65, v65
	v_rndne_f32_e32 v66, v66
	v_fmac_f32_e32 v65, -0.5, v66
	v_mul_f32_e32 v67, v65, v65
	v_mov_b32_e32 v68, 0xbf1f24be
	v_fmac_f32_e32 v68, 0x3e75aa41, v67
	v_fma_f32 v68, v67, v68, v48
	v_fma_f32 v68, v67, v68, v49
	v_mul_f32_e32 v69, v65, v67
	v_mul_f32_e32 v68, v69, v68
	v_fmac_f32_e32 v68, 0x40490fdb, v65
	v_mov_b32_e32 v65, 0x3e642e9d
	v_cvt_i32_f32_e32 v66, v66
	v_fmac_f32_e32 v65, 0x3d4be544, v67
	v_fma_f32 v65, v67, v65, v50
	v_fma_f32 v65, v67, v65, v51
	;; [unrolled: 1-line block ×3, first 2 shown]
	v_fma_f32 v65, v67, v65, 1.0
	v_and_b32_e32 v67, 1, v66
	v_lshlrev_b32_e32 v66, 30, v66
	v_cmp_eq_u32_e64 s[14:15], 0, v67
	v_and_b32_e32 v66, 0x80000000, v66
	v_xor_b32_e32 v64, v64, v57
	v_cndmask_b32_e64 v65, v65, v68, s[14:15]
	v_xor_b32_e32 v64, v64, v66
	v_xor_b32_e32 v64, v64, v65
	v_mul_f32_e32 v64, v57, v64
	v_frexp_mant_f32_e64 v65, |v64|
	v_rcp_f32_e32 v65, v65
	v_frexp_exp_i32_f32_e32 v64, v64
	v_sub_u32_e32 v64, 2, v64
	v_mul_f32_e32 v65, 0x3f490fdb, v65
	v_ldexp_f32 v64, v65, v64
	v_cmp_gt_f32_e64 s[14:15], s46, v64
	v_cndmask_b32_e64 v65, 0, 32, s[14:15]
	v_ldexp_f32 v64, v64, v65
	v_log_f32_e32 v64, v64
	v_mul_f32_e32 v65, 0x3f317217, v64
	v_fma_f32 v66, v64, s47, -v65
	v_fmac_f32_e32 v66, 0x3377d1cf, v64
	v_add_f32_e32 v65, v65, v66
	v_cmp_lt_f32_e64 s[16:17], |v64|, s48
	v_cndmask_b32_e64 v64, v64, v65, s[16:17]
	v_cndmask_b32_e64 v65, 0, v54, s[14:15]
	v_sub_f32_e32 v64, v64, v65
	v_sub_f32_e32 v63, v64, v63
	v_floor_f32_e32 v64, v57
	v_sub_f32_e32 v64, v57, v64
	v_min_f32_e32 v64, 0x3f7fffff, v64
	v_cmp_neq_f32_e64 s[14:15], 0, v64
	v_cndmask_b32_e64 v63, v56, v63, s[14:15]
.LBB13_123:                             ;   in Loop: Header=BB13_4 Depth=1
	s_or_b64 exec, exec, s[34:35]
.LBB13_124:                             ;   in Loop: Header=BB13_4 Depth=1
	s_andn2_saveexec_b64 s[18:19], s[18:19]
; %bb.125:                              ;   in Loop: Header=BB13_4 Depth=1
	v_cmp_eq_f32_e64 s[14:15], 1.0, v57
	v_cmp_eq_f32_e64 s[16:17], 2.0, v57
	s_or_b64 s[14:15], s[14:15], s[16:17]
	v_cndmask_b32_e64 v63, v63, 0, s[14:15]
; %bb.126:                              ;   in Loop: Header=BB13_4 Depth=1
	s_or_b64 exec, exec, s[18:19]
	v_and_b32_e32 v64, 0x7fffffff, v60
	v_cmp_nlt_f32_e64 s[14:15], |v60|, s43
                                        ; implicit-def: $vgpr65
	s_and_saveexec_b64 s[16:17], s[14:15]
	s_xor_b64 s[18:19], exec, s[16:17]
	s_cbranch_execz .LBB13_156
; %bb.127:                              ;   in Loop: Header=BB13_4 Depth=1
	v_cmp_nlt_f32_e64 s[14:15], |v60|, 2.0
                                        ; implicit-def: $vgpr65
	s_and_saveexec_b64 s[16:17], s[14:15]
	s_xor_b64 s[34:35], exec, s[16:17]
	s_cbranch_execz .LBB13_137
; %bb.128:                              ;   in Loop: Header=BB13_4 Depth=1
	v_cmp_nlt_f32_e64 s[14:15], |v60|, s44
                                        ; implicit-def: $vgpr65
	s_and_saveexec_b64 s[16:17], s[14:15]
	s_xor_b64 s[36:37], exec, s[16:17]
	s_cbranch_execz .LBB13_134
; %bb.129:                              ;   in Loop: Header=BB13_4 Depth=1
	v_cmp_nlt_f32_e64 s[14:15], |v60|, s45
                                        ; implicit-def: $vgpr65
	s_and_saveexec_b64 s[16:17], s[14:15]
	s_xor_b64 s[38:39], exec, s[16:17]
	s_cbranch_execz .LBB13_131
; %bb.130:                              ;   in Loop: Header=BB13_4 Depth=1
	v_cmp_lt_f32_e64 s[14:15], |v60|, s46
	v_cndmask_b32_e64 v65, 0, 32, s[14:15]
	v_ldexp_f32 v65, |v60|, v65
	v_log_f32_e32 v65, v65
	v_mul_f32_e32 v66, 0x3f317217, v65
	v_fma_f32 v67, v65, s47, -v66
	v_fmac_f32_e32 v67, 0x3377d1cf, v65
	v_add_f32_e32 v66, v66, v67
	v_cmp_lt_f32_e64 s[16:17], |v65|, s48
	v_cndmask_b32_e64 v65, v65, v66, s[16:17]
	v_cndmask_b32_e64 v66, 0, v54, s[14:15]
	v_sub_f32_e32 v65, v65, v66
	v_fma_f32 v65, |v60|, v65, -|v60|
.LBB13_131:                             ;   in Loop: Header=BB13_4 Depth=1
	s_andn2_saveexec_b64 s[38:39], s[38:39]
	s_cbranch_execz .LBB13_133
; %bb.132:                              ;   in Loop: Header=BB13_4 Depth=1
	v_rcp_f32_e64 v65, |v60|
	v_cmp_lt_f32_e64 s[14:15], |v60|, s46
	v_cndmask_b32_e64 v67, 0, 32, s[14:15]
	v_mov_b32_e32 v66, 0x3a5b3dd2
	v_mul_f32_e32 v68, v65, v65
	v_ldexp_f32 v67, |v60|, v67
	v_fmac_f32_e32 v66, 0xbad5c4e8, v68
	v_log_f32_e32 v67, v67
	v_fma_f32 v66, v68, v66, v11
	v_fma_f32 v66, v68, v66, v12
	;; [unrolled: 1-line block ×4, first 2 shown]
	v_mul_f32_e32 v68, 0x3f317217, v67
	v_fma_f32 v69, v67, s47, -v68
	v_fmac_f32_e32 v69, 0x3377d1cf, v67
	v_add_f32_e32 v68, v68, v69
	v_cmp_lt_f32_e64 s[16:17], |v67|, s48
	v_cndmask_b32_e64 v67, v67, v68, s[16:17]
	v_cndmask_b32_e64 v68, 0, v54, s[14:15]
	v_sub_f32_e32 v67, v67, v68
	v_fma_f32 v65, v65, v66, v15
	v_add_f32_e64 v66, |v60|, -0.5
	v_add_f32_e32 v67, -1.0, v67
	v_fmac_f32_e32 v65, v66, v67
.LBB13_133:                             ;   in Loop: Header=BB13_4 Depth=1
	s_or_b64 exec, exec, s[38:39]
.LBB13_134:                             ;   in Loop: Header=BB13_4 Depth=1
	s_andn2_saveexec_b64 s[36:37], s[36:37]
	s_cbranch_execz .LBB13_136
; %bb.135:                              ;   in Loop: Header=BB13_4 Depth=1
	v_cvt_i32_f32_e32 v65, v64
	v_mov_b32_e32 v68, 0x3a4beed6
	v_mov_b32_e32 v67, 0x3af135b4
	v_cvt_f32_i32_e32 v66, v65
	v_cmp_lt_i32_e64 s[14:15], 2, v65
	v_sub_f32_e64 v66, |v60|, v66
	v_add_f32_e32 v69, 2.0, v66
	v_add_f32_e32 v70, 0x40400000, v66
	v_cndmask_b32_e64 v69, 1.0, v69, s[14:15]
	v_cmp_lt_i32_e64 s[14:15], 3, v65
	v_add_f32_e32 v71, 4.0, v66
	v_cndmask_b32_e64 v70, 1.0, v70, s[14:15]
	v_cmp_lt_i32_e64 s[14:15], 4, v65
	v_fmac_f32_e32 v68, 0x36f5d7bd, v66
	v_add_f32_e32 v72, 0x40a00000, v66
	v_mul_f32_e32 v69, v69, v70
	v_cndmask_b32_e64 v70, 1.0, v71, s[14:15]
	v_cmp_lt_i32_e64 s[14:15], 5, v65
	v_fma_f32 v68, v66, v68, v21
	v_add_f32_e32 v73, 0x40c00000, v66
	v_mul_f32_e32 v69, v70, v69
	v_cndmask_b32_e64 v70, 1.0, v72, s[14:15]
	v_cmp_lt_i32_e64 s[14:15], 6, v65
	v_fma_f32 v68, v66, v68, v22
	v_mul_f32_e32 v69, v70, v69
	v_cndmask_b32_e64 v65, 1.0, v73, s[14:15]
	v_fmac_f32_e32 v67, 0x3805ff67, v66
	v_fma_f32 v68, v66, v68, v23
	v_mul_f32_e32 v65, v65, v69
	v_fma_f32 v67, v66, v67, v16
	v_fma_f32 v68, v66, v68, v24
	v_cmp_gt_f32_e64 s[14:15], s46, v65
	v_fma_f32 v67, v66, v67, v17
	v_fma_f32 v68, v66, v68, 1.0
	v_cndmask_b32_e64 v69, 0, 32, s[14:15]
	v_fma_f32 v67, v66, v67, v18
	v_rcp_f32_e32 v68, v68
	v_ldexp_f32 v65, v65, v69
	v_fma_f32 v67, v66, v67, v19
	v_log_f32_e32 v65, v65
	v_fma_f32 v67, v66, v67, v20
	v_mul_f32_e32 v67, v66, v67
	v_mul_f32_e32 v67, v67, v68
	v_fmac_f32_e32 v67, 0.5, v66
	v_mul_f32_e32 v66, 0x3f317217, v65
	v_fma_f32 v68, v65, s47, -v66
	v_fmac_f32_e32 v68, 0x3377d1cf, v65
	v_add_f32_e32 v66, v66, v68
	v_cmp_lt_f32_e64 s[16:17], |v65|, s48
	v_cndmask_b32_e64 v65, v65, v66, s[16:17]
	v_cndmask_b32_e64 v66, 0, v54, s[14:15]
	v_sub_f32_e32 v65, v65, v66
	v_add_f32_e32 v65, v65, v67
.LBB13_136:                             ;   in Loop: Header=BB13_4 Depth=1
	s_or_b64 exec, exec, s[36:37]
.LBB13_137:                             ;   in Loop: Header=BB13_4 Depth=1
	s_andn2_saveexec_b64 s[16:17], s[34:35]
	s_cbranch_execz .LBB13_155
; %bb.138:                              ;   in Loop: Header=BB13_4 Depth=1
	v_cmp_le_f32_e64 s[14:15], |v60|, s49
                                        ; implicit-def: $vgpr65
                                        ; implicit-def: $vgpr67
                                        ; implicit-def: $vgpr66
	s_and_saveexec_b64 s[34:35], s[14:15]
	s_xor_b64 s[34:35], exec, s[34:35]
	s_cbranch_execz .LBB13_140
; %bb.139:                              ;   in Loop: Header=BB13_4 Depth=1
	v_cmp_lt_f32_e64 s[14:15], |v60|, s46
	v_cndmask_b32_e64 v65, 0, 32, s[14:15]
	v_ldexp_f32 v65, |v60|, v65
	v_log_f32_e32 v65, v65
	v_cndmask_b32_e64 v66, 0, v54, s[14:15]
	v_mul_f32_e32 v67, 0x3f317217, v65
	v_fma_f32 v68, v65, s47, -v67
	v_fmac_f32_e32 v68, 0x3377d1cf, v65
	v_add_f32_e32 v67, v67, v68
	v_cmp_lt_f32_e64 s[14:15], |v65|, s48
	v_cndmask_b32_e64 v65, v65, v67, s[14:15]
	v_sub_f32_e32 v65, v65, v66
	v_sub_f32_e64 v66, 1.0, |v60|
	v_add_f32_e64 v67, |v60|, s51
	v_cmp_lt_f32_e64 s[14:15], |v60|, s50
	v_cndmask_b32_e64 v66, v66, v67, s[14:15]
	v_cndmask_b32_e64 v67, 0, 1, s[14:15]
	v_cmp_lt_f32_e64 s[14:15], |v60|, s52
	v_xor_b32_e32 v65, 0x80000000, v65
	v_cndmask_b32_e64 v66, v66, |v60|, s[14:15]
	v_cndmask_b32_e64 v67, v67, 2, s[14:15]
.LBB13_140:                             ;   in Loop: Header=BB13_4 Depth=1
	s_andn2_saveexec_b64 s[34:35], s[34:35]
	s_cbranch_execz .LBB13_142
; %bb.141:                              ;   in Loop: Header=BB13_4 Depth=1
	v_sub_f32_e64 v65, 2.0, |v60|
	v_add_f32_e64 v66, |v60|, s54
	v_cmp_lt_f32_e64 s[14:15], |v60|, s53
	v_cndmask_b32_e64 v66, v65, v66, s[14:15]
	v_cndmask_b32_e64 v65, v65, 1.0, s[14:15]
	v_cvt_i32_f32_e32 v65, v65
	v_add_f32_e64 v67, |v60|, -1.0
	v_cmp_lt_f32_e64 s[14:15], |v60|, s55
	v_cndmask_b32_e64 v66, v66, v67, s[14:15]
	v_cndmask_b32_e64 v67, v65, 2, s[14:15]
	v_mov_b32_e32 v65, 0
.LBB13_142:                             ;   in Loop: Header=BB13_4 Depth=1
	s_or_b64 exec, exec, s[34:35]
	v_cmp_lt_i32_e64 s[14:15], 0, v67
	s_and_saveexec_b64 s[34:35], s[14:15]
	s_xor_b64 s[34:35], exec, s[34:35]
	s_cbranch_execz .LBB13_150
; %bb.143:                              ;   in Loop: Header=BB13_4 Depth=1
	v_cmp_lt_i32_e64 s[14:15], 1, v67
	s_and_saveexec_b64 s[36:37], s[14:15]
	s_xor_b64 s[36:37], exec, s[36:37]
	s_cbranch_execz .LBB13_147
; %bb.144:                              ;   in Loop: Header=BB13_4 Depth=1
	v_cmp_eq_u32_e64 s[14:15], 2, v67
	s_and_saveexec_b64 s[38:39], s[14:15]
	s_cbranch_execz .LBB13_146
; %bb.145:                              ;   in Loop: Header=BB13_4 Depth=1
	v_mov_b32_e32 v68, 0x3dd572af
	v_fmac_f32_e32 v68, 0x3b52d5db, v66
	v_fma_f32 v68, v66, v68, v28
	v_mov_b32_e32 v67, 0x3e6a7578
	v_fma_f32 v68, v66, v68, v29
	v_fmac_f32_e32 v67, 0x3c5b3c5e, v66
	v_fma_f32 v68, v66, v68, v30
	v_fma_f32 v67, v66, v67, v25
	v_fma_f32 v68, v66, v68, 1.0
	v_fma_f32 v67, v66, v67, v26
	v_rcp_f32_e32 v68, v68
	v_fma_f32 v67, v66, v67, v27
	v_fma_f32 v67, v66, v67, v20
	v_mul_f32_e32 v67, v66, v67
	v_mul_f32_e32 v67, v67, v68
	v_fmac_f32_e32 v67, -0.5, v66
	v_add_f32_e32 v65, v65, v67
.LBB13_146:                             ;   in Loop: Header=BB13_4 Depth=1
	s_or_b64 exec, exec, s[38:39]
                                        ; implicit-def: $vgpr66
.LBB13_147:                             ;   in Loop: Header=BB13_4 Depth=1
	s_andn2_saveexec_b64 s[14:15], s[36:37]
	s_cbranch_execz .LBB13_149
; %bb.148:                              ;   in Loop: Header=BB13_4 Depth=1
	v_mul_f32_e32 v67, v66, v66
	v_mul_f32_e32 v68, v66, v67
	v_mov_b32_e32 v70, 0x3a66f867
	v_mov_b32_e32 v71, 0xba0d3085
	v_fmac_f32_e32 v70, 0xb9a3f927, v68
	v_fmac_f32_e32 v71, 0x39afe9f7, v68
	v_mov_b32_e32 v69, 0xbab7f476
	v_fma_f32 v70, v68, v70, v34
	v_fma_f32 v71, v68, v71, v37
	v_fmac_f32_e32 v69, 0x39a57b6b, v68
	v_fma_f32 v70, v68, v70, v35
	v_fma_f32 v71, v68, v71, v38
	;; [unrolled: 1-line block ×6, first 2 shown]
	v_fmac_f32_e32 v70, v66, v71
	v_fma_f32 v69, v68, v69, v33
	v_fma_f32 v66, v68, -v70, s56
	v_fma_f32 v66, v67, v69, -v66
	v_add_f32_e32 v66, 0xbdf8cdce, v66
	v_add_f32_e32 v65, v65, v66
.LBB13_149:                             ;   in Loop: Header=BB13_4 Depth=1
	s_or_b64 exec, exec, s[14:15]
                                        ; implicit-def: $vgpr67
                                        ; implicit-def: $vgpr66
.LBB13_150:                             ;   in Loop: Header=BB13_4 Depth=1
	s_andn2_saveexec_b64 s[34:35], s[34:35]
	s_cbranch_execz .LBB13_154
; %bb.151:                              ;   in Loop: Header=BB13_4 Depth=1
	v_cmp_eq_u32_e64 s[14:15], 0, v67
	s_and_saveexec_b64 s[36:37], s[14:15]
	s_cbranch_execz .LBB13_153
; %bb.152:                              ;   in Loop: Header=BB13_4 Depth=1
	v_mul_f32_e32 v67, v66, v66
	v_mov_b32_e32 v69, 0x38e28445
	v_mov_b32_e32 v68, 0x39679767
	v_fmac_f32_e32 v69, 0x383c2c75, v67
	v_fmac_f32_e32 v68, 0x37d383a2, v67
	v_fma_f32 v69, v67, v69, v44
	v_fma_f32 v68, v67, v68, v40
	;; [unrolled: 1-line block ×8, first 2 shown]
	v_mul_f32_e32 v67, v67, v69
	v_fmac_f32_e32 v67, v66, v68
	v_fmac_f32_e32 v67, -0.5, v66
	v_add_f32_e32 v65, v65, v67
.LBB13_153:                             ;   in Loop: Header=BB13_4 Depth=1
	s_or_b64 exec, exec, s[36:37]
.LBB13_154:                             ;   in Loop: Header=BB13_4 Depth=1
	s_or_b64 exec, exec, s[34:35]
.LBB13_155:                             ;   in Loop: Header=BB13_4 Depth=1
	s_or_b64 exec, exec, s[16:17]
.LBB13_156:                             ;   in Loop: Header=BB13_4 Depth=1
	s_andn2_saveexec_b64 s[18:19], s[18:19]
	s_cbranch_execz .LBB13_158
; %bb.157:                              ;   in Loop: Header=BB13_4 Depth=1
	v_cmp_lt_f32_e64 s[14:15], |v60|, s46
	v_cndmask_b32_e64 v65, 0, 32, s[14:15]
	v_ldexp_f32 v65, |v60|, v65
	v_log_f32_e32 v65, v65
	v_fma_f32 v66, |v60|, s57, v55
	v_fma_f32 v66, |v60|, v66, s58
	;; [unrolled: 1-line block ×3, first 2 shown]
	v_mul_f32_e32 v67, 0x3f317217, v65
	v_fma_f32 v68, v65, s47, -v67
	v_fmac_f32_e32 v68, 0x3377d1cf, v65
	v_add_f32_e32 v67, v67, v68
	v_cmp_lt_f32_e64 s[16:17], |v65|, s48
	v_cndmask_b32_e64 v65, v65, v67, s[16:17]
	v_cndmask_b32_e64 v67, 0, v54, s[14:15]
	v_sub_f32_e32 v65, v65, v67
	v_fma_f32 v65, |v60|, v66, -v65
.LBB13_158:                             ;   in Loop: Header=BB13_4 Depth=1
	s_or_b64 exec, exec, s[18:19]
	v_cmp_le_f32_e64 s[14:15], 0, v60
	v_cmp_nle_f32_e64 s[16:17], 0, v60
	s_and_saveexec_b64 s[18:19], s[16:17]
	s_xor_b64 s[34:35], exec, s[18:19]
	s_cbranch_execnz .LBB13_164
; %bb.159:                              ;   in Loop: Header=BB13_4 Depth=1
	s_andn2_saveexec_b64 s[34:35], s[34:35]
	s_cbranch_execnz .LBB13_167
.LBB13_160:                             ;   in Loop: Header=BB13_4 Depth=1
	s_or_b64 exec, exec, s[34:35]
	s_and_saveexec_b64 s[16:17], vcc
	s_xor_b64 s[16:17], exec, s[16:17]
	s_cbranch_execnz .LBB13_168
.LBB13_161:                             ;   in Loop: Header=BB13_4 Depth=1
	s_or_b64 exec, exec, s[16:17]
	s_and_saveexec_b64 s[8:9], s[0:1]
	s_cbranch_execnz .LBB13_169
.LBB13_162:                             ;   in Loop: Header=BB13_4 Depth=1
	s_or_b64 exec, exec, s[8:9]
	s_and_saveexec_b64 s[0:1], s[2:3]
	s_cbranch_execnz .LBB13_170
.LBB13_163:                             ;   in Loop: Header=BB13_4 Depth=1
	s_or_b64 exec, exec, s[0:1]
	s_and_saveexec_b64 s[0:1], s[6:7]
	s_cbranch_execz .LBB13_3
	s_branch .LBB13_171
.LBB13_164:                             ;   in Loop: Header=BB13_4 Depth=1
	v_cmp_lt_f32_e64 s[16:17], |v60|, s60
	v_cmp_gt_f32_e64 s[18:19], |v60|, s61
	s_and_b64 s[16:17], s[16:17], s[18:19]
	s_and_saveexec_b64 s[36:37], s[16:17]
	s_cbranch_execz .LBB13_166
; %bb.165:                              ;   in Loop: Header=BB13_4 Depth=1
	v_mul_f32_e64 v66, |v60|, 0.5
	v_floor_f32_e32 v67, v66
	v_sub_f32_e32 v67, v66, v67
	v_min_f32_e32 v67, 0x3f7fffff, v67
	v_add_f32_e32 v67, v67, v67
	v_cmp_neq_f32_e64 s[16:17], s48, v66
	v_cndmask_b32_e64 v66, 0, v67, s[16:17]
	v_cmp_gt_f32_e64 s[16:17], |v60|, 1.0
	v_cndmask_b32_e64 v66, |v60|, v66, s[16:17]
	v_add_f32_e32 v67, v66, v66
	v_rndne_f32_e32 v67, v67
	v_fmac_f32_e32 v66, -0.5, v67
	v_mul_f32_e32 v68, v66, v66
	v_mov_b32_e32 v69, 0xbf1f24be
	v_fmac_f32_e32 v69, 0x3e75aa41, v68
	v_fma_f32 v69, v68, v69, v48
	v_fma_f32 v69, v68, v69, v49
	v_mul_f32_e32 v70, v66, v68
	v_mul_f32_e32 v69, v70, v69
	v_fmac_f32_e32 v69, 0x40490fdb, v66
	v_mov_b32_e32 v66, 0x3e642e9d
	v_cvt_i32_f32_e32 v67, v67
	v_fmac_f32_e32 v66, 0x3d4be544, v68
	v_fma_f32 v66, v68, v66, v50
	v_fma_f32 v66, v68, v66, v51
	;; [unrolled: 1-line block ×3, first 2 shown]
	v_fma_f32 v66, v68, v66, 1.0
	v_and_b32_e32 v68, 1, v67
	v_lshlrev_b32_e32 v67, 30, v67
	v_cmp_eq_u32_e64 s[16:17], 0, v68
	v_and_b32_e32 v67, 0x80000000, v67
	v_xor_b32_e32 v64, v64, v60
	v_cndmask_b32_e64 v66, v66, v69, s[16:17]
	v_xor_b32_e32 v64, v64, v67
	v_xor_b32_e32 v64, v64, v66
	v_mul_f32_e32 v64, v60, v64
	v_frexp_mant_f32_e64 v66, |v64|
	v_rcp_f32_e32 v66, v66
	v_frexp_exp_i32_f32_e32 v64, v64
	v_sub_u32_e32 v64, 2, v64
	v_mul_f32_e32 v66, 0x3f490fdb, v66
	v_ldexp_f32 v64, v66, v64
	v_cmp_gt_f32_e64 s[16:17], s46, v64
	v_cndmask_b32_e64 v66, 0, 32, s[16:17]
	v_ldexp_f32 v64, v64, v66
	v_log_f32_e32 v64, v64
	v_mul_f32_e32 v66, 0x3f317217, v64
	v_fma_f32 v67, v64, s47, -v66
	v_fmac_f32_e32 v67, 0x3377d1cf, v64
	v_add_f32_e32 v66, v66, v67
	v_cmp_lt_f32_e64 s[18:19], |v64|, s48
	v_cndmask_b32_e64 v64, v64, v66, s[18:19]
	v_cndmask_b32_e64 v66, 0, v54, s[16:17]
	v_sub_f32_e32 v64, v64, v66
	v_sub_f32_e32 v64, v64, v65
	v_floor_f32_e32 v65, v60
	v_sub_f32_e32 v65, v60, v65
	v_min_f32_e32 v65, 0x3f7fffff, v65
	v_cmp_neq_f32_e64 s[16:17], 0, v65
	v_cndmask_b32_e64 v65, v56, v64, s[16:17]
.LBB13_166:                             ;   in Loop: Header=BB13_4 Depth=1
	s_or_b64 exec, exec, s[36:37]
	s_andn2_saveexec_b64 s[34:35], s[34:35]
	s_cbranch_execz .LBB13_160
.LBB13_167:                             ;   in Loop: Header=BB13_4 Depth=1
	v_cmp_eq_f32_e64 s[16:17], 1.0, v60
	v_cmp_eq_f32_e64 s[18:19], 2.0, v60
	s_or_b64 s[16:17], s[16:17], s[18:19]
	v_cndmask_b32_e64 v65, v65, 0, s[16:17]
	s_or_b64 exec, exec, s[34:35]
	s_and_saveexec_b64 s[16:17], vcc
	s_xor_b64 s[16:17], exec, s[16:17]
	s_cbranch_execz .LBB13_161
.LBB13_168:                             ;   in Loop: Header=BB13_4 Depth=1
	v_cmp_lt_f32_e64 s[18:19], |v58|, s60
	s_or_b64 vcc, s[8:9], s[18:19]
	v_cndmask_b32_e32 v61, v56, v61, vcc
	v_cmp_class_f32_e32 vcc, v58, v53
	v_cndmask_b32_e32 v61, v61, v56, vcc
	v_cmp_u_f32_e32 vcc, v58, v58
	v_cndmask_b32_e32 v58, v61, v58, vcc
	global_store_dword v[1:2], v58, off
	s_or_b64 exec, exec, s[16:17]
	s_and_saveexec_b64 s[8:9], s[0:1]
	s_cbranch_execz .LBB13_162
.LBB13_169:                             ;   in Loop: Header=BB13_4 Depth=1
	v_cmp_lt_f32_e64 s[0:1], |v59|, s60
	s_or_b64 vcc, s[10:11], s[0:1]
	v_cndmask_b32_e32 v58, v56, v62, vcc
	v_cmp_class_f32_e32 vcc, v59, v53
	v_cndmask_b32_e32 v58, v58, v56, vcc
	v_cmp_u_f32_e32 vcc, v59, v59
	v_cndmask_b32_e32 v58, v58, v59, vcc
	global_store_dword v[3:4], v58, off
	s_or_b64 exec, exec, s[8:9]
	s_and_saveexec_b64 s[0:1], s[2:3]
	s_cbranch_execz .LBB13_163
.LBB13_170:                             ;   in Loop: Header=BB13_4 Depth=1
	v_cmp_lt_f32_e64 s[2:3], |v57|, s60
	s_or_b64 vcc, s[12:13], s[2:3]
	v_cndmask_b32_e32 v58, v56, v63, vcc
	v_cmp_class_f32_e32 vcc, v57, v53
	v_cndmask_b32_e32 v58, v58, v56, vcc
	v_cmp_u_f32_e32 vcc, v57, v57
	v_cndmask_b32_e32 v59, v58, v57, vcc
	v_add_co_u32_e32 v57, vcc, s42, v1
	v_addc_co_u32_e32 v58, vcc, 0, v2, vcc
	global_store_dword v[57:58], v59, off
	s_or_b64 exec, exec, s[0:1]
	s_and_saveexec_b64 s[0:1], s[6:7]
	s_cbranch_execz .LBB13_3
.LBB13_171:                             ;   in Loop: Header=BB13_4 Depth=1
	v_cmp_lt_f32_e64 s[2:3], |v60|, s60
	s_or_b64 vcc, s[14:15], s[2:3]
	v_cndmask_b32_e32 v57, v56, v65, vcc
	v_cmp_class_f32_e32 vcc, v60, v53
	v_cndmask_b32_e32 v57, v57, v56, vcc
	v_cmp_u_f32_e32 vcc, v60, v60
	v_cndmask_b32_e32 v59, v57, v60, vcc
	v_add_co_u32_e32 v57, vcc, s41, v1
	v_addc_co_u32_e32 v58, vcc, 0, v2, vcc
	global_store_dword v[57:58], v59, off
	s_branch .LBB13_3
.LBB13_172:
	s_cbranch_execz .LBB13_174
	s_branch .LBB13_329
.LBB13_173:
.LBB13_174:
	v_mov_b32_e32 v1, 0x10000
	v_mov_b32_e32 v2, 0
	v_cmp_lt_i64_e32 vcc, s[24:25], v[1:2]
	v_mov_b32_e32 v2, 0
	s_and_b64 s[0:1], vcc, exec
	s_cselect_b32 s11, s25, 0
	s_cselect_b32 s10, s24, 0x10000
	v_lshlrev_b32_e32 v1, 2, v0
	v_cmp_gt_i64_e32 vcc, s[10:11], v[1:2]
	s_and_saveexec_b64 s[0:1], vcc
	s_cbranch_execz .LBB13_329
; %bb.175:
	s_load_dword s0, s[4:5], 0xd3c
	v_mov_b32_e32 v1, v2
	v_lshlrev_b32_e32 v2, 4, v0
	s_mov_b64 s[12:13], 0
	s_mov_b32 s25, 0x800000
	s_waitcnt lgkmcnt(0)
	s_and_b32 s24, s0, 0xffff
	s_add_u32 s0, s20, s22
	s_addc_u32 s1, s21, s23
	v_mov_b32_e32 v3, s1
	v_add_co_u32_e32 v2, vcc, s0, v2
	v_addc_co_u32_e32 v3, vcc, 0, v3, vcc
	v_add_co_u32_e32 v6, vcc, 8, v2
	v_addc_co_u32_e32 v7, vcc, 0, v3, vcc
	s_lshl_b32 s20, s24, 4
	s_mov_b32 s21, 0x3c800000
	s_mov_b32 s22, 0x41000000
	;; [unrolled: 1-line block ×5, first 2 shown]
	v_mov_b32_e32 v8, 0xba1c065c
	v_mov_b32_e32 v9, 0x3a500cfd
	;; [unrolled: 1-line block ×14, first 2 shown]
	s_mov_b32 s28, 0x3f666666
	s_mov_b32 s29, 0x3f3b4a23
	;; [unrolled: 1-line block ×7, first 2 shown]
	v_mov_b32_e32 v22, 0x3f7a4bb2
	v_mov_b32_e32 v23, 0x3fba3ae7
	;; [unrolled: 1-line block ×15, first 2 shown]
	s_mov_b32 s36, 0xa2863e55
	v_mov_b32_e32 v37, 0x3a9c54a1
	v_mov_b32_e32 v38, 0x3bf2027e
	;; [unrolled: 1-line block ×8, first 2 shown]
	s_mov_b32 s37, 0x3e8a8991
	s_mov_b32 s38, 0x3f528d33
	;; [unrolled: 1-line block ×5, first 2 shown]
	v_mov_b32_e32 v45, 0x40234736
	v_mov_b32_e32 v46, 0xc0a55e0e
	;; [unrolled: 1-line block ×9, first 2 shown]
	s_branch .LBB13_177
.LBB13_176:                             ;   in Loop: Header=BB13_177 Depth=1
	s_or_b64 exec, exec, s[14:15]
	v_cmp_lt_f32_e64 s[6:7], |v4|, s40
	s_or_b64 s[2:3], s[2:3], s[6:7]
	v_cndmask_b32_e64 v56, v53, v56, s[2:3]
	v_cmp_class_f32_e64 s[2:3], v4, v50
	v_cndmask_b32_e64 v56, v56, v53, s[2:3]
	v_cmp_u_f32_e64 s[2:3], v4, v4
	v_cndmask_b32_e64 v4, v56, v4, s[2:3]
	v_cmp_lt_f32_e64 s[2:3], |v3|, s40
	s_or_b64 s[0:1], s[0:1], s[2:3]
	v_cndmask_b32_e64 v55, v53, v55, s[0:1]
	v_cmp_class_f32_e64 s[0:1], v3, v50
	v_cndmask_b32_e64 v55, v55, v53, s[0:1]
	v_cmp_u_f32_e64 s[0:1], v3, v3
	v_cndmask_b32_e64 v3, v55, v3, s[0:1]
	v_cmp_lt_f32_e64 s[0:1], |v2|, s40
	s_or_b64 vcc, vcc, s[0:1]
	v_cndmask_b32_e32 v54, v53, v54, vcc
	v_cmp_class_f32_e32 vcc, v2, v50
	v_cndmask_b32_e32 v54, v54, v53, vcc
	v_cmp_u_f32_e32 vcc, v2, v2
	v_cmp_lt_f32_e64 s[0:1], |v5|, s40
	v_cndmask_b32_e32 v2, v54, v2, vcc
	s_or_b64 vcc, s[4:5], s[0:1]
	v_cndmask_b32_e32 v54, v53, v58, vcc
	v_cmp_class_f32_e32 vcc, v5, v50
	v_cndmask_b32_e32 v56, v54, v53, vcc
	v_add_co_u32_e32 v0, vcc, s24, v0
	v_addc_co_u32_e32 v1, vcc, 0, v1, vcc
	v_lshlrev_b64 v[54:55], 2, v[0:1]
	v_cmp_u_f32_e32 vcc, v5, v5
	v_cndmask_b32_e32 v5, v56, v5, vcc
	v_cmp_le_i64_e32 vcc, s[10:11], v[54:55]
	global_store_dwordx4 v[6:7], v[2:5], off offset:-8
	s_or_b64 s[12:13], vcc, s[12:13]
	v_add_co_u32_e32 v6, vcc, s20, v6
	v_addc_co_u32_e32 v7, vcc, 0, v7, vcc
	s_andn2_b64 exec, exec, s[12:13]
	s_cbranch_execz .LBB13_329
.LBB13_177:                             ; =>This Inner Loop Header: Depth=1
	global_load_dwordx4 v[2:5], v[6:7], off offset:-8
                                        ; implicit-def: $vgpr54
	s_waitcnt vmcnt(0)
	v_and_b32_e32 v55, 0x7fffffff, v2
	v_cmp_nlt_f32_e64 s[0:1], |v2|, s21
	s_and_saveexec_b64 s[2:3], s[0:1]
	s_xor_b64 s[2:3], exec, s[2:3]
	s_cbranch_execz .LBB13_207
; %bb.178:                              ;   in Loop: Header=BB13_177 Depth=1
	v_cmp_nlt_f32_e64 s[0:1], |v2|, 2.0
                                        ; implicit-def: $vgpr54
	s_and_saveexec_b64 s[4:5], s[0:1]
	s_xor_b64 s[4:5], exec, s[4:5]
	s_cbranch_execz .LBB13_188
; %bb.179:                              ;   in Loop: Header=BB13_177 Depth=1
	v_cmp_nlt_f32_e64 s[0:1], |v2|, s22
                                        ; implicit-def: $vgpr54
	s_and_saveexec_b64 s[6:7], s[0:1]
	s_xor_b64 s[6:7], exec, s[6:7]
	s_cbranch_execz .LBB13_185
; %bb.180:                              ;   in Loop: Header=BB13_177 Depth=1
	v_cmp_nlt_f32_e64 s[0:1], |v2|, s23
                                        ; implicit-def: $vgpr54
	s_and_saveexec_b64 s[8:9], s[0:1]
	s_xor_b64 s[8:9], exec, s[8:9]
	s_cbranch_execz .LBB13_182
; %bb.181:                              ;   in Loop: Header=BB13_177 Depth=1
	v_cmp_lt_f32_e64 vcc, |v2|, s25
	v_cndmask_b32_e64 v54, 0, 32, vcc
	v_ldexp_f32 v54, |v2|, v54
	v_log_f32_e32 v54, v54
	v_mul_f32_e32 v56, 0x3f317217, v54
	v_fma_f32 v57, v54, s26, -v56
	v_fmac_f32_e32 v57, 0x3377d1cf, v54
	v_add_f32_e32 v56, v56, v57
	v_cmp_lt_f32_e64 s[0:1], |v54|, s27
	v_cndmask_b32_e64 v54, v54, v56, s[0:1]
	v_cndmask_b32_e32 v56, 0, v51, vcc
	v_sub_f32_e32 v54, v54, v56
	v_fma_f32 v54, |v2|, v54, -|v2|
.LBB13_182:                             ;   in Loop: Header=BB13_177 Depth=1
	s_andn2_saveexec_b64 s[8:9], s[8:9]
	s_cbranch_execz .LBB13_184
; %bb.183:                              ;   in Loop: Header=BB13_177 Depth=1
	v_rcp_f32_e64 v54, |v2|
	v_cmp_lt_f32_e64 vcc, |v2|, s25
	v_cndmask_b32_e64 v57, 0, 32, vcc
	v_mov_b32_e32 v56, 0x3a5b3dd2
	v_mul_f32_e32 v58, v54, v54
	v_ldexp_f32 v57, |v2|, v57
	v_fmac_f32_e32 v56, 0xbad5c4e8, v58
	v_log_f32_e32 v57, v57
	v_fma_f32 v56, v58, v56, v8
	v_fma_f32 v56, v58, v56, v9
	;; [unrolled: 1-line block ×4, first 2 shown]
	v_mul_f32_e32 v58, 0x3f317217, v57
	v_fma_f32 v59, v57, s26, -v58
	v_fmac_f32_e32 v59, 0x3377d1cf, v57
	v_add_f32_e32 v58, v58, v59
	v_cmp_lt_f32_e64 s[0:1], |v57|, s27
	v_cndmask_b32_e64 v57, v57, v58, s[0:1]
	v_cndmask_b32_e32 v58, 0, v51, vcc
	v_sub_f32_e32 v57, v57, v58
	v_fma_f32 v54, v54, v56, v12
	v_add_f32_e64 v56, |v2|, -0.5
	v_add_f32_e32 v57, -1.0, v57
	v_fmac_f32_e32 v54, v56, v57
.LBB13_184:                             ;   in Loop: Header=BB13_177 Depth=1
	s_or_b64 exec, exec, s[8:9]
.LBB13_185:                             ;   in Loop: Header=BB13_177 Depth=1
	s_andn2_saveexec_b64 s[6:7], s[6:7]
	s_cbranch_execz .LBB13_187
; %bb.186:                              ;   in Loop: Header=BB13_177 Depth=1
	v_cvt_i32_f32_e32 v54, v55
	v_mov_b32_e32 v58, 0x3a4beed6
	v_mov_b32_e32 v57, 0x3af135b4
	v_cvt_f32_i32_e32 v56, v54
	v_cmp_lt_i32_e32 vcc, 2, v54
	v_sub_f32_e64 v56, |v2|, v56
	v_fmac_f32_e32 v58, 0x36f5d7bd, v56
	v_fma_f32 v58, v56, v58, v18
	v_fma_f32 v58, v56, v58, v19
	v_fmac_f32_e32 v57, 0x3805ff67, v56
	v_fma_f32 v58, v56, v58, v20
	v_fma_f32 v57, v56, v57, v13
	;; [unrolled: 1-line block ×4, first 2 shown]
	v_fma_f32 v58, v56, v58, 1.0
	v_fma_f32 v57, v56, v57, v15
	v_rcp_f32_e32 v58, v58
	v_fma_f32 v57, v56, v57, v16
	v_fma_f32 v57, v56, v57, v17
	v_mul_f32_e32 v57, v56, v57
	v_mul_f32_e32 v57, v57, v58
	v_add_f32_e32 v58, 2.0, v56
	v_add_f32_e32 v59, 0x40400000, v56
	v_cndmask_b32_e32 v58, 1.0, v58, vcc
	v_cmp_lt_i32_e32 vcc, 3, v54
	v_add_f32_e32 v60, 4.0, v56
	v_cndmask_b32_e32 v59, 1.0, v59, vcc
	v_cmp_lt_i32_e32 vcc, 4, v54
	v_add_f32_e32 v61, 0x40a00000, v56
	v_mul_f32_e32 v58, v58, v59
	v_cndmask_b32_e32 v59, 1.0, v60, vcc
	v_cmp_lt_i32_e32 vcc, 5, v54
	v_fmac_f32_e32 v57, 0.5, v56
	v_add_f32_e32 v56, 0x40c00000, v56
	v_mul_f32_e32 v58, v59, v58
	v_cndmask_b32_e32 v59, 1.0, v61, vcc
	v_cmp_lt_i32_e32 vcc, 6, v54
	v_mul_f32_e32 v58, v59, v58
	v_cndmask_b32_e32 v54, 1.0, v56, vcc
	v_mul_f32_e32 v54, v54, v58
	v_cmp_gt_f32_e32 vcc, s25, v54
	v_cndmask_b32_e64 v56, 0, 32, vcc
	v_ldexp_f32 v54, v54, v56
	v_log_f32_e32 v54, v54
	v_mul_f32_e32 v56, 0x3f317217, v54
	v_fma_f32 v58, v54, s26, -v56
	v_fmac_f32_e32 v58, 0x3377d1cf, v54
	v_add_f32_e32 v56, v56, v58
	v_cmp_lt_f32_e64 s[0:1], |v54|, s27
	v_cndmask_b32_e64 v54, v54, v56, s[0:1]
	v_cndmask_b32_e32 v56, 0, v51, vcc
	v_sub_f32_e32 v54, v54, v56
	v_add_f32_e32 v54, v54, v57
.LBB13_187:                             ;   in Loop: Header=BB13_177 Depth=1
	s_or_b64 exec, exec, s[6:7]
.LBB13_188:                             ;   in Loop: Header=BB13_177 Depth=1
	s_andn2_saveexec_b64 s[0:1], s[4:5]
	s_cbranch_execz .LBB13_206
; %bb.189:                              ;   in Loop: Header=BB13_177 Depth=1
	v_cmp_le_f32_e64 s[4:5], |v2|, s28
                                        ; implicit-def: $vgpr54
                                        ; implicit-def: $vgpr57
                                        ; implicit-def: $vgpr56
	s_and_saveexec_b64 s[6:7], s[4:5]
	s_xor_b64 s[4:5], exec, s[6:7]
	s_cbranch_execz .LBB13_191
; %bb.190:                              ;   in Loop: Header=BB13_177 Depth=1
	v_cmp_lt_f32_e64 vcc, |v2|, s25
	v_cndmask_b32_e64 v54, 0, 32, vcc
	v_ldexp_f32 v54, |v2|, v54
	v_log_f32_e32 v54, v54
	v_cndmask_b32_e32 v56, 0, v51, vcc
	v_cmp_lt_f32_e64 s[6:7], |v2|, s31
	v_mul_f32_e32 v57, 0x3f317217, v54
	v_fma_f32 v58, v54, s26, -v57
	v_fmac_f32_e32 v58, 0x3377d1cf, v54
	v_add_f32_e32 v57, v57, v58
	v_cmp_lt_f32_e64 vcc, |v54|, s27
	v_cndmask_b32_e32 v54, v54, v57, vcc
	v_sub_f32_e32 v54, v54, v56
	v_sub_f32_e64 v56, 1.0, |v2|
	v_add_f32_e64 v57, |v2|, s30
	v_cmp_lt_f32_e64 vcc, |v2|, s29
	v_cndmask_b32_e32 v56, v56, v57, vcc
	v_cndmask_b32_e64 v57, 0, 1, vcc
	v_xor_b32_e32 v54, 0x80000000, v54
	v_cndmask_b32_e64 v56, v56, |v2|, s[6:7]
	v_cndmask_b32_e64 v57, v57, 2, s[6:7]
.LBB13_191:                             ;   in Loop: Header=BB13_177 Depth=1
	s_andn2_saveexec_b64 s[4:5], s[4:5]
	s_cbranch_execz .LBB13_193
; %bb.192:                              ;   in Loop: Header=BB13_177 Depth=1
	v_sub_f32_e64 v54, 2.0, |v2|
	v_add_f32_e64 v56, |v2|, s34
	v_cmp_lt_f32_e64 vcc, |v2|, s33
	v_cndmask_b32_e32 v56, v54, v56, vcc
	v_cndmask_b32_e64 v54, v54, 1.0, vcc
	v_cvt_i32_f32_e32 v54, v54
	v_add_f32_e64 v57, |v2|, -1.0
	v_cmp_lt_f32_e64 vcc, |v2|, s35
	v_cndmask_b32_e32 v56, v56, v57, vcc
	v_cndmask_b32_e64 v57, v54, 2, vcc
	v_mov_b32_e32 v54, 0
.LBB13_193:                             ;   in Loop: Header=BB13_177 Depth=1
	s_or_b64 exec, exec, s[4:5]
	v_cmp_lt_i32_e32 vcc, 0, v57
	s_and_saveexec_b64 s[4:5], vcc
	s_xor_b64 s[4:5], exec, s[4:5]
	s_cbranch_execz .LBB13_201
; %bb.194:                              ;   in Loop: Header=BB13_177 Depth=1
	v_cmp_lt_i32_e32 vcc, 1, v57
	s_and_saveexec_b64 s[6:7], vcc
	s_xor_b64 s[6:7], exec, s[6:7]
	s_cbranch_execz .LBB13_198
; %bb.195:                              ;   in Loop: Header=BB13_177 Depth=1
	v_cmp_eq_u32_e32 vcc, 2, v57
	s_and_saveexec_b64 s[8:9], vcc
	s_cbranch_execz .LBB13_197
; %bb.196:                              ;   in Loop: Header=BB13_177 Depth=1
	v_mov_b32_e32 v58, 0x3dd572af
	v_fmac_f32_e32 v58, 0x3b52d5db, v56
	v_fma_f32 v58, v56, v58, v25
	v_mov_b32_e32 v57, 0x3e6a7578
	v_fma_f32 v58, v56, v58, v26
	v_fmac_f32_e32 v57, 0x3c5b3c5e, v56
	v_fma_f32 v58, v56, v58, v27
	v_fma_f32 v57, v56, v57, v22
	v_fma_f32 v58, v56, v58, 1.0
	v_fma_f32 v57, v56, v57, v23
	v_rcp_f32_e32 v58, v58
	v_fma_f32 v57, v56, v57, v24
	v_fma_f32 v57, v56, v57, v17
	v_mul_f32_e32 v57, v56, v57
	v_mul_f32_e32 v57, v57, v58
	v_fmac_f32_e32 v57, -0.5, v56
	v_add_f32_e32 v54, v54, v57
.LBB13_197:                             ;   in Loop: Header=BB13_177 Depth=1
	s_or_b64 exec, exec, s[8:9]
                                        ; implicit-def: $vgpr56
.LBB13_198:                             ;   in Loop: Header=BB13_177 Depth=1
	s_andn2_saveexec_b64 s[6:7], s[6:7]
	s_cbranch_execz .LBB13_200
; %bb.199:                              ;   in Loop: Header=BB13_177 Depth=1
	v_mul_f32_e32 v57, v56, v56
	v_mul_f32_e32 v58, v56, v57
	v_mov_b32_e32 v60, 0x3a66f867
	v_mov_b32_e32 v61, 0xba0d3085
	v_fmac_f32_e32 v60, 0xb9a3f927, v58
	v_fmac_f32_e32 v61, 0x39afe9f7, v58
	v_mov_b32_e32 v59, 0xbab7f476
	v_fma_f32 v60, v58, v60, v31
	v_fma_f32 v61, v58, v61, v34
	v_fmac_f32_e32 v59, 0x39a57b6b, v58
	v_fma_f32 v60, v58, v60, v32
	v_fma_f32 v61, v58, v61, v35
	;; [unrolled: 1-line block ×6, first 2 shown]
	v_fmac_f32_e32 v60, v56, v61
	v_fma_f32 v59, v58, v59, v30
	v_fma_f32 v56, v58, -v60, s36
	v_fma_f32 v56, v57, v59, -v56
	v_add_f32_e32 v56, 0xbdf8cdce, v56
	v_add_f32_e32 v54, v54, v56
.LBB13_200:                             ;   in Loop: Header=BB13_177 Depth=1
	s_or_b64 exec, exec, s[6:7]
                                        ; implicit-def: $vgpr57
                                        ; implicit-def: $vgpr56
.LBB13_201:                             ;   in Loop: Header=BB13_177 Depth=1
	s_andn2_saveexec_b64 s[4:5], s[4:5]
	s_cbranch_execz .LBB13_205
; %bb.202:                              ;   in Loop: Header=BB13_177 Depth=1
	v_cmp_eq_u32_e32 vcc, 0, v57
	s_and_saveexec_b64 s[6:7], vcc
	s_cbranch_execz .LBB13_204
; %bb.203:                              ;   in Loop: Header=BB13_177 Depth=1
	v_mul_f32_e32 v57, v56, v56
	v_mov_b32_e32 v59, 0x38e28445
	v_mov_b32_e32 v58, 0x39679767
	v_fmac_f32_e32 v59, 0x383c2c75, v57
	v_fmac_f32_e32 v58, 0x37d383a2, v57
	v_fma_f32 v59, v57, v59, v41
	v_fma_f32 v58, v57, v58, v37
	;; [unrolled: 1-line block ×8, first 2 shown]
	v_mul_f32_e32 v57, v57, v59
	v_fmac_f32_e32 v57, v56, v58
	v_fmac_f32_e32 v57, -0.5, v56
	v_add_f32_e32 v54, v54, v57
.LBB13_204:                             ;   in Loop: Header=BB13_177 Depth=1
	s_or_b64 exec, exec, s[6:7]
.LBB13_205:                             ;   in Loop: Header=BB13_177 Depth=1
	s_or_b64 exec, exec, s[4:5]
.LBB13_206:                             ;   in Loop: Header=BB13_177 Depth=1
	s_or_b64 exec, exec, s[0:1]
.LBB13_207:                             ;   in Loop: Header=BB13_177 Depth=1
	s_andn2_saveexec_b64 s[2:3], s[2:3]
	s_cbranch_execz .LBB13_209
; %bb.208:                              ;   in Loop: Header=BB13_177 Depth=1
	v_cmp_lt_f32_e64 vcc, |v2|, s25
	v_cndmask_b32_e64 v54, 0, 32, vcc
	v_ldexp_f32 v54, |v2|, v54
	v_log_f32_e32 v54, v54
	v_fma_f32 v56, |v2|, s37, v52
	v_fma_f32 v56, |v2|, v56, s38
	;; [unrolled: 1-line block ×3, first 2 shown]
	v_mul_f32_e32 v57, 0x3f317217, v54
	v_fma_f32 v58, v54, s26, -v57
	v_fmac_f32_e32 v58, 0x3377d1cf, v54
	v_add_f32_e32 v57, v57, v58
	v_cmp_lt_f32_e64 s[0:1], |v54|, s27
	v_cndmask_b32_e64 v54, v54, v57, s[0:1]
	v_cndmask_b32_e32 v57, 0, v51, vcc
	v_sub_f32_e32 v54, v54, v57
	v_fma_f32 v54, |v2|, v56, -v54
.LBB13_209:                             ;   in Loop: Header=BB13_177 Depth=1
	s_or_b64 exec, exec, s[2:3]
	v_cmp_le_f32_e32 vcc, 0, v2
	v_cmp_nle_f32_e64 s[0:1], 0, v2
	s_and_saveexec_b64 s[2:3], s[0:1]
	s_xor_b64 s[4:5], exec, s[2:3]
	s_cbranch_execz .LBB13_213
; %bb.210:                              ;   in Loop: Header=BB13_177 Depth=1
	v_cmp_lt_f32_e64 s[0:1], |v2|, s40
	v_cmp_gt_f32_e64 s[2:3], |v2|, s41
	s_and_b64 s[0:1], s[0:1], s[2:3]
	s_and_saveexec_b64 s[6:7], s[0:1]
	s_cbranch_execz .LBB13_212
; %bb.211:                              ;   in Loop: Header=BB13_177 Depth=1
	v_mul_f32_e64 v56, |v2|, 0.5
	v_floor_f32_e32 v57, v56
	v_sub_f32_e32 v57, v56, v57
	v_min_f32_e32 v57, 0x3f7fffff, v57
	v_add_f32_e32 v57, v57, v57
	v_cmp_neq_f32_e64 s[0:1], s27, v56
	v_cndmask_b32_e64 v56, 0, v57, s[0:1]
	v_cmp_gt_f32_e64 s[0:1], |v2|, 1.0
	v_cndmask_b32_e64 v56, |v2|, v56, s[0:1]
	v_add_f32_e32 v57, v56, v56
	v_rndne_f32_e32 v57, v57
	v_fmac_f32_e32 v56, -0.5, v57
	v_mul_f32_e32 v58, v56, v56
	v_mov_b32_e32 v59, 0xbf1f24be
	v_fmac_f32_e32 v59, 0x3e75aa41, v58
	v_fma_f32 v59, v58, v59, v45
	v_fma_f32 v59, v58, v59, v46
	v_mul_f32_e32 v60, v56, v58
	v_mul_f32_e32 v59, v60, v59
	v_fmac_f32_e32 v59, 0x40490fdb, v56
	v_mov_b32_e32 v56, 0x3e642e9d
	v_cvt_i32_f32_e32 v57, v57
	v_fmac_f32_e32 v56, 0x3d4be544, v58
	v_fma_f32 v56, v58, v56, v47
	v_fma_f32 v56, v58, v56, v48
	;; [unrolled: 1-line block ×3, first 2 shown]
	v_fma_f32 v56, v58, v56, 1.0
	v_and_b32_e32 v58, 1, v57
	v_lshlrev_b32_e32 v57, 30, v57
	v_cmp_eq_u32_e64 s[0:1], 0, v58
	v_and_b32_e32 v57, 0x80000000, v57
	v_xor_b32_e32 v55, v55, v2
	v_cndmask_b32_e64 v56, v56, v59, s[0:1]
	v_xor_b32_e32 v55, v55, v57
	v_xor_b32_e32 v55, v55, v56
	v_mul_f32_e32 v55, v2, v55
	v_frexp_mant_f32_e64 v56, |v55|
	v_rcp_f32_e32 v56, v56
	v_frexp_exp_i32_f32_e32 v55, v55
	v_sub_u32_e32 v55, 2, v55
	v_mul_f32_e32 v56, 0x3f490fdb, v56
	v_ldexp_f32 v55, v56, v55
	v_cmp_gt_f32_e64 s[0:1], s25, v55
	v_cndmask_b32_e64 v56, 0, 32, s[0:1]
	v_ldexp_f32 v55, v55, v56
	v_log_f32_e32 v55, v55
	v_mul_f32_e32 v56, 0x3f317217, v55
	v_fma_f32 v57, v55, s26, -v56
	v_fmac_f32_e32 v57, 0x3377d1cf, v55
	v_add_f32_e32 v56, v56, v57
	v_cmp_lt_f32_e64 s[2:3], |v55|, s27
	v_cndmask_b32_e64 v55, v55, v56, s[2:3]
	v_cndmask_b32_e64 v56, 0, v51, s[0:1]
	v_sub_f32_e32 v55, v55, v56
	v_sub_f32_e32 v54, v55, v54
	v_floor_f32_e32 v55, v2
	v_sub_f32_e32 v55, v2, v55
	v_min_f32_e32 v55, 0x3f7fffff, v55
	v_cmp_neq_f32_e64 s[0:1], 0, v55
	v_cndmask_b32_e64 v54, v53, v54, s[0:1]
.LBB13_212:                             ;   in Loop: Header=BB13_177 Depth=1
	s_or_b64 exec, exec, s[6:7]
.LBB13_213:                             ;   in Loop: Header=BB13_177 Depth=1
	s_andn2_saveexec_b64 s[4:5], s[4:5]
; %bb.214:                              ;   in Loop: Header=BB13_177 Depth=1
	v_cmp_eq_f32_e64 s[0:1], 1.0, v2
	v_cmp_eq_f32_e64 s[2:3], 2.0, v2
	s_or_b64 s[0:1], s[0:1], s[2:3]
	v_cndmask_b32_e64 v54, v54, 0, s[0:1]
; %bb.215:                              ;   in Loop: Header=BB13_177 Depth=1
	s_or_b64 exec, exec, s[4:5]
	v_and_b32_e32 v56, 0x7fffffff, v3
	v_cmp_nlt_f32_e64 s[0:1], |v3|, s21
                                        ; implicit-def: $vgpr55
	s_and_saveexec_b64 s[2:3], s[0:1]
	s_xor_b64 s[4:5], exec, s[2:3]
	s_cbranch_execz .LBB13_245
; %bb.216:                              ;   in Loop: Header=BB13_177 Depth=1
	v_cmp_nlt_f32_e64 s[0:1], |v3|, 2.0
                                        ; implicit-def: $vgpr55
	s_and_saveexec_b64 s[2:3], s[0:1]
	s_xor_b64 s[6:7], exec, s[2:3]
	s_cbranch_execz .LBB13_226
; %bb.217:                              ;   in Loop: Header=BB13_177 Depth=1
	v_cmp_nlt_f32_e64 s[0:1], |v3|, s22
                                        ; implicit-def: $vgpr55
	s_and_saveexec_b64 s[2:3], s[0:1]
	s_xor_b64 s[8:9], exec, s[2:3]
	s_cbranch_execz .LBB13_223
; %bb.218:                              ;   in Loop: Header=BB13_177 Depth=1
	v_cmp_nlt_f32_e64 s[0:1], |v3|, s23
                                        ; implicit-def: $vgpr55
	s_and_saveexec_b64 s[2:3], s[0:1]
	s_xor_b64 s[14:15], exec, s[2:3]
	s_cbranch_execz .LBB13_220
; %bb.219:                              ;   in Loop: Header=BB13_177 Depth=1
	v_cmp_lt_f32_e64 s[0:1], |v3|, s25
	v_cndmask_b32_e64 v55, 0, 32, s[0:1]
	v_ldexp_f32 v55, |v3|, v55
	v_log_f32_e32 v55, v55
	v_mul_f32_e32 v57, 0x3f317217, v55
	v_fma_f32 v58, v55, s26, -v57
	v_fmac_f32_e32 v58, 0x3377d1cf, v55
	v_add_f32_e32 v57, v57, v58
	v_cmp_lt_f32_e64 s[2:3], |v55|, s27
	v_cndmask_b32_e64 v55, v55, v57, s[2:3]
	v_cndmask_b32_e64 v57, 0, v51, s[0:1]
	v_sub_f32_e32 v55, v55, v57
	v_fma_f32 v55, |v3|, v55, -|v3|
.LBB13_220:                             ;   in Loop: Header=BB13_177 Depth=1
	s_andn2_saveexec_b64 s[14:15], s[14:15]
	s_cbranch_execz .LBB13_222
; %bb.221:                              ;   in Loop: Header=BB13_177 Depth=1
	v_rcp_f32_e64 v55, |v3|
	v_cmp_lt_f32_e64 s[0:1], |v3|, s25
	v_cndmask_b32_e64 v58, 0, 32, s[0:1]
	v_mov_b32_e32 v57, 0x3a5b3dd2
	v_mul_f32_e32 v59, v55, v55
	v_ldexp_f32 v58, |v3|, v58
	v_fmac_f32_e32 v57, 0xbad5c4e8, v59
	v_log_f32_e32 v58, v58
	v_fma_f32 v57, v59, v57, v8
	v_fma_f32 v57, v59, v57, v9
	;; [unrolled: 1-line block ×4, first 2 shown]
	v_mul_f32_e32 v59, 0x3f317217, v58
	v_fma_f32 v60, v58, s26, -v59
	v_fmac_f32_e32 v60, 0x3377d1cf, v58
	v_add_f32_e32 v59, v59, v60
	v_cmp_lt_f32_e64 s[2:3], |v58|, s27
	v_cndmask_b32_e64 v58, v58, v59, s[2:3]
	v_cndmask_b32_e64 v59, 0, v51, s[0:1]
	v_sub_f32_e32 v58, v58, v59
	v_fma_f32 v55, v55, v57, v12
	v_add_f32_e64 v57, |v3|, -0.5
	v_add_f32_e32 v58, -1.0, v58
	v_fmac_f32_e32 v55, v57, v58
.LBB13_222:                             ;   in Loop: Header=BB13_177 Depth=1
	s_or_b64 exec, exec, s[14:15]
.LBB13_223:                             ;   in Loop: Header=BB13_177 Depth=1
	s_andn2_saveexec_b64 s[8:9], s[8:9]
	s_cbranch_execz .LBB13_225
; %bb.224:                              ;   in Loop: Header=BB13_177 Depth=1
	v_cvt_i32_f32_e32 v55, v56
	v_mov_b32_e32 v59, 0x3a4beed6
	v_mov_b32_e32 v58, 0x3af135b4
	v_cvt_f32_i32_e32 v57, v55
	v_cmp_lt_i32_e64 s[0:1], 2, v55
	v_sub_f32_e64 v57, |v3|, v57
	v_fmac_f32_e32 v59, 0x36f5d7bd, v57
	v_fma_f32 v59, v57, v59, v18
	v_fma_f32 v59, v57, v59, v19
	v_fmac_f32_e32 v58, 0x3805ff67, v57
	v_fma_f32 v59, v57, v59, v20
	v_fma_f32 v58, v57, v58, v13
	;; [unrolled: 1-line block ×4, first 2 shown]
	v_fma_f32 v59, v57, v59, 1.0
	v_fma_f32 v58, v57, v58, v15
	v_rcp_f32_e32 v59, v59
	v_fma_f32 v58, v57, v58, v16
	v_fma_f32 v58, v57, v58, v17
	v_mul_f32_e32 v58, v57, v58
	v_mul_f32_e32 v58, v58, v59
	v_add_f32_e32 v59, 2.0, v57
	v_add_f32_e32 v60, 0x40400000, v57
	v_cndmask_b32_e64 v59, 1.0, v59, s[0:1]
	v_cmp_lt_i32_e64 s[0:1], 3, v55
	v_add_f32_e32 v61, 4.0, v57
	v_cndmask_b32_e64 v60, 1.0, v60, s[0:1]
	v_cmp_lt_i32_e64 s[0:1], 4, v55
	v_add_f32_e32 v62, 0x40a00000, v57
	v_mul_f32_e32 v59, v59, v60
	v_cndmask_b32_e64 v60, 1.0, v61, s[0:1]
	v_cmp_lt_i32_e64 s[0:1], 5, v55
	v_fmac_f32_e32 v58, 0.5, v57
	v_add_f32_e32 v57, 0x40c00000, v57
	v_mul_f32_e32 v59, v60, v59
	v_cndmask_b32_e64 v60, 1.0, v62, s[0:1]
	v_cmp_lt_i32_e64 s[0:1], 6, v55
	v_mul_f32_e32 v59, v60, v59
	v_cndmask_b32_e64 v55, 1.0, v57, s[0:1]
	v_mul_f32_e32 v55, v55, v59
	v_cmp_gt_f32_e64 s[0:1], s25, v55
	v_cndmask_b32_e64 v57, 0, 32, s[0:1]
	v_ldexp_f32 v55, v55, v57
	v_log_f32_e32 v55, v55
	v_mul_f32_e32 v57, 0x3f317217, v55
	v_fma_f32 v59, v55, s26, -v57
	v_fmac_f32_e32 v59, 0x3377d1cf, v55
	v_add_f32_e32 v57, v57, v59
	v_cmp_lt_f32_e64 s[2:3], |v55|, s27
	v_cndmask_b32_e64 v55, v55, v57, s[2:3]
	v_cndmask_b32_e64 v57, 0, v51, s[0:1]
	v_sub_f32_e32 v55, v55, v57
	v_add_f32_e32 v55, v55, v58
.LBB13_225:                             ;   in Loop: Header=BB13_177 Depth=1
	s_or_b64 exec, exec, s[8:9]
.LBB13_226:                             ;   in Loop: Header=BB13_177 Depth=1
	s_andn2_saveexec_b64 s[2:3], s[6:7]
	s_cbranch_execz .LBB13_244
; %bb.227:                              ;   in Loop: Header=BB13_177 Depth=1
	v_cmp_le_f32_e64 s[0:1], |v3|, s28
                                        ; implicit-def: $vgpr55
                                        ; implicit-def: $vgpr58
                                        ; implicit-def: $vgpr57
	s_and_saveexec_b64 s[6:7], s[0:1]
	s_xor_b64 s[6:7], exec, s[6:7]
	s_cbranch_execz .LBB13_229
; %bb.228:                              ;   in Loop: Header=BB13_177 Depth=1
	v_cmp_lt_f32_e64 s[0:1], |v3|, s25
	v_cndmask_b32_e64 v55, 0, 32, s[0:1]
	v_ldexp_f32 v55, |v3|, v55
	v_log_f32_e32 v55, v55
	v_cndmask_b32_e64 v57, 0, v51, s[0:1]
	v_mul_f32_e32 v58, 0x3f317217, v55
	v_fma_f32 v59, v55, s26, -v58
	v_fmac_f32_e32 v59, 0x3377d1cf, v55
	v_add_f32_e32 v58, v58, v59
	v_cmp_lt_f32_e64 s[0:1], |v55|, s27
	v_cndmask_b32_e64 v55, v55, v58, s[0:1]
	v_sub_f32_e32 v55, v55, v57
	v_sub_f32_e64 v57, 1.0, |v3|
	v_add_f32_e64 v58, |v3|, s30
	v_cmp_lt_f32_e64 s[0:1], |v3|, s29
	v_cndmask_b32_e64 v57, v57, v58, s[0:1]
	v_cndmask_b32_e64 v58, 0, 1, s[0:1]
	v_cmp_lt_f32_e64 s[0:1], |v3|, s31
	v_xor_b32_e32 v55, 0x80000000, v55
	v_cndmask_b32_e64 v57, v57, |v3|, s[0:1]
	v_cndmask_b32_e64 v58, v58, 2, s[0:1]
.LBB13_229:                             ;   in Loop: Header=BB13_177 Depth=1
	s_andn2_saveexec_b64 s[6:7], s[6:7]
	s_cbranch_execz .LBB13_231
; %bb.230:                              ;   in Loop: Header=BB13_177 Depth=1
	v_sub_f32_e64 v55, 2.0, |v3|
	v_add_f32_e64 v57, |v3|, s34
	v_cmp_lt_f32_e64 s[0:1], |v3|, s33
	v_cndmask_b32_e64 v57, v55, v57, s[0:1]
	v_cndmask_b32_e64 v55, v55, 1.0, s[0:1]
	v_cvt_i32_f32_e32 v55, v55
	v_add_f32_e64 v58, |v3|, -1.0
	v_cmp_lt_f32_e64 s[0:1], |v3|, s35
	v_cndmask_b32_e64 v57, v57, v58, s[0:1]
	v_cndmask_b32_e64 v58, v55, 2, s[0:1]
	v_mov_b32_e32 v55, 0
.LBB13_231:                             ;   in Loop: Header=BB13_177 Depth=1
	s_or_b64 exec, exec, s[6:7]
	v_cmp_lt_i32_e64 s[0:1], 0, v58
	s_and_saveexec_b64 s[6:7], s[0:1]
	s_xor_b64 s[6:7], exec, s[6:7]
	s_cbranch_execz .LBB13_239
; %bb.232:                              ;   in Loop: Header=BB13_177 Depth=1
	v_cmp_lt_i32_e64 s[0:1], 1, v58
	s_and_saveexec_b64 s[8:9], s[0:1]
	s_xor_b64 s[8:9], exec, s[8:9]
	s_cbranch_execz .LBB13_236
; %bb.233:                              ;   in Loop: Header=BB13_177 Depth=1
	v_cmp_eq_u32_e64 s[0:1], 2, v58
	s_and_saveexec_b64 s[14:15], s[0:1]
	s_cbranch_execz .LBB13_235
; %bb.234:                              ;   in Loop: Header=BB13_177 Depth=1
	v_mov_b32_e32 v59, 0x3dd572af
	v_fmac_f32_e32 v59, 0x3b52d5db, v57
	v_fma_f32 v59, v57, v59, v25
	v_mov_b32_e32 v58, 0x3e6a7578
	v_fma_f32 v59, v57, v59, v26
	v_fmac_f32_e32 v58, 0x3c5b3c5e, v57
	v_fma_f32 v59, v57, v59, v27
	v_fma_f32 v58, v57, v58, v22
	v_fma_f32 v59, v57, v59, 1.0
	v_fma_f32 v58, v57, v58, v23
	v_rcp_f32_e32 v59, v59
	v_fma_f32 v58, v57, v58, v24
	v_fma_f32 v58, v57, v58, v17
	v_mul_f32_e32 v58, v57, v58
	v_mul_f32_e32 v58, v58, v59
	v_fmac_f32_e32 v58, -0.5, v57
	v_add_f32_e32 v55, v55, v58
.LBB13_235:                             ;   in Loop: Header=BB13_177 Depth=1
	s_or_b64 exec, exec, s[14:15]
                                        ; implicit-def: $vgpr57
.LBB13_236:                             ;   in Loop: Header=BB13_177 Depth=1
	s_andn2_saveexec_b64 s[0:1], s[8:9]
	s_cbranch_execz .LBB13_238
; %bb.237:                              ;   in Loop: Header=BB13_177 Depth=1
	v_mul_f32_e32 v58, v57, v57
	v_mul_f32_e32 v59, v57, v58
	v_mov_b32_e32 v61, 0x3a66f867
	v_mov_b32_e32 v62, 0xba0d3085
	v_fmac_f32_e32 v61, 0xb9a3f927, v59
	v_fmac_f32_e32 v62, 0x39afe9f7, v59
	v_mov_b32_e32 v60, 0xbab7f476
	v_fma_f32 v61, v59, v61, v31
	v_fma_f32 v62, v59, v62, v34
	v_fmac_f32_e32 v60, 0x39a57b6b, v59
	v_fma_f32 v61, v59, v61, v32
	v_fma_f32 v62, v59, v62, v35
	v_fma_f32 v60, v59, v60, v28
	v_fma_f32 v61, v59, v61, v33
	v_fma_f32 v62, v59, v62, v36
	v_fma_f32 v60, v59, v60, v29
	v_fmac_f32_e32 v61, v57, v62
	v_fma_f32 v60, v59, v60, v30
	v_fma_f32 v57, v59, -v61, s36
	v_fma_f32 v57, v58, v60, -v57
	v_add_f32_e32 v57, 0xbdf8cdce, v57
	v_add_f32_e32 v55, v55, v57
.LBB13_238:                             ;   in Loop: Header=BB13_177 Depth=1
	s_or_b64 exec, exec, s[0:1]
                                        ; implicit-def: $vgpr58
                                        ; implicit-def: $vgpr57
.LBB13_239:                             ;   in Loop: Header=BB13_177 Depth=1
	s_andn2_saveexec_b64 s[6:7], s[6:7]
	s_cbranch_execz .LBB13_243
; %bb.240:                              ;   in Loop: Header=BB13_177 Depth=1
	v_cmp_eq_u32_e64 s[0:1], 0, v58
	s_and_saveexec_b64 s[8:9], s[0:1]
	s_cbranch_execz .LBB13_242
; %bb.241:                              ;   in Loop: Header=BB13_177 Depth=1
	v_mul_f32_e32 v58, v57, v57
	v_mov_b32_e32 v60, 0x38e28445
	v_mov_b32_e32 v59, 0x39679767
	v_fmac_f32_e32 v60, 0x383c2c75, v58
	v_fmac_f32_e32 v59, 0x37d383a2, v58
	v_fma_f32 v60, v58, v60, v41
	v_fma_f32 v59, v58, v59, v37
	;; [unrolled: 1-line block ×8, first 2 shown]
	v_mul_f32_e32 v58, v58, v60
	v_fmac_f32_e32 v58, v57, v59
	v_fmac_f32_e32 v58, -0.5, v57
	v_add_f32_e32 v55, v55, v58
.LBB13_242:                             ;   in Loop: Header=BB13_177 Depth=1
	s_or_b64 exec, exec, s[8:9]
.LBB13_243:                             ;   in Loop: Header=BB13_177 Depth=1
	s_or_b64 exec, exec, s[6:7]
.LBB13_244:                             ;   in Loop: Header=BB13_177 Depth=1
	s_or_b64 exec, exec, s[2:3]
.LBB13_245:                             ;   in Loop: Header=BB13_177 Depth=1
	s_andn2_saveexec_b64 s[4:5], s[4:5]
	s_cbranch_execz .LBB13_247
; %bb.246:                              ;   in Loop: Header=BB13_177 Depth=1
	v_cmp_lt_f32_e64 s[0:1], |v3|, s25
	v_cndmask_b32_e64 v55, 0, 32, s[0:1]
	v_ldexp_f32 v55, |v3|, v55
	v_log_f32_e32 v55, v55
	v_fma_f32 v57, |v3|, s37, v52
	v_fma_f32 v57, |v3|, v57, s38
	;; [unrolled: 1-line block ×3, first 2 shown]
	v_mul_f32_e32 v58, 0x3f317217, v55
	v_fma_f32 v59, v55, s26, -v58
	v_fmac_f32_e32 v59, 0x3377d1cf, v55
	v_add_f32_e32 v58, v58, v59
	v_cmp_lt_f32_e64 s[2:3], |v55|, s27
	v_cndmask_b32_e64 v55, v55, v58, s[2:3]
	v_cndmask_b32_e64 v58, 0, v51, s[0:1]
	v_sub_f32_e32 v55, v55, v58
	v_fma_f32 v55, |v3|, v57, -v55
.LBB13_247:                             ;   in Loop: Header=BB13_177 Depth=1
	s_or_b64 exec, exec, s[4:5]
	v_cmp_le_f32_e64 s[0:1], 0, v3
	v_cmp_nle_f32_e64 s[2:3], 0, v3
	s_and_saveexec_b64 s[4:5], s[2:3]
	s_xor_b64 s[6:7], exec, s[4:5]
	s_cbranch_execz .LBB13_251
; %bb.248:                              ;   in Loop: Header=BB13_177 Depth=1
	v_cmp_lt_f32_e64 s[2:3], |v3|, s40
	v_cmp_gt_f32_e64 s[4:5], |v3|, s41
	s_and_b64 s[2:3], s[2:3], s[4:5]
	s_and_saveexec_b64 s[8:9], s[2:3]
	s_cbranch_execz .LBB13_250
; %bb.249:                              ;   in Loop: Header=BB13_177 Depth=1
	v_mul_f32_e64 v57, |v3|, 0.5
	v_floor_f32_e32 v58, v57
	v_sub_f32_e32 v58, v57, v58
	v_min_f32_e32 v58, 0x3f7fffff, v58
	v_add_f32_e32 v58, v58, v58
	v_cmp_neq_f32_e64 s[2:3], s27, v57
	v_cndmask_b32_e64 v57, 0, v58, s[2:3]
	v_cmp_gt_f32_e64 s[2:3], |v3|, 1.0
	v_cndmask_b32_e64 v57, |v3|, v57, s[2:3]
	v_add_f32_e32 v58, v57, v57
	v_rndne_f32_e32 v58, v58
	v_fmac_f32_e32 v57, -0.5, v58
	v_mul_f32_e32 v59, v57, v57
	v_mov_b32_e32 v60, 0xbf1f24be
	v_fmac_f32_e32 v60, 0x3e75aa41, v59
	v_fma_f32 v60, v59, v60, v45
	v_fma_f32 v60, v59, v60, v46
	v_mul_f32_e32 v61, v57, v59
	v_mul_f32_e32 v60, v61, v60
	v_fmac_f32_e32 v60, 0x40490fdb, v57
	v_mov_b32_e32 v57, 0x3e642e9d
	v_cvt_i32_f32_e32 v58, v58
	v_fmac_f32_e32 v57, 0x3d4be544, v59
	v_fma_f32 v57, v59, v57, v47
	v_fma_f32 v57, v59, v57, v48
	;; [unrolled: 1-line block ×3, first 2 shown]
	v_fma_f32 v57, v59, v57, 1.0
	v_and_b32_e32 v59, 1, v58
	v_lshlrev_b32_e32 v58, 30, v58
	v_cmp_eq_u32_e64 s[2:3], 0, v59
	v_and_b32_e32 v58, 0x80000000, v58
	v_xor_b32_e32 v56, v56, v3
	v_cndmask_b32_e64 v57, v57, v60, s[2:3]
	v_xor_b32_e32 v56, v56, v58
	v_xor_b32_e32 v56, v56, v57
	v_mul_f32_e32 v56, v3, v56
	v_frexp_mant_f32_e64 v57, |v56|
	v_rcp_f32_e32 v57, v57
	v_frexp_exp_i32_f32_e32 v56, v56
	v_sub_u32_e32 v56, 2, v56
	v_mul_f32_e32 v57, 0x3f490fdb, v57
	v_ldexp_f32 v56, v57, v56
	v_cmp_gt_f32_e64 s[2:3], s25, v56
	v_cndmask_b32_e64 v57, 0, 32, s[2:3]
	v_ldexp_f32 v56, v56, v57
	v_log_f32_e32 v56, v56
	v_mul_f32_e32 v57, 0x3f317217, v56
	v_fma_f32 v58, v56, s26, -v57
	v_fmac_f32_e32 v58, 0x3377d1cf, v56
	v_add_f32_e32 v57, v57, v58
	v_cmp_lt_f32_e64 s[4:5], |v56|, s27
	v_cndmask_b32_e64 v56, v56, v57, s[4:5]
	v_cndmask_b32_e64 v57, 0, v51, s[2:3]
	v_sub_f32_e32 v56, v56, v57
	v_sub_f32_e32 v55, v56, v55
	v_floor_f32_e32 v56, v3
	v_sub_f32_e32 v56, v3, v56
	v_min_f32_e32 v56, 0x3f7fffff, v56
	v_cmp_neq_f32_e64 s[2:3], 0, v56
	v_cndmask_b32_e64 v55, v53, v55, s[2:3]
.LBB13_250:                             ;   in Loop: Header=BB13_177 Depth=1
	s_or_b64 exec, exec, s[8:9]
.LBB13_251:                             ;   in Loop: Header=BB13_177 Depth=1
	s_andn2_saveexec_b64 s[6:7], s[6:7]
; %bb.252:                              ;   in Loop: Header=BB13_177 Depth=1
	v_cmp_eq_f32_e64 s[2:3], 1.0, v3
	v_cmp_eq_f32_e64 s[4:5], 2.0, v3
	s_or_b64 s[2:3], s[2:3], s[4:5]
	v_cndmask_b32_e64 v55, v55, 0, s[2:3]
; %bb.253:                              ;   in Loop: Header=BB13_177 Depth=1
	s_or_b64 exec, exec, s[6:7]
	v_and_b32_e32 v57, 0x7fffffff, v4
	v_cmp_nlt_f32_e64 s[2:3], |v4|, s21
                                        ; implicit-def: $vgpr56
	s_and_saveexec_b64 s[4:5], s[2:3]
	s_xor_b64 s[6:7], exec, s[4:5]
	s_cbranch_execz .LBB13_283
; %bb.254:                              ;   in Loop: Header=BB13_177 Depth=1
	v_cmp_nlt_f32_e64 s[2:3], |v4|, 2.0
                                        ; implicit-def: $vgpr56
	s_and_saveexec_b64 s[4:5], s[2:3]
	s_xor_b64 s[8:9], exec, s[4:5]
	s_cbranch_execz .LBB13_264
; %bb.255:                              ;   in Loop: Header=BB13_177 Depth=1
	v_cmp_nlt_f32_e64 s[2:3], |v4|, s22
                                        ; implicit-def: $vgpr56
	s_and_saveexec_b64 s[4:5], s[2:3]
	s_xor_b64 s[14:15], exec, s[4:5]
	s_cbranch_execz .LBB13_261
; %bb.256:                              ;   in Loop: Header=BB13_177 Depth=1
	v_cmp_nlt_f32_e64 s[2:3], |v4|, s23
                                        ; implicit-def: $vgpr56
	s_and_saveexec_b64 s[4:5], s[2:3]
	s_xor_b64 s[16:17], exec, s[4:5]
	s_cbranch_execz .LBB13_258
; %bb.257:                              ;   in Loop: Header=BB13_177 Depth=1
	v_cmp_lt_f32_e64 s[2:3], |v4|, s25
	v_cndmask_b32_e64 v56, 0, 32, s[2:3]
	v_ldexp_f32 v56, |v4|, v56
	v_log_f32_e32 v56, v56
	v_mul_f32_e32 v58, 0x3f317217, v56
	v_fma_f32 v59, v56, s26, -v58
	v_fmac_f32_e32 v59, 0x3377d1cf, v56
	v_add_f32_e32 v58, v58, v59
	v_cmp_lt_f32_e64 s[4:5], |v56|, s27
	v_cndmask_b32_e64 v56, v56, v58, s[4:5]
	v_cndmask_b32_e64 v58, 0, v51, s[2:3]
	v_sub_f32_e32 v56, v56, v58
	v_fma_f32 v56, |v4|, v56, -|v4|
.LBB13_258:                             ;   in Loop: Header=BB13_177 Depth=1
	s_andn2_saveexec_b64 s[16:17], s[16:17]
	s_cbranch_execz .LBB13_260
; %bb.259:                              ;   in Loop: Header=BB13_177 Depth=1
	v_rcp_f32_e64 v56, |v4|
	v_cmp_lt_f32_e64 s[2:3], |v4|, s25
	v_cndmask_b32_e64 v59, 0, 32, s[2:3]
	v_mov_b32_e32 v58, 0x3a5b3dd2
	v_mul_f32_e32 v60, v56, v56
	v_ldexp_f32 v59, |v4|, v59
	v_fmac_f32_e32 v58, 0xbad5c4e8, v60
	v_log_f32_e32 v59, v59
	v_fma_f32 v58, v60, v58, v8
	v_fma_f32 v58, v60, v58, v9
	;; [unrolled: 1-line block ×4, first 2 shown]
	v_mul_f32_e32 v60, 0x3f317217, v59
	v_fma_f32 v61, v59, s26, -v60
	v_fmac_f32_e32 v61, 0x3377d1cf, v59
	v_add_f32_e32 v60, v60, v61
	v_cmp_lt_f32_e64 s[4:5], |v59|, s27
	v_cndmask_b32_e64 v59, v59, v60, s[4:5]
	v_cndmask_b32_e64 v60, 0, v51, s[2:3]
	v_sub_f32_e32 v59, v59, v60
	v_fma_f32 v56, v56, v58, v12
	v_add_f32_e64 v58, |v4|, -0.5
	v_add_f32_e32 v59, -1.0, v59
	v_fmac_f32_e32 v56, v58, v59
.LBB13_260:                             ;   in Loop: Header=BB13_177 Depth=1
	s_or_b64 exec, exec, s[16:17]
.LBB13_261:                             ;   in Loop: Header=BB13_177 Depth=1
	s_andn2_saveexec_b64 s[14:15], s[14:15]
	s_cbranch_execz .LBB13_263
; %bb.262:                              ;   in Loop: Header=BB13_177 Depth=1
	v_cvt_i32_f32_e32 v56, v57
	v_mov_b32_e32 v60, 0x3a4beed6
	v_mov_b32_e32 v59, 0x3af135b4
	v_cvt_f32_i32_e32 v58, v56
	v_cmp_lt_i32_e64 s[2:3], 2, v56
	v_sub_f32_e64 v58, |v4|, v58
	v_add_f32_e32 v61, 2.0, v58
	v_add_f32_e32 v62, 0x40400000, v58
	v_cndmask_b32_e64 v61, 1.0, v61, s[2:3]
	v_cmp_lt_i32_e64 s[2:3], 3, v56
	v_add_f32_e32 v63, 4.0, v58
	v_cndmask_b32_e64 v62, 1.0, v62, s[2:3]
	v_cmp_lt_i32_e64 s[2:3], 4, v56
	v_fmac_f32_e32 v60, 0x36f5d7bd, v58
	v_add_f32_e32 v64, 0x40a00000, v58
	v_mul_f32_e32 v61, v61, v62
	v_cndmask_b32_e64 v62, 1.0, v63, s[2:3]
	v_cmp_lt_i32_e64 s[2:3], 5, v56
	v_fma_f32 v60, v58, v60, v18
	v_add_f32_e32 v65, 0x40c00000, v58
	v_mul_f32_e32 v61, v62, v61
	v_cndmask_b32_e64 v62, 1.0, v64, s[2:3]
	v_cmp_lt_i32_e64 s[2:3], 6, v56
	v_fma_f32 v60, v58, v60, v19
	v_mul_f32_e32 v61, v62, v61
	v_cndmask_b32_e64 v56, 1.0, v65, s[2:3]
	v_fmac_f32_e32 v59, 0x3805ff67, v58
	v_fma_f32 v60, v58, v60, v20
	v_mul_f32_e32 v56, v56, v61
	v_fma_f32 v59, v58, v59, v13
	v_fma_f32 v60, v58, v60, v21
	v_cmp_gt_f32_e64 s[2:3], s25, v56
	v_fma_f32 v59, v58, v59, v14
	v_fma_f32 v60, v58, v60, 1.0
	v_cndmask_b32_e64 v61, 0, 32, s[2:3]
	v_fma_f32 v59, v58, v59, v15
	v_rcp_f32_e32 v60, v60
	v_ldexp_f32 v56, v56, v61
	v_fma_f32 v59, v58, v59, v16
	v_log_f32_e32 v56, v56
	v_fma_f32 v59, v58, v59, v17
	v_mul_f32_e32 v59, v58, v59
	v_mul_f32_e32 v59, v59, v60
	v_fmac_f32_e32 v59, 0.5, v58
	v_mul_f32_e32 v58, 0x3f317217, v56
	v_fma_f32 v60, v56, s26, -v58
	v_fmac_f32_e32 v60, 0x3377d1cf, v56
	v_add_f32_e32 v58, v58, v60
	v_cmp_lt_f32_e64 s[4:5], |v56|, s27
	v_cndmask_b32_e64 v56, v56, v58, s[4:5]
	v_cndmask_b32_e64 v58, 0, v51, s[2:3]
	v_sub_f32_e32 v56, v56, v58
	v_add_f32_e32 v56, v56, v59
.LBB13_263:                             ;   in Loop: Header=BB13_177 Depth=1
	s_or_b64 exec, exec, s[14:15]
.LBB13_264:                             ;   in Loop: Header=BB13_177 Depth=1
	s_andn2_saveexec_b64 s[4:5], s[8:9]
	s_cbranch_execz .LBB13_282
; %bb.265:                              ;   in Loop: Header=BB13_177 Depth=1
	v_cmp_le_f32_e64 s[2:3], |v4|, s28
                                        ; implicit-def: $vgpr56
                                        ; implicit-def: $vgpr59
                                        ; implicit-def: $vgpr58
	s_and_saveexec_b64 s[8:9], s[2:3]
	s_xor_b64 s[8:9], exec, s[8:9]
	s_cbranch_execz .LBB13_267
; %bb.266:                              ;   in Loop: Header=BB13_177 Depth=1
	v_cmp_lt_f32_e64 s[2:3], |v4|, s25
	v_cndmask_b32_e64 v56, 0, 32, s[2:3]
	v_ldexp_f32 v56, |v4|, v56
	v_log_f32_e32 v56, v56
	v_cndmask_b32_e64 v58, 0, v51, s[2:3]
	v_mul_f32_e32 v59, 0x3f317217, v56
	v_fma_f32 v60, v56, s26, -v59
	v_fmac_f32_e32 v60, 0x3377d1cf, v56
	v_add_f32_e32 v59, v59, v60
	v_cmp_lt_f32_e64 s[2:3], |v56|, s27
	v_cndmask_b32_e64 v56, v56, v59, s[2:3]
	v_sub_f32_e32 v56, v56, v58
	v_sub_f32_e64 v58, 1.0, |v4|
	v_add_f32_e64 v59, |v4|, s30
	v_cmp_lt_f32_e64 s[2:3], |v4|, s29
	v_cndmask_b32_e64 v58, v58, v59, s[2:3]
	v_cndmask_b32_e64 v59, 0, 1, s[2:3]
	v_cmp_lt_f32_e64 s[2:3], |v4|, s31
	v_xor_b32_e32 v56, 0x80000000, v56
	v_cndmask_b32_e64 v58, v58, |v4|, s[2:3]
	v_cndmask_b32_e64 v59, v59, 2, s[2:3]
.LBB13_267:                             ;   in Loop: Header=BB13_177 Depth=1
	s_andn2_saveexec_b64 s[8:9], s[8:9]
	s_cbranch_execz .LBB13_269
; %bb.268:                              ;   in Loop: Header=BB13_177 Depth=1
	v_sub_f32_e64 v56, 2.0, |v4|
	v_add_f32_e64 v58, |v4|, s34
	v_cmp_lt_f32_e64 s[2:3], |v4|, s33
	v_cndmask_b32_e64 v58, v56, v58, s[2:3]
	v_cndmask_b32_e64 v56, v56, 1.0, s[2:3]
	v_cvt_i32_f32_e32 v56, v56
	v_add_f32_e64 v59, |v4|, -1.0
	v_cmp_lt_f32_e64 s[2:3], |v4|, s35
	v_cndmask_b32_e64 v58, v58, v59, s[2:3]
	v_cndmask_b32_e64 v59, v56, 2, s[2:3]
	v_mov_b32_e32 v56, 0
.LBB13_269:                             ;   in Loop: Header=BB13_177 Depth=1
	s_or_b64 exec, exec, s[8:9]
	v_cmp_lt_i32_e64 s[2:3], 0, v59
	s_and_saveexec_b64 s[8:9], s[2:3]
	s_xor_b64 s[8:9], exec, s[8:9]
	s_cbranch_execz .LBB13_277
; %bb.270:                              ;   in Loop: Header=BB13_177 Depth=1
	v_cmp_lt_i32_e64 s[2:3], 1, v59
	s_and_saveexec_b64 s[14:15], s[2:3]
	s_xor_b64 s[14:15], exec, s[14:15]
	s_cbranch_execz .LBB13_274
; %bb.271:                              ;   in Loop: Header=BB13_177 Depth=1
	v_cmp_eq_u32_e64 s[2:3], 2, v59
	s_and_saveexec_b64 s[16:17], s[2:3]
	s_cbranch_execz .LBB13_273
; %bb.272:                              ;   in Loop: Header=BB13_177 Depth=1
	v_mov_b32_e32 v60, 0x3dd572af
	v_fmac_f32_e32 v60, 0x3b52d5db, v58
	v_fma_f32 v60, v58, v60, v25
	v_mov_b32_e32 v59, 0x3e6a7578
	v_fma_f32 v60, v58, v60, v26
	v_fmac_f32_e32 v59, 0x3c5b3c5e, v58
	v_fma_f32 v60, v58, v60, v27
	v_fma_f32 v59, v58, v59, v22
	v_fma_f32 v60, v58, v60, 1.0
	v_fma_f32 v59, v58, v59, v23
	v_rcp_f32_e32 v60, v60
	v_fma_f32 v59, v58, v59, v24
	v_fma_f32 v59, v58, v59, v17
	v_mul_f32_e32 v59, v58, v59
	v_mul_f32_e32 v59, v59, v60
	v_fmac_f32_e32 v59, -0.5, v58
	v_add_f32_e32 v56, v56, v59
.LBB13_273:                             ;   in Loop: Header=BB13_177 Depth=1
	s_or_b64 exec, exec, s[16:17]
                                        ; implicit-def: $vgpr58
.LBB13_274:                             ;   in Loop: Header=BB13_177 Depth=1
	s_andn2_saveexec_b64 s[2:3], s[14:15]
	s_cbranch_execz .LBB13_276
; %bb.275:                              ;   in Loop: Header=BB13_177 Depth=1
	v_mul_f32_e32 v59, v58, v58
	v_mul_f32_e32 v60, v58, v59
	v_mov_b32_e32 v62, 0x3a66f867
	v_mov_b32_e32 v63, 0xba0d3085
	v_fmac_f32_e32 v62, 0xb9a3f927, v60
	v_fmac_f32_e32 v63, 0x39afe9f7, v60
	v_mov_b32_e32 v61, 0xbab7f476
	v_fma_f32 v62, v60, v62, v31
	v_fma_f32 v63, v60, v63, v34
	v_fmac_f32_e32 v61, 0x39a57b6b, v60
	v_fma_f32 v62, v60, v62, v32
	v_fma_f32 v63, v60, v63, v35
	;; [unrolled: 1-line block ×6, first 2 shown]
	v_fmac_f32_e32 v62, v58, v63
	v_fma_f32 v61, v60, v61, v30
	v_fma_f32 v58, v60, -v62, s36
	v_fma_f32 v58, v59, v61, -v58
	v_add_f32_e32 v58, 0xbdf8cdce, v58
	v_add_f32_e32 v56, v56, v58
.LBB13_276:                             ;   in Loop: Header=BB13_177 Depth=1
	s_or_b64 exec, exec, s[2:3]
                                        ; implicit-def: $vgpr59
                                        ; implicit-def: $vgpr58
.LBB13_277:                             ;   in Loop: Header=BB13_177 Depth=1
	s_andn2_saveexec_b64 s[8:9], s[8:9]
	s_cbranch_execz .LBB13_281
; %bb.278:                              ;   in Loop: Header=BB13_177 Depth=1
	v_cmp_eq_u32_e64 s[2:3], 0, v59
	s_and_saveexec_b64 s[14:15], s[2:3]
	s_cbranch_execz .LBB13_280
; %bb.279:                              ;   in Loop: Header=BB13_177 Depth=1
	v_mul_f32_e32 v59, v58, v58
	v_mov_b32_e32 v61, 0x38e28445
	v_mov_b32_e32 v60, 0x39679767
	v_fmac_f32_e32 v61, 0x383c2c75, v59
	v_fmac_f32_e32 v60, 0x37d383a2, v59
	v_fma_f32 v61, v59, v61, v41
	v_fma_f32 v60, v59, v60, v37
	;; [unrolled: 1-line block ×8, first 2 shown]
	v_mul_f32_e32 v59, v59, v61
	v_fmac_f32_e32 v59, v58, v60
	v_fmac_f32_e32 v59, -0.5, v58
	v_add_f32_e32 v56, v56, v59
.LBB13_280:                             ;   in Loop: Header=BB13_177 Depth=1
	s_or_b64 exec, exec, s[14:15]
.LBB13_281:                             ;   in Loop: Header=BB13_177 Depth=1
	s_or_b64 exec, exec, s[8:9]
.LBB13_282:                             ;   in Loop: Header=BB13_177 Depth=1
	s_or_b64 exec, exec, s[4:5]
.LBB13_283:                             ;   in Loop: Header=BB13_177 Depth=1
	s_andn2_saveexec_b64 s[6:7], s[6:7]
	s_cbranch_execz .LBB13_285
; %bb.284:                              ;   in Loop: Header=BB13_177 Depth=1
	v_cmp_lt_f32_e64 s[2:3], |v4|, s25
	v_cndmask_b32_e64 v56, 0, 32, s[2:3]
	v_ldexp_f32 v56, |v4|, v56
	v_log_f32_e32 v56, v56
	v_fma_f32 v58, |v4|, s37, v52
	v_fma_f32 v58, |v4|, v58, s38
	v_fma_f32 v58, |v4|, v58, s39
	v_mul_f32_e32 v59, 0x3f317217, v56
	v_fma_f32 v60, v56, s26, -v59
	v_fmac_f32_e32 v60, 0x3377d1cf, v56
	v_add_f32_e32 v59, v59, v60
	v_cmp_lt_f32_e64 s[4:5], |v56|, s27
	v_cndmask_b32_e64 v56, v56, v59, s[4:5]
	v_cndmask_b32_e64 v59, 0, v51, s[2:3]
	v_sub_f32_e32 v56, v56, v59
	v_fma_f32 v56, |v4|, v58, -v56
.LBB13_285:                             ;   in Loop: Header=BB13_177 Depth=1
	s_or_b64 exec, exec, s[6:7]
	v_cmp_le_f32_e64 s[2:3], 0, v4
	v_cmp_nle_f32_e64 s[4:5], 0, v4
	s_and_saveexec_b64 s[6:7], s[4:5]
	s_xor_b64 s[8:9], exec, s[6:7]
	s_cbranch_execz .LBB13_289
; %bb.286:                              ;   in Loop: Header=BB13_177 Depth=1
	v_cmp_lt_f32_e64 s[4:5], |v4|, s40
	v_cmp_gt_f32_e64 s[6:7], |v4|, s41
	s_and_b64 s[4:5], s[4:5], s[6:7]
	s_and_saveexec_b64 s[14:15], s[4:5]
	s_cbranch_execz .LBB13_288
; %bb.287:                              ;   in Loop: Header=BB13_177 Depth=1
	v_mul_f32_e64 v58, |v4|, 0.5
	v_floor_f32_e32 v59, v58
	v_sub_f32_e32 v59, v58, v59
	v_min_f32_e32 v59, 0x3f7fffff, v59
	v_add_f32_e32 v59, v59, v59
	v_cmp_neq_f32_e64 s[4:5], s27, v58
	v_cndmask_b32_e64 v58, 0, v59, s[4:5]
	v_cmp_gt_f32_e64 s[4:5], |v4|, 1.0
	v_cndmask_b32_e64 v58, |v4|, v58, s[4:5]
	v_add_f32_e32 v59, v58, v58
	v_rndne_f32_e32 v59, v59
	v_fmac_f32_e32 v58, -0.5, v59
	v_mul_f32_e32 v60, v58, v58
	v_mov_b32_e32 v61, 0xbf1f24be
	v_fmac_f32_e32 v61, 0x3e75aa41, v60
	v_fma_f32 v61, v60, v61, v45
	v_fma_f32 v61, v60, v61, v46
	v_mul_f32_e32 v62, v58, v60
	v_mul_f32_e32 v61, v62, v61
	v_fmac_f32_e32 v61, 0x40490fdb, v58
	v_mov_b32_e32 v58, 0x3e642e9d
	v_cvt_i32_f32_e32 v59, v59
	v_fmac_f32_e32 v58, 0x3d4be544, v60
	v_fma_f32 v58, v60, v58, v47
	v_fma_f32 v58, v60, v58, v48
	;; [unrolled: 1-line block ×3, first 2 shown]
	v_fma_f32 v58, v60, v58, 1.0
	v_and_b32_e32 v60, 1, v59
	v_lshlrev_b32_e32 v59, 30, v59
	v_cmp_eq_u32_e64 s[4:5], 0, v60
	v_and_b32_e32 v59, 0x80000000, v59
	v_xor_b32_e32 v57, v57, v4
	v_cndmask_b32_e64 v58, v58, v61, s[4:5]
	v_xor_b32_e32 v57, v57, v59
	v_xor_b32_e32 v57, v57, v58
	v_mul_f32_e32 v57, v4, v57
	v_frexp_mant_f32_e64 v58, |v57|
	v_rcp_f32_e32 v58, v58
	v_frexp_exp_i32_f32_e32 v57, v57
	v_sub_u32_e32 v57, 2, v57
	v_mul_f32_e32 v58, 0x3f490fdb, v58
	v_ldexp_f32 v57, v58, v57
	v_cmp_gt_f32_e64 s[4:5], s25, v57
	v_cndmask_b32_e64 v58, 0, 32, s[4:5]
	v_ldexp_f32 v57, v57, v58
	v_log_f32_e32 v57, v57
	v_mul_f32_e32 v58, 0x3f317217, v57
	v_fma_f32 v59, v57, s26, -v58
	v_fmac_f32_e32 v59, 0x3377d1cf, v57
	v_add_f32_e32 v58, v58, v59
	v_cmp_lt_f32_e64 s[6:7], |v57|, s27
	v_cndmask_b32_e64 v57, v57, v58, s[6:7]
	v_cndmask_b32_e64 v58, 0, v51, s[4:5]
	v_sub_f32_e32 v57, v57, v58
	v_sub_f32_e32 v56, v57, v56
	v_floor_f32_e32 v57, v4
	v_sub_f32_e32 v57, v4, v57
	v_min_f32_e32 v57, 0x3f7fffff, v57
	v_cmp_neq_f32_e64 s[4:5], 0, v57
	v_cndmask_b32_e64 v56, v53, v56, s[4:5]
.LBB13_288:                             ;   in Loop: Header=BB13_177 Depth=1
	s_or_b64 exec, exec, s[14:15]
.LBB13_289:                             ;   in Loop: Header=BB13_177 Depth=1
	s_andn2_saveexec_b64 s[8:9], s[8:9]
; %bb.290:                              ;   in Loop: Header=BB13_177 Depth=1
	v_cmp_eq_f32_e64 s[4:5], 1.0, v4
	v_cmp_eq_f32_e64 s[6:7], 2.0, v4
	s_or_b64 s[4:5], s[4:5], s[6:7]
	v_cndmask_b32_e64 v56, v56, 0, s[4:5]
; %bb.291:                              ;   in Loop: Header=BB13_177 Depth=1
	s_or_b64 exec, exec, s[8:9]
	v_and_b32_e32 v57, 0x7fffffff, v5
	v_cmp_nlt_f32_e64 s[4:5], |v5|, s21
                                        ; implicit-def: $vgpr58
	s_and_saveexec_b64 s[6:7], s[4:5]
	s_xor_b64 s[8:9], exec, s[6:7]
	s_cbranch_execz .LBB13_321
; %bb.292:                              ;   in Loop: Header=BB13_177 Depth=1
	v_cmp_nlt_f32_e64 s[4:5], |v5|, 2.0
                                        ; implicit-def: $vgpr58
	s_and_saveexec_b64 s[6:7], s[4:5]
	s_xor_b64 s[14:15], exec, s[6:7]
	s_cbranch_execz .LBB13_302
; %bb.293:                              ;   in Loop: Header=BB13_177 Depth=1
	v_cmp_nlt_f32_e64 s[4:5], |v5|, s22
                                        ; implicit-def: $vgpr58
	s_and_saveexec_b64 s[6:7], s[4:5]
	s_xor_b64 s[16:17], exec, s[6:7]
	s_cbranch_execz .LBB13_299
; %bb.294:                              ;   in Loop: Header=BB13_177 Depth=1
	v_cmp_nlt_f32_e64 s[4:5], |v5|, s23
                                        ; implicit-def: $vgpr58
	s_and_saveexec_b64 s[6:7], s[4:5]
	s_xor_b64 s[18:19], exec, s[6:7]
	s_cbranch_execz .LBB13_296
; %bb.295:                              ;   in Loop: Header=BB13_177 Depth=1
	v_cmp_lt_f32_e64 s[4:5], |v5|, s25
	v_cndmask_b32_e64 v58, 0, 32, s[4:5]
	v_ldexp_f32 v58, |v5|, v58
	v_log_f32_e32 v58, v58
	v_mul_f32_e32 v59, 0x3f317217, v58
	v_fma_f32 v60, v58, s26, -v59
	v_fmac_f32_e32 v60, 0x3377d1cf, v58
	v_add_f32_e32 v59, v59, v60
	v_cmp_lt_f32_e64 s[6:7], |v58|, s27
	v_cndmask_b32_e64 v58, v58, v59, s[6:7]
	v_cndmask_b32_e64 v59, 0, v51, s[4:5]
	v_sub_f32_e32 v58, v58, v59
	v_fma_f32 v58, |v5|, v58, -|v5|
.LBB13_296:                             ;   in Loop: Header=BB13_177 Depth=1
	s_andn2_saveexec_b64 s[18:19], s[18:19]
	s_cbranch_execz .LBB13_298
; %bb.297:                              ;   in Loop: Header=BB13_177 Depth=1
	v_rcp_f32_e64 v58, |v5|
	v_cmp_lt_f32_e64 s[4:5], |v5|, s25
	v_cndmask_b32_e64 v60, 0, 32, s[4:5]
	v_mov_b32_e32 v59, 0x3a5b3dd2
	v_mul_f32_e32 v61, v58, v58
	v_ldexp_f32 v60, |v5|, v60
	v_fmac_f32_e32 v59, 0xbad5c4e8, v61
	v_log_f32_e32 v60, v60
	v_fma_f32 v59, v61, v59, v8
	v_fma_f32 v59, v61, v59, v9
	;; [unrolled: 1-line block ×4, first 2 shown]
	v_mul_f32_e32 v61, 0x3f317217, v60
	v_fma_f32 v62, v60, s26, -v61
	v_fmac_f32_e32 v62, 0x3377d1cf, v60
	v_add_f32_e32 v61, v61, v62
	v_cmp_lt_f32_e64 s[6:7], |v60|, s27
	v_cndmask_b32_e64 v60, v60, v61, s[6:7]
	v_cndmask_b32_e64 v61, 0, v51, s[4:5]
	v_sub_f32_e32 v60, v60, v61
	v_fma_f32 v58, v58, v59, v12
	v_add_f32_e64 v59, |v5|, -0.5
	v_add_f32_e32 v60, -1.0, v60
	v_fmac_f32_e32 v58, v59, v60
.LBB13_298:                             ;   in Loop: Header=BB13_177 Depth=1
	s_or_b64 exec, exec, s[18:19]
.LBB13_299:                             ;   in Loop: Header=BB13_177 Depth=1
	s_andn2_saveexec_b64 s[16:17], s[16:17]
	s_cbranch_execz .LBB13_301
; %bb.300:                              ;   in Loop: Header=BB13_177 Depth=1
	v_cvt_i32_f32_e32 v58, v57
	v_mov_b32_e32 v61, 0x3a4beed6
	v_mov_b32_e32 v60, 0x3af135b4
	v_cvt_f32_i32_e32 v59, v58
	v_cmp_lt_i32_e64 s[4:5], 2, v58
	v_sub_f32_e64 v59, |v5|, v59
	v_add_f32_e32 v62, 2.0, v59
	v_add_f32_e32 v63, 0x40400000, v59
	v_cndmask_b32_e64 v62, 1.0, v62, s[4:5]
	v_cmp_lt_i32_e64 s[4:5], 3, v58
	v_add_f32_e32 v64, 4.0, v59
	v_cndmask_b32_e64 v63, 1.0, v63, s[4:5]
	v_cmp_lt_i32_e64 s[4:5], 4, v58
	v_fmac_f32_e32 v61, 0x36f5d7bd, v59
	v_add_f32_e32 v65, 0x40a00000, v59
	v_mul_f32_e32 v62, v62, v63
	v_cndmask_b32_e64 v63, 1.0, v64, s[4:5]
	v_cmp_lt_i32_e64 s[4:5], 5, v58
	v_fma_f32 v61, v59, v61, v18
	v_add_f32_e32 v66, 0x40c00000, v59
	v_mul_f32_e32 v62, v63, v62
	v_cndmask_b32_e64 v63, 1.0, v65, s[4:5]
	v_cmp_lt_i32_e64 s[4:5], 6, v58
	v_fma_f32 v61, v59, v61, v19
	v_mul_f32_e32 v62, v63, v62
	v_cndmask_b32_e64 v58, 1.0, v66, s[4:5]
	v_fmac_f32_e32 v60, 0x3805ff67, v59
	v_fma_f32 v61, v59, v61, v20
	v_mul_f32_e32 v58, v58, v62
	v_fma_f32 v60, v59, v60, v13
	v_fma_f32 v61, v59, v61, v21
	v_cmp_gt_f32_e64 s[4:5], s25, v58
	v_fma_f32 v60, v59, v60, v14
	v_fma_f32 v61, v59, v61, 1.0
	v_cndmask_b32_e64 v62, 0, 32, s[4:5]
	v_fma_f32 v60, v59, v60, v15
	v_rcp_f32_e32 v61, v61
	v_ldexp_f32 v58, v58, v62
	v_fma_f32 v60, v59, v60, v16
	v_log_f32_e32 v58, v58
	v_fma_f32 v60, v59, v60, v17
	v_mul_f32_e32 v60, v59, v60
	v_mul_f32_e32 v60, v60, v61
	v_fmac_f32_e32 v60, 0.5, v59
	v_mul_f32_e32 v59, 0x3f317217, v58
	v_fma_f32 v61, v58, s26, -v59
	v_fmac_f32_e32 v61, 0x3377d1cf, v58
	v_add_f32_e32 v59, v59, v61
	v_cmp_lt_f32_e64 s[6:7], |v58|, s27
	v_cndmask_b32_e64 v58, v58, v59, s[6:7]
	v_cndmask_b32_e64 v59, 0, v51, s[4:5]
	v_sub_f32_e32 v58, v58, v59
	v_add_f32_e32 v58, v58, v60
.LBB13_301:                             ;   in Loop: Header=BB13_177 Depth=1
	s_or_b64 exec, exec, s[16:17]
.LBB13_302:                             ;   in Loop: Header=BB13_177 Depth=1
	s_andn2_saveexec_b64 s[6:7], s[14:15]
	s_cbranch_execz .LBB13_320
; %bb.303:                              ;   in Loop: Header=BB13_177 Depth=1
	v_cmp_le_f32_e64 s[4:5], |v5|, s28
                                        ; implicit-def: $vgpr58
                                        ; implicit-def: $vgpr60
                                        ; implicit-def: $vgpr59
	s_and_saveexec_b64 s[14:15], s[4:5]
	s_xor_b64 s[14:15], exec, s[14:15]
	s_cbranch_execz .LBB13_305
; %bb.304:                              ;   in Loop: Header=BB13_177 Depth=1
	v_cmp_lt_f32_e64 s[4:5], |v5|, s25
	v_cndmask_b32_e64 v58, 0, 32, s[4:5]
	v_ldexp_f32 v58, |v5|, v58
	v_log_f32_e32 v58, v58
	v_cndmask_b32_e64 v59, 0, v51, s[4:5]
	v_mul_f32_e32 v60, 0x3f317217, v58
	v_fma_f32 v61, v58, s26, -v60
	v_fmac_f32_e32 v61, 0x3377d1cf, v58
	v_add_f32_e32 v60, v60, v61
	v_cmp_lt_f32_e64 s[4:5], |v58|, s27
	v_cndmask_b32_e64 v58, v58, v60, s[4:5]
	v_sub_f32_e32 v58, v58, v59
	v_sub_f32_e64 v59, 1.0, |v5|
	v_add_f32_e64 v60, |v5|, s30
	v_cmp_lt_f32_e64 s[4:5], |v5|, s29
	v_cndmask_b32_e64 v59, v59, v60, s[4:5]
	v_cndmask_b32_e64 v60, 0, 1, s[4:5]
	v_cmp_lt_f32_e64 s[4:5], |v5|, s31
	v_xor_b32_e32 v58, 0x80000000, v58
	v_cndmask_b32_e64 v59, v59, |v5|, s[4:5]
	v_cndmask_b32_e64 v60, v60, 2, s[4:5]
.LBB13_305:                             ;   in Loop: Header=BB13_177 Depth=1
	s_andn2_saveexec_b64 s[14:15], s[14:15]
	s_cbranch_execz .LBB13_307
; %bb.306:                              ;   in Loop: Header=BB13_177 Depth=1
	v_sub_f32_e64 v58, 2.0, |v5|
	v_add_f32_e64 v59, |v5|, s34
	v_cmp_lt_f32_e64 s[4:5], |v5|, s33
	v_cndmask_b32_e64 v59, v58, v59, s[4:5]
	v_cndmask_b32_e64 v58, v58, 1.0, s[4:5]
	v_cvt_i32_f32_e32 v58, v58
	v_add_f32_e64 v60, |v5|, -1.0
	v_cmp_lt_f32_e64 s[4:5], |v5|, s35
	v_cndmask_b32_e64 v59, v59, v60, s[4:5]
	v_cndmask_b32_e64 v60, v58, 2, s[4:5]
	v_mov_b32_e32 v58, 0
.LBB13_307:                             ;   in Loop: Header=BB13_177 Depth=1
	s_or_b64 exec, exec, s[14:15]
	v_cmp_lt_i32_e64 s[4:5], 0, v60
	s_and_saveexec_b64 s[14:15], s[4:5]
	s_xor_b64 s[14:15], exec, s[14:15]
	s_cbranch_execz .LBB13_315
; %bb.308:                              ;   in Loop: Header=BB13_177 Depth=1
	v_cmp_lt_i32_e64 s[4:5], 1, v60
	s_and_saveexec_b64 s[16:17], s[4:5]
	s_xor_b64 s[16:17], exec, s[16:17]
	s_cbranch_execz .LBB13_312
; %bb.309:                              ;   in Loop: Header=BB13_177 Depth=1
	v_cmp_eq_u32_e64 s[4:5], 2, v60
	s_and_saveexec_b64 s[18:19], s[4:5]
	s_cbranch_execz .LBB13_311
; %bb.310:                              ;   in Loop: Header=BB13_177 Depth=1
	v_mov_b32_e32 v61, 0x3dd572af
	v_fmac_f32_e32 v61, 0x3b52d5db, v59
	v_fma_f32 v61, v59, v61, v25
	v_mov_b32_e32 v60, 0x3e6a7578
	v_fma_f32 v61, v59, v61, v26
	v_fmac_f32_e32 v60, 0x3c5b3c5e, v59
	v_fma_f32 v61, v59, v61, v27
	v_fma_f32 v60, v59, v60, v22
	v_fma_f32 v61, v59, v61, 1.0
	v_fma_f32 v60, v59, v60, v23
	v_rcp_f32_e32 v61, v61
	v_fma_f32 v60, v59, v60, v24
	v_fma_f32 v60, v59, v60, v17
	v_mul_f32_e32 v60, v59, v60
	v_mul_f32_e32 v60, v60, v61
	v_fmac_f32_e32 v60, -0.5, v59
	v_add_f32_e32 v58, v58, v60
.LBB13_311:                             ;   in Loop: Header=BB13_177 Depth=1
	s_or_b64 exec, exec, s[18:19]
                                        ; implicit-def: $vgpr59
.LBB13_312:                             ;   in Loop: Header=BB13_177 Depth=1
	s_andn2_saveexec_b64 s[4:5], s[16:17]
	s_cbranch_execz .LBB13_314
; %bb.313:                              ;   in Loop: Header=BB13_177 Depth=1
	v_mul_f32_e32 v60, v59, v59
	v_mul_f32_e32 v61, v59, v60
	v_mov_b32_e32 v63, 0x3a66f867
	v_mov_b32_e32 v64, 0xba0d3085
	v_fmac_f32_e32 v63, 0xb9a3f927, v61
	v_fmac_f32_e32 v64, 0x39afe9f7, v61
	v_mov_b32_e32 v62, 0xbab7f476
	v_fma_f32 v63, v61, v63, v31
	v_fma_f32 v64, v61, v64, v34
	v_fmac_f32_e32 v62, 0x39a57b6b, v61
	v_fma_f32 v63, v61, v63, v32
	v_fma_f32 v64, v61, v64, v35
	v_fma_f32 v62, v61, v62, v28
	v_fma_f32 v63, v61, v63, v33
	v_fma_f32 v64, v61, v64, v36
	v_fma_f32 v62, v61, v62, v29
	v_fmac_f32_e32 v63, v59, v64
	v_fma_f32 v62, v61, v62, v30
	v_fma_f32 v59, v61, -v63, s36
	v_fma_f32 v59, v60, v62, -v59
	v_add_f32_e32 v59, 0xbdf8cdce, v59
	v_add_f32_e32 v58, v58, v59
.LBB13_314:                             ;   in Loop: Header=BB13_177 Depth=1
	s_or_b64 exec, exec, s[4:5]
                                        ; implicit-def: $vgpr60
                                        ; implicit-def: $vgpr59
.LBB13_315:                             ;   in Loop: Header=BB13_177 Depth=1
	s_andn2_saveexec_b64 s[14:15], s[14:15]
	s_cbranch_execz .LBB13_319
; %bb.316:                              ;   in Loop: Header=BB13_177 Depth=1
	v_cmp_eq_u32_e64 s[4:5], 0, v60
	s_and_saveexec_b64 s[16:17], s[4:5]
	s_cbranch_execz .LBB13_318
; %bb.317:                              ;   in Loop: Header=BB13_177 Depth=1
	v_mul_f32_e32 v60, v59, v59
	v_mov_b32_e32 v62, 0x38e28445
	v_mov_b32_e32 v61, 0x39679767
	v_fmac_f32_e32 v62, 0x383c2c75, v60
	v_fmac_f32_e32 v61, 0x37d383a2, v60
	v_fma_f32 v62, v60, v62, v41
	v_fma_f32 v61, v60, v61, v37
	;; [unrolled: 1-line block ×8, first 2 shown]
	v_mul_f32_e32 v60, v60, v62
	v_fmac_f32_e32 v60, v59, v61
	v_fmac_f32_e32 v60, -0.5, v59
	v_add_f32_e32 v58, v58, v60
.LBB13_318:                             ;   in Loop: Header=BB13_177 Depth=1
	s_or_b64 exec, exec, s[16:17]
.LBB13_319:                             ;   in Loop: Header=BB13_177 Depth=1
	s_or_b64 exec, exec, s[14:15]
.LBB13_320:                             ;   in Loop: Header=BB13_177 Depth=1
	s_or_b64 exec, exec, s[6:7]
.LBB13_321:                             ;   in Loop: Header=BB13_177 Depth=1
	s_andn2_saveexec_b64 s[8:9], s[8:9]
	s_cbranch_execz .LBB13_323
; %bb.322:                              ;   in Loop: Header=BB13_177 Depth=1
	v_cmp_lt_f32_e64 s[4:5], |v5|, s25
	v_cndmask_b32_e64 v58, 0, 32, s[4:5]
	v_ldexp_f32 v58, |v5|, v58
	v_log_f32_e32 v58, v58
	v_fma_f32 v59, |v5|, s37, v52
	v_fma_f32 v59, |v5|, v59, s38
	;; [unrolled: 1-line block ×3, first 2 shown]
	v_mul_f32_e32 v60, 0x3f317217, v58
	v_fma_f32 v61, v58, s26, -v60
	v_fmac_f32_e32 v61, 0x3377d1cf, v58
	v_add_f32_e32 v60, v60, v61
	v_cmp_lt_f32_e64 s[6:7], |v58|, s27
	v_cndmask_b32_e64 v58, v58, v60, s[6:7]
	v_cndmask_b32_e64 v60, 0, v51, s[4:5]
	v_sub_f32_e32 v58, v58, v60
	v_fma_f32 v58, |v5|, v59, -v58
.LBB13_323:                             ;   in Loop: Header=BB13_177 Depth=1
	s_or_b64 exec, exec, s[8:9]
	v_cmp_le_f32_e64 s[4:5], 0, v5
	v_cmp_nle_f32_e64 s[6:7], 0, v5
	s_and_saveexec_b64 s[8:9], s[6:7]
	s_xor_b64 s[14:15], exec, s[8:9]
	s_cbranch_execz .LBB13_327
; %bb.324:                              ;   in Loop: Header=BB13_177 Depth=1
	v_cmp_lt_f32_e64 s[6:7], |v5|, s40
	v_cmp_gt_f32_e64 s[8:9], |v5|, s41
	s_and_b64 s[6:7], s[6:7], s[8:9]
	s_and_saveexec_b64 s[16:17], s[6:7]
	s_cbranch_execz .LBB13_326
; %bb.325:                              ;   in Loop: Header=BB13_177 Depth=1
	v_mul_f32_e64 v59, |v5|, 0.5
	v_floor_f32_e32 v60, v59
	v_sub_f32_e32 v60, v59, v60
	v_min_f32_e32 v60, 0x3f7fffff, v60
	v_add_f32_e32 v60, v60, v60
	v_cmp_neq_f32_e64 s[6:7], s27, v59
	v_cndmask_b32_e64 v59, 0, v60, s[6:7]
	v_cmp_gt_f32_e64 s[6:7], |v5|, 1.0
	v_cndmask_b32_e64 v59, |v5|, v59, s[6:7]
	v_add_f32_e32 v60, v59, v59
	v_rndne_f32_e32 v60, v60
	v_fmac_f32_e32 v59, -0.5, v60
	v_mul_f32_e32 v61, v59, v59
	v_mov_b32_e32 v62, 0xbf1f24be
	v_fmac_f32_e32 v62, 0x3e75aa41, v61
	v_fma_f32 v62, v61, v62, v45
	v_fma_f32 v62, v61, v62, v46
	v_mul_f32_e32 v63, v59, v61
	v_mul_f32_e32 v62, v63, v62
	v_fmac_f32_e32 v62, 0x40490fdb, v59
	v_mov_b32_e32 v59, 0x3e642e9d
	v_cvt_i32_f32_e32 v60, v60
	v_fmac_f32_e32 v59, 0x3d4be544, v61
	v_fma_f32 v59, v61, v59, v47
	v_fma_f32 v59, v61, v59, v48
	;; [unrolled: 1-line block ×3, first 2 shown]
	v_fma_f32 v59, v61, v59, 1.0
	v_and_b32_e32 v61, 1, v60
	v_lshlrev_b32_e32 v60, 30, v60
	v_cmp_eq_u32_e64 s[6:7], 0, v61
	v_and_b32_e32 v60, 0x80000000, v60
	v_xor_b32_e32 v57, v57, v5
	v_cndmask_b32_e64 v59, v59, v62, s[6:7]
	v_xor_b32_e32 v57, v57, v60
	v_xor_b32_e32 v57, v57, v59
	v_mul_f32_e32 v57, v5, v57
	v_frexp_mant_f32_e64 v59, |v57|
	v_rcp_f32_e32 v59, v59
	v_frexp_exp_i32_f32_e32 v57, v57
	v_sub_u32_e32 v57, 2, v57
	v_mul_f32_e32 v59, 0x3f490fdb, v59
	v_ldexp_f32 v57, v59, v57
	v_cmp_gt_f32_e64 s[6:7], s25, v57
	v_cndmask_b32_e64 v59, 0, 32, s[6:7]
	v_ldexp_f32 v57, v57, v59
	v_log_f32_e32 v57, v57
	v_mul_f32_e32 v59, 0x3f317217, v57
	v_fma_f32 v60, v57, s26, -v59
	v_fmac_f32_e32 v60, 0x3377d1cf, v57
	v_add_f32_e32 v59, v59, v60
	v_cmp_lt_f32_e64 s[8:9], |v57|, s27
	v_cndmask_b32_e64 v57, v57, v59, s[8:9]
	v_cndmask_b32_e64 v59, 0, v51, s[6:7]
	v_sub_f32_e32 v57, v57, v59
	v_sub_f32_e32 v57, v57, v58
	v_floor_f32_e32 v58, v5
	v_sub_f32_e32 v58, v5, v58
	v_min_f32_e32 v58, 0x3f7fffff, v58
	v_cmp_neq_f32_e64 s[6:7], 0, v58
	v_cndmask_b32_e64 v58, v53, v57, s[6:7]
.LBB13_326:                             ;   in Loop: Header=BB13_177 Depth=1
	s_or_b64 exec, exec, s[16:17]
.LBB13_327:                             ;   in Loop: Header=BB13_177 Depth=1
	s_andn2_saveexec_b64 s[14:15], s[14:15]
	s_cbranch_execz .LBB13_176
; %bb.328:                              ;   in Loop: Header=BB13_177 Depth=1
	v_cmp_eq_f32_e64 s[6:7], 1.0, v5
	v_cmp_eq_f32_e64 s[8:9], 2.0, v5
	s_or_b64 s[6:7], s[6:7], s[8:9]
	v_cndmask_b32_e64 v58, v58, 0, s[6:7]
	s_branch .LBB13_176
.LBB13_329:
	s_endpgm
	.section	.rodata,"a",@progbits
	.p2align	6, 0x0
	.amdhsa_kernel _ZN2at6native12_GLOBAL__N_125multi_tensor_apply_kernelINS1_18TensorListMetadataILi1EEENS1_14UnaryOpFunctorIfLi1ELi1ELi0EEEJNS0_6LgammaIfEEEEEvT_T0_DpT1_
		.amdhsa_group_segment_fixed_size 0
		.amdhsa_private_segment_fixed_size 0
		.amdhsa_kernarg_size 3632
		.amdhsa_user_sgpr_count 6
		.amdhsa_user_sgpr_private_segment_buffer 1
		.amdhsa_user_sgpr_dispatch_ptr 0
		.amdhsa_user_sgpr_queue_ptr 0
		.amdhsa_user_sgpr_kernarg_segment_ptr 1
		.amdhsa_user_sgpr_dispatch_id 0
		.amdhsa_user_sgpr_flat_scratch_init 0
		.amdhsa_user_sgpr_private_segment_size 0
		.amdhsa_uses_dynamic_stack 0
		.amdhsa_system_sgpr_private_segment_wavefront_offset 0
		.amdhsa_system_sgpr_workgroup_id_x 1
		.amdhsa_system_sgpr_workgroup_id_y 0
		.amdhsa_system_sgpr_workgroup_id_z 0
		.amdhsa_system_sgpr_workgroup_info 0
		.amdhsa_system_vgpr_workitem_id 0
		.amdhsa_next_free_vgpr 74
		.amdhsa_next_free_sgpr 62
		.amdhsa_reserve_vcc 1
		.amdhsa_reserve_flat_scratch 0
		.amdhsa_float_round_mode_32 0
		.amdhsa_float_round_mode_16_64 0
		.amdhsa_float_denorm_mode_32 3
		.amdhsa_float_denorm_mode_16_64 3
		.amdhsa_dx10_clamp 1
		.amdhsa_ieee_mode 1
		.amdhsa_fp16_overflow 0
		.amdhsa_exception_fp_ieee_invalid_op 0
		.amdhsa_exception_fp_denorm_src 0
		.amdhsa_exception_fp_ieee_div_zero 0
		.amdhsa_exception_fp_ieee_overflow 0
		.amdhsa_exception_fp_ieee_underflow 0
		.amdhsa_exception_fp_ieee_inexact 0
		.amdhsa_exception_int_div_zero 0
	.end_amdhsa_kernel
	.section	.text._ZN2at6native12_GLOBAL__N_125multi_tensor_apply_kernelINS1_18TensorListMetadataILi1EEENS1_14UnaryOpFunctorIfLi1ELi1ELi0EEEJNS0_6LgammaIfEEEEEvT_T0_DpT1_,"axG",@progbits,_ZN2at6native12_GLOBAL__N_125multi_tensor_apply_kernelINS1_18TensorListMetadataILi1EEENS1_14UnaryOpFunctorIfLi1ELi1ELi0EEEJNS0_6LgammaIfEEEEEvT_T0_DpT1_,comdat
.Lfunc_end13:
	.size	_ZN2at6native12_GLOBAL__N_125multi_tensor_apply_kernelINS1_18TensorListMetadataILi1EEENS1_14UnaryOpFunctorIfLi1ELi1ELi0EEEJNS0_6LgammaIfEEEEEvT_T0_DpT1_, .Lfunc_end13-_ZN2at6native12_GLOBAL__N_125multi_tensor_apply_kernelINS1_18TensorListMetadataILi1EEENS1_14UnaryOpFunctorIfLi1ELi1ELi0EEEJNS0_6LgammaIfEEEEEvT_T0_DpT1_
                                        ; -- End function
	.set _ZN2at6native12_GLOBAL__N_125multi_tensor_apply_kernelINS1_18TensorListMetadataILi1EEENS1_14UnaryOpFunctorIfLi1ELi1ELi0EEEJNS0_6LgammaIfEEEEEvT_T0_DpT1_.num_vgpr, 74
	.set _ZN2at6native12_GLOBAL__N_125multi_tensor_apply_kernelINS1_18TensorListMetadataILi1EEENS1_14UnaryOpFunctorIfLi1ELi1ELi0EEEJNS0_6LgammaIfEEEEEvT_T0_DpT1_.num_agpr, 0
	.set _ZN2at6native12_GLOBAL__N_125multi_tensor_apply_kernelINS1_18TensorListMetadataILi1EEENS1_14UnaryOpFunctorIfLi1ELi1ELi0EEEJNS0_6LgammaIfEEEEEvT_T0_DpT1_.numbered_sgpr, 62
	.set _ZN2at6native12_GLOBAL__N_125multi_tensor_apply_kernelINS1_18TensorListMetadataILi1EEENS1_14UnaryOpFunctorIfLi1ELi1ELi0EEEJNS0_6LgammaIfEEEEEvT_T0_DpT1_.num_named_barrier, 0
	.set _ZN2at6native12_GLOBAL__N_125multi_tensor_apply_kernelINS1_18TensorListMetadataILi1EEENS1_14UnaryOpFunctorIfLi1ELi1ELi0EEEJNS0_6LgammaIfEEEEEvT_T0_DpT1_.private_seg_size, 0
	.set _ZN2at6native12_GLOBAL__N_125multi_tensor_apply_kernelINS1_18TensorListMetadataILi1EEENS1_14UnaryOpFunctorIfLi1ELi1ELi0EEEJNS0_6LgammaIfEEEEEvT_T0_DpT1_.uses_vcc, 1
	.set _ZN2at6native12_GLOBAL__N_125multi_tensor_apply_kernelINS1_18TensorListMetadataILi1EEENS1_14UnaryOpFunctorIfLi1ELi1ELi0EEEJNS0_6LgammaIfEEEEEvT_T0_DpT1_.uses_flat_scratch, 0
	.set _ZN2at6native12_GLOBAL__N_125multi_tensor_apply_kernelINS1_18TensorListMetadataILi1EEENS1_14UnaryOpFunctorIfLi1ELi1ELi0EEEJNS0_6LgammaIfEEEEEvT_T0_DpT1_.has_dyn_sized_stack, 0
	.set _ZN2at6native12_GLOBAL__N_125multi_tensor_apply_kernelINS1_18TensorListMetadataILi1EEENS1_14UnaryOpFunctorIfLi1ELi1ELi0EEEJNS0_6LgammaIfEEEEEvT_T0_DpT1_.has_recursion, 0
	.set _ZN2at6native12_GLOBAL__N_125multi_tensor_apply_kernelINS1_18TensorListMetadataILi1EEENS1_14UnaryOpFunctorIfLi1ELi1ELi0EEEJNS0_6LgammaIfEEEEEvT_T0_DpT1_.has_indirect_call, 0
	.section	.AMDGPU.csdata,"",@progbits
; Kernel info:
; codeLenInByte = 19104
; TotalNumSgprs: 66
; NumVgprs: 74
; ScratchSize: 0
; MemoryBound: 0
; FloatMode: 240
; IeeeMode: 1
; LDSByteSize: 0 bytes/workgroup (compile time only)
; SGPRBlocks: 8
; VGPRBlocks: 18
; NumSGPRsForWavesPerEU: 66
; NumVGPRsForWavesPerEU: 74
; Occupancy: 3
; WaveLimiterHint : 0
; COMPUTE_PGM_RSRC2:SCRATCH_EN: 0
; COMPUTE_PGM_RSRC2:USER_SGPR: 6
; COMPUTE_PGM_RSRC2:TRAP_HANDLER: 0
; COMPUTE_PGM_RSRC2:TGID_X_EN: 1
; COMPUTE_PGM_RSRC2:TGID_Y_EN: 0
; COMPUTE_PGM_RSRC2:TGID_Z_EN: 0
; COMPUTE_PGM_RSRC2:TIDIG_COMP_CNT: 0
	.section	.text._ZN2at6native12_GLOBAL__N_125multi_tensor_apply_kernelINS1_18TensorListMetadataILi1EEENS1_14UnaryOpFunctorIN3c104HalfELi1ELi1ELi0EEEJNS0_6LgammaIfEEEEEvT_T0_DpT1_,"axG",@progbits,_ZN2at6native12_GLOBAL__N_125multi_tensor_apply_kernelINS1_18TensorListMetadataILi1EEENS1_14UnaryOpFunctorIN3c104HalfELi1ELi1ELi0EEEJNS0_6LgammaIfEEEEEvT_T0_DpT1_,comdat
	.globl	_ZN2at6native12_GLOBAL__N_125multi_tensor_apply_kernelINS1_18TensorListMetadataILi1EEENS1_14UnaryOpFunctorIN3c104HalfELi1ELi1ELi0EEEJNS0_6LgammaIfEEEEEvT_T0_DpT1_ ; -- Begin function _ZN2at6native12_GLOBAL__N_125multi_tensor_apply_kernelINS1_18TensorListMetadataILi1EEENS1_14UnaryOpFunctorIN3c104HalfELi1ELi1ELi0EEEJNS0_6LgammaIfEEEEEvT_T0_DpT1_
	.p2align	8
	.type	_ZN2at6native12_GLOBAL__N_125multi_tensor_apply_kernelINS1_18TensorListMetadataILi1EEENS1_14UnaryOpFunctorIN3c104HalfELi1ELi1ELi0EEEJNS0_6LgammaIfEEEEEvT_T0_DpT1_,@function
_ZN2at6native12_GLOBAL__N_125multi_tensor_apply_kernelINS1_18TensorListMetadataILi1EEENS1_14UnaryOpFunctorIN3c104HalfELi1ELi1ELi0EEEJNS0_6LgammaIfEEEEEvT_T0_DpT1_: ; @_ZN2at6native12_GLOBAL__N_125multi_tensor_apply_kernelINS1_18TensorListMetadataILi1EEENS1_14UnaryOpFunctorIN3c104HalfELi1ELi1ELi0EEEJNS0_6LgammaIfEEEEEvT_T0_DpT1_
; %bb.0:
	v_mov_b32_e32 v1, s6
	global_load_ubyte v1, v1, s[4:5] offset:1760
	s_add_u32 s0, s4, s6
	s_mul_hi_u32 s1, s6, 3
	s_mul_i32 s6, s6, 3
	s_addc_u32 s2, s5, 0
	s_add_u32 s0, s0, s6
	s_addc_u32 s1, s2, s1
	s_load_dword s0, s[0:1], 0x820
	s_mov_b32 s7, 0
	s_waitcnt vmcnt(0)
	v_readfirstlane_b32 s1, v1
	s_lshl_b32 s1, s1, 3
	s_load_dwordx2 s[2:3], s[4:5], s1 offset:0x370
	s_load_dwordx2 s[20:21], s[4:5], s1 offset:0x0
	s_waitcnt lgkmcnt(0)
	s_ashr_i32 s1, s0, 31
	s_lshl_b64 s[22:23], s[0:1], 17
	s_lshl_b64 s[0:1], s[0:1], 16
	s_and_b32 s6, s20, 7
	s_sub_u32 s24, s2, s0
	s_subb_u32 s25, s3, s1
	s_and_b32 s0, s2, 3
	s_mov_b32 s1, s7
	s_or_b64 s[0:1], s[6:7], s[0:1]
	s_cmp_eq_u64 s[0:1], 0
	s_cbranch_scc1 .LBB14_173
; %bb.1:
	v_cmp_lt_i64_e64 s[0:1], s[24:25], 1
	s_and_b64 vcc, exec, s[0:1]
	s_cbranch_vccnz .LBB14_172
; %bb.2:
	v_mov_b32_e32 v1, 0x10000
	s_load_dword s2, s[4:5], 0xd3c
	v_mov_b32_e32 v2, 0
	v_cmp_lt_i64_e32 vcc, s[24:25], v[1:2]
	s_mov_b64 s[30:31], 0
	s_and_b64 s[0:1], vcc, exec
	v_cmp_lt_u64_e32 vcc, s[24:25], v[1:2]
	s_cselect_b32 s27, s25, 0
	s_cselect_b32 s26, s24, 0x10000
	s_waitcnt lgkmcnt(0)
	s_and_b32 s2, s2, 0xffff
	s_and_b64 s[0:1], vcc, exec
	s_cselect_b32 s29, s25, 0
	s_cselect_b32 s28, s24, 0x10000
	s_lshl_b32 s3, s2, 1
	s_lshl_b32 s33, s2, 2
	s_add_u32 s6, s20, s22
	v_lshlrev_b32_e32 v1, 1, v0
	s_addc_u32 s7, s21, s23
	v_mov_b32_e32 v2, s7
	v_add_co_u32_e32 v1, vcc, s6, v1
	s_mul_i32 s0, s2, 3
	v_addc_co_u32_e32 v2, vcc, 0, v2, vcc
	v_add_co_u32_e32 v5, vcc, s0, v0
	v_addc_co_u32_e64 v6, s[0:1], 0, 0, vcc
	v_add_co_u32_e32 v7, vcc, s3, v0
	v_addc_co_u32_e64 v8, s[0:1], 0, 0, vcc
	v_add_co_u32_e32 v9, vcc, s2, v0
	v_lshlrev_b32_e32 v3, 1, v9
	v_addc_co_u32_e64 v10, s[0:1], 0, 0, vcc
	v_mov_b32_e32 v4, s7
	v_add_co_u32_e32 v3, vcc, s6, v3
	s_lshl_b32 s40, s2, 3
	s_mul_i32 s41, s2, 6
	v_addc_co_u32_e32 v4, vcc, 0, v4, vcc
	s_mov_b32 s42, 0x3c800000
	s_mov_b32 s43, 0x41000000
	;; [unrolled: 1-line block ×6, first 2 shown]
	v_mov_b32_e32 v11, 0xba1c065c
	v_mov_b32_e32 v12, 0x3a500cfd
	;; [unrolled: 1-line block ×8, first 2 shown]
	s_mov_b32 s48, 0x3f666666
	s_mov_b32 s49, 0x3f3b4a23
	;; [unrolled: 1-line block ×13, first 2 shown]
	v_mov_b32_e32 v19, 0x3e5c245a
	v_mov_b32_e32 v20, 0xbd9e233f
	;; [unrolled: 1-line block ×39, first 2 shown]
	s_branch .LBB14_4
.LBB14_3:                               ;   in Loop: Header=BB14_4 Depth=1
	s_or_b64 exec, exec, s[0:1]
	s_add_u32 s30, s30, s33
	v_add_co_u32_e32 v1, vcc, s40, v1
	v_mov_b32_e32 v59, s27
	s_addc_u32 s31, s31, 0
	v_addc_co_u32_e32 v2, vcc, 0, v2, vcc
	v_mov_b32_e32 v58, s26
	v_cmp_ge_i64_e32 vcc, s[30:31], v[58:59]
	v_add_co_u32_e64 v3, s[0:1], s40, v3
	v_addc_co_u32_e64 v4, s[0:1], 0, v4, s[0:1]
	s_cbranch_vccnz .LBB14_172
.LBB14_4:                               ; =>This Inner Loop Header: Depth=1
	v_mov_b32_e32 v59, s31
	v_add_co_u32_e32 v58, vcc, s30, v0
	v_addc_co_u32_e32 v59, vcc, 0, v59, vcc
	v_cmp_gt_u64_e64 s[6:7], s[28:29], v[58:59]
	v_mov_b32_e32 v61, 0
	s_and_saveexec_b64 s[0:1], s[6:7]
	s_cbranch_execz .LBB14_6
; %bb.5:                                ;   in Loop: Header=BB14_4 Depth=1
	global_load_ushort v61, v[1:2], off
.LBB14_6:                               ;   in Loop: Header=BB14_4 Depth=1
	s_or_b64 exec, exec, s[0:1]
	v_mov_b32_e32 v59, s31
	v_add_co_u32_e32 v58, vcc, s30, v9
	v_addc_co_u32_e32 v59, vcc, v10, v59, vcc
	v_cmp_gt_u64_e64 s[2:3], s[28:29], v[58:59]
	v_mov_b32_e32 v58, 0
	v_mov_b32_e32 v59, 0
	s_and_saveexec_b64 s[0:1], s[2:3]
	s_cbranch_execz .LBB14_8
; %bb.7:                                ;   in Loop: Header=BB14_4 Depth=1
	global_load_ushort v59, v[3:4], off
.LBB14_8:                               ;   in Loop: Header=BB14_4 Depth=1
	s_or_b64 exec, exec, s[0:1]
	v_mov_b32_e32 v60, s31
	v_add_co_u32_e32 v62, vcc, s30, v7
	v_addc_co_u32_e32 v63, vcc, v8, v60, vcc
	v_cmp_gt_u64_e64 s[0:1], s[28:29], v[62:63]
	s_and_saveexec_b64 s[8:9], s[0:1]
	s_cbranch_execz .LBB14_10
; %bb.9:                                ;   in Loop: Header=BB14_4 Depth=1
	v_add_co_u32_e32 v62, vcc, s33, v1
	v_addc_co_u32_e32 v63, vcc, 0, v2, vcc
	global_load_ushort v58, v[62:63], off
.LBB14_10:                              ;   in Loop: Header=BB14_4 Depth=1
	s_or_b64 exec, exec, s[8:9]
	v_mov_b32_e32 v60, s31
	v_add_co_u32_e32 v62, vcc, s30, v5
	v_addc_co_u32_e32 v63, vcc, v6, v60, vcc
	v_cmp_gt_u64_e32 vcc, s[28:29], v[62:63]
	v_mov_b32_e32 v60, 0
	s_and_saveexec_b64 s[10:11], vcc
	s_cbranch_execz .LBB14_12
; %bb.11:                               ;   in Loop: Header=BB14_4 Depth=1
	v_add_co_u32_e64 v62, s[8:9], s41, v1
	v_addc_co_u32_e64 v63, s[8:9], 0, v2, s[8:9]
	global_load_ushort v60, v[62:63], off
.LBB14_12:                              ;   in Loop: Header=BB14_4 Depth=1
	s_or_b64 exec, exec, s[10:11]
	s_waitcnt vmcnt(0)
	v_cvt_f32_f16_e32 v62, v61
                                        ; implicit-def: $vgpr63
	v_and_b32_e32 v64, 0x7fffffff, v62
	v_cmp_nlt_f32_e64 s[8:9], |v62|, s42
	s_and_saveexec_b64 s[10:11], s[8:9]
	s_xor_b64 s[12:13], exec, s[10:11]
	s_cbranch_execz .LBB14_42
; %bb.13:                               ;   in Loop: Header=BB14_4 Depth=1
	v_cmp_nlt_f32_e64 s[8:9], |v62|, 2.0
                                        ; implicit-def: $vgpr63
	s_and_saveexec_b64 s[10:11], s[8:9]
	s_xor_b64 s[14:15], exec, s[10:11]
	s_cbranch_execz .LBB14_23
; %bb.14:                               ;   in Loop: Header=BB14_4 Depth=1
	v_cmp_nlt_f32_e64 s[8:9], |v62|, s43
                                        ; implicit-def: $vgpr63
	s_and_saveexec_b64 s[10:11], s[8:9]
	s_xor_b64 s[16:17], exec, s[10:11]
	s_cbranch_execz .LBB14_20
; %bb.15:                               ;   in Loop: Header=BB14_4 Depth=1
	v_cmp_nlt_f32_e64 s[8:9], |v62|, s44
                                        ; implicit-def: $vgpr63
	s_and_saveexec_b64 s[10:11], s[8:9]
	s_xor_b64 s[18:19], exec, s[10:11]
	s_cbranch_execz .LBB14_17
; %bb.16:                               ;   in Loop: Header=BB14_4 Depth=1
	v_cmp_lt_f32_e64 s[8:9], |v62|, s45
	v_cndmask_b32_e64 v63, 0, 32, s[8:9]
	v_ldexp_f32 v63, |v62|, v63
	v_log_f32_e32 v63, v63
	v_mul_f32_e32 v65, 0x3f317217, v63
	v_fma_f32 v66, v63, s46, -v65
	v_fmac_f32_e32 v66, 0x3377d1cf, v63
	v_add_f32_e32 v65, v65, v66
	v_cmp_lt_f32_e64 s[10:11], |v63|, s47
	v_cndmask_b32_e64 v63, v63, v65, s[10:11]
	v_cndmask_b32_e64 v65, 0, v54, s[8:9]
	v_sub_f32_e32 v63, v63, v65
	v_fma_f32 v63, |v62|, v63, -|v62|
.LBB14_17:                              ;   in Loop: Header=BB14_4 Depth=1
	s_andn2_saveexec_b64 s[18:19], s[18:19]
	s_cbranch_execz .LBB14_19
; %bb.18:                               ;   in Loop: Header=BB14_4 Depth=1
	v_rcp_f32_e64 v63, |v62|
	v_cmp_lt_f32_e64 s[8:9], |v62|, s45
	v_cndmask_b32_e64 v66, 0, 32, s[8:9]
	v_mov_b32_e32 v65, 0x3a5b3dd2
	v_mul_f32_e32 v67, v63, v63
	v_ldexp_f32 v66, |v62|, v66
	v_fmac_f32_e32 v65, 0xbad5c4e8, v67
	v_log_f32_e32 v66, v66
	v_fma_f32 v65, v67, v65, v11
	v_fma_f32 v65, v67, v65, v12
	;; [unrolled: 1-line block ×4, first 2 shown]
	v_mul_f32_e32 v67, 0x3f317217, v66
	v_fma_f32 v68, v66, s46, -v67
	v_fmac_f32_e32 v68, 0x3377d1cf, v66
	v_add_f32_e32 v67, v67, v68
	v_cmp_lt_f32_e64 s[10:11], |v66|, s47
	v_cndmask_b32_e64 v66, v66, v67, s[10:11]
	v_cndmask_b32_e64 v67, 0, v54, s[8:9]
	v_sub_f32_e32 v66, v66, v67
	v_fma_f32 v63, v63, v65, v15
	v_add_f32_e64 v65, |v62|, -0.5
	v_add_f32_e32 v66, -1.0, v66
	v_fmac_f32_e32 v63, v65, v66
.LBB14_19:                              ;   in Loop: Header=BB14_4 Depth=1
	s_or_b64 exec, exec, s[18:19]
.LBB14_20:                              ;   in Loop: Header=BB14_4 Depth=1
	s_andn2_saveexec_b64 s[16:17], s[16:17]
	s_cbranch_execz .LBB14_22
; %bb.21:                               ;   in Loop: Header=BB14_4 Depth=1
	v_cvt_i32_f32_e32 v63, v64
	v_mov_b32_e32 v67, 0x3a4beed6
	v_mov_b32_e32 v66, 0x3af135b4
	v_cvt_f32_i32_e32 v65, v63
	v_cmp_lt_i32_e64 s[8:9], 2, v63
	v_sub_f32_e64 v65, |v62|, v65
	v_add_f32_e32 v68, 2.0, v65
	v_add_f32_e32 v69, 0x40400000, v65
	v_cndmask_b32_e64 v68, 1.0, v68, s[8:9]
	v_cmp_lt_i32_e64 s[8:9], 3, v63
	v_add_f32_e32 v70, 4.0, v65
	v_cndmask_b32_e64 v69, 1.0, v69, s[8:9]
	v_cmp_lt_i32_e64 s[8:9], 4, v63
	v_fmac_f32_e32 v67, 0x36f5d7bd, v65
	v_add_f32_e32 v71, 0x40a00000, v65
	v_mul_f32_e32 v68, v68, v69
	v_cndmask_b32_e64 v69, 1.0, v70, s[8:9]
	v_cmp_lt_i32_e64 s[8:9], 5, v63
	v_fma_f32 v67, v65, v67, v21
	v_add_f32_e32 v72, 0x40c00000, v65
	v_mul_f32_e32 v68, v69, v68
	v_cndmask_b32_e64 v69, 1.0, v71, s[8:9]
	v_cmp_lt_i32_e64 s[8:9], 6, v63
	v_fma_f32 v67, v65, v67, v22
	v_mul_f32_e32 v68, v69, v68
	v_cndmask_b32_e64 v63, 1.0, v72, s[8:9]
	v_fmac_f32_e32 v66, 0x3805ff67, v65
	v_fma_f32 v67, v65, v67, v23
	v_mul_f32_e32 v63, v63, v68
	v_fma_f32 v66, v65, v66, v16
	v_fma_f32 v67, v65, v67, v24
	v_cmp_gt_f32_e64 s[8:9], s45, v63
	v_fma_f32 v66, v65, v66, v17
	v_fma_f32 v67, v65, v67, 1.0
	v_cndmask_b32_e64 v68, 0, 32, s[8:9]
	v_fma_f32 v66, v65, v66, v18
	v_rcp_f32_e32 v67, v67
	v_ldexp_f32 v63, v63, v68
	v_fma_f32 v66, v65, v66, v19
	v_log_f32_e32 v63, v63
	v_fma_f32 v66, v65, v66, v20
	v_mul_f32_e32 v66, v65, v66
	v_mul_f32_e32 v66, v66, v67
	v_fmac_f32_e32 v66, 0.5, v65
	v_mul_f32_e32 v65, 0x3f317217, v63
	v_fma_f32 v67, v63, s46, -v65
	v_fmac_f32_e32 v67, 0x3377d1cf, v63
	v_add_f32_e32 v65, v65, v67
	v_cmp_lt_f32_e64 s[10:11], |v63|, s47
	v_cndmask_b32_e64 v63, v63, v65, s[10:11]
	v_cndmask_b32_e64 v65, 0, v54, s[8:9]
	v_sub_f32_e32 v63, v63, v65
	v_add_f32_e32 v63, v63, v66
.LBB14_22:                              ;   in Loop: Header=BB14_4 Depth=1
	s_or_b64 exec, exec, s[16:17]
.LBB14_23:                              ;   in Loop: Header=BB14_4 Depth=1
	s_andn2_saveexec_b64 s[10:11], s[14:15]
	s_cbranch_execz .LBB14_41
; %bb.24:                               ;   in Loop: Header=BB14_4 Depth=1
	v_cmp_le_f32_e64 s[8:9], |v62|, s48
                                        ; implicit-def: $vgpr63
                                        ; implicit-def: $vgpr66
                                        ; implicit-def: $vgpr65
	s_and_saveexec_b64 s[14:15], s[8:9]
	s_xor_b64 s[14:15], exec, s[14:15]
	s_cbranch_execz .LBB14_26
; %bb.25:                               ;   in Loop: Header=BB14_4 Depth=1
	v_cmp_lt_f32_e64 s[8:9], |v62|, s45
	v_cndmask_b32_e64 v63, 0, 32, s[8:9]
	v_ldexp_f32 v63, |v62|, v63
	v_log_f32_e32 v63, v63
	v_cndmask_b32_e64 v65, 0, v54, s[8:9]
	v_mul_f32_e32 v66, 0x3f317217, v63
	v_fma_f32 v67, v63, s46, -v66
	v_fmac_f32_e32 v67, 0x3377d1cf, v63
	v_add_f32_e32 v66, v66, v67
	v_cmp_lt_f32_e64 s[8:9], |v63|, s47
	v_cndmask_b32_e64 v63, v63, v66, s[8:9]
	v_sub_f32_e32 v63, v63, v65
	v_sub_f32_e64 v65, 1.0, |v62|
	v_add_f32_e64 v66, |v62|, s50
	v_cmp_lt_f32_e64 s[8:9], |v62|, s49
	v_cndmask_b32_e64 v65, v65, v66, s[8:9]
	v_cndmask_b32_e64 v66, 0, 1, s[8:9]
	v_cmp_lt_f32_e64 s[8:9], |v62|, s51
	v_xor_b32_e32 v63, 0x80000000, v63
	v_cndmask_b32_e64 v65, v65, |v62|, s[8:9]
	v_cndmask_b32_e64 v66, v66, 2, s[8:9]
.LBB14_26:                              ;   in Loop: Header=BB14_4 Depth=1
	s_andn2_saveexec_b64 s[14:15], s[14:15]
	s_cbranch_execz .LBB14_28
; %bb.27:                               ;   in Loop: Header=BB14_4 Depth=1
	v_sub_f32_e64 v63, 2.0, |v62|
	v_add_f32_e64 v65, |v62|, s53
	v_cmp_lt_f32_e64 s[8:9], |v62|, s52
	v_cndmask_b32_e64 v65, v63, v65, s[8:9]
	v_cndmask_b32_e64 v63, v63, 1.0, s[8:9]
	v_cvt_i32_f32_e32 v63, v63
	v_add_f32_e64 v66, |v62|, -1.0
	v_cmp_lt_f32_e64 s[8:9], |v62|, s54
	v_cndmask_b32_e64 v65, v65, v66, s[8:9]
	v_cndmask_b32_e64 v66, v63, 2, s[8:9]
	v_mov_b32_e32 v63, 0
.LBB14_28:                              ;   in Loop: Header=BB14_4 Depth=1
	s_or_b64 exec, exec, s[14:15]
	v_cmp_lt_i32_e64 s[8:9], 0, v66
	s_and_saveexec_b64 s[14:15], s[8:9]
	s_xor_b64 s[14:15], exec, s[14:15]
	s_cbranch_execz .LBB14_36
; %bb.29:                               ;   in Loop: Header=BB14_4 Depth=1
	v_cmp_lt_i32_e64 s[8:9], 1, v66
	s_and_saveexec_b64 s[16:17], s[8:9]
	s_xor_b64 s[16:17], exec, s[16:17]
	s_cbranch_execz .LBB14_33
; %bb.30:                               ;   in Loop: Header=BB14_4 Depth=1
	v_cmp_eq_u32_e64 s[8:9], 2, v66
	s_and_saveexec_b64 s[18:19], s[8:9]
	s_cbranch_execz .LBB14_32
; %bb.31:                               ;   in Loop: Header=BB14_4 Depth=1
	v_mov_b32_e32 v67, 0x3dd572af
	v_fmac_f32_e32 v67, 0x3b52d5db, v65
	v_fma_f32 v67, v65, v67, v28
	v_mov_b32_e32 v66, 0x3e6a7578
	v_fma_f32 v67, v65, v67, v29
	v_fmac_f32_e32 v66, 0x3c5b3c5e, v65
	v_fma_f32 v67, v65, v67, v30
	v_fma_f32 v66, v65, v66, v25
	v_fma_f32 v67, v65, v67, 1.0
	v_fma_f32 v66, v65, v66, v26
	v_rcp_f32_e32 v67, v67
	v_fma_f32 v66, v65, v66, v27
	v_fma_f32 v66, v65, v66, v20
	v_mul_f32_e32 v66, v65, v66
	v_mul_f32_e32 v66, v66, v67
	v_fmac_f32_e32 v66, -0.5, v65
	v_add_f32_e32 v63, v63, v66
.LBB14_32:                              ;   in Loop: Header=BB14_4 Depth=1
	s_or_b64 exec, exec, s[18:19]
                                        ; implicit-def: $vgpr65
.LBB14_33:                              ;   in Loop: Header=BB14_4 Depth=1
	s_andn2_saveexec_b64 s[8:9], s[16:17]
	s_cbranch_execz .LBB14_35
; %bb.34:                               ;   in Loop: Header=BB14_4 Depth=1
	v_mul_f32_e32 v66, v65, v65
	v_mul_f32_e32 v67, v65, v66
	v_mov_b32_e32 v69, 0x3a66f867
	v_mov_b32_e32 v70, 0xba0d3085
	v_fmac_f32_e32 v69, 0xb9a3f927, v67
	v_fmac_f32_e32 v70, 0x39afe9f7, v67
	v_mov_b32_e32 v68, 0xbab7f476
	v_fma_f32 v69, v67, v69, v34
	v_fma_f32 v70, v67, v70, v37
	v_fmac_f32_e32 v68, 0x39a57b6b, v67
	v_fma_f32 v69, v67, v69, v35
	v_fma_f32 v70, v67, v70, v38
	;; [unrolled: 1-line block ×6, first 2 shown]
	v_fmac_f32_e32 v69, v65, v70
	v_fma_f32 v68, v67, v68, v33
	v_fma_f32 v65, v67, -v69, s55
	v_fma_f32 v65, v66, v68, -v65
	v_add_f32_e32 v65, 0xbdf8cdce, v65
	v_add_f32_e32 v63, v63, v65
.LBB14_35:                              ;   in Loop: Header=BB14_4 Depth=1
	s_or_b64 exec, exec, s[8:9]
                                        ; implicit-def: $vgpr66
                                        ; implicit-def: $vgpr65
.LBB14_36:                              ;   in Loop: Header=BB14_4 Depth=1
	s_andn2_saveexec_b64 s[14:15], s[14:15]
	s_cbranch_execz .LBB14_40
; %bb.37:                               ;   in Loop: Header=BB14_4 Depth=1
	v_cmp_eq_u32_e64 s[8:9], 0, v66
	s_and_saveexec_b64 s[16:17], s[8:9]
	s_cbranch_execz .LBB14_39
; %bb.38:                               ;   in Loop: Header=BB14_4 Depth=1
	v_mul_f32_e32 v66, v65, v65
	v_mov_b32_e32 v68, 0x38e28445
	v_mov_b32_e32 v67, 0x39679767
	v_fmac_f32_e32 v68, 0x383c2c75, v66
	v_fmac_f32_e32 v67, 0x37d383a2, v66
	v_fma_f32 v68, v66, v68, v44
	v_fma_f32 v67, v66, v67, v40
	;; [unrolled: 1-line block ×8, first 2 shown]
	v_mul_f32_e32 v66, v66, v68
	v_fmac_f32_e32 v66, v65, v67
	v_fmac_f32_e32 v66, -0.5, v65
	v_add_f32_e32 v63, v63, v66
.LBB14_39:                              ;   in Loop: Header=BB14_4 Depth=1
	s_or_b64 exec, exec, s[16:17]
.LBB14_40:                              ;   in Loop: Header=BB14_4 Depth=1
	s_or_b64 exec, exec, s[14:15]
.LBB14_41:                              ;   in Loop: Header=BB14_4 Depth=1
	s_or_b64 exec, exec, s[10:11]
.LBB14_42:                              ;   in Loop: Header=BB14_4 Depth=1
	s_andn2_saveexec_b64 s[12:13], s[12:13]
	s_cbranch_execz .LBB14_44
; %bb.43:                               ;   in Loop: Header=BB14_4 Depth=1
	v_cmp_lt_f32_e64 s[8:9], |v62|, s45
	v_cndmask_b32_e64 v63, 0, 32, s[8:9]
	v_ldexp_f32 v63, |v62|, v63
	v_log_f32_e32 v63, v63
	v_fma_f32 v65, |v62|, s56, v55
	v_fma_f32 v65, |v62|, v65, s57
	;; [unrolled: 1-line block ×3, first 2 shown]
	v_mul_f32_e32 v66, 0x3f317217, v63
	v_fma_f32 v67, v63, s46, -v66
	v_fmac_f32_e32 v67, 0x3377d1cf, v63
	v_add_f32_e32 v66, v66, v67
	v_cmp_lt_f32_e64 s[10:11], |v63|, s47
	v_cndmask_b32_e64 v63, v63, v66, s[10:11]
	v_cndmask_b32_e64 v66, 0, v54, s[8:9]
	v_sub_f32_e32 v63, v63, v66
	v_fma_f32 v63, |v62|, v65, -v63
.LBB14_44:                              ;   in Loop: Header=BB14_4 Depth=1
	s_or_b64 exec, exec, s[12:13]
	v_cmp_le_f16_e64 s[8:9], 0, v61
	v_cmp_nle_f16_e64 s[10:11], 0, v61
	s_and_saveexec_b64 s[12:13], s[10:11]
	s_xor_b64 s[14:15], exec, s[12:13]
	s_cbranch_execz .LBB14_48
; %bb.45:                               ;   in Loop: Header=BB14_4 Depth=1
	v_cmp_lt_f32_e64 s[10:11], |v62|, s59
	v_cmp_gt_f32_e64 s[12:13], |v62|, s60
	s_and_b64 s[10:11], s[10:11], s[12:13]
	s_and_saveexec_b64 s[16:17], s[10:11]
	s_cbranch_execz .LBB14_47
; %bb.46:                               ;   in Loop: Header=BB14_4 Depth=1
	v_mul_f32_e64 v65, |v62|, 0.5
	v_floor_f32_e32 v66, v65
	v_sub_f32_e32 v66, v65, v66
	v_min_f32_e32 v66, 0x3f7fffff, v66
	v_add_f32_e32 v66, v66, v66
	v_cmp_neq_f32_e64 s[10:11], s47, v65
	v_cndmask_b32_e64 v65, 0, v66, s[10:11]
	v_cmp_gt_f32_e64 s[10:11], |v62|, 1.0
	v_cndmask_b32_e64 v65, |v62|, v65, s[10:11]
	v_add_f32_e32 v66, v65, v65
	v_rndne_f32_e32 v66, v66
	v_fmac_f32_e32 v65, -0.5, v66
	v_mul_f32_e32 v67, v65, v65
	v_mov_b32_e32 v68, 0xbf1f24be
	v_fmac_f32_e32 v68, 0x3e75aa41, v67
	v_fma_f32 v68, v67, v68, v48
	v_fma_f32 v68, v67, v68, v49
	v_mul_f32_e32 v69, v65, v67
	v_mul_f32_e32 v68, v69, v68
	v_fmac_f32_e32 v68, 0x40490fdb, v65
	v_mov_b32_e32 v65, 0x3e642e9d
	v_cvt_i32_f32_e32 v66, v66
	v_fmac_f32_e32 v65, 0x3d4be544, v67
	v_fma_f32 v65, v67, v65, v50
	v_fma_f32 v65, v67, v65, v51
	;; [unrolled: 1-line block ×3, first 2 shown]
	v_fma_f32 v65, v67, v65, 1.0
	v_and_b32_e32 v67, 1, v66
	v_lshlrev_b32_e32 v66, 30, v66
	v_cmp_eq_u32_e64 s[10:11], 0, v67
	v_and_b32_e32 v66, 0x80000000, v66
	v_xor_b32_e32 v64, v64, v62
	v_cndmask_b32_e64 v65, v65, v68, s[10:11]
	v_xor_b32_e32 v64, v64, v66
	v_xor_b32_e32 v64, v64, v65
	v_mul_f32_e32 v64, v62, v64
	v_frexp_mant_f32_e64 v65, |v64|
	v_rcp_f32_e32 v65, v65
	v_frexp_exp_i32_f32_e32 v64, v64
	v_sub_u32_e32 v64, 2, v64
	v_mul_f32_e32 v65, 0x3f490fdb, v65
	v_ldexp_f32 v64, v65, v64
	v_cmp_gt_f32_e64 s[10:11], s45, v64
	v_cndmask_b32_e64 v65, 0, 32, s[10:11]
	v_ldexp_f32 v64, v64, v65
	v_log_f32_e32 v64, v64
	v_mul_f32_e32 v65, 0x3f317217, v64
	v_fma_f32 v66, v64, s46, -v65
	v_fmac_f32_e32 v66, 0x3377d1cf, v64
	v_add_f32_e32 v65, v65, v66
	v_cmp_lt_f32_e64 s[12:13], |v64|, s47
	v_cndmask_b32_e64 v64, v64, v65, s[12:13]
	v_cndmask_b32_e64 v65, 0, v54, s[10:11]
	v_sub_f32_e32 v64, v64, v65
	v_sub_f32_e32 v63, v64, v63
	v_floor_f32_e32 v64, v62
	v_sub_f32_e32 v64, v62, v64
	v_min_f32_e32 v64, 0x3f7fffff, v64
	v_cmp_neq_f32_e64 s[10:11], 0, v64
	v_cndmask_b32_e64 v63, v56, v63, s[10:11]
.LBB14_47:                              ;   in Loop: Header=BB14_4 Depth=1
	s_or_b64 exec, exec, s[16:17]
.LBB14_48:                              ;   in Loop: Header=BB14_4 Depth=1
	s_andn2_saveexec_b64 s[14:15], s[14:15]
; %bb.49:                               ;   in Loop: Header=BB14_4 Depth=1
	v_cmp_eq_f16_e64 s[10:11], 1.0, v61
	v_cmp_eq_f16_e64 s[12:13], 2.0, v61
	s_or_b64 s[10:11], s[10:11], s[12:13]
	v_cndmask_b32_e64 v63, v63, 0, s[10:11]
; %bb.50:                               ;   in Loop: Header=BB14_4 Depth=1
	s_or_b64 exec, exec, s[14:15]
	v_cvt_f32_f16_e32 v64, v59
                                        ; implicit-def: $vgpr65
	v_and_b32_e32 v66, 0x7fffffff, v64
	v_cmp_nlt_f32_e64 s[10:11], |v64|, s42
	s_and_saveexec_b64 s[12:13], s[10:11]
	s_xor_b64 s[14:15], exec, s[12:13]
	s_cbranch_execz .LBB14_80
; %bb.51:                               ;   in Loop: Header=BB14_4 Depth=1
	v_cmp_nlt_f32_e64 s[10:11], |v64|, 2.0
                                        ; implicit-def: $vgpr65
	s_and_saveexec_b64 s[12:13], s[10:11]
	s_xor_b64 s[16:17], exec, s[12:13]
	s_cbranch_execz .LBB14_61
; %bb.52:                               ;   in Loop: Header=BB14_4 Depth=1
	v_cmp_nlt_f32_e64 s[10:11], |v64|, s43
                                        ; implicit-def: $vgpr65
	s_and_saveexec_b64 s[12:13], s[10:11]
	s_xor_b64 s[18:19], exec, s[12:13]
	s_cbranch_execz .LBB14_58
; %bb.53:                               ;   in Loop: Header=BB14_4 Depth=1
	v_cmp_nlt_f32_e64 s[10:11], |v64|, s44
                                        ; implicit-def: $vgpr65
	s_and_saveexec_b64 s[12:13], s[10:11]
	s_xor_b64 s[34:35], exec, s[12:13]
	s_cbranch_execz .LBB14_55
; %bb.54:                               ;   in Loop: Header=BB14_4 Depth=1
	v_cmp_lt_f32_e64 s[10:11], |v64|, s45
	v_cndmask_b32_e64 v65, 0, 32, s[10:11]
	v_ldexp_f32 v65, |v64|, v65
	v_log_f32_e32 v65, v65
	v_mul_f32_e32 v67, 0x3f317217, v65
	v_fma_f32 v68, v65, s46, -v67
	v_fmac_f32_e32 v68, 0x3377d1cf, v65
	v_add_f32_e32 v67, v67, v68
	v_cmp_lt_f32_e64 s[12:13], |v65|, s47
	v_cndmask_b32_e64 v65, v65, v67, s[12:13]
	v_cndmask_b32_e64 v67, 0, v54, s[10:11]
	v_sub_f32_e32 v65, v65, v67
	v_fma_f32 v65, |v64|, v65, -|v64|
.LBB14_55:                              ;   in Loop: Header=BB14_4 Depth=1
	s_andn2_saveexec_b64 s[34:35], s[34:35]
	s_cbranch_execz .LBB14_57
; %bb.56:                               ;   in Loop: Header=BB14_4 Depth=1
	v_rcp_f32_e64 v65, |v64|
	v_cmp_lt_f32_e64 s[10:11], |v64|, s45
	v_cndmask_b32_e64 v68, 0, 32, s[10:11]
	v_mov_b32_e32 v67, 0x3a5b3dd2
	v_mul_f32_e32 v69, v65, v65
	v_ldexp_f32 v68, |v64|, v68
	v_fmac_f32_e32 v67, 0xbad5c4e8, v69
	v_log_f32_e32 v68, v68
	v_fma_f32 v67, v69, v67, v11
	v_fma_f32 v67, v69, v67, v12
	;; [unrolled: 1-line block ×4, first 2 shown]
	v_mul_f32_e32 v69, 0x3f317217, v68
	v_fma_f32 v70, v68, s46, -v69
	v_fmac_f32_e32 v70, 0x3377d1cf, v68
	v_add_f32_e32 v69, v69, v70
	v_cmp_lt_f32_e64 s[12:13], |v68|, s47
	v_cndmask_b32_e64 v68, v68, v69, s[12:13]
	v_cndmask_b32_e64 v69, 0, v54, s[10:11]
	v_sub_f32_e32 v68, v68, v69
	v_fma_f32 v65, v65, v67, v15
	v_add_f32_e64 v67, |v64|, -0.5
	v_add_f32_e32 v68, -1.0, v68
	v_fmac_f32_e32 v65, v67, v68
.LBB14_57:                              ;   in Loop: Header=BB14_4 Depth=1
	s_or_b64 exec, exec, s[34:35]
.LBB14_58:                              ;   in Loop: Header=BB14_4 Depth=1
	s_andn2_saveexec_b64 s[18:19], s[18:19]
	s_cbranch_execz .LBB14_60
; %bb.59:                               ;   in Loop: Header=BB14_4 Depth=1
	v_cvt_i32_f32_e32 v65, v66
	v_mov_b32_e32 v69, 0x3a4beed6
	v_mov_b32_e32 v68, 0x3af135b4
	v_cvt_f32_i32_e32 v67, v65
	v_cmp_lt_i32_e64 s[10:11], 2, v65
	v_sub_f32_e64 v67, |v64|, v67
	v_add_f32_e32 v70, 2.0, v67
	v_add_f32_e32 v71, 0x40400000, v67
	v_cndmask_b32_e64 v70, 1.0, v70, s[10:11]
	v_cmp_lt_i32_e64 s[10:11], 3, v65
	v_add_f32_e32 v72, 4.0, v67
	v_cndmask_b32_e64 v71, 1.0, v71, s[10:11]
	v_cmp_lt_i32_e64 s[10:11], 4, v65
	v_fmac_f32_e32 v69, 0x36f5d7bd, v67
	v_add_f32_e32 v73, 0x40a00000, v67
	v_mul_f32_e32 v70, v70, v71
	v_cndmask_b32_e64 v71, 1.0, v72, s[10:11]
	v_cmp_lt_i32_e64 s[10:11], 5, v65
	v_fma_f32 v69, v67, v69, v21
	v_add_f32_e32 v74, 0x40c00000, v67
	v_mul_f32_e32 v70, v71, v70
	v_cndmask_b32_e64 v71, 1.0, v73, s[10:11]
	v_cmp_lt_i32_e64 s[10:11], 6, v65
	v_fma_f32 v69, v67, v69, v22
	v_mul_f32_e32 v70, v71, v70
	v_cndmask_b32_e64 v65, 1.0, v74, s[10:11]
	v_fmac_f32_e32 v68, 0x3805ff67, v67
	v_fma_f32 v69, v67, v69, v23
	v_mul_f32_e32 v65, v65, v70
	v_fma_f32 v68, v67, v68, v16
	v_fma_f32 v69, v67, v69, v24
	v_cmp_gt_f32_e64 s[10:11], s45, v65
	v_fma_f32 v68, v67, v68, v17
	v_fma_f32 v69, v67, v69, 1.0
	v_cndmask_b32_e64 v70, 0, 32, s[10:11]
	v_fma_f32 v68, v67, v68, v18
	v_rcp_f32_e32 v69, v69
	v_ldexp_f32 v65, v65, v70
	v_fma_f32 v68, v67, v68, v19
	v_log_f32_e32 v65, v65
	v_fma_f32 v68, v67, v68, v20
	v_mul_f32_e32 v68, v67, v68
	v_mul_f32_e32 v68, v68, v69
	v_fmac_f32_e32 v68, 0.5, v67
	v_mul_f32_e32 v67, 0x3f317217, v65
	v_fma_f32 v69, v65, s46, -v67
	v_fmac_f32_e32 v69, 0x3377d1cf, v65
	v_add_f32_e32 v67, v67, v69
	v_cmp_lt_f32_e64 s[12:13], |v65|, s47
	v_cndmask_b32_e64 v65, v65, v67, s[12:13]
	v_cndmask_b32_e64 v67, 0, v54, s[10:11]
	v_sub_f32_e32 v65, v65, v67
	v_add_f32_e32 v65, v65, v68
.LBB14_60:                              ;   in Loop: Header=BB14_4 Depth=1
	s_or_b64 exec, exec, s[18:19]
.LBB14_61:                              ;   in Loop: Header=BB14_4 Depth=1
	s_andn2_saveexec_b64 s[12:13], s[16:17]
	s_cbranch_execz .LBB14_79
; %bb.62:                               ;   in Loop: Header=BB14_4 Depth=1
	v_cmp_le_f32_e64 s[10:11], |v64|, s48
                                        ; implicit-def: $vgpr65
                                        ; implicit-def: $vgpr68
                                        ; implicit-def: $vgpr67
	s_and_saveexec_b64 s[16:17], s[10:11]
	s_xor_b64 s[16:17], exec, s[16:17]
	s_cbranch_execz .LBB14_64
; %bb.63:                               ;   in Loop: Header=BB14_4 Depth=1
	v_cmp_lt_f32_e64 s[10:11], |v64|, s45
	v_cndmask_b32_e64 v65, 0, 32, s[10:11]
	v_ldexp_f32 v65, |v64|, v65
	v_log_f32_e32 v65, v65
	v_cndmask_b32_e64 v67, 0, v54, s[10:11]
	v_mul_f32_e32 v68, 0x3f317217, v65
	v_fma_f32 v69, v65, s46, -v68
	v_fmac_f32_e32 v69, 0x3377d1cf, v65
	v_add_f32_e32 v68, v68, v69
	v_cmp_lt_f32_e64 s[10:11], |v65|, s47
	v_cndmask_b32_e64 v65, v65, v68, s[10:11]
	v_sub_f32_e32 v65, v65, v67
	v_sub_f32_e64 v67, 1.0, |v64|
	v_add_f32_e64 v68, |v64|, s50
	v_cmp_lt_f32_e64 s[10:11], |v64|, s49
	v_cndmask_b32_e64 v67, v67, v68, s[10:11]
	v_cndmask_b32_e64 v68, 0, 1, s[10:11]
	v_cmp_lt_f32_e64 s[10:11], |v64|, s51
	v_xor_b32_e32 v65, 0x80000000, v65
	v_cndmask_b32_e64 v67, v67, |v64|, s[10:11]
	v_cndmask_b32_e64 v68, v68, 2, s[10:11]
.LBB14_64:                              ;   in Loop: Header=BB14_4 Depth=1
	s_andn2_saveexec_b64 s[16:17], s[16:17]
	s_cbranch_execz .LBB14_66
; %bb.65:                               ;   in Loop: Header=BB14_4 Depth=1
	v_sub_f32_e64 v65, 2.0, |v64|
	v_add_f32_e64 v67, |v64|, s53
	v_cmp_lt_f32_e64 s[10:11], |v64|, s52
	v_cndmask_b32_e64 v67, v65, v67, s[10:11]
	v_cndmask_b32_e64 v65, v65, 1.0, s[10:11]
	v_cvt_i32_f32_e32 v65, v65
	v_add_f32_e64 v68, |v64|, -1.0
	v_cmp_lt_f32_e64 s[10:11], |v64|, s54
	v_cndmask_b32_e64 v67, v67, v68, s[10:11]
	v_cndmask_b32_e64 v68, v65, 2, s[10:11]
	v_mov_b32_e32 v65, 0
.LBB14_66:                              ;   in Loop: Header=BB14_4 Depth=1
	s_or_b64 exec, exec, s[16:17]
	v_cmp_lt_i32_e64 s[10:11], 0, v68
	s_and_saveexec_b64 s[16:17], s[10:11]
	s_xor_b64 s[16:17], exec, s[16:17]
	s_cbranch_execz .LBB14_74
; %bb.67:                               ;   in Loop: Header=BB14_4 Depth=1
	v_cmp_lt_i32_e64 s[10:11], 1, v68
	s_and_saveexec_b64 s[18:19], s[10:11]
	s_xor_b64 s[18:19], exec, s[18:19]
	s_cbranch_execz .LBB14_71
; %bb.68:                               ;   in Loop: Header=BB14_4 Depth=1
	v_cmp_eq_u32_e64 s[10:11], 2, v68
	s_and_saveexec_b64 s[34:35], s[10:11]
	s_cbranch_execz .LBB14_70
; %bb.69:                               ;   in Loop: Header=BB14_4 Depth=1
	v_mov_b32_e32 v69, 0x3dd572af
	v_fmac_f32_e32 v69, 0x3b52d5db, v67
	v_fma_f32 v69, v67, v69, v28
	v_mov_b32_e32 v68, 0x3e6a7578
	v_fma_f32 v69, v67, v69, v29
	v_fmac_f32_e32 v68, 0x3c5b3c5e, v67
	v_fma_f32 v69, v67, v69, v30
	v_fma_f32 v68, v67, v68, v25
	v_fma_f32 v69, v67, v69, 1.0
	v_fma_f32 v68, v67, v68, v26
	v_rcp_f32_e32 v69, v69
	v_fma_f32 v68, v67, v68, v27
	v_fma_f32 v68, v67, v68, v20
	v_mul_f32_e32 v68, v67, v68
	v_mul_f32_e32 v68, v68, v69
	v_fmac_f32_e32 v68, -0.5, v67
	v_add_f32_e32 v65, v65, v68
.LBB14_70:                              ;   in Loop: Header=BB14_4 Depth=1
	s_or_b64 exec, exec, s[34:35]
                                        ; implicit-def: $vgpr67
.LBB14_71:                              ;   in Loop: Header=BB14_4 Depth=1
	s_andn2_saveexec_b64 s[10:11], s[18:19]
	s_cbranch_execz .LBB14_73
; %bb.72:                               ;   in Loop: Header=BB14_4 Depth=1
	v_mul_f32_e32 v68, v67, v67
	v_mul_f32_e32 v69, v67, v68
	v_mov_b32_e32 v71, 0x3a66f867
	v_mov_b32_e32 v72, 0xba0d3085
	v_fmac_f32_e32 v71, 0xb9a3f927, v69
	v_fmac_f32_e32 v72, 0x39afe9f7, v69
	v_mov_b32_e32 v70, 0xbab7f476
	v_fma_f32 v71, v69, v71, v34
	v_fma_f32 v72, v69, v72, v37
	v_fmac_f32_e32 v70, 0x39a57b6b, v69
	v_fma_f32 v71, v69, v71, v35
	v_fma_f32 v72, v69, v72, v38
	;; [unrolled: 1-line block ×6, first 2 shown]
	v_fmac_f32_e32 v71, v67, v72
	v_fma_f32 v70, v69, v70, v33
	v_fma_f32 v67, v69, -v71, s55
	v_fma_f32 v67, v68, v70, -v67
	v_add_f32_e32 v67, 0xbdf8cdce, v67
	v_add_f32_e32 v65, v65, v67
.LBB14_73:                              ;   in Loop: Header=BB14_4 Depth=1
	s_or_b64 exec, exec, s[10:11]
                                        ; implicit-def: $vgpr68
                                        ; implicit-def: $vgpr67
.LBB14_74:                              ;   in Loop: Header=BB14_4 Depth=1
	s_andn2_saveexec_b64 s[16:17], s[16:17]
	s_cbranch_execz .LBB14_78
; %bb.75:                               ;   in Loop: Header=BB14_4 Depth=1
	v_cmp_eq_u32_e64 s[10:11], 0, v68
	s_and_saveexec_b64 s[18:19], s[10:11]
	s_cbranch_execz .LBB14_77
; %bb.76:                               ;   in Loop: Header=BB14_4 Depth=1
	v_mul_f32_e32 v68, v67, v67
	v_mov_b32_e32 v70, 0x38e28445
	v_mov_b32_e32 v69, 0x39679767
	v_fmac_f32_e32 v70, 0x383c2c75, v68
	v_fmac_f32_e32 v69, 0x37d383a2, v68
	v_fma_f32 v70, v68, v70, v44
	v_fma_f32 v69, v68, v69, v40
	;; [unrolled: 1-line block ×8, first 2 shown]
	v_mul_f32_e32 v68, v68, v70
	v_fmac_f32_e32 v68, v67, v69
	v_fmac_f32_e32 v68, -0.5, v67
	v_add_f32_e32 v65, v65, v68
.LBB14_77:                              ;   in Loop: Header=BB14_4 Depth=1
	s_or_b64 exec, exec, s[18:19]
.LBB14_78:                              ;   in Loop: Header=BB14_4 Depth=1
	s_or_b64 exec, exec, s[16:17]
.LBB14_79:                              ;   in Loop: Header=BB14_4 Depth=1
	s_or_b64 exec, exec, s[12:13]
.LBB14_80:                              ;   in Loop: Header=BB14_4 Depth=1
	s_andn2_saveexec_b64 s[14:15], s[14:15]
	s_cbranch_execz .LBB14_82
; %bb.81:                               ;   in Loop: Header=BB14_4 Depth=1
	v_cmp_lt_f32_e64 s[10:11], |v64|, s45
	v_cndmask_b32_e64 v65, 0, 32, s[10:11]
	v_ldexp_f32 v65, |v64|, v65
	v_log_f32_e32 v65, v65
	v_fma_f32 v67, |v64|, s56, v55
	v_fma_f32 v67, |v64|, v67, s57
	;; [unrolled: 1-line block ×3, first 2 shown]
	v_mul_f32_e32 v68, 0x3f317217, v65
	v_fma_f32 v69, v65, s46, -v68
	v_fmac_f32_e32 v69, 0x3377d1cf, v65
	v_add_f32_e32 v68, v68, v69
	v_cmp_lt_f32_e64 s[12:13], |v65|, s47
	v_cndmask_b32_e64 v65, v65, v68, s[12:13]
	v_cndmask_b32_e64 v68, 0, v54, s[10:11]
	v_sub_f32_e32 v65, v65, v68
	v_fma_f32 v65, |v64|, v67, -v65
.LBB14_82:                              ;   in Loop: Header=BB14_4 Depth=1
	s_or_b64 exec, exec, s[14:15]
	v_cmp_le_f16_e64 s[10:11], 0, v59
	v_cmp_nle_f16_e64 s[12:13], 0, v59
	s_and_saveexec_b64 s[14:15], s[12:13]
	s_xor_b64 s[16:17], exec, s[14:15]
	s_cbranch_execz .LBB14_86
; %bb.83:                               ;   in Loop: Header=BB14_4 Depth=1
	v_cmp_lt_f32_e64 s[12:13], |v64|, s59
	v_cmp_gt_f32_e64 s[14:15], |v64|, s60
	s_and_b64 s[12:13], s[12:13], s[14:15]
	s_and_saveexec_b64 s[18:19], s[12:13]
	s_cbranch_execz .LBB14_85
; %bb.84:                               ;   in Loop: Header=BB14_4 Depth=1
	v_mul_f32_e64 v67, |v64|, 0.5
	v_floor_f32_e32 v68, v67
	v_sub_f32_e32 v68, v67, v68
	v_min_f32_e32 v68, 0x3f7fffff, v68
	v_add_f32_e32 v68, v68, v68
	v_cmp_neq_f32_e64 s[12:13], s47, v67
	v_cndmask_b32_e64 v67, 0, v68, s[12:13]
	v_cmp_gt_f32_e64 s[12:13], |v64|, 1.0
	v_cndmask_b32_e64 v67, |v64|, v67, s[12:13]
	v_add_f32_e32 v68, v67, v67
	v_rndne_f32_e32 v68, v68
	v_fmac_f32_e32 v67, -0.5, v68
	v_mul_f32_e32 v69, v67, v67
	v_mov_b32_e32 v70, 0xbf1f24be
	v_fmac_f32_e32 v70, 0x3e75aa41, v69
	v_fma_f32 v70, v69, v70, v48
	v_fma_f32 v70, v69, v70, v49
	v_mul_f32_e32 v71, v67, v69
	v_mul_f32_e32 v70, v71, v70
	v_fmac_f32_e32 v70, 0x40490fdb, v67
	v_mov_b32_e32 v67, 0x3e642e9d
	v_cvt_i32_f32_e32 v68, v68
	v_fmac_f32_e32 v67, 0x3d4be544, v69
	v_fma_f32 v67, v69, v67, v50
	v_fma_f32 v67, v69, v67, v51
	;; [unrolled: 1-line block ×3, first 2 shown]
	v_fma_f32 v67, v69, v67, 1.0
	v_and_b32_e32 v69, 1, v68
	v_lshlrev_b32_e32 v68, 30, v68
	v_cmp_eq_u32_e64 s[12:13], 0, v69
	v_and_b32_e32 v68, 0x80000000, v68
	v_xor_b32_e32 v66, v66, v64
	v_cndmask_b32_e64 v67, v67, v70, s[12:13]
	v_xor_b32_e32 v66, v66, v68
	v_xor_b32_e32 v66, v66, v67
	v_mul_f32_e32 v66, v64, v66
	v_frexp_mant_f32_e64 v67, |v66|
	v_rcp_f32_e32 v67, v67
	v_frexp_exp_i32_f32_e32 v66, v66
	v_sub_u32_e32 v66, 2, v66
	v_mul_f32_e32 v67, 0x3f490fdb, v67
	v_ldexp_f32 v66, v67, v66
	v_cmp_gt_f32_e64 s[12:13], s45, v66
	v_cndmask_b32_e64 v67, 0, 32, s[12:13]
	v_ldexp_f32 v66, v66, v67
	v_log_f32_e32 v66, v66
	v_mul_f32_e32 v67, 0x3f317217, v66
	v_fma_f32 v68, v66, s46, -v67
	v_fmac_f32_e32 v68, 0x3377d1cf, v66
	v_add_f32_e32 v67, v67, v68
	v_cmp_lt_f32_e64 s[14:15], |v66|, s47
	v_cndmask_b32_e64 v66, v66, v67, s[14:15]
	v_cndmask_b32_e64 v67, 0, v54, s[12:13]
	v_sub_f32_e32 v66, v66, v67
	v_sub_f32_e32 v65, v66, v65
	v_floor_f32_e32 v66, v64
	v_sub_f32_e32 v66, v64, v66
	v_min_f32_e32 v66, 0x3f7fffff, v66
	v_cmp_neq_f32_e64 s[12:13], 0, v66
	v_cndmask_b32_e64 v65, v56, v65, s[12:13]
.LBB14_85:                              ;   in Loop: Header=BB14_4 Depth=1
	s_or_b64 exec, exec, s[18:19]
.LBB14_86:                              ;   in Loop: Header=BB14_4 Depth=1
	s_andn2_saveexec_b64 s[16:17], s[16:17]
; %bb.87:                               ;   in Loop: Header=BB14_4 Depth=1
	v_cmp_eq_f16_e64 s[12:13], 1.0, v59
	v_cmp_eq_f16_e64 s[14:15], 2.0, v59
	s_or_b64 s[12:13], s[12:13], s[14:15]
	v_cndmask_b32_e64 v65, v65, 0, s[12:13]
; %bb.88:                               ;   in Loop: Header=BB14_4 Depth=1
	s_or_b64 exec, exec, s[16:17]
	v_cvt_f32_f16_e32 v66, v58
                                        ; implicit-def: $vgpr67
	v_and_b32_e32 v68, 0x7fffffff, v66
	v_cmp_nlt_f32_e64 s[12:13], |v66|, s42
	s_and_saveexec_b64 s[14:15], s[12:13]
	s_xor_b64 s[16:17], exec, s[14:15]
	s_cbranch_execz .LBB14_118
; %bb.89:                               ;   in Loop: Header=BB14_4 Depth=1
	v_cmp_nlt_f32_e64 s[12:13], |v66|, 2.0
                                        ; implicit-def: $vgpr67
	s_and_saveexec_b64 s[14:15], s[12:13]
	s_xor_b64 s[18:19], exec, s[14:15]
	s_cbranch_execz .LBB14_99
; %bb.90:                               ;   in Loop: Header=BB14_4 Depth=1
	v_cmp_nlt_f32_e64 s[12:13], |v66|, s43
                                        ; implicit-def: $vgpr67
	s_and_saveexec_b64 s[14:15], s[12:13]
	s_xor_b64 s[34:35], exec, s[14:15]
	s_cbranch_execz .LBB14_96
; %bb.91:                               ;   in Loop: Header=BB14_4 Depth=1
	v_cmp_nlt_f32_e64 s[12:13], |v66|, s44
                                        ; implicit-def: $vgpr67
	s_and_saveexec_b64 s[14:15], s[12:13]
	s_xor_b64 s[36:37], exec, s[14:15]
	s_cbranch_execz .LBB14_93
; %bb.92:                               ;   in Loop: Header=BB14_4 Depth=1
	v_cmp_lt_f32_e64 s[12:13], |v66|, s45
	v_cndmask_b32_e64 v67, 0, 32, s[12:13]
	v_ldexp_f32 v67, |v66|, v67
	v_log_f32_e32 v67, v67
	v_mul_f32_e32 v69, 0x3f317217, v67
	v_fma_f32 v70, v67, s46, -v69
	v_fmac_f32_e32 v70, 0x3377d1cf, v67
	v_add_f32_e32 v69, v69, v70
	v_cmp_lt_f32_e64 s[14:15], |v67|, s47
	v_cndmask_b32_e64 v67, v67, v69, s[14:15]
	v_cndmask_b32_e64 v69, 0, v54, s[12:13]
	v_sub_f32_e32 v67, v67, v69
	v_fma_f32 v67, |v66|, v67, -|v66|
.LBB14_93:                              ;   in Loop: Header=BB14_4 Depth=1
	s_andn2_saveexec_b64 s[36:37], s[36:37]
	s_cbranch_execz .LBB14_95
; %bb.94:                               ;   in Loop: Header=BB14_4 Depth=1
	v_rcp_f32_e64 v67, |v66|
	v_cmp_lt_f32_e64 s[12:13], |v66|, s45
	v_cndmask_b32_e64 v70, 0, 32, s[12:13]
	v_mov_b32_e32 v69, 0x3a5b3dd2
	v_mul_f32_e32 v71, v67, v67
	v_ldexp_f32 v70, |v66|, v70
	v_fmac_f32_e32 v69, 0xbad5c4e8, v71
	v_log_f32_e32 v70, v70
	v_fma_f32 v69, v71, v69, v11
	v_fma_f32 v69, v71, v69, v12
	;; [unrolled: 1-line block ×4, first 2 shown]
	v_mul_f32_e32 v71, 0x3f317217, v70
	v_fma_f32 v72, v70, s46, -v71
	v_fmac_f32_e32 v72, 0x3377d1cf, v70
	v_add_f32_e32 v71, v71, v72
	v_cmp_lt_f32_e64 s[14:15], |v70|, s47
	v_cndmask_b32_e64 v70, v70, v71, s[14:15]
	v_cndmask_b32_e64 v71, 0, v54, s[12:13]
	v_sub_f32_e32 v70, v70, v71
	v_fma_f32 v67, v67, v69, v15
	v_add_f32_e64 v69, |v66|, -0.5
	v_add_f32_e32 v70, -1.0, v70
	v_fmac_f32_e32 v67, v69, v70
.LBB14_95:                              ;   in Loop: Header=BB14_4 Depth=1
	s_or_b64 exec, exec, s[36:37]
.LBB14_96:                              ;   in Loop: Header=BB14_4 Depth=1
	s_andn2_saveexec_b64 s[34:35], s[34:35]
	s_cbranch_execz .LBB14_98
; %bb.97:                               ;   in Loop: Header=BB14_4 Depth=1
	v_cvt_i32_f32_e32 v67, v68
	v_mov_b32_e32 v71, 0x3a4beed6
	v_mov_b32_e32 v70, 0x3af135b4
	v_cvt_f32_i32_e32 v69, v67
	v_cmp_lt_i32_e64 s[12:13], 2, v67
	v_sub_f32_e64 v69, |v66|, v69
	v_add_f32_e32 v72, 2.0, v69
	v_add_f32_e32 v73, 0x40400000, v69
	v_cndmask_b32_e64 v72, 1.0, v72, s[12:13]
	v_cmp_lt_i32_e64 s[12:13], 3, v67
	v_add_f32_e32 v74, 4.0, v69
	v_cndmask_b32_e64 v73, 1.0, v73, s[12:13]
	v_cmp_lt_i32_e64 s[12:13], 4, v67
	v_fmac_f32_e32 v71, 0x36f5d7bd, v69
	v_add_f32_e32 v75, 0x40a00000, v69
	v_mul_f32_e32 v72, v72, v73
	v_cndmask_b32_e64 v73, 1.0, v74, s[12:13]
	v_cmp_lt_i32_e64 s[12:13], 5, v67
	v_fma_f32 v71, v69, v71, v21
	v_add_f32_e32 v76, 0x40c00000, v69
	v_mul_f32_e32 v72, v73, v72
	v_cndmask_b32_e64 v73, 1.0, v75, s[12:13]
	v_cmp_lt_i32_e64 s[12:13], 6, v67
	v_fma_f32 v71, v69, v71, v22
	v_mul_f32_e32 v72, v73, v72
	v_cndmask_b32_e64 v67, 1.0, v76, s[12:13]
	v_fmac_f32_e32 v70, 0x3805ff67, v69
	v_fma_f32 v71, v69, v71, v23
	v_mul_f32_e32 v67, v67, v72
	v_fma_f32 v70, v69, v70, v16
	v_fma_f32 v71, v69, v71, v24
	v_cmp_gt_f32_e64 s[12:13], s45, v67
	v_fma_f32 v70, v69, v70, v17
	v_fma_f32 v71, v69, v71, 1.0
	v_cndmask_b32_e64 v72, 0, 32, s[12:13]
	v_fma_f32 v70, v69, v70, v18
	v_rcp_f32_e32 v71, v71
	v_ldexp_f32 v67, v67, v72
	v_fma_f32 v70, v69, v70, v19
	v_log_f32_e32 v67, v67
	v_fma_f32 v70, v69, v70, v20
	v_mul_f32_e32 v70, v69, v70
	v_mul_f32_e32 v70, v70, v71
	v_fmac_f32_e32 v70, 0.5, v69
	v_mul_f32_e32 v69, 0x3f317217, v67
	v_fma_f32 v71, v67, s46, -v69
	v_fmac_f32_e32 v71, 0x3377d1cf, v67
	v_add_f32_e32 v69, v69, v71
	v_cmp_lt_f32_e64 s[14:15], |v67|, s47
	v_cndmask_b32_e64 v67, v67, v69, s[14:15]
	v_cndmask_b32_e64 v69, 0, v54, s[12:13]
	v_sub_f32_e32 v67, v67, v69
	v_add_f32_e32 v67, v67, v70
.LBB14_98:                              ;   in Loop: Header=BB14_4 Depth=1
	s_or_b64 exec, exec, s[34:35]
.LBB14_99:                              ;   in Loop: Header=BB14_4 Depth=1
	s_andn2_saveexec_b64 s[14:15], s[18:19]
	s_cbranch_execz .LBB14_117
; %bb.100:                              ;   in Loop: Header=BB14_4 Depth=1
	v_cmp_le_f32_e64 s[12:13], |v66|, s48
                                        ; implicit-def: $vgpr67
                                        ; implicit-def: $vgpr70
                                        ; implicit-def: $vgpr69
	s_and_saveexec_b64 s[18:19], s[12:13]
	s_xor_b64 s[18:19], exec, s[18:19]
	s_cbranch_execz .LBB14_102
; %bb.101:                              ;   in Loop: Header=BB14_4 Depth=1
	v_cmp_lt_f32_e64 s[12:13], |v66|, s45
	v_cndmask_b32_e64 v67, 0, 32, s[12:13]
	v_ldexp_f32 v67, |v66|, v67
	v_log_f32_e32 v67, v67
	v_cndmask_b32_e64 v69, 0, v54, s[12:13]
	v_mul_f32_e32 v70, 0x3f317217, v67
	v_fma_f32 v71, v67, s46, -v70
	v_fmac_f32_e32 v71, 0x3377d1cf, v67
	v_add_f32_e32 v70, v70, v71
	v_cmp_lt_f32_e64 s[12:13], |v67|, s47
	v_cndmask_b32_e64 v67, v67, v70, s[12:13]
	v_sub_f32_e32 v67, v67, v69
	v_sub_f32_e64 v69, 1.0, |v66|
	v_add_f32_e64 v70, |v66|, s50
	v_cmp_lt_f32_e64 s[12:13], |v66|, s49
	v_cndmask_b32_e64 v69, v69, v70, s[12:13]
	v_cndmask_b32_e64 v70, 0, 1, s[12:13]
	v_cmp_lt_f32_e64 s[12:13], |v66|, s51
	v_xor_b32_e32 v67, 0x80000000, v67
	v_cndmask_b32_e64 v69, v69, |v66|, s[12:13]
	v_cndmask_b32_e64 v70, v70, 2, s[12:13]
.LBB14_102:                             ;   in Loop: Header=BB14_4 Depth=1
	s_andn2_saveexec_b64 s[18:19], s[18:19]
	s_cbranch_execz .LBB14_104
; %bb.103:                              ;   in Loop: Header=BB14_4 Depth=1
	v_sub_f32_e64 v67, 2.0, |v66|
	v_add_f32_e64 v69, |v66|, s53
	v_cmp_lt_f32_e64 s[12:13], |v66|, s52
	v_cndmask_b32_e64 v69, v67, v69, s[12:13]
	v_cndmask_b32_e64 v67, v67, 1.0, s[12:13]
	v_cvt_i32_f32_e32 v67, v67
	v_add_f32_e64 v70, |v66|, -1.0
	v_cmp_lt_f32_e64 s[12:13], |v66|, s54
	v_cndmask_b32_e64 v69, v69, v70, s[12:13]
	v_cndmask_b32_e64 v70, v67, 2, s[12:13]
	v_mov_b32_e32 v67, 0
.LBB14_104:                             ;   in Loop: Header=BB14_4 Depth=1
	s_or_b64 exec, exec, s[18:19]
	v_cmp_lt_i32_e64 s[12:13], 0, v70
	s_and_saveexec_b64 s[18:19], s[12:13]
	s_xor_b64 s[18:19], exec, s[18:19]
	s_cbranch_execz .LBB14_112
; %bb.105:                              ;   in Loop: Header=BB14_4 Depth=1
	v_cmp_lt_i32_e64 s[12:13], 1, v70
	s_and_saveexec_b64 s[34:35], s[12:13]
	s_xor_b64 s[34:35], exec, s[34:35]
	s_cbranch_execz .LBB14_109
; %bb.106:                              ;   in Loop: Header=BB14_4 Depth=1
	v_cmp_eq_u32_e64 s[12:13], 2, v70
	s_and_saveexec_b64 s[36:37], s[12:13]
	s_cbranch_execz .LBB14_108
; %bb.107:                              ;   in Loop: Header=BB14_4 Depth=1
	v_mov_b32_e32 v71, 0x3dd572af
	v_fmac_f32_e32 v71, 0x3b52d5db, v69
	v_fma_f32 v71, v69, v71, v28
	v_mov_b32_e32 v70, 0x3e6a7578
	v_fma_f32 v71, v69, v71, v29
	v_fmac_f32_e32 v70, 0x3c5b3c5e, v69
	v_fma_f32 v71, v69, v71, v30
	v_fma_f32 v70, v69, v70, v25
	v_fma_f32 v71, v69, v71, 1.0
	v_fma_f32 v70, v69, v70, v26
	v_rcp_f32_e32 v71, v71
	v_fma_f32 v70, v69, v70, v27
	v_fma_f32 v70, v69, v70, v20
	v_mul_f32_e32 v70, v69, v70
	v_mul_f32_e32 v70, v70, v71
	v_fmac_f32_e32 v70, -0.5, v69
	v_add_f32_e32 v67, v67, v70
.LBB14_108:                             ;   in Loop: Header=BB14_4 Depth=1
	s_or_b64 exec, exec, s[36:37]
                                        ; implicit-def: $vgpr69
.LBB14_109:                             ;   in Loop: Header=BB14_4 Depth=1
	s_andn2_saveexec_b64 s[12:13], s[34:35]
	s_cbranch_execz .LBB14_111
; %bb.110:                              ;   in Loop: Header=BB14_4 Depth=1
	v_mul_f32_e32 v70, v69, v69
	v_mul_f32_e32 v71, v69, v70
	v_mov_b32_e32 v73, 0x3a66f867
	v_mov_b32_e32 v74, 0xba0d3085
	v_fmac_f32_e32 v73, 0xb9a3f927, v71
	v_fmac_f32_e32 v74, 0x39afe9f7, v71
	v_mov_b32_e32 v72, 0xbab7f476
	v_fma_f32 v73, v71, v73, v34
	v_fma_f32 v74, v71, v74, v37
	v_fmac_f32_e32 v72, 0x39a57b6b, v71
	v_fma_f32 v73, v71, v73, v35
	v_fma_f32 v74, v71, v74, v38
	v_fma_f32 v72, v71, v72, v31
	v_fma_f32 v73, v71, v73, v36
	v_fma_f32 v74, v71, v74, v39
	v_fma_f32 v72, v71, v72, v32
	v_fmac_f32_e32 v73, v69, v74
	v_fma_f32 v72, v71, v72, v33
	v_fma_f32 v69, v71, -v73, s55
	v_fma_f32 v69, v70, v72, -v69
	v_add_f32_e32 v69, 0xbdf8cdce, v69
	v_add_f32_e32 v67, v67, v69
.LBB14_111:                             ;   in Loop: Header=BB14_4 Depth=1
	s_or_b64 exec, exec, s[12:13]
                                        ; implicit-def: $vgpr70
                                        ; implicit-def: $vgpr69
.LBB14_112:                             ;   in Loop: Header=BB14_4 Depth=1
	s_andn2_saveexec_b64 s[18:19], s[18:19]
	s_cbranch_execz .LBB14_116
; %bb.113:                              ;   in Loop: Header=BB14_4 Depth=1
	v_cmp_eq_u32_e64 s[12:13], 0, v70
	s_and_saveexec_b64 s[34:35], s[12:13]
	s_cbranch_execz .LBB14_115
; %bb.114:                              ;   in Loop: Header=BB14_4 Depth=1
	v_mul_f32_e32 v70, v69, v69
	v_mov_b32_e32 v72, 0x38e28445
	v_mov_b32_e32 v71, 0x39679767
	v_fmac_f32_e32 v72, 0x383c2c75, v70
	v_fmac_f32_e32 v71, 0x37d383a2, v70
	v_fma_f32 v72, v70, v72, v44
	v_fma_f32 v71, v70, v71, v40
	v_fma_f32 v72, v70, v72, v45
	v_fma_f32 v71, v70, v71, v41
	v_fma_f32 v72, v70, v72, v46
	v_fma_f32 v71, v70, v71, v42
	v_fma_f32 v72, v70, v72, v47
	v_fma_f32 v71, v70, v71, v43
	v_mul_f32_e32 v70, v70, v72
	v_fmac_f32_e32 v70, v69, v71
	v_fmac_f32_e32 v70, -0.5, v69
	v_add_f32_e32 v67, v67, v70
.LBB14_115:                             ;   in Loop: Header=BB14_4 Depth=1
	s_or_b64 exec, exec, s[34:35]
.LBB14_116:                             ;   in Loop: Header=BB14_4 Depth=1
	s_or_b64 exec, exec, s[18:19]
.LBB14_117:                             ;   in Loop: Header=BB14_4 Depth=1
	s_or_b64 exec, exec, s[14:15]
.LBB14_118:                             ;   in Loop: Header=BB14_4 Depth=1
	s_andn2_saveexec_b64 s[16:17], s[16:17]
	s_cbranch_execz .LBB14_120
; %bb.119:                              ;   in Loop: Header=BB14_4 Depth=1
	v_cmp_lt_f32_e64 s[12:13], |v66|, s45
	v_cndmask_b32_e64 v67, 0, 32, s[12:13]
	v_ldexp_f32 v67, |v66|, v67
	v_log_f32_e32 v67, v67
	v_fma_f32 v69, |v66|, s56, v55
	v_fma_f32 v69, |v66|, v69, s57
	;; [unrolled: 1-line block ×3, first 2 shown]
	v_mul_f32_e32 v70, 0x3f317217, v67
	v_fma_f32 v71, v67, s46, -v70
	v_fmac_f32_e32 v71, 0x3377d1cf, v67
	v_add_f32_e32 v70, v70, v71
	v_cmp_lt_f32_e64 s[14:15], |v67|, s47
	v_cndmask_b32_e64 v67, v67, v70, s[14:15]
	v_cndmask_b32_e64 v70, 0, v54, s[12:13]
	v_sub_f32_e32 v67, v67, v70
	v_fma_f32 v67, |v66|, v69, -v67
.LBB14_120:                             ;   in Loop: Header=BB14_4 Depth=1
	s_or_b64 exec, exec, s[16:17]
	v_cmp_le_f16_e64 s[12:13], 0, v58
	v_cmp_nle_f16_e64 s[14:15], 0, v58
	s_and_saveexec_b64 s[16:17], s[14:15]
	s_xor_b64 s[18:19], exec, s[16:17]
	s_cbranch_execz .LBB14_124
; %bb.121:                              ;   in Loop: Header=BB14_4 Depth=1
	v_cmp_lt_f32_e64 s[14:15], |v66|, s59
	v_cmp_gt_f32_e64 s[16:17], |v66|, s60
	s_and_b64 s[14:15], s[14:15], s[16:17]
	s_and_saveexec_b64 s[34:35], s[14:15]
	s_cbranch_execz .LBB14_123
; %bb.122:                              ;   in Loop: Header=BB14_4 Depth=1
	v_mul_f32_e64 v69, |v66|, 0.5
	v_floor_f32_e32 v70, v69
	v_sub_f32_e32 v70, v69, v70
	v_min_f32_e32 v70, 0x3f7fffff, v70
	v_add_f32_e32 v70, v70, v70
	v_cmp_neq_f32_e64 s[14:15], s47, v69
	v_cndmask_b32_e64 v69, 0, v70, s[14:15]
	v_cmp_gt_f32_e64 s[14:15], |v66|, 1.0
	v_cndmask_b32_e64 v69, |v66|, v69, s[14:15]
	v_add_f32_e32 v70, v69, v69
	v_rndne_f32_e32 v70, v70
	v_fmac_f32_e32 v69, -0.5, v70
	v_mul_f32_e32 v71, v69, v69
	v_mov_b32_e32 v72, 0xbf1f24be
	v_fmac_f32_e32 v72, 0x3e75aa41, v71
	v_fma_f32 v72, v71, v72, v48
	v_fma_f32 v72, v71, v72, v49
	v_mul_f32_e32 v73, v69, v71
	v_mul_f32_e32 v72, v73, v72
	v_fmac_f32_e32 v72, 0x40490fdb, v69
	v_mov_b32_e32 v69, 0x3e642e9d
	v_cvt_i32_f32_e32 v70, v70
	v_fmac_f32_e32 v69, 0x3d4be544, v71
	v_fma_f32 v69, v71, v69, v50
	v_fma_f32 v69, v71, v69, v51
	;; [unrolled: 1-line block ×3, first 2 shown]
	v_fma_f32 v69, v71, v69, 1.0
	v_and_b32_e32 v71, 1, v70
	v_lshlrev_b32_e32 v70, 30, v70
	v_cmp_eq_u32_e64 s[14:15], 0, v71
	v_and_b32_e32 v70, 0x80000000, v70
	v_xor_b32_e32 v68, v68, v66
	v_cndmask_b32_e64 v69, v69, v72, s[14:15]
	v_xor_b32_e32 v68, v68, v70
	v_xor_b32_e32 v68, v68, v69
	v_mul_f32_e32 v68, v66, v68
	v_frexp_mant_f32_e64 v69, |v68|
	v_rcp_f32_e32 v69, v69
	v_frexp_exp_i32_f32_e32 v68, v68
	v_sub_u32_e32 v68, 2, v68
	v_mul_f32_e32 v69, 0x3f490fdb, v69
	v_ldexp_f32 v68, v69, v68
	v_cmp_gt_f32_e64 s[14:15], s45, v68
	v_cndmask_b32_e64 v69, 0, 32, s[14:15]
	v_ldexp_f32 v68, v68, v69
	v_log_f32_e32 v68, v68
	v_mul_f32_e32 v69, 0x3f317217, v68
	v_fma_f32 v70, v68, s46, -v69
	v_fmac_f32_e32 v70, 0x3377d1cf, v68
	v_add_f32_e32 v69, v69, v70
	v_cmp_lt_f32_e64 s[16:17], |v68|, s47
	v_cndmask_b32_e64 v68, v68, v69, s[16:17]
	v_cndmask_b32_e64 v69, 0, v54, s[14:15]
	v_sub_f32_e32 v68, v68, v69
	v_sub_f32_e32 v67, v68, v67
	v_floor_f32_e32 v68, v66
	v_sub_f32_e32 v68, v66, v68
	v_min_f32_e32 v68, 0x3f7fffff, v68
	v_cmp_neq_f32_e64 s[14:15], 0, v68
	v_cndmask_b32_e64 v67, v56, v67, s[14:15]
.LBB14_123:                             ;   in Loop: Header=BB14_4 Depth=1
	s_or_b64 exec, exec, s[34:35]
.LBB14_124:                             ;   in Loop: Header=BB14_4 Depth=1
	s_andn2_saveexec_b64 s[18:19], s[18:19]
; %bb.125:                              ;   in Loop: Header=BB14_4 Depth=1
	v_cmp_eq_f16_e64 s[14:15], 1.0, v58
	v_cmp_eq_f16_e64 s[16:17], 2.0, v58
	s_or_b64 s[14:15], s[14:15], s[16:17]
	v_cndmask_b32_e64 v67, v67, 0, s[14:15]
; %bb.126:                              ;   in Loop: Header=BB14_4 Depth=1
	s_or_b64 exec, exec, s[18:19]
	v_cvt_f32_f16_e32 v68, v60
                                        ; implicit-def: $vgpr70
	v_and_b32_e32 v69, 0x7fffffff, v68
	v_cmp_nlt_f32_e64 s[14:15], |v68|, s42
	s_and_saveexec_b64 s[16:17], s[14:15]
	s_xor_b64 s[18:19], exec, s[16:17]
	s_cbranch_execz .LBB14_156
; %bb.127:                              ;   in Loop: Header=BB14_4 Depth=1
	v_cmp_nlt_f32_e64 s[14:15], |v68|, 2.0
                                        ; implicit-def: $vgpr70
	s_and_saveexec_b64 s[16:17], s[14:15]
	s_xor_b64 s[34:35], exec, s[16:17]
	s_cbranch_execz .LBB14_137
; %bb.128:                              ;   in Loop: Header=BB14_4 Depth=1
	v_cmp_nlt_f32_e64 s[14:15], |v68|, s43
                                        ; implicit-def: $vgpr70
	s_and_saveexec_b64 s[16:17], s[14:15]
	s_xor_b64 s[36:37], exec, s[16:17]
	s_cbranch_execz .LBB14_134
; %bb.129:                              ;   in Loop: Header=BB14_4 Depth=1
	v_cmp_nlt_f32_e64 s[14:15], |v68|, s44
                                        ; implicit-def: $vgpr70
	s_and_saveexec_b64 s[16:17], s[14:15]
	s_xor_b64 s[38:39], exec, s[16:17]
	s_cbranch_execz .LBB14_131
; %bb.130:                              ;   in Loop: Header=BB14_4 Depth=1
	v_cmp_lt_f32_e64 s[14:15], |v68|, s45
	v_cndmask_b32_e64 v70, 0, 32, s[14:15]
	v_ldexp_f32 v70, |v68|, v70
	v_log_f32_e32 v70, v70
	v_mul_f32_e32 v71, 0x3f317217, v70
	v_fma_f32 v72, v70, s46, -v71
	v_fmac_f32_e32 v72, 0x3377d1cf, v70
	v_add_f32_e32 v71, v71, v72
	v_cmp_lt_f32_e64 s[16:17], |v70|, s47
	v_cndmask_b32_e64 v70, v70, v71, s[16:17]
	v_cndmask_b32_e64 v71, 0, v54, s[14:15]
	v_sub_f32_e32 v70, v70, v71
	v_fma_f32 v70, |v68|, v70, -|v68|
.LBB14_131:                             ;   in Loop: Header=BB14_4 Depth=1
	s_andn2_saveexec_b64 s[38:39], s[38:39]
	s_cbranch_execz .LBB14_133
; %bb.132:                              ;   in Loop: Header=BB14_4 Depth=1
	v_rcp_f32_e64 v70, |v68|
	v_cmp_lt_f32_e64 s[14:15], |v68|, s45
	v_cndmask_b32_e64 v72, 0, 32, s[14:15]
	v_mov_b32_e32 v71, 0x3a5b3dd2
	v_mul_f32_e32 v73, v70, v70
	v_ldexp_f32 v72, |v68|, v72
	v_fmac_f32_e32 v71, 0xbad5c4e8, v73
	v_log_f32_e32 v72, v72
	v_fma_f32 v71, v73, v71, v11
	v_fma_f32 v71, v73, v71, v12
	;; [unrolled: 1-line block ×4, first 2 shown]
	v_mul_f32_e32 v73, 0x3f317217, v72
	v_fma_f32 v74, v72, s46, -v73
	v_fmac_f32_e32 v74, 0x3377d1cf, v72
	v_add_f32_e32 v73, v73, v74
	v_cmp_lt_f32_e64 s[16:17], |v72|, s47
	v_cndmask_b32_e64 v72, v72, v73, s[16:17]
	v_cndmask_b32_e64 v73, 0, v54, s[14:15]
	v_sub_f32_e32 v72, v72, v73
	v_fma_f32 v70, v70, v71, v15
	v_add_f32_e64 v71, |v68|, -0.5
	v_add_f32_e32 v72, -1.0, v72
	v_fmac_f32_e32 v70, v71, v72
.LBB14_133:                             ;   in Loop: Header=BB14_4 Depth=1
	s_or_b64 exec, exec, s[38:39]
.LBB14_134:                             ;   in Loop: Header=BB14_4 Depth=1
	s_andn2_saveexec_b64 s[36:37], s[36:37]
	s_cbranch_execz .LBB14_136
; %bb.135:                              ;   in Loop: Header=BB14_4 Depth=1
	v_cvt_i32_f32_e32 v70, v69
	v_mov_b32_e32 v73, 0x3a4beed6
	v_mov_b32_e32 v72, 0x3af135b4
	v_cvt_f32_i32_e32 v71, v70
	v_cmp_lt_i32_e64 s[14:15], 2, v70
	v_sub_f32_e64 v71, |v68|, v71
	v_add_f32_e32 v74, 2.0, v71
	v_add_f32_e32 v75, 0x40400000, v71
	v_cndmask_b32_e64 v74, 1.0, v74, s[14:15]
	v_cmp_lt_i32_e64 s[14:15], 3, v70
	v_add_f32_e32 v76, 4.0, v71
	v_cndmask_b32_e64 v75, 1.0, v75, s[14:15]
	v_cmp_lt_i32_e64 s[14:15], 4, v70
	v_fmac_f32_e32 v73, 0x36f5d7bd, v71
	v_add_f32_e32 v77, 0x40a00000, v71
	v_mul_f32_e32 v74, v74, v75
	v_cndmask_b32_e64 v75, 1.0, v76, s[14:15]
	v_cmp_lt_i32_e64 s[14:15], 5, v70
	v_fma_f32 v73, v71, v73, v21
	v_add_f32_e32 v78, 0x40c00000, v71
	v_mul_f32_e32 v74, v75, v74
	v_cndmask_b32_e64 v75, 1.0, v77, s[14:15]
	v_cmp_lt_i32_e64 s[14:15], 6, v70
	v_fma_f32 v73, v71, v73, v22
	v_mul_f32_e32 v74, v75, v74
	v_cndmask_b32_e64 v70, 1.0, v78, s[14:15]
	v_fmac_f32_e32 v72, 0x3805ff67, v71
	v_fma_f32 v73, v71, v73, v23
	v_mul_f32_e32 v70, v70, v74
	v_fma_f32 v72, v71, v72, v16
	v_fma_f32 v73, v71, v73, v24
	v_cmp_gt_f32_e64 s[14:15], s45, v70
	v_fma_f32 v72, v71, v72, v17
	v_fma_f32 v73, v71, v73, 1.0
	v_cndmask_b32_e64 v74, 0, 32, s[14:15]
	v_fma_f32 v72, v71, v72, v18
	v_rcp_f32_e32 v73, v73
	v_ldexp_f32 v70, v70, v74
	v_fma_f32 v72, v71, v72, v19
	v_log_f32_e32 v70, v70
	v_fma_f32 v72, v71, v72, v20
	v_mul_f32_e32 v72, v71, v72
	v_mul_f32_e32 v72, v72, v73
	v_fmac_f32_e32 v72, 0.5, v71
	v_mul_f32_e32 v71, 0x3f317217, v70
	v_fma_f32 v73, v70, s46, -v71
	v_fmac_f32_e32 v73, 0x3377d1cf, v70
	v_add_f32_e32 v71, v71, v73
	v_cmp_lt_f32_e64 s[16:17], |v70|, s47
	v_cndmask_b32_e64 v70, v70, v71, s[16:17]
	v_cndmask_b32_e64 v71, 0, v54, s[14:15]
	v_sub_f32_e32 v70, v70, v71
	v_add_f32_e32 v70, v70, v72
.LBB14_136:                             ;   in Loop: Header=BB14_4 Depth=1
	s_or_b64 exec, exec, s[36:37]
.LBB14_137:                             ;   in Loop: Header=BB14_4 Depth=1
	s_andn2_saveexec_b64 s[16:17], s[34:35]
	s_cbranch_execz .LBB14_155
; %bb.138:                              ;   in Loop: Header=BB14_4 Depth=1
	v_cmp_le_f32_e64 s[14:15], |v68|, s48
                                        ; implicit-def: $vgpr70
                                        ; implicit-def: $vgpr72
                                        ; implicit-def: $vgpr71
	s_and_saveexec_b64 s[34:35], s[14:15]
	s_xor_b64 s[34:35], exec, s[34:35]
	s_cbranch_execz .LBB14_140
; %bb.139:                              ;   in Loop: Header=BB14_4 Depth=1
	v_cmp_lt_f32_e64 s[14:15], |v68|, s45
	v_cndmask_b32_e64 v70, 0, 32, s[14:15]
	v_ldexp_f32 v70, |v68|, v70
	v_log_f32_e32 v70, v70
	v_cndmask_b32_e64 v71, 0, v54, s[14:15]
	v_mul_f32_e32 v72, 0x3f317217, v70
	v_fma_f32 v73, v70, s46, -v72
	v_fmac_f32_e32 v73, 0x3377d1cf, v70
	v_add_f32_e32 v72, v72, v73
	v_cmp_lt_f32_e64 s[14:15], |v70|, s47
	v_cndmask_b32_e64 v70, v70, v72, s[14:15]
	v_sub_f32_e32 v70, v70, v71
	v_sub_f32_e64 v71, 1.0, |v68|
	v_add_f32_e64 v72, |v68|, s50
	v_cmp_lt_f32_e64 s[14:15], |v68|, s49
	v_cndmask_b32_e64 v71, v71, v72, s[14:15]
	v_cndmask_b32_e64 v72, 0, 1, s[14:15]
	v_cmp_lt_f32_e64 s[14:15], |v68|, s51
	v_xor_b32_e32 v70, 0x80000000, v70
	v_cndmask_b32_e64 v71, v71, |v68|, s[14:15]
	v_cndmask_b32_e64 v72, v72, 2, s[14:15]
.LBB14_140:                             ;   in Loop: Header=BB14_4 Depth=1
	s_andn2_saveexec_b64 s[34:35], s[34:35]
	s_cbranch_execz .LBB14_142
; %bb.141:                              ;   in Loop: Header=BB14_4 Depth=1
	v_sub_f32_e64 v70, 2.0, |v68|
	v_add_f32_e64 v71, |v68|, s53
	v_cmp_lt_f32_e64 s[14:15], |v68|, s52
	v_cndmask_b32_e64 v71, v70, v71, s[14:15]
	v_cndmask_b32_e64 v70, v70, 1.0, s[14:15]
	v_cvt_i32_f32_e32 v70, v70
	v_add_f32_e64 v72, |v68|, -1.0
	v_cmp_lt_f32_e64 s[14:15], |v68|, s54
	v_cndmask_b32_e64 v71, v71, v72, s[14:15]
	v_cndmask_b32_e64 v72, v70, 2, s[14:15]
	v_mov_b32_e32 v70, 0
.LBB14_142:                             ;   in Loop: Header=BB14_4 Depth=1
	s_or_b64 exec, exec, s[34:35]
	v_cmp_lt_i32_e64 s[14:15], 0, v72
	s_and_saveexec_b64 s[34:35], s[14:15]
	s_xor_b64 s[34:35], exec, s[34:35]
	s_cbranch_execz .LBB14_150
; %bb.143:                              ;   in Loop: Header=BB14_4 Depth=1
	v_cmp_lt_i32_e64 s[14:15], 1, v72
	s_and_saveexec_b64 s[36:37], s[14:15]
	s_xor_b64 s[36:37], exec, s[36:37]
	s_cbranch_execz .LBB14_147
; %bb.144:                              ;   in Loop: Header=BB14_4 Depth=1
	v_cmp_eq_u32_e64 s[14:15], 2, v72
	s_and_saveexec_b64 s[38:39], s[14:15]
	s_cbranch_execz .LBB14_146
; %bb.145:                              ;   in Loop: Header=BB14_4 Depth=1
	v_mov_b32_e32 v73, 0x3dd572af
	v_fmac_f32_e32 v73, 0x3b52d5db, v71
	v_fma_f32 v73, v71, v73, v28
	v_mov_b32_e32 v72, 0x3e6a7578
	v_fma_f32 v73, v71, v73, v29
	v_fmac_f32_e32 v72, 0x3c5b3c5e, v71
	v_fma_f32 v73, v71, v73, v30
	v_fma_f32 v72, v71, v72, v25
	v_fma_f32 v73, v71, v73, 1.0
	v_fma_f32 v72, v71, v72, v26
	v_rcp_f32_e32 v73, v73
	v_fma_f32 v72, v71, v72, v27
	v_fma_f32 v72, v71, v72, v20
	v_mul_f32_e32 v72, v71, v72
	v_mul_f32_e32 v72, v72, v73
	v_fmac_f32_e32 v72, -0.5, v71
	v_add_f32_e32 v70, v70, v72
.LBB14_146:                             ;   in Loop: Header=BB14_4 Depth=1
	s_or_b64 exec, exec, s[38:39]
                                        ; implicit-def: $vgpr71
.LBB14_147:                             ;   in Loop: Header=BB14_4 Depth=1
	s_andn2_saveexec_b64 s[14:15], s[36:37]
	s_cbranch_execz .LBB14_149
; %bb.148:                              ;   in Loop: Header=BB14_4 Depth=1
	v_mul_f32_e32 v72, v71, v71
	v_mul_f32_e32 v73, v71, v72
	v_mov_b32_e32 v75, 0x3a66f867
	v_mov_b32_e32 v76, 0xba0d3085
	v_fmac_f32_e32 v75, 0xb9a3f927, v73
	v_fmac_f32_e32 v76, 0x39afe9f7, v73
	v_mov_b32_e32 v74, 0xbab7f476
	v_fma_f32 v75, v73, v75, v34
	v_fma_f32 v76, v73, v76, v37
	v_fmac_f32_e32 v74, 0x39a57b6b, v73
	v_fma_f32 v75, v73, v75, v35
	v_fma_f32 v76, v73, v76, v38
	;; [unrolled: 1-line block ×6, first 2 shown]
	v_fmac_f32_e32 v75, v71, v76
	v_fma_f32 v74, v73, v74, v33
	v_fma_f32 v71, v73, -v75, s55
	v_fma_f32 v71, v72, v74, -v71
	v_add_f32_e32 v71, 0xbdf8cdce, v71
	v_add_f32_e32 v70, v70, v71
.LBB14_149:                             ;   in Loop: Header=BB14_4 Depth=1
	s_or_b64 exec, exec, s[14:15]
                                        ; implicit-def: $vgpr72
                                        ; implicit-def: $vgpr71
.LBB14_150:                             ;   in Loop: Header=BB14_4 Depth=1
	s_andn2_saveexec_b64 s[34:35], s[34:35]
	s_cbranch_execz .LBB14_154
; %bb.151:                              ;   in Loop: Header=BB14_4 Depth=1
	v_cmp_eq_u32_e64 s[14:15], 0, v72
	s_and_saveexec_b64 s[36:37], s[14:15]
	s_cbranch_execz .LBB14_153
; %bb.152:                              ;   in Loop: Header=BB14_4 Depth=1
	v_mul_f32_e32 v72, v71, v71
	v_mov_b32_e32 v74, 0x38e28445
	v_mov_b32_e32 v73, 0x39679767
	v_fmac_f32_e32 v74, 0x383c2c75, v72
	v_fmac_f32_e32 v73, 0x37d383a2, v72
	v_fma_f32 v74, v72, v74, v44
	v_fma_f32 v73, v72, v73, v40
	;; [unrolled: 1-line block ×8, first 2 shown]
	v_mul_f32_e32 v72, v72, v74
	v_fmac_f32_e32 v72, v71, v73
	v_fmac_f32_e32 v72, -0.5, v71
	v_add_f32_e32 v70, v70, v72
.LBB14_153:                             ;   in Loop: Header=BB14_4 Depth=1
	s_or_b64 exec, exec, s[36:37]
.LBB14_154:                             ;   in Loop: Header=BB14_4 Depth=1
	s_or_b64 exec, exec, s[34:35]
.LBB14_155:                             ;   in Loop: Header=BB14_4 Depth=1
	s_or_b64 exec, exec, s[16:17]
.LBB14_156:                             ;   in Loop: Header=BB14_4 Depth=1
	s_andn2_saveexec_b64 s[18:19], s[18:19]
	s_cbranch_execz .LBB14_158
; %bb.157:                              ;   in Loop: Header=BB14_4 Depth=1
	v_cmp_lt_f32_e64 s[14:15], |v68|, s45
	v_cndmask_b32_e64 v70, 0, 32, s[14:15]
	v_ldexp_f32 v70, |v68|, v70
	v_log_f32_e32 v70, v70
	v_fma_f32 v71, |v68|, s56, v55
	v_fma_f32 v71, |v68|, v71, s57
	;; [unrolled: 1-line block ×3, first 2 shown]
	v_mul_f32_e32 v72, 0x3f317217, v70
	v_fma_f32 v73, v70, s46, -v72
	v_fmac_f32_e32 v73, 0x3377d1cf, v70
	v_add_f32_e32 v72, v72, v73
	v_cmp_lt_f32_e64 s[16:17], |v70|, s47
	v_cndmask_b32_e64 v70, v70, v72, s[16:17]
	v_cndmask_b32_e64 v72, 0, v54, s[14:15]
	v_sub_f32_e32 v70, v70, v72
	v_fma_f32 v70, |v68|, v71, -v70
.LBB14_158:                             ;   in Loop: Header=BB14_4 Depth=1
	s_or_b64 exec, exec, s[18:19]
	v_cmp_le_f16_e64 s[14:15], 0, v60
	v_cmp_nle_f16_e64 s[16:17], 0, v60
	s_and_saveexec_b64 s[18:19], s[16:17]
	s_xor_b64 s[34:35], exec, s[18:19]
	s_cbranch_execnz .LBB14_164
; %bb.159:                              ;   in Loop: Header=BB14_4 Depth=1
	s_andn2_saveexec_b64 s[34:35], s[34:35]
	s_cbranch_execnz .LBB14_167
.LBB14_160:                             ;   in Loop: Header=BB14_4 Depth=1
	s_or_b64 exec, exec, s[34:35]
	s_and_saveexec_b64 s[16:17], s[6:7]
	s_xor_b64 s[16:17], exec, s[16:17]
	s_cbranch_execnz .LBB14_168
.LBB14_161:                             ;   in Loop: Header=BB14_4 Depth=1
	s_or_b64 exec, exec, s[16:17]
	s_and_saveexec_b64 s[6:7], s[2:3]
	s_cbranch_execnz .LBB14_169
.LBB14_162:                             ;   in Loop: Header=BB14_4 Depth=1
	s_or_b64 exec, exec, s[6:7]
	s_and_saveexec_b64 s[2:3], s[0:1]
	s_cbranch_execnz .LBB14_170
.LBB14_163:                             ;   in Loop: Header=BB14_4 Depth=1
	s_or_b64 exec, exec, s[2:3]
	s_and_saveexec_b64 s[0:1], vcc
	s_cbranch_execz .LBB14_3
	s_branch .LBB14_171
.LBB14_164:                             ;   in Loop: Header=BB14_4 Depth=1
	v_cmp_lt_f32_e64 s[16:17], |v68|, s59
	v_cmp_gt_f32_e64 s[18:19], |v68|, s60
	s_and_b64 s[16:17], s[16:17], s[18:19]
	s_and_saveexec_b64 s[36:37], s[16:17]
	s_cbranch_execz .LBB14_166
; %bb.165:                              ;   in Loop: Header=BB14_4 Depth=1
	v_mul_f32_e64 v71, |v68|, 0.5
	v_floor_f32_e32 v72, v71
	v_sub_f32_e32 v72, v71, v72
	v_min_f32_e32 v72, 0x3f7fffff, v72
	v_add_f32_e32 v72, v72, v72
	v_cmp_neq_f32_e64 s[16:17], s47, v71
	v_cndmask_b32_e64 v71, 0, v72, s[16:17]
	v_cmp_gt_f32_e64 s[16:17], |v68|, 1.0
	v_cndmask_b32_e64 v71, |v68|, v71, s[16:17]
	v_add_f32_e32 v72, v71, v71
	v_rndne_f32_e32 v72, v72
	v_fmac_f32_e32 v71, -0.5, v72
	v_mul_f32_e32 v73, v71, v71
	v_mov_b32_e32 v74, 0xbf1f24be
	v_fmac_f32_e32 v74, 0x3e75aa41, v73
	v_fma_f32 v74, v73, v74, v48
	v_fma_f32 v74, v73, v74, v49
	v_mul_f32_e32 v75, v71, v73
	v_mul_f32_e32 v74, v75, v74
	v_fmac_f32_e32 v74, 0x40490fdb, v71
	v_mov_b32_e32 v71, 0x3e642e9d
	v_cvt_i32_f32_e32 v72, v72
	v_fmac_f32_e32 v71, 0x3d4be544, v73
	v_fma_f32 v71, v73, v71, v50
	v_fma_f32 v71, v73, v71, v51
	;; [unrolled: 1-line block ×3, first 2 shown]
	v_fma_f32 v71, v73, v71, 1.0
	v_and_b32_e32 v73, 1, v72
	v_lshlrev_b32_e32 v72, 30, v72
	v_cmp_eq_u32_e64 s[16:17], 0, v73
	v_and_b32_e32 v72, 0x80000000, v72
	v_xor_b32_e32 v69, v69, v68
	v_cndmask_b32_e64 v71, v71, v74, s[16:17]
	v_xor_b32_e32 v69, v69, v72
	v_xor_b32_e32 v69, v69, v71
	v_mul_f32_e32 v69, v68, v69
	v_frexp_mant_f32_e64 v71, |v69|
	v_rcp_f32_e32 v71, v71
	v_frexp_exp_i32_f32_e32 v69, v69
	v_sub_u32_e32 v69, 2, v69
	v_mul_f32_e32 v71, 0x3f490fdb, v71
	v_ldexp_f32 v69, v71, v69
	v_cmp_gt_f32_e64 s[16:17], s45, v69
	v_cndmask_b32_e64 v71, 0, 32, s[16:17]
	v_ldexp_f32 v69, v69, v71
	v_log_f32_e32 v69, v69
	v_mul_f32_e32 v71, 0x3f317217, v69
	v_fma_f32 v72, v69, s46, -v71
	v_fmac_f32_e32 v72, 0x3377d1cf, v69
	v_add_f32_e32 v71, v71, v72
	v_cmp_lt_f32_e64 s[18:19], |v69|, s47
	v_cndmask_b32_e64 v69, v69, v71, s[18:19]
	v_cndmask_b32_e64 v71, 0, v54, s[16:17]
	v_sub_f32_e32 v69, v69, v71
	v_sub_f32_e32 v69, v69, v70
	v_floor_f32_e32 v70, v68
	v_sub_f32_e32 v70, v68, v70
	v_min_f32_e32 v70, 0x3f7fffff, v70
	v_cmp_neq_f32_e64 s[16:17], 0, v70
	v_cndmask_b32_e64 v70, v56, v69, s[16:17]
.LBB14_166:                             ;   in Loop: Header=BB14_4 Depth=1
	s_or_b64 exec, exec, s[36:37]
	s_andn2_saveexec_b64 s[34:35], s[34:35]
	s_cbranch_execz .LBB14_160
.LBB14_167:                             ;   in Loop: Header=BB14_4 Depth=1
	v_cmp_eq_f16_e64 s[16:17], 1.0, v60
	v_cmp_eq_f16_e64 s[18:19], 2.0, v60
	s_or_b64 s[16:17], s[16:17], s[18:19]
	v_cndmask_b32_e64 v70, v70, 0, s[16:17]
	s_or_b64 exec, exec, s[34:35]
	s_and_saveexec_b64 s[16:17], s[6:7]
	s_xor_b64 s[16:17], exec, s[16:17]
	s_cbranch_execz .LBB14_161
.LBB14_168:                             ;   in Loop: Header=BB14_4 Depth=1
	v_cvt_f16_f32_e32 v63, v63
	v_cmp_lt_f32_e64 s[6:7], |v62|, s59
	s_or_b64 s[6:7], s[8:9], s[6:7]
	v_cndmask_b32_e64 v63, v57, v63, s[6:7]
	v_cmp_class_f32_e64 s[6:7], v62, v53
	v_cndmask_b32_e64 v62, v63, v57, s[6:7]
	v_cmp_u_f16_e64 s[6:7], v61, v61
	v_cndmask_b32_e64 v61, v62, v61, s[6:7]
	global_store_short v[1:2], v61, off
	s_or_b64 exec, exec, s[16:17]
	s_and_saveexec_b64 s[6:7], s[2:3]
	s_cbranch_execz .LBB14_162
.LBB14_169:                             ;   in Loop: Header=BB14_4 Depth=1
	v_cvt_f16_f32_e32 v61, v65
	v_cmp_lt_f32_e64 s[2:3], |v64|, s59
	s_or_b64 s[2:3], s[10:11], s[2:3]
	v_cndmask_b32_e64 v61, v57, v61, s[2:3]
	v_cmp_class_f32_e64 s[2:3], v64, v53
	v_cndmask_b32_e64 v61, v61, v57, s[2:3]
	v_cmp_u_f16_e64 s[2:3], v59, v59
	v_cndmask_b32_e64 v59, v61, v59, s[2:3]
	global_store_short v[3:4], v59, off
	s_or_b64 exec, exec, s[6:7]
	s_and_saveexec_b64 s[2:3], s[0:1]
	s_cbranch_execz .LBB14_163
.LBB14_170:                             ;   in Loop: Header=BB14_4 Depth=1
	v_cvt_f16_f32_e32 v59, v67
	v_cmp_lt_f32_e64 s[0:1], |v66|, s59
	s_or_b64 s[0:1], s[12:13], s[0:1]
	v_cndmask_b32_e64 v59, v57, v59, s[0:1]
	v_cmp_class_f32_e64 s[0:1], v66, v53
	v_cndmask_b32_e64 v59, v59, v57, s[0:1]
	v_cmp_u_f16_e64 s[0:1], v58, v58
	v_cndmask_b32_e64 v61, v59, v58, s[0:1]
	v_add_co_u32_e64 v58, s[0:1], s33, v1
	v_addc_co_u32_e64 v59, s[0:1], 0, v2, s[0:1]
	global_store_short v[58:59], v61, off
	s_or_b64 exec, exec, s[2:3]
	s_and_saveexec_b64 s[0:1], vcc
	s_cbranch_execz .LBB14_3
.LBB14_171:                             ;   in Loop: Header=BB14_4 Depth=1
	v_cvt_f16_f32_e32 v58, v70
	v_cmp_lt_f32_e64 s[2:3], |v68|, s59
	s_or_b64 vcc, s[14:15], s[2:3]
	v_cndmask_b32_e32 v58, v57, v58, vcc
	v_cmp_class_f32_e32 vcc, v68, v53
	v_cndmask_b32_e32 v58, v58, v57, vcc
	v_cmp_u_f16_e32 vcc, v60, v60
	v_cndmask_b32_e32 v60, v58, v60, vcc
	v_add_co_u32_e32 v58, vcc, s41, v1
	v_addc_co_u32_e32 v59, vcc, 0, v2, vcc
	global_store_short v[58:59], v60, off
	s_branch .LBB14_3
.LBB14_172:
	s_cbranch_execz .LBB14_174
	s_branch .LBB14_329
.LBB14_173:
.LBB14_174:
	v_mov_b32_e32 v1, 0x10000
	v_mov_b32_e32 v2, 0
	v_cmp_lt_i64_e32 vcc, s[24:25], v[1:2]
	v_mov_b32_e32 v2, 0
	s_and_b64 s[0:1], vcc, exec
	s_cselect_b32 s11, s25, 0
	s_cselect_b32 s10, s24, 0x10000
	v_lshlrev_b32_e32 v1, 2, v0
	v_cmp_gt_i64_e32 vcc, s[10:11], v[1:2]
	s_and_saveexec_b64 s[0:1], vcc
	s_cbranch_execz .LBB14_329
; %bb.175:
	s_load_dword s0, s[4:5], 0xd3c
	v_mov_b32_e32 v1, v2
	v_lshlrev_b32_e32 v2, 3, v0
	s_mov_b64 s[12:13], 0
	s_mov_b32 s25, 0x800000
	s_waitcnt lgkmcnt(0)
	s_and_b32 s24, s0, 0xffff
	s_add_u32 s0, s20, s22
	s_addc_u32 s1, s21, s23
	v_mov_b32_e32 v3, s1
	v_add_co_u32_e32 v2, vcc, s0, v2
	v_addc_co_u32_e32 v3, vcc, 0, v3, vcc
	v_add_co_u32_e32 v2, vcc, 4, v2
	v_addc_co_u32_e32 v3, vcc, 0, v3, vcc
	s_lshl_b32 s20, s24, 3
	s_mov_b32 s21, 0x3c800000
	s_mov_b32 s22, 0x41000000
	;; [unrolled: 1-line block ×5, first 2 shown]
	v_mov_b32_e32 v6, 0xba1c065c
	v_mov_b32_e32 v7, 0x3a500cfd
	;; [unrolled: 1-line block ×14, first 2 shown]
	s_mov_b32 s28, 0x3f666666
	s_mov_b32 s29, 0x3f3b4a23
	;; [unrolled: 1-line block ×7, first 2 shown]
	v_mov_b32_e32 v20, 0x3f7a4bb2
	v_mov_b32_e32 v21, 0x3fba3ae7
	v_mov_b32_e32 v22, 0x3f2200f4
	v_mov_b32_e32 v23, 0x3f44efdf
	v_mov_b32_e32 v24, 0x4008392d
	v_mov_b32_e32 v25, 0x401d2ebe
	v_mov_b32_e32 v26, 0x3bc7e707
	v_mov_b32_e32 v27, 0xbd064d47
	v_mov_b32_e32 v28, 0x3ef7b95e
	v_mov_b32_e32 v29, 0xbb7177fe
	v_mov_b32_e32 v30, 0x3c93373d
	v_mov_b32_e32 v31, 0xbe17213c
	v_mov_b32_e32 v32, 0x3b141699
	v_mov_b32_e32 v33, 0xbc28fcfe
	v_mov_b32_e32 v34, 0x3d845a15
	s_mov_b32 s36, 0xa2863e55
	v_mov_b32_e32 v35, 0x3a9c54a1
	v_mov_b32_e32 v36, 0x3bf2027e
	;; [unrolled: 1-line block ×8, first 2 shown]
	s_mov_b32 s37, 0x3e8a8991
	s_mov_b32 s38, 0x3f528d33
	;; [unrolled: 1-line block ×5, first 2 shown]
	v_mov_b32_e32 v43, 0x40234736
	v_mov_b32_e32 v44, 0xc0a55e0e
	;; [unrolled: 1-line block ×6, first 2 shown]
	s_mov_b32 s42, 0x5040100
	v_mov_b32_e32 v49, 0x41b17218
	v_mov_b32_e32 v50, 0xbecd26ab
	;; [unrolled: 1-line block ×4, first 2 shown]
	s_branch .LBB14_177
.LBB14_176:                             ;   in Loop: Header=BB14_177 Depth=1
	s_or_b64 exec, exec, s[14:15]
	v_cvt_f16_f32_e32 v59, v59
	v_cmp_lt_f32_e64 s[6:7], |v58|, s40
	s_or_b64 s[2:3], s[2:3], s[6:7]
	v_cvt_f16_f32_e32 v57, v57
	v_cndmask_b32_e64 v59, v52, v59, s[2:3]
	v_cmp_class_f32_e64 s[2:3], v58, v48
	v_cndmask_b32_e64 v58, v59, v52, s[2:3]
	v_cmp_u_f16_e64 s[2:3], v5, v5
	v_cndmask_b32_e64 v5, v58, v5, s[2:3]
	v_cmp_lt_f32_e64 s[2:3], |v56|, s40
	s_or_b64 s[0:1], s[0:1], s[2:3]
	v_cndmask_b32_e64 v57, v52, v57, s[0:1]
	v_cmp_class_f32_e64 s[0:1], v56, v48
	v_cvt_f16_f32_e32 v54, v54
	v_cndmask_b32_e64 v56, v57, v52, s[0:1]
	v_cmp_u_f16_e64 s[0:1], v55, v55
	v_cndmask_b32_e64 v55, v56, v55, s[0:1]
	v_cmp_lt_f32_e64 s[0:1], |v53|, s40
	s_or_b64 vcc, vcc, s[0:1]
	v_cndmask_b32_e32 v54, v52, v54, vcc
	v_cmp_class_f32_e32 vcc, v53, v48
	v_cndmask_b32_e32 v53, v54, v52, vcc
	v_cvt_f16_f32_e32 v54, v63
	v_cmp_u_f16_e32 vcc, v4, v4
	v_cmp_lt_f32_e64 s[0:1], |v61|, s40
	v_cndmask_b32_e32 v4, v53, v4, vcc
	s_or_b64 vcc, s[4:5], s[0:1]
	v_cndmask_b32_e32 v53, v52, v54, vcc
	v_cmp_class_f32_e32 vcc, v61, v48
	v_cndmask_b32_e32 v53, v53, v52, vcc
	v_cmp_u_f16_e32 vcc, v60, v60
	v_cndmask_b32_e32 v53, v53, v60, vcc
	v_add_co_u32_e32 v0, vcc, s24, v0
	v_addc_co_u32_e32 v1, vcc, 0, v1, vcc
	v_perm_b32 v5, v53, v5, s42
	v_lshlrev_b64 v[53:54], 2, v[0:1]
	v_perm_b32 v4, v55, v4, s42
	v_cmp_le_i64_e32 vcc, s[10:11], v[53:54]
	global_store_dwordx2 v[2:3], v[4:5], off offset:-4
	s_or_b64 s[12:13], vcc, s[12:13]
	v_add_co_u32_e32 v2, vcc, s20, v2
	v_addc_co_u32_e32 v3, vcc, 0, v3, vcc
	s_andn2_b64 exec, exec, s[12:13]
	s_cbranch_execz .LBB14_329
.LBB14_177:                             ; =>This Inner Loop Header: Depth=1
	global_load_dwordx2 v[4:5], v[2:3], off offset:-4
                                        ; implicit-def: $vgpr54
	s_waitcnt vmcnt(0)
	v_cvt_f32_f16_e32 v53, v4
	v_and_b32_e32 v55, 0x7fffffff, v53
	v_cmp_nlt_f32_e64 s[0:1], |v53|, s21
	s_and_saveexec_b64 s[2:3], s[0:1]
	s_xor_b64 s[2:3], exec, s[2:3]
	s_cbranch_execz .LBB14_207
; %bb.178:                              ;   in Loop: Header=BB14_177 Depth=1
	v_cmp_nlt_f32_e64 s[0:1], |v53|, 2.0
                                        ; implicit-def: $vgpr54
	s_and_saveexec_b64 s[4:5], s[0:1]
	s_xor_b64 s[4:5], exec, s[4:5]
	s_cbranch_execz .LBB14_188
; %bb.179:                              ;   in Loop: Header=BB14_177 Depth=1
	v_cmp_nlt_f32_e64 s[0:1], |v53|, s22
                                        ; implicit-def: $vgpr54
	s_and_saveexec_b64 s[6:7], s[0:1]
	s_xor_b64 s[6:7], exec, s[6:7]
	s_cbranch_execz .LBB14_185
; %bb.180:                              ;   in Loop: Header=BB14_177 Depth=1
	v_cmp_nlt_f32_e64 s[0:1], |v53|, s23
                                        ; implicit-def: $vgpr54
	s_and_saveexec_b64 s[8:9], s[0:1]
	s_xor_b64 s[8:9], exec, s[8:9]
	s_cbranch_execz .LBB14_182
; %bb.181:                              ;   in Loop: Header=BB14_177 Depth=1
	v_cmp_lt_f32_e64 vcc, |v53|, s25
	v_cndmask_b32_e64 v54, 0, 32, vcc
	v_ldexp_f32 v54, |v53|, v54
	v_log_f32_e32 v54, v54
	v_mul_f32_e32 v56, 0x3f317217, v54
	v_fma_f32 v57, v54, s26, -v56
	v_fmac_f32_e32 v57, 0x3377d1cf, v54
	v_add_f32_e32 v56, v56, v57
	v_cmp_lt_f32_e64 s[0:1], |v54|, s27
	v_cndmask_b32_e64 v54, v54, v56, s[0:1]
	v_cndmask_b32_e32 v56, 0, v49, vcc
	v_sub_f32_e32 v54, v54, v56
	v_fma_f32 v54, |v53|, v54, -|v53|
.LBB14_182:                             ;   in Loop: Header=BB14_177 Depth=1
	s_andn2_saveexec_b64 s[8:9], s[8:9]
	s_cbranch_execz .LBB14_184
; %bb.183:                              ;   in Loop: Header=BB14_177 Depth=1
	v_rcp_f32_e64 v54, |v53|
	v_cmp_lt_f32_e64 vcc, |v53|, s25
	v_cndmask_b32_e64 v57, 0, 32, vcc
	v_mov_b32_e32 v56, 0x3a5b3dd2
	v_mul_f32_e32 v58, v54, v54
	v_ldexp_f32 v57, |v53|, v57
	v_fmac_f32_e32 v56, 0xbad5c4e8, v58
	v_log_f32_e32 v57, v57
	v_fma_f32 v56, v58, v56, v6
	v_fma_f32 v56, v58, v56, v7
	;; [unrolled: 1-line block ×4, first 2 shown]
	v_mul_f32_e32 v58, 0x3f317217, v57
	v_fma_f32 v59, v57, s26, -v58
	v_fmac_f32_e32 v59, 0x3377d1cf, v57
	v_add_f32_e32 v58, v58, v59
	v_cmp_lt_f32_e64 s[0:1], |v57|, s27
	v_cndmask_b32_e64 v57, v57, v58, s[0:1]
	v_cndmask_b32_e32 v58, 0, v49, vcc
	v_sub_f32_e32 v57, v57, v58
	v_fma_f32 v54, v54, v56, v10
	v_add_f32_e64 v56, |v53|, -0.5
	v_add_f32_e32 v57, -1.0, v57
	v_fmac_f32_e32 v54, v56, v57
.LBB14_184:                             ;   in Loop: Header=BB14_177 Depth=1
	s_or_b64 exec, exec, s[8:9]
.LBB14_185:                             ;   in Loop: Header=BB14_177 Depth=1
	s_andn2_saveexec_b64 s[6:7], s[6:7]
	s_cbranch_execz .LBB14_187
; %bb.186:                              ;   in Loop: Header=BB14_177 Depth=1
	v_cvt_i32_f32_e32 v54, v55
	v_mov_b32_e32 v58, 0x3a4beed6
	v_mov_b32_e32 v57, 0x3af135b4
	v_cvt_f32_i32_e32 v56, v54
	v_cmp_lt_i32_e32 vcc, 2, v54
	v_sub_f32_e64 v56, |v53|, v56
	v_fmac_f32_e32 v58, 0x36f5d7bd, v56
	v_fma_f32 v58, v56, v58, v16
	v_fma_f32 v58, v56, v58, v17
	v_fmac_f32_e32 v57, 0x3805ff67, v56
	v_fma_f32 v58, v56, v58, v18
	v_fma_f32 v57, v56, v57, v11
	;; [unrolled: 1-line block ×4, first 2 shown]
	v_fma_f32 v58, v56, v58, 1.0
	v_fma_f32 v57, v56, v57, v13
	v_rcp_f32_e32 v58, v58
	v_fma_f32 v57, v56, v57, v14
	v_fma_f32 v57, v56, v57, v15
	v_mul_f32_e32 v57, v56, v57
	v_mul_f32_e32 v57, v57, v58
	v_add_f32_e32 v58, 2.0, v56
	v_add_f32_e32 v59, 0x40400000, v56
	v_cndmask_b32_e32 v58, 1.0, v58, vcc
	v_cmp_lt_i32_e32 vcc, 3, v54
	v_add_f32_e32 v60, 4.0, v56
	v_cndmask_b32_e32 v59, 1.0, v59, vcc
	v_cmp_lt_i32_e32 vcc, 4, v54
	v_add_f32_e32 v61, 0x40a00000, v56
	v_mul_f32_e32 v58, v58, v59
	v_cndmask_b32_e32 v59, 1.0, v60, vcc
	v_cmp_lt_i32_e32 vcc, 5, v54
	v_fmac_f32_e32 v57, 0.5, v56
	v_add_f32_e32 v56, 0x40c00000, v56
	v_mul_f32_e32 v58, v59, v58
	v_cndmask_b32_e32 v59, 1.0, v61, vcc
	v_cmp_lt_i32_e32 vcc, 6, v54
	v_mul_f32_e32 v58, v59, v58
	v_cndmask_b32_e32 v54, 1.0, v56, vcc
	v_mul_f32_e32 v54, v54, v58
	v_cmp_gt_f32_e32 vcc, s25, v54
	v_cndmask_b32_e64 v56, 0, 32, vcc
	v_ldexp_f32 v54, v54, v56
	v_log_f32_e32 v54, v54
	v_mul_f32_e32 v56, 0x3f317217, v54
	v_fma_f32 v58, v54, s26, -v56
	v_fmac_f32_e32 v58, 0x3377d1cf, v54
	v_add_f32_e32 v56, v56, v58
	v_cmp_lt_f32_e64 s[0:1], |v54|, s27
	v_cndmask_b32_e64 v54, v54, v56, s[0:1]
	v_cndmask_b32_e32 v56, 0, v49, vcc
	v_sub_f32_e32 v54, v54, v56
	v_add_f32_e32 v54, v54, v57
.LBB14_187:                             ;   in Loop: Header=BB14_177 Depth=1
	s_or_b64 exec, exec, s[6:7]
.LBB14_188:                             ;   in Loop: Header=BB14_177 Depth=1
	s_andn2_saveexec_b64 s[0:1], s[4:5]
	s_cbranch_execz .LBB14_206
; %bb.189:                              ;   in Loop: Header=BB14_177 Depth=1
	v_cmp_le_f32_e64 s[4:5], |v53|, s28
                                        ; implicit-def: $vgpr54
                                        ; implicit-def: $vgpr57
                                        ; implicit-def: $vgpr56
	s_and_saveexec_b64 s[6:7], s[4:5]
	s_xor_b64 s[4:5], exec, s[6:7]
	s_cbranch_execz .LBB14_191
; %bb.190:                              ;   in Loop: Header=BB14_177 Depth=1
	v_cmp_lt_f32_e64 vcc, |v53|, s25
	v_cndmask_b32_e64 v54, 0, 32, vcc
	v_ldexp_f32 v54, |v53|, v54
	v_log_f32_e32 v54, v54
	v_cndmask_b32_e32 v56, 0, v49, vcc
	v_cmp_lt_f32_e64 s[6:7], |v53|, s31
	v_mul_f32_e32 v57, 0x3f317217, v54
	v_fma_f32 v58, v54, s26, -v57
	v_fmac_f32_e32 v58, 0x3377d1cf, v54
	v_add_f32_e32 v57, v57, v58
	v_cmp_lt_f32_e64 vcc, |v54|, s27
	v_cndmask_b32_e32 v54, v54, v57, vcc
	v_sub_f32_e32 v54, v54, v56
	v_sub_f32_e64 v56, 1.0, |v53|
	v_add_f32_e64 v57, |v53|, s30
	v_cmp_lt_f32_e64 vcc, |v53|, s29
	v_cndmask_b32_e32 v56, v56, v57, vcc
	v_cndmask_b32_e64 v57, 0, 1, vcc
	v_xor_b32_e32 v54, 0x80000000, v54
	v_cndmask_b32_e64 v56, v56, |v53|, s[6:7]
	v_cndmask_b32_e64 v57, v57, 2, s[6:7]
.LBB14_191:                             ;   in Loop: Header=BB14_177 Depth=1
	s_andn2_saveexec_b64 s[4:5], s[4:5]
	s_cbranch_execz .LBB14_193
; %bb.192:                              ;   in Loop: Header=BB14_177 Depth=1
	v_sub_f32_e64 v54, 2.0, |v53|
	v_add_f32_e64 v56, |v53|, s34
	v_cmp_lt_f32_e64 vcc, |v53|, s33
	v_cndmask_b32_e32 v56, v54, v56, vcc
	v_cndmask_b32_e64 v54, v54, 1.0, vcc
	v_cvt_i32_f32_e32 v54, v54
	v_add_f32_e64 v57, |v53|, -1.0
	v_cmp_lt_f32_e64 vcc, |v53|, s35
	v_cndmask_b32_e32 v56, v56, v57, vcc
	v_cndmask_b32_e64 v57, v54, 2, vcc
	v_mov_b32_e32 v54, 0
.LBB14_193:                             ;   in Loop: Header=BB14_177 Depth=1
	s_or_b64 exec, exec, s[4:5]
	v_cmp_lt_i32_e32 vcc, 0, v57
	s_and_saveexec_b64 s[4:5], vcc
	s_xor_b64 s[4:5], exec, s[4:5]
	s_cbranch_execz .LBB14_201
; %bb.194:                              ;   in Loop: Header=BB14_177 Depth=1
	v_cmp_lt_i32_e32 vcc, 1, v57
	s_and_saveexec_b64 s[6:7], vcc
	s_xor_b64 s[6:7], exec, s[6:7]
	s_cbranch_execz .LBB14_198
; %bb.195:                              ;   in Loop: Header=BB14_177 Depth=1
	v_cmp_eq_u32_e32 vcc, 2, v57
	s_and_saveexec_b64 s[8:9], vcc
	s_cbranch_execz .LBB14_197
; %bb.196:                              ;   in Loop: Header=BB14_177 Depth=1
	v_mov_b32_e32 v58, 0x3dd572af
	v_fmac_f32_e32 v58, 0x3b52d5db, v56
	v_fma_f32 v58, v56, v58, v23
	v_mov_b32_e32 v57, 0x3e6a7578
	v_fma_f32 v58, v56, v58, v24
	v_fmac_f32_e32 v57, 0x3c5b3c5e, v56
	v_fma_f32 v58, v56, v58, v25
	v_fma_f32 v57, v56, v57, v20
	v_fma_f32 v58, v56, v58, 1.0
	v_fma_f32 v57, v56, v57, v21
	v_rcp_f32_e32 v58, v58
	v_fma_f32 v57, v56, v57, v22
	v_fma_f32 v57, v56, v57, v15
	v_mul_f32_e32 v57, v56, v57
	v_mul_f32_e32 v57, v57, v58
	v_fmac_f32_e32 v57, -0.5, v56
	v_add_f32_e32 v54, v54, v57
.LBB14_197:                             ;   in Loop: Header=BB14_177 Depth=1
	s_or_b64 exec, exec, s[8:9]
                                        ; implicit-def: $vgpr56
.LBB14_198:                             ;   in Loop: Header=BB14_177 Depth=1
	s_andn2_saveexec_b64 s[6:7], s[6:7]
	s_cbranch_execz .LBB14_200
; %bb.199:                              ;   in Loop: Header=BB14_177 Depth=1
	v_mul_f32_e32 v57, v56, v56
	v_mul_f32_e32 v58, v56, v57
	v_mov_b32_e32 v60, 0x3a66f867
	v_mov_b32_e32 v61, 0xba0d3085
	v_fmac_f32_e32 v60, 0xb9a3f927, v58
	v_fmac_f32_e32 v61, 0x39afe9f7, v58
	v_mov_b32_e32 v59, 0xbab7f476
	v_fma_f32 v60, v58, v60, v29
	v_fma_f32 v61, v58, v61, v32
	v_fmac_f32_e32 v59, 0x39a57b6b, v58
	v_fma_f32 v60, v58, v60, v30
	v_fma_f32 v61, v58, v61, v33
	;; [unrolled: 1-line block ×6, first 2 shown]
	v_fmac_f32_e32 v60, v56, v61
	v_fma_f32 v59, v58, v59, v28
	v_fma_f32 v56, v58, -v60, s36
	v_fma_f32 v56, v57, v59, -v56
	v_add_f32_e32 v56, 0xbdf8cdce, v56
	v_add_f32_e32 v54, v54, v56
.LBB14_200:                             ;   in Loop: Header=BB14_177 Depth=1
	s_or_b64 exec, exec, s[6:7]
                                        ; implicit-def: $vgpr57
                                        ; implicit-def: $vgpr56
.LBB14_201:                             ;   in Loop: Header=BB14_177 Depth=1
	s_andn2_saveexec_b64 s[4:5], s[4:5]
	s_cbranch_execz .LBB14_205
; %bb.202:                              ;   in Loop: Header=BB14_177 Depth=1
	v_cmp_eq_u32_e32 vcc, 0, v57
	s_and_saveexec_b64 s[6:7], vcc
	s_cbranch_execz .LBB14_204
; %bb.203:                              ;   in Loop: Header=BB14_177 Depth=1
	v_mul_f32_e32 v57, v56, v56
	v_mov_b32_e32 v59, 0x38e28445
	v_mov_b32_e32 v58, 0x39679767
	v_fmac_f32_e32 v59, 0x383c2c75, v57
	v_fmac_f32_e32 v58, 0x37d383a2, v57
	v_fma_f32 v59, v57, v59, v39
	v_fma_f32 v58, v57, v58, v35
	;; [unrolled: 1-line block ×8, first 2 shown]
	v_mul_f32_e32 v57, v57, v59
	v_fmac_f32_e32 v57, v56, v58
	v_fmac_f32_e32 v57, -0.5, v56
	v_add_f32_e32 v54, v54, v57
.LBB14_204:                             ;   in Loop: Header=BB14_177 Depth=1
	s_or_b64 exec, exec, s[6:7]
.LBB14_205:                             ;   in Loop: Header=BB14_177 Depth=1
	s_or_b64 exec, exec, s[4:5]
.LBB14_206:                             ;   in Loop: Header=BB14_177 Depth=1
	s_or_b64 exec, exec, s[0:1]
.LBB14_207:                             ;   in Loop: Header=BB14_177 Depth=1
	s_andn2_saveexec_b64 s[2:3], s[2:3]
	s_cbranch_execz .LBB14_209
; %bb.208:                              ;   in Loop: Header=BB14_177 Depth=1
	v_cmp_lt_f32_e64 vcc, |v53|, s25
	v_cndmask_b32_e64 v54, 0, 32, vcc
	v_ldexp_f32 v54, |v53|, v54
	v_log_f32_e32 v54, v54
	v_fma_f32 v56, |v53|, s37, v50
	v_fma_f32 v56, |v53|, v56, s38
	;; [unrolled: 1-line block ×3, first 2 shown]
	v_mul_f32_e32 v57, 0x3f317217, v54
	v_fma_f32 v58, v54, s26, -v57
	v_fmac_f32_e32 v58, 0x3377d1cf, v54
	v_add_f32_e32 v57, v57, v58
	v_cmp_lt_f32_e64 s[0:1], |v54|, s27
	v_cndmask_b32_e64 v54, v54, v57, s[0:1]
	v_cndmask_b32_e32 v57, 0, v49, vcc
	v_sub_f32_e32 v54, v54, v57
	v_fma_f32 v54, |v53|, v56, -v54
.LBB14_209:                             ;   in Loop: Header=BB14_177 Depth=1
	s_or_b64 exec, exec, s[2:3]
	v_cmp_le_f16_e32 vcc, 0, v4
	v_cmp_nle_f16_e64 s[0:1], 0, v4
	s_and_saveexec_b64 s[2:3], s[0:1]
	s_xor_b64 s[4:5], exec, s[2:3]
	s_cbranch_execz .LBB14_213
; %bb.210:                              ;   in Loop: Header=BB14_177 Depth=1
	v_cmp_lt_f32_e64 s[0:1], |v53|, s40
	v_cmp_gt_f32_e64 s[2:3], |v53|, s41
	s_and_b64 s[0:1], s[0:1], s[2:3]
	s_and_saveexec_b64 s[6:7], s[0:1]
	s_cbranch_execz .LBB14_212
; %bb.211:                              ;   in Loop: Header=BB14_177 Depth=1
	v_mul_f32_e64 v56, |v53|, 0.5
	v_floor_f32_e32 v57, v56
	v_sub_f32_e32 v57, v56, v57
	v_min_f32_e32 v57, 0x3f7fffff, v57
	v_add_f32_e32 v57, v57, v57
	v_cmp_neq_f32_e64 s[0:1], s27, v56
	v_cndmask_b32_e64 v56, 0, v57, s[0:1]
	v_cmp_gt_f32_e64 s[0:1], |v53|, 1.0
	v_cndmask_b32_e64 v56, |v53|, v56, s[0:1]
	v_add_f32_e32 v57, v56, v56
	v_rndne_f32_e32 v57, v57
	v_fmac_f32_e32 v56, -0.5, v57
	v_mul_f32_e32 v58, v56, v56
	v_mov_b32_e32 v59, 0xbf1f24be
	v_fmac_f32_e32 v59, 0x3e75aa41, v58
	v_fma_f32 v59, v58, v59, v43
	v_fma_f32 v59, v58, v59, v44
	v_mul_f32_e32 v60, v56, v58
	v_mul_f32_e32 v59, v60, v59
	v_fmac_f32_e32 v59, 0x40490fdb, v56
	v_mov_b32_e32 v56, 0x3e642e9d
	v_cvt_i32_f32_e32 v57, v57
	v_fmac_f32_e32 v56, 0x3d4be544, v58
	v_fma_f32 v56, v58, v56, v45
	v_fma_f32 v56, v58, v56, v46
	;; [unrolled: 1-line block ×3, first 2 shown]
	v_fma_f32 v56, v58, v56, 1.0
	v_and_b32_e32 v58, 1, v57
	v_lshlrev_b32_e32 v57, 30, v57
	v_cmp_eq_u32_e64 s[0:1], 0, v58
	v_and_b32_e32 v57, 0x80000000, v57
	v_xor_b32_e32 v55, v55, v53
	v_cndmask_b32_e64 v56, v56, v59, s[0:1]
	v_xor_b32_e32 v55, v55, v57
	v_xor_b32_e32 v55, v55, v56
	v_mul_f32_e32 v55, v53, v55
	v_frexp_mant_f32_e64 v56, |v55|
	v_rcp_f32_e32 v56, v56
	v_frexp_exp_i32_f32_e32 v55, v55
	v_sub_u32_e32 v55, 2, v55
	v_mul_f32_e32 v56, 0x3f490fdb, v56
	v_ldexp_f32 v55, v56, v55
	v_cmp_gt_f32_e64 s[0:1], s25, v55
	v_cndmask_b32_e64 v56, 0, 32, s[0:1]
	v_ldexp_f32 v55, v55, v56
	v_log_f32_e32 v55, v55
	v_mul_f32_e32 v56, 0x3f317217, v55
	v_fma_f32 v57, v55, s26, -v56
	v_fmac_f32_e32 v57, 0x3377d1cf, v55
	v_add_f32_e32 v56, v56, v57
	v_cmp_lt_f32_e64 s[2:3], |v55|, s27
	v_cndmask_b32_e64 v55, v55, v56, s[2:3]
	v_cndmask_b32_e64 v56, 0, v49, s[0:1]
	v_sub_f32_e32 v55, v55, v56
	v_sub_f32_e32 v54, v55, v54
	v_floor_f32_e32 v55, v53
	v_sub_f32_e32 v55, v53, v55
	v_min_f32_e32 v55, 0x3f7fffff, v55
	v_cmp_neq_f32_e64 s[0:1], 0, v55
	v_cndmask_b32_e64 v54, v51, v54, s[0:1]
.LBB14_212:                             ;   in Loop: Header=BB14_177 Depth=1
	s_or_b64 exec, exec, s[6:7]
.LBB14_213:                             ;   in Loop: Header=BB14_177 Depth=1
	s_andn2_saveexec_b64 s[4:5], s[4:5]
; %bb.214:                              ;   in Loop: Header=BB14_177 Depth=1
	v_cmp_eq_f16_e64 s[0:1], 1.0, v4
	v_cmp_eq_f16_e64 s[2:3], 2.0, v4
	s_or_b64 s[0:1], s[0:1], s[2:3]
	v_cndmask_b32_e64 v54, v54, 0, s[0:1]
; %bb.215:                              ;   in Loop: Header=BB14_177 Depth=1
	s_or_b64 exec, exec, s[4:5]
	v_lshrrev_b32_e32 v55, 16, v4
	v_cvt_f32_f16_e32 v56, v55
                                        ; implicit-def: $vgpr57
	v_and_b32_e32 v58, 0x7fffffff, v56
	v_cmp_nlt_f32_e64 s[0:1], |v56|, s21
	s_and_saveexec_b64 s[2:3], s[0:1]
	s_xor_b64 s[4:5], exec, s[2:3]
	s_cbranch_execz .LBB14_245
; %bb.216:                              ;   in Loop: Header=BB14_177 Depth=1
	v_cmp_nlt_f32_e64 s[0:1], |v56|, 2.0
                                        ; implicit-def: $vgpr57
	s_and_saveexec_b64 s[2:3], s[0:1]
	s_xor_b64 s[6:7], exec, s[2:3]
	s_cbranch_execz .LBB14_226
; %bb.217:                              ;   in Loop: Header=BB14_177 Depth=1
	v_cmp_nlt_f32_e64 s[0:1], |v56|, s22
                                        ; implicit-def: $vgpr57
	s_and_saveexec_b64 s[2:3], s[0:1]
	s_xor_b64 s[8:9], exec, s[2:3]
	s_cbranch_execz .LBB14_223
; %bb.218:                              ;   in Loop: Header=BB14_177 Depth=1
	v_cmp_nlt_f32_e64 s[0:1], |v56|, s23
                                        ; implicit-def: $vgpr57
	s_and_saveexec_b64 s[2:3], s[0:1]
	s_xor_b64 s[14:15], exec, s[2:3]
	s_cbranch_execz .LBB14_220
; %bb.219:                              ;   in Loop: Header=BB14_177 Depth=1
	v_cmp_lt_f32_e64 s[0:1], |v56|, s25
	v_cndmask_b32_e64 v57, 0, 32, s[0:1]
	v_ldexp_f32 v57, |v56|, v57
	v_log_f32_e32 v57, v57
	v_mul_f32_e32 v59, 0x3f317217, v57
	v_fma_f32 v60, v57, s26, -v59
	v_fmac_f32_e32 v60, 0x3377d1cf, v57
	v_add_f32_e32 v59, v59, v60
	v_cmp_lt_f32_e64 s[2:3], |v57|, s27
	v_cndmask_b32_e64 v57, v57, v59, s[2:3]
	v_cndmask_b32_e64 v59, 0, v49, s[0:1]
	v_sub_f32_e32 v57, v57, v59
	v_fma_f32 v57, |v56|, v57, -|v56|
.LBB14_220:                             ;   in Loop: Header=BB14_177 Depth=1
	s_andn2_saveexec_b64 s[14:15], s[14:15]
	s_cbranch_execz .LBB14_222
; %bb.221:                              ;   in Loop: Header=BB14_177 Depth=1
	v_rcp_f32_e64 v57, |v56|
	v_cmp_lt_f32_e64 s[0:1], |v56|, s25
	v_cndmask_b32_e64 v60, 0, 32, s[0:1]
	v_mov_b32_e32 v59, 0x3a5b3dd2
	v_mul_f32_e32 v61, v57, v57
	v_ldexp_f32 v60, |v56|, v60
	v_fmac_f32_e32 v59, 0xbad5c4e8, v61
	v_log_f32_e32 v60, v60
	v_fma_f32 v59, v61, v59, v6
	v_fma_f32 v59, v61, v59, v7
	;; [unrolled: 1-line block ×4, first 2 shown]
	v_mul_f32_e32 v61, 0x3f317217, v60
	v_fma_f32 v62, v60, s26, -v61
	v_fmac_f32_e32 v62, 0x3377d1cf, v60
	v_add_f32_e32 v61, v61, v62
	v_cmp_lt_f32_e64 s[2:3], |v60|, s27
	v_cndmask_b32_e64 v60, v60, v61, s[2:3]
	v_cndmask_b32_e64 v61, 0, v49, s[0:1]
	v_sub_f32_e32 v60, v60, v61
	v_fma_f32 v57, v57, v59, v10
	v_add_f32_e64 v59, |v56|, -0.5
	v_add_f32_e32 v60, -1.0, v60
	v_fmac_f32_e32 v57, v59, v60
.LBB14_222:                             ;   in Loop: Header=BB14_177 Depth=1
	s_or_b64 exec, exec, s[14:15]
.LBB14_223:                             ;   in Loop: Header=BB14_177 Depth=1
	s_andn2_saveexec_b64 s[8:9], s[8:9]
	s_cbranch_execz .LBB14_225
; %bb.224:                              ;   in Loop: Header=BB14_177 Depth=1
	v_cvt_i32_f32_e32 v57, v58
	v_mov_b32_e32 v61, 0x3a4beed6
	v_mov_b32_e32 v60, 0x3af135b4
	v_cvt_f32_i32_e32 v59, v57
	v_cmp_lt_i32_e64 s[0:1], 2, v57
	v_sub_f32_e64 v59, |v56|, v59
	v_add_f32_e32 v62, 2.0, v59
	v_add_f32_e32 v63, 0x40400000, v59
	v_cndmask_b32_e64 v62, 1.0, v62, s[0:1]
	v_cmp_lt_i32_e64 s[0:1], 3, v57
	v_add_f32_e32 v64, 4.0, v59
	v_cndmask_b32_e64 v63, 1.0, v63, s[0:1]
	v_cmp_lt_i32_e64 s[0:1], 4, v57
	v_fmac_f32_e32 v61, 0x36f5d7bd, v59
	v_add_f32_e32 v65, 0x40a00000, v59
	v_mul_f32_e32 v62, v62, v63
	v_cndmask_b32_e64 v63, 1.0, v64, s[0:1]
	v_cmp_lt_i32_e64 s[0:1], 5, v57
	v_fma_f32 v61, v59, v61, v16
	v_add_f32_e32 v66, 0x40c00000, v59
	v_mul_f32_e32 v62, v63, v62
	v_cndmask_b32_e64 v63, 1.0, v65, s[0:1]
	v_cmp_lt_i32_e64 s[0:1], 6, v57
	v_fma_f32 v61, v59, v61, v17
	v_mul_f32_e32 v62, v63, v62
	v_cndmask_b32_e64 v57, 1.0, v66, s[0:1]
	v_fmac_f32_e32 v60, 0x3805ff67, v59
	v_fma_f32 v61, v59, v61, v18
	v_mul_f32_e32 v57, v57, v62
	v_fma_f32 v60, v59, v60, v11
	v_fma_f32 v61, v59, v61, v19
	v_cmp_gt_f32_e64 s[0:1], s25, v57
	v_fma_f32 v60, v59, v60, v12
	v_fma_f32 v61, v59, v61, 1.0
	v_cndmask_b32_e64 v62, 0, 32, s[0:1]
	v_fma_f32 v60, v59, v60, v13
	v_rcp_f32_e32 v61, v61
	v_ldexp_f32 v57, v57, v62
	v_fma_f32 v60, v59, v60, v14
	v_log_f32_e32 v57, v57
	v_fma_f32 v60, v59, v60, v15
	v_mul_f32_e32 v60, v59, v60
	v_mul_f32_e32 v60, v60, v61
	v_fmac_f32_e32 v60, 0.5, v59
	v_mul_f32_e32 v59, 0x3f317217, v57
	v_fma_f32 v61, v57, s26, -v59
	v_fmac_f32_e32 v61, 0x3377d1cf, v57
	v_add_f32_e32 v59, v59, v61
	v_cmp_lt_f32_e64 s[2:3], |v57|, s27
	v_cndmask_b32_e64 v57, v57, v59, s[2:3]
	v_cndmask_b32_e64 v59, 0, v49, s[0:1]
	v_sub_f32_e32 v57, v57, v59
	v_add_f32_e32 v57, v57, v60
.LBB14_225:                             ;   in Loop: Header=BB14_177 Depth=1
	s_or_b64 exec, exec, s[8:9]
.LBB14_226:                             ;   in Loop: Header=BB14_177 Depth=1
	s_andn2_saveexec_b64 s[2:3], s[6:7]
	s_cbranch_execz .LBB14_244
; %bb.227:                              ;   in Loop: Header=BB14_177 Depth=1
	v_cmp_le_f32_e64 s[0:1], |v56|, s28
                                        ; implicit-def: $vgpr57
                                        ; implicit-def: $vgpr60
                                        ; implicit-def: $vgpr59
	s_and_saveexec_b64 s[6:7], s[0:1]
	s_xor_b64 s[6:7], exec, s[6:7]
	s_cbranch_execz .LBB14_229
; %bb.228:                              ;   in Loop: Header=BB14_177 Depth=1
	v_cmp_lt_f32_e64 s[0:1], |v56|, s25
	v_cndmask_b32_e64 v57, 0, 32, s[0:1]
	v_ldexp_f32 v57, |v56|, v57
	v_log_f32_e32 v57, v57
	v_cndmask_b32_e64 v59, 0, v49, s[0:1]
	v_mul_f32_e32 v60, 0x3f317217, v57
	v_fma_f32 v61, v57, s26, -v60
	v_fmac_f32_e32 v61, 0x3377d1cf, v57
	v_add_f32_e32 v60, v60, v61
	v_cmp_lt_f32_e64 s[0:1], |v57|, s27
	v_cndmask_b32_e64 v57, v57, v60, s[0:1]
	v_sub_f32_e32 v57, v57, v59
	v_sub_f32_e64 v59, 1.0, |v56|
	v_add_f32_e64 v60, |v56|, s30
	v_cmp_lt_f32_e64 s[0:1], |v56|, s29
	v_cndmask_b32_e64 v59, v59, v60, s[0:1]
	v_cndmask_b32_e64 v60, 0, 1, s[0:1]
	v_cmp_lt_f32_e64 s[0:1], |v56|, s31
	v_xor_b32_e32 v57, 0x80000000, v57
	v_cndmask_b32_e64 v59, v59, |v56|, s[0:1]
	v_cndmask_b32_e64 v60, v60, 2, s[0:1]
.LBB14_229:                             ;   in Loop: Header=BB14_177 Depth=1
	s_andn2_saveexec_b64 s[6:7], s[6:7]
	s_cbranch_execz .LBB14_231
; %bb.230:                              ;   in Loop: Header=BB14_177 Depth=1
	v_sub_f32_e64 v57, 2.0, |v56|
	v_add_f32_e64 v59, |v56|, s34
	v_cmp_lt_f32_e64 s[0:1], |v56|, s33
	v_cndmask_b32_e64 v59, v57, v59, s[0:1]
	v_cndmask_b32_e64 v57, v57, 1.0, s[0:1]
	v_cvt_i32_f32_e32 v57, v57
	v_add_f32_e64 v60, |v56|, -1.0
	v_cmp_lt_f32_e64 s[0:1], |v56|, s35
	v_cndmask_b32_e64 v59, v59, v60, s[0:1]
	v_cndmask_b32_e64 v60, v57, 2, s[0:1]
	v_mov_b32_e32 v57, 0
.LBB14_231:                             ;   in Loop: Header=BB14_177 Depth=1
	s_or_b64 exec, exec, s[6:7]
	v_cmp_lt_i32_e64 s[0:1], 0, v60
	s_and_saveexec_b64 s[6:7], s[0:1]
	s_xor_b64 s[6:7], exec, s[6:7]
	s_cbranch_execz .LBB14_239
; %bb.232:                              ;   in Loop: Header=BB14_177 Depth=1
	v_cmp_lt_i32_e64 s[0:1], 1, v60
	s_and_saveexec_b64 s[8:9], s[0:1]
	s_xor_b64 s[8:9], exec, s[8:9]
	s_cbranch_execz .LBB14_236
; %bb.233:                              ;   in Loop: Header=BB14_177 Depth=1
	v_cmp_eq_u32_e64 s[0:1], 2, v60
	s_and_saveexec_b64 s[14:15], s[0:1]
	s_cbranch_execz .LBB14_235
; %bb.234:                              ;   in Loop: Header=BB14_177 Depth=1
	v_mov_b32_e32 v61, 0x3dd572af
	v_fmac_f32_e32 v61, 0x3b52d5db, v59
	v_fma_f32 v61, v59, v61, v23
	v_mov_b32_e32 v60, 0x3e6a7578
	v_fma_f32 v61, v59, v61, v24
	v_fmac_f32_e32 v60, 0x3c5b3c5e, v59
	v_fma_f32 v61, v59, v61, v25
	v_fma_f32 v60, v59, v60, v20
	v_fma_f32 v61, v59, v61, 1.0
	v_fma_f32 v60, v59, v60, v21
	v_rcp_f32_e32 v61, v61
	v_fma_f32 v60, v59, v60, v22
	v_fma_f32 v60, v59, v60, v15
	v_mul_f32_e32 v60, v59, v60
	v_mul_f32_e32 v60, v60, v61
	v_fmac_f32_e32 v60, -0.5, v59
	v_add_f32_e32 v57, v57, v60
.LBB14_235:                             ;   in Loop: Header=BB14_177 Depth=1
	s_or_b64 exec, exec, s[14:15]
                                        ; implicit-def: $vgpr59
.LBB14_236:                             ;   in Loop: Header=BB14_177 Depth=1
	s_andn2_saveexec_b64 s[0:1], s[8:9]
	s_cbranch_execz .LBB14_238
; %bb.237:                              ;   in Loop: Header=BB14_177 Depth=1
	v_mul_f32_e32 v60, v59, v59
	v_mul_f32_e32 v61, v59, v60
	v_mov_b32_e32 v63, 0x3a66f867
	v_mov_b32_e32 v64, 0xba0d3085
	v_fmac_f32_e32 v63, 0xb9a3f927, v61
	v_fmac_f32_e32 v64, 0x39afe9f7, v61
	v_mov_b32_e32 v62, 0xbab7f476
	v_fma_f32 v63, v61, v63, v29
	v_fma_f32 v64, v61, v64, v32
	v_fmac_f32_e32 v62, 0x39a57b6b, v61
	v_fma_f32 v63, v61, v63, v30
	v_fma_f32 v64, v61, v64, v33
	;; [unrolled: 1-line block ×6, first 2 shown]
	v_fmac_f32_e32 v63, v59, v64
	v_fma_f32 v62, v61, v62, v28
	v_fma_f32 v59, v61, -v63, s36
	v_fma_f32 v59, v60, v62, -v59
	v_add_f32_e32 v59, 0xbdf8cdce, v59
	v_add_f32_e32 v57, v57, v59
.LBB14_238:                             ;   in Loop: Header=BB14_177 Depth=1
	s_or_b64 exec, exec, s[0:1]
                                        ; implicit-def: $vgpr60
                                        ; implicit-def: $vgpr59
.LBB14_239:                             ;   in Loop: Header=BB14_177 Depth=1
	s_andn2_saveexec_b64 s[6:7], s[6:7]
	s_cbranch_execz .LBB14_243
; %bb.240:                              ;   in Loop: Header=BB14_177 Depth=1
	v_cmp_eq_u32_e64 s[0:1], 0, v60
	s_and_saveexec_b64 s[8:9], s[0:1]
	s_cbranch_execz .LBB14_242
; %bb.241:                              ;   in Loop: Header=BB14_177 Depth=1
	v_mul_f32_e32 v60, v59, v59
	v_mov_b32_e32 v62, 0x38e28445
	v_mov_b32_e32 v61, 0x39679767
	v_fmac_f32_e32 v62, 0x383c2c75, v60
	v_fmac_f32_e32 v61, 0x37d383a2, v60
	v_fma_f32 v62, v60, v62, v39
	v_fma_f32 v61, v60, v61, v35
	v_fma_f32 v62, v60, v62, v40
	v_fma_f32 v61, v60, v61, v36
	v_fma_f32 v62, v60, v62, v41
	v_fma_f32 v61, v60, v61, v37
	v_fma_f32 v62, v60, v62, v42
	v_fma_f32 v61, v60, v61, v38
	v_mul_f32_e32 v60, v60, v62
	v_fmac_f32_e32 v60, v59, v61
	v_fmac_f32_e32 v60, -0.5, v59
	v_add_f32_e32 v57, v57, v60
.LBB14_242:                             ;   in Loop: Header=BB14_177 Depth=1
	s_or_b64 exec, exec, s[8:9]
.LBB14_243:                             ;   in Loop: Header=BB14_177 Depth=1
	s_or_b64 exec, exec, s[6:7]
.LBB14_244:                             ;   in Loop: Header=BB14_177 Depth=1
	s_or_b64 exec, exec, s[2:3]
.LBB14_245:                             ;   in Loop: Header=BB14_177 Depth=1
	s_andn2_saveexec_b64 s[4:5], s[4:5]
	s_cbranch_execz .LBB14_247
; %bb.246:                              ;   in Loop: Header=BB14_177 Depth=1
	v_cmp_lt_f32_e64 s[0:1], |v56|, s25
	v_cndmask_b32_e64 v57, 0, 32, s[0:1]
	v_ldexp_f32 v57, |v56|, v57
	v_log_f32_e32 v57, v57
	v_fma_f32 v59, |v56|, s37, v50
	v_fma_f32 v59, |v56|, v59, s38
	;; [unrolled: 1-line block ×3, first 2 shown]
	v_mul_f32_e32 v60, 0x3f317217, v57
	v_fma_f32 v61, v57, s26, -v60
	v_fmac_f32_e32 v61, 0x3377d1cf, v57
	v_add_f32_e32 v60, v60, v61
	v_cmp_lt_f32_e64 s[2:3], |v57|, s27
	v_cndmask_b32_e64 v57, v57, v60, s[2:3]
	v_cndmask_b32_e64 v60, 0, v49, s[0:1]
	v_sub_f32_e32 v57, v57, v60
	v_fma_f32 v57, |v56|, v59, -v57
.LBB14_247:                             ;   in Loop: Header=BB14_177 Depth=1
	s_or_b64 exec, exec, s[4:5]
	v_cmp_le_f16_e64 s[0:1], 0, v55
	v_cmp_nle_f16_e64 s[2:3], 0, v55
	s_and_saveexec_b64 s[4:5], s[2:3]
	s_xor_b64 s[6:7], exec, s[4:5]
	s_cbranch_execz .LBB14_251
; %bb.248:                              ;   in Loop: Header=BB14_177 Depth=1
	v_cmp_lt_f32_e64 s[2:3], |v56|, s40
	v_cmp_gt_f32_e64 s[4:5], |v56|, s41
	s_and_b64 s[2:3], s[2:3], s[4:5]
	s_and_saveexec_b64 s[8:9], s[2:3]
	s_cbranch_execz .LBB14_250
; %bb.249:                              ;   in Loop: Header=BB14_177 Depth=1
	v_mul_f32_e64 v59, |v56|, 0.5
	v_floor_f32_e32 v60, v59
	v_sub_f32_e32 v60, v59, v60
	v_min_f32_e32 v60, 0x3f7fffff, v60
	v_add_f32_e32 v60, v60, v60
	v_cmp_neq_f32_e64 s[2:3], s27, v59
	v_cndmask_b32_e64 v59, 0, v60, s[2:3]
	v_cmp_gt_f32_e64 s[2:3], |v56|, 1.0
	v_cndmask_b32_e64 v59, |v56|, v59, s[2:3]
	v_add_f32_e32 v60, v59, v59
	v_rndne_f32_e32 v60, v60
	v_fmac_f32_e32 v59, -0.5, v60
	v_mul_f32_e32 v61, v59, v59
	v_mov_b32_e32 v62, 0xbf1f24be
	v_fmac_f32_e32 v62, 0x3e75aa41, v61
	v_fma_f32 v62, v61, v62, v43
	v_fma_f32 v62, v61, v62, v44
	v_mul_f32_e32 v63, v59, v61
	v_mul_f32_e32 v62, v63, v62
	v_fmac_f32_e32 v62, 0x40490fdb, v59
	v_mov_b32_e32 v59, 0x3e642e9d
	v_cvt_i32_f32_e32 v60, v60
	v_fmac_f32_e32 v59, 0x3d4be544, v61
	v_fma_f32 v59, v61, v59, v45
	v_fma_f32 v59, v61, v59, v46
	;; [unrolled: 1-line block ×3, first 2 shown]
	v_fma_f32 v59, v61, v59, 1.0
	v_and_b32_e32 v61, 1, v60
	v_lshlrev_b32_e32 v60, 30, v60
	v_cmp_eq_u32_e64 s[2:3], 0, v61
	v_and_b32_e32 v60, 0x80000000, v60
	v_xor_b32_e32 v58, v58, v56
	v_cndmask_b32_e64 v59, v59, v62, s[2:3]
	v_xor_b32_e32 v58, v58, v60
	v_xor_b32_e32 v58, v58, v59
	v_mul_f32_e32 v58, v56, v58
	v_frexp_mant_f32_e64 v59, |v58|
	v_rcp_f32_e32 v59, v59
	v_frexp_exp_i32_f32_e32 v58, v58
	v_sub_u32_e32 v58, 2, v58
	v_mul_f32_e32 v59, 0x3f490fdb, v59
	v_ldexp_f32 v58, v59, v58
	v_cmp_gt_f32_e64 s[2:3], s25, v58
	v_cndmask_b32_e64 v59, 0, 32, s[2:3]
	v_ldexp_f32 v58, v58, v59
	v_log_f32_e32 v58, v58
	v_mul_f32_e32 v59, 0x3f317217, v58
	v_fma_f32 v60, v58, s26, -v59
	v_fmac_f32_e32 v60, 0x3377d1cf, v58
	v_add_f32_e32 v59, v59, v60
	v_cmp_lt_f32_e64 s[4:5], |v58|, s27
	v_cndmask_b32_e64 v58, v58, v59, s[4:5]
	v_cndmask_b32_e64 v59, 0, v49, s[2:3]
	v_sub_f32_e32 v58, v58, v59
	v_sub_f32_e32 v57, v58, v57
	v_floor_f32_e32 v58, v56
	v_sub_f32_e32 v58, v56, v58
	v_min_f32_e32 v58, 0x3f7fffff, v58
	v_cmp_neq_f32_e64 s[2:3], 0, v58
	v_cndmask_b32_e64 v57, v51, v57, s[2:3]
.LBB14_250:                             ;   in Loop: Header=BB14_177 Depth=1
	s_or_b64 exec, exec, s[8:9]
.LBB14_251:                             ;   in Loop: Header=BB14_177 Depth=1
	s_andn2_saveexec_b64 s[6:7], s[6:7]
; %bb.252:                              ;   in Loop: Header=BB14_177 Depth=1
	v_cmp_eq_f16_e64 s[2:3], 1.0, v55
	v_cmp_eq_f16_e64 s[4:5], 2.0, v55
	s_or_b64 s[2:3], s[2:3], s[4:5]
	v_cndmask_b32_e64 v57, v57, 0, s[2:3]
; %bb.253:                              ;   in Loop: Header=BB14_177 Depth=1
	s_or_b64 exec, exec, s[6:7]
	v_cvt_f32_f16_e32 v58, v5
                                        ; implicit-def: $vgpr59
	v_and_b32_e32 v60, 0x7fffffff, v58
	v_cmp_nlt_f32_e64 s[2:3], |v58|, s21
	s_and_saveexec_b64 s[4:5], s[2:3]
	s_xor_b64 s[6:7], exec, s[4:5]
	s_cbranch_execz .LBB14_283
; %bb.254:                              ;   in Loop: Header=BB14_177 Depth=1
	v_cmp_nlt_f32_e64 s[2:3], |v58|, 2.0
                                        ; implicit-def: $vgpr59
	s_and_saveexec_b64 s[4:5], s[2:3]
	s_xor_b64 s[8:9], exec, s[4:5]
	s_cbranch_execz .LBB14_264
; %bb.255:                              ;   in Loop: Header=BB14_177 Depth=1
	v_cmp_nlt_f32_e64 s[2:3], |v58|, s22
                                        ; implicit-def: $vgpr59
	s_and_saveexec_b64 s[4:5], s[2:3]
	s_xor_b64 s[14:15], exec, s[4:5]
	s_cbranch_execz .LBB14_261
; %bb.256:                              ;   in Loop: Header=BB14_177 Depth=1
	v_cmp_nlt_f32_e64 s[2:3], |v58|, s23
                                        ; implicit-def: $vgpr59
	s_and_saveexec_b64 s[4:5], s[2:3]
	s_xor_b64 s[16:17], exec, s[4:5]
	s_cbranch_execz .LBB14_258
; %bb.257:                              ;   in Loop: Header=BB14_177 Depth=1
	v_cmp_lt_f32_e64 s[2:3], |v58|, s25
	v_cndmask_b32_e64 v59, 0, 32, s[2:3]
	v_ldexp_f32 v59, |v58|, v59
	v_log_f32_e32 v59, v59
	v_mul_f32_e32 v61, 0x3f317217, v59
	v_fma_f32 v62, v59, s26, -v61
	v_fmac_f32_e32 v62, 0x3377d1cf, v59
	v_add_f32_e32 v61, v61, v62
	v_cmp_lt_f32_e64 s[4:5], |v59|, s27
	v_cndmask_b32_e64 v59, v59, v61, s[4:5]
	v_cndmask_b32_e64 v61, 0, v49, s[2:3]
	v_sub_f32_e32 v59, v59, v61
	v_fma_f32 v59, |v58|, v59, -|v58|
.LBB14_258:                             ;   in Loop: Header=BB14_177 Depth=1
	s_andn2_saveexec_b64 s[16:17], s[16:17]
	s_cbranch_execz .LBB14_260
; %bb.259:                              ;   in Loop: Header=BB14_177 Depth=1
	v_rcp_f32_e64 v59, |v58|
	v_cmp_lt_f32_e64 s[2:3], |v58|, s25
	v_cndmask_b32_e64 v62, 0, 32, s[2:3]
	v_mov_b32_e32 v61, 0x3a5b3dd2
	v_mul_f32_e32 v63, v59, v59
	v_ldexp_f32 v62, |v58|, v62
	v_fmac_f32_e32 v61, 0xbad5c4e8, v63
	v_log_f32_e32 v62, v62
	v_fma_f32 v61, v63, v61, v6
	v_fma_f32 v61, v63, v61, v7
	;; [unrolled: 1-line block ×4, first 2 shown]
	v_mul_f32_e32 v63, 0x3f317217, v62
	v_fma_f32 v64, v62, s26, -v63
	v_fmac_f32_e32 v64, 0x3377d1cf, v62
	v_add_f32_e32 v63, v63, v64
	v_cmp_lt_f32_e64 s[4:5], |v62|, s27
	v_cndmask_b32_e64 v62, v62, v63, s[4:5]
	v_cndmask_b32_e64 v63, 0, v49, s[2:3]
	v_sub_f32_e32 v62, v62, v63
	v_fma_f32 v59, v59, v61, v10
	v_add_f32_e64 v61, |v58|, -0.5
	v_add_f32_e32 v62, -1.0, v62
	v_fmac_f32_e32 v59, v61, v62
.LBB14_260:                             ;   in Loop: Header=BB14_177 Depth=1
	s_or_b64 exec, exec, s[16:17]
.LBB14_261:                             ;   in Loop: Header=BB14_177 Depth=1
	s_andn2_saveexec_b64 s[14:15], s[14:15]
	s_cbranch_execz .LBB14_263
; %bb.262:                              ;   in Loop: Header=BB14_177 Depth=1
	v_cvt_i32_f32_e32 v59, v60
	v_mov_b32_e32 v63, 0x3a4beed6
	v_mov_b32_e32 v62, 0x3af135b4
	v_cvt_f32_i32_e32 v61, v59
	v_cmp_lt_i32_e64 s[2:3], 2, v59
	v_sub_f32_e64 v61, |v58|, v61
	v_add_f32_e32 v64, 2.0, v61
	v_add_f32_e32 v65, 0x40400000, v61
	v_cndmask_b32_e64 v64, 1.0, v64, s[2:3]
	v_cmp_lt_i32_e64 s[2:3], 3, v59
	v_add_f32_e32 v66, 4.0, v61
	v_cndmask_b32_e64 v65, 1.0, v65, s[2:3]
	v_cmp_lt_i32_e64 s[2:3], 4, v59
	v_fmac_f32_e32 v63, 0x36f5d7bd, v61
	v_add_f32_e32 v67, 0x40a00000, v61
	v_mul_f32_e32 v64, v64, v65
	v_cndmask_b32_e64 v65, 1.0, v66, s[2:3]
	v_cmp_lt_i32_e64 s[2:3], 5, v59
	v_fma_f32 v63, v61, v63, v16
	v_add_f32_e32 v68, 0x40c00000, v61
	v_mul_f32_e32 v64, v65, v64
	v_cndmask_b32_e64 v65, 1.0, v67, s[2:3]
	v_cmp_lt_i32_e64 s[2:3], 6, v59
	v_fma_f32 v63, v61, v63, v17
	v_mul_f32_e32 v64, v65, v64
	v_cndmask_b32_e64 v59, 1.0, v68, s[2:3]
	v_fmac_f32_e32 v62, 0x3805ff67, v61
	v_fma_f32 v63, v61, v63, v18
	v_mul_f32_e32 v59, v59, v64
	v_fma_f32 v62, v61, v62, v11
	v_fma_f32 v63, v61, v63, v19
	v_cmp_gt_f32_e64 s[2:3], s25, v59
	v_fma_f32 v62, v61, v62, v12
	v_fma_f32 v63, v61, v63, 1.0
	v_cndmask_b32_e64 v64, 0, 32, s[2:3]
	v_fma_f32 v62, v61, v62, v13
	v_rcp_f32_e32 v63, v63
	v_ldexp_f32 v59, v59, v64
	v_fma_f32 v62, v61, v62, v14
	v_log_f32_e32 v59, v59
	v_fma_f32 v62, v61, v62, v15
	v_mul_f32_e32 v62, v61, v62
	v_mul_f32_e32 v62, v62, v63
	v_fmac_f32_e32 v62, 0.5, v61
	v_mul_f32_e32 v61, 0x3f317217, v59
	v_fma_f32 v63, v59, s26, -v61
	v_fmac_f32_e32 v63, 0x3377d1cf, v59
	v_add_f32_e32 v61, v61, v63
	v_cmp_lt_f32_e64 s[4:5], |v59|, s27
	v_cndmask_b32_e64 v59, v59, v61, s[4:5]
	v_cndmask_b32_e64 v61, 0, v49, s[2:3]
	v_sub_f32_e32 v59, v59, v61
	v_add_f32_e32 v59, v59, v62
.LBB14_263:                             ;   in Loop: Header=BB14_177 Depth=1
	s_or_b64 exec, exec, s[14:15]
.LBB14_264:                             ;   in Loop: Header=BB14_177 Depth=1
	s_andn2_saveexec_b64 s[4:5], s[8:9]
	s_cbranch_execz .LBB14_282
; %bb.265:                              ;   in Loop: Header=BB14_177 Depth=1
	v_cmp_le_f32_e64 s[2:3], |v58|, s28
                                        ; implicit-def: $vgpr59
                                        ; implicit-def: $vgpr62
                                        ; implicit-def: $vgpr61
	s_and_saveexec_b64 s[8:9], s[2:3]
	s_xor_b64 s[8:9], exec, s[8:9]
	s_cbranch_execz .LBB14_267
; %bb.266:                              ;   in Loop: Header=BB14_177 Depth=1
	v_cmp_lt_f32_e64 s[2:3], |v58|, s25
	v_cndmask_b32_e64 v59, 0, 32, s[2:3]
	v_ldexp_f32 v59, |v58|, v59
	v_log_f32_e32 v59, v59
	v_cndmask_b32_e64 v61, 0, v49, s[2:3]
	v_mul_f32_e32 v62, 0x3f317217, v59
	v_fma_f32 v63, v59, s26, -v62
	v_fmac_f32_e32 v63, 0x3377d1cf, v59
	v_add_f32_e32 v62, v62, v63
	v_cmp_lt_f32_e64 s[2:3], |v59|, s27
	v_cndmask_b32_e64 v59, v59, v62, s[2:3]
	v_sub_f32_e32 v59, v59, v61
	v_sub_f32_e64 v61, 1.0, |v58|
	v_add_f32_e64 v62, |v58|, s30
	v_cmp_lt_f32_e64 s[2:3], |v58|, s29
	v_cndmask_b32_e64 v61, v61, v62, s[2:3]
	v_cndmask_b32_e64 v62, 0, 1, s[2:3]
	v_cmp_lt_f32_e64 s[2:3], |v58|, s31
	v_xor_b32_e32 v59, 0x80000000, v59
	v_cndmask_b32_e64 v61, v61, |v58|, s[2:3]
	v_cndmask_b32_e64 v62, v62, 2, s[2:3]
.LBB14_267:                             ;   in Loop: Header=BB14_177 Depth=1
	s_andn2_saveexec_b64 s[8:9], s[8:9]
	s_cbranch_execz .LBB14_269
; %bb.268:                              ;   in Loop: Header=BB14_177 Depth=1
	v_sub_f32_e64 v59, 2.0, |v58|
	v_add_f32_e64 v61, |v58|, s34
	v_cmp_lt_f32_e64 s[2:3], |v58|, s33
	v_cndmask_b32_e64 v61, v59, v61, s[2:3]
	v_cndmask_b32_e64 v59, v59, 1.0, s[2:3]
	v_cvt_i32_f32_e32 v59, v59
	v_add_f32_e64 v62, |v58|, -1.0
	v_cmp_lt_f32_e64 s[2:3], |v58|, s35
	v_cndmask_b32_e64 v61, v61, v62, s[2:3]
	v_cndmask_b32_e64 v62, v59, 2, s[2:3]
	v_mov_b32_e32 v59, 0
.LBB14_269:                             ;   in Loop: Header=BB14_177 Depth=1
	s_or_b64 exec, exec, s[8:9]
	v_cmp_lt_i32_e64 s[2:3], 0, v62
	s_and_saveexec_b64 s[8:9], s[2:3]
	s_xor_b64 s[8:9], exec, s[8:9]
	s_cbranch_execz .LBB14_277
; %bb.270:                              ;   in Loop: Header=BB14_177 Depth=1
	v_cmp_lt_i32_e64 s[2:3], 1, v62
	s_and_saveexec_b64 s[14:15], s[2:3]
	s_xor_b64 s[14:15], exec, s[14:15]
	s_cbranch_execz .LBB14_274
; %bb.271:                              ;   in Loop: Header=BB14_177 Depth=1
	v_cmp_eq_u32_e64 s[2:3], 2, v62
	s_and_saveexec_b64 s[16:17], s[2:3]
	s_cbranch_execz .LBB14_273
; %bb.272:                              ;   in Loop: Header=BB14_177 Depth=1
	v_mov_b32_e32 v63, 0x3dd572af
	v_fmac_f32_e32 v63, 0x3b52d5db, v61
	v_fma_f32 v63, v61, v63, v23
	v_mov_b32_e32 v62, 0x3e6a7578
	v_fma_f32 v63, v61, v63, v24
	v_fmac_f32_e32 v62, 0x3c5b3c5e, v61
	v_fma_f32 v63, v61, v63, v25
	v_fma_f32 v62, v61, v62, v20
	v_fma_f32 v63, v61, v63, 1.0
	v_fma_f32 v62, v61, v62, v21
	v_rcp_f32_e32 v63, v63
	v_fma_f32 v62, v61, v62, v22
	v_fma_f32 v62, v61, v62, v15
	v_mul_f32_e32 v62, v61, v62
	v_mul_f32_e32 v62, v62, v63
	v_fmac_f32_e32 v62, -0.5, v61
	v_add_f32_e32 v59, v59, v62
.LBB14_273:                             ;   in Loop: Header=BB14_177 Depth=1
	s_or_b64 exec, exec, s[16:17]
                                        ; implicit-def: $vgpr61
.LBB14_274:                             ;   in Loop: Header=BB14_177 Depth=1
	s_andn2_saveexec_b64 s[2:3], s[14:15]
	s_cbranch_execz .LBB14_276
; %bb.275:                              ;   in Loop: Header=BB14_177 Depth=1
	v_mul_f32_e32 v62, v61, v61
	v_mul_f32_e32 v63, v61, v62
	v_mov_b32_e32 v65, 0x3a66f867
	v_mov_b32_e32 v66, 0xba0d3085
	v_fmac_f32_e32 v65, 0xb9a3f927, v63
	v_fmac_f32_e32 v66, 0x39afe9f7, v63
	v_mov_b32_e32 v64, 0xbab7f476
	v_fma_f32 v65, v63, v65, v29
	v_fma_f32 v66, v63, v66, v32
	v_fmac_f32_e32 v64, 0x39a57b6b, v63
	v_fma_f32 v65, v63, v65, v30
	v_fma_f32 v66, v63, v66, v33
	;; [unrolled: 1-line block ×6, first 2 shown]
	v_fmac_f32_e32 v65, v61, v66
	v_fma_f32 v64, v63, v64, v28
	v_fma_f32 v61, v63, -v65, s36
	v_fma_f32 v61, v62, v64, -v61
	v_add_f32_e32 v61, 0xbdf8cdce, v61
	v_add_f32_e32 v59, v59, v61
.LBB14_276:                             ;   in Loop: Header=BB14_177 Depth=1
	s_or_b64 exec, exec, s[2:3]
                                        ; implicit-def: $vgpr62
                                        ; implicit-def: $vgpr61
.LBB14_277:                             ;   in Loop: Header=BB14_177 Depth=1
	s_andn2_saveexec_b64 s[8:9], s[8:9]
	s_cbranch_execz .LBB14_281
; %bb.278:                              ;   in Loop: Header=BB14_177 Depth=1
	v_cmp_eq_u32_e64 s[2:3], 0, v62
	s_and_saveexec_b64 s[14:15], s[2:3]
	s_cbranch_execz .LBB14_280
; %bb.279:                              ;   in Loop: Header=BB14_177 Depth=1
	v_mul_f32_e32 v62, v61, v61
	v_mov_b32_e32 v64, 0x38e28445
	v_mov_b32_e32 v63, 0x39679767
	v_fmac_f32_e32 v64, 0x383c2c75, v62
	v_fmac_f32_e32 v63, 0x37d383a2, v62
	v_fma_f32 v64, v62, v64, v39
	v_fma_f32 v63, v62, v63, v35
	;; [unrolled: 1-line block ×8, first 2 shown]
	v_mul_f32_e32 v62, v62, v64
	v_fmac_f32_e32 v62, v61, v63
	v_fmac_f32_e32 v62, -0.5, v61
	v_add_f32_e32 v59, v59, v62
.LBB14_280:                             ;   in Loop: Header=BB14_177 Depth=1
	s_or_b64 exec, exec, s[14:15]
.LBB14_281:                             ;   in Loop: Header=BB14_177 Depth=1
	s_or_b64 exec, exec, s[8:9]
.LBB14_282:                             ;   in Loop: Header=BB14_177 Depth=1
	s_or_b64 exec, exec, s[4:5]
.LBB14_283:                             ;   in Loop: Header=BB14_177 Depth=1
	s_andn2_saveexec_b64 s[6:7], s[6:7]
	s_cbranch_execz .LBB14_285
; %bb.284:                              ;   in Loop: Header=BB14_177 Depth=1
	v_cmp_lt_f32_e64 s[2:3], |v58|, s25
	v_cndmask_b32_e64 v59, 0, 32, s[2:3]
	v_ldexp_f32 v59, |v58|, v59
	v_log_f32_e32 v59, v59
	v_fma_f32 v61, |v58|, s37, v50
	v_fma_f32 v61, |v58|, v61, s38
	;; [unrolled: 1-line block ×3, first 2 shown]
	v_mul_f32_e32 v62, 0x3f317217, v59
	v_fma_f32 v63, v59, s26, -v62
	v_fmac_f32_e32 v63, 0x3377d1cf, v59
	v_add_f32_e32 v62, v62, v63
	v_cmp_lt_f32_e64 s[4:5], |v59|, s27
	v_cndmask_b32_e64 v59, v59, v62, s[4:5]
	v_cndmask_b32_e64 v62, 0, v49, s[2:3]
	v_sub_f32_e32 v59, v59, v62
	v_fma_f32 v59, |v58|, v61, -v59
.LBB14_285:                             ;   in Loop: Header=BB14_177 Depth=1
	s_or_b64 exec, exec, s[6:7]
	v_cmp_le_f16_e64 s[2:3], 0, v5
	v_cmp_nle_f16_e64 s[4:5], 0, v5
	s_and_saveexec_b64 s[6:7], s[4:5]
	s_xor_b64 s[8:9], exec, s[6:7]
	s_cbranch_execz .LBB14_289
; %bb.286:                              ;   in Loop: Header=BB14_177 Depth=1
	v_cmp_lt_f32_e64 s[4:5], |v58|, s40
	v_cmp_gt_f32_e64 s[6:7], |v58|, s41
	s_and_b64 s[4:5], s[4:5], s[6:7]
	s_and_saveexec_b64 s[14:15], s[4:5]
	s_cbranch_execz .LBB14_288
; %bb.287:                              ;   in Loop: Header=BB14_177 Depth=1
	v_mul_f32_e64 v61, |v58|, 0.5
	v_floor_f32_e32 v62, v61
	v_sub_f32_e32 v62, v61, v62
	v_min_f32_e32 v62, 0x3f7fffff, v62
	v_add_f32_e32 v62, v62, v62
	v_cmp_neq_f32_e64 s[4:5], s27, v61
	v_cndmask_b32_e64 v61, 0, v62, s[4:5]
	v_cmp_gt_f32_e64 s[4:5], |v58|, 1.0
	v_cndmask_b32_e64 v61, |v58|, v61, s[4:5]
	v_add_f32_e32 v62, v61, v61
	v_rndne_f32_e32 v62, v62
	v_fmac_f32_e32 v61, -0.5, v62
	v_mul_f32_e32 v63, v61, v61
	v_mov_b32_e32 v64, 0xbf1f24be
	v_fmac_f32_e32 v64, 0x3e75aa41, v63
	v_fma_f32 v64, v63, v64, v43
	v_fma_f32 v64, v63, v64, v44
	v_mul_f32_e32 v65, v61, v63
	v_mul_f32_e32 v64, v65, v64
	v_fmac_f32_e32 v64, 0x40490fdb, v61
	v_mov_b32_e32 v61, 0x3e642e9d
	v_cvt_i32_f32_e32 v62, v62
	v_fmac_f32_e32 v61, 0x3d4be544, v63
	v_fma_f32 v61, v63, v61, v45
	v_fma_f32 v61, v63, v61, v46
	;; [unrolled: 1-line block ×3, first 2 shown]
	v_fma_f32 v61, v63, v61, 1.0
	v_and_b32_e32 v63, 1, v62
	v_lshlrev_b32_e32 v62, 30, v62
	v_cmp_eq_u32_e64 s[4:5], 0, v63
	v_and_b32_e32 v62, 0x80000000, v62
	v_xor_b32_e32 v60, v60, v58
	v_cndmask_b32_e64 v61, v61, v64, s[4:5]
	v_xor_b32_e32 v60, v60, v62
	v_xor_b32_e32 v60, v60, v61
	v_mul_f32_e32 v60, v58, v60
	v_frexp_mant_f32_e64 v61, |v60|
	v_rcp_f32_e32 v61, v61
	v_frexp_exp_i32_f32_e32 v60, v60
	v_sub_u32_e32 v60, 2, v60
	v_mul_f32_e32 v61, 0x3f490fdb, v61
	v_ldexp_f32 v60, v61, v60
	v_cmp_gt_f32_e64 s[4:5], s25, v60
	v_cndmask_b32_e64 v61, 0, 32, s[4:5]
	v_ldexp_f32 v60, v60, v61
	v_log_f32_e32 v60, v60
	v_mul_f32_e32 v61, 0x3f317217, v60
	v_fma_f32 v62, v60, s26, -v61
	v_fmac_f32_e32 v62, 0x3377d1cf, v60
	v_add_f32_e32 v61, v61, v62
	v_cmp_lt_f32_e64 s[6:7], |v60|, s27
	v_cndmask_b32_e64 v60, v60, v61, s[6:7]
	v_cndmask_b32_e64 v61, 0, v49, s[4:5]
	v_sub_f32_e32 v60, v60, v61
	v_sub_f32_e32 v59, v60, v59
	v_floor_f32_e32 v60, v58
	v_sub_f32_e32 v60, v58, v60
	v_min_f32_e32 v60, 0x3f7fffff, v60
	v_cmp_neq_f32_e64 s[4:5], 0, v60
	v_cndmask_b32_e64 v59, v51, v59, s[4:5]
.LBB14_288:                             ;   in Loop: Header=BB14_177 Depth=1
	s_or_b64 exec, exec, s[14:15]
.LBB14_289:                             ;   in Loop: Header=BB14_177 Depth=1
	s_andn2_saveexec_b64 s[8:9], s[8:9]
; %bb.290:                              ;   in Loop: Header=BB14_177 Depth=1
	v_cmp_eq_f16_e64 s[4:5], 1.0, v5
	v_cmp_eq_f16_e64 s[6:7], 2.0, v5
	s_or_b64 s[4:5], s[4:5], s[6:7]
	v_cndmask_b32_e64 v59, v59, 0, s[4:5]
; %bb.291:                              ;   in Loop: Header=BB14_177 Depth=1
	s_or_b64 exec, exec, s[8:9]
	v_lshrrev_b32_e32 v60, 16, v5
	v_cvt_f32_f16_e32 v61, v60
                                        ; implicit-def: $vgpr63
	v_and_b32_e32 v62, 0x7fffffff, v61
	v_cmp_nlt_f32_e64 s[4:5], |v61|, s21
	s_and_saveexec_b64 s[6:7], s[4:5]
	s_xor_b64 s[8:9], exec, s[6:7]
	s_cbranch_execz .LBB14_321
; %bb.292:                              ;   in Loop: Header=BB14_177 Depth=1
	v_cmp_nlt_f32_e64 s[4:5], |v61|, 2.0
                                        ; implicit-def: $vgpr63
	s_and_saveexec_b64 s[6:7], s[4:5]
	s_xor_b64 s[14:15], exec, s[6:7]
	s_cbranch_execz .LBB14_302
; %bb.293:                              ;   in Loop: Header=BB14_177 Depth=1
	v_cmp_nlt_f32_e64 s[4:5], |v61|, s22
                                        ; implicit-def: $vgpr63
	s_and_saveexec_b64 s[6:7], s[4:5]
	s_xor_b64 s[16:17], exec, s[6:7]
	s_cbranch_execz .LBB14_299
; %bb.294:                              ;   in Loop: Header=BB14_177 Depth=1
	v_cmp_nlt_f32_e64 s[4:5], |v61|, s23
                                        ; implicit-def: $vgpr63
	s_and_saveexec_b64 s[6:7], s[4:5]
	s_xor_b64 s[18:19], exec, s[6:7]
	s_cbranch_execz .LBB14_296
; %bb.295:                              ;   in Loop: Header=BB14_177 Depth=1
	v_cmp_lt_f32_e64 s[4:5], |v61|, s25
	v_cndmask_b32_e64 v63, 0, 32, s[4:5]
	v_ldexp_f32 v63, |v61|, v63
	v_log_f32_e32 v63, v63
	v_mul_f32_e32 v64, 0x3f317217, v63
	v_fma_f32 v65, v63, s26, -v64
	v_fmac_f32_e32 v65, 0x3377d1cf, v63
	v_add_f32_e32 v64, v64, v65
	v_cmp_lt_f32_e64 s[6:7], |v63|, s27
	v_cndmask_b32_e64 v63, v63, v64, s[6:7]
	v_cndmask_b32_e64 v64, 0, v49, s[4:5]
	v_sub_f32_e32 v63, v63, v64
	v_fma_f32 v63, |v61|, v63, -|v61|
.LBB14_296:                             ;   in Loop: Header=BB14_177 Depth=1
	s_andn2_saveexec_b64 s[18:19], s[18:19]
	s_cbranch_execz .LBB14_298
; %bb.297:                              ;   in Loop: Header=BB14_177 Depth=1
	v_rcp_f32_e64 v63, |v61|
	v_cmp_lt_f32_e64 s[4:5], |v61|, s25
	v_cndmask_b32_e64 v65, 0, 32, s[4:5]
	v_mov_b32_e32 v64, 0x3a5b3dd2
	v_mul_f32_e32 v66, v63, v63
	v_ldexp_f32 v65, |v61|, v65
	v_fmac_f32_e32 v64, 0xbad5c4e8, v66
	v_log_f32_e32 v65, v65
	v_fma_f32 v64, v66, v64, v6
	v_fma_f32 v64, v66, v64, v7
	;; [unrolled: 1-line block ×4, first 2 shown]
	v_mul_f32_e32 v66, 0x3f317217, v65
	v_fma_f32 v67, v65, s26, -v66
	v_fmac_f32_e32 v67, 0x3377d1cf, v65
	v_add_f32_e32 v66, v66, v67
	v_cmp_lt_f32_e64 s[6:7], |v65|, s27
	v_cndmask_b32_e64 v65, v65, v66, s[6:7]
	v_cndmask_b32_e64 v66, 0, v49, s[4:5]
	v_sub_f32_e32 v65, v65, v66
	v_fma_f32 v63, v63, v64, v10
	v_add_f32_e64 v64, |v61|, -0.5
	v_add_f32_e32 v65, -1.0, v65
	v_fmac_f32_e32 v63, v64, v65
.LBB14_298:                             ;   in Loop: Header=BB14_177 Depth=1
	s_or_b64 exec, exec, s[18:19]
.LBB14_299:                             ;   in Loop: Header=BB14_177 Depth=1
	s_andn2_saveexec_b64 s[16:17], s[16:17]
	s_cbranch_execz .LBB14_301
; %bb.300:                              ;   in Loop: Header=BB14_177 Depth=1
	v_cvt_i32_f32_e32 v63, v62
	v_mov_b32_e32 v66, 0x3a4beed6
	v_mov_b32_e32 v65, 0x3af135b4
	v_cvt_f32_i32_e32 v64, v63
	v_cmp_lt_i32_e64 s[4:5], 2, v63
	v_sub_f32_e64 v64, |v61|, v64
	v_add_f32_e32 v67, 2.0, v64
	v_add_f32_e32 v68, 0x40400000, v64
	v_cndmask_b32_e64 v67, 1.0, v67, s[4:5]
	v_cmp_lt_i32_e64 s[4:5], 3, v63
	v_add_f32_e32 v69, 4.0, v64
	v_cndmask_b32_e64 v68, 1.0, v68, s[4:5]
	v_cmp_lt_i32_e64 s[4:5], 4, v63
	v_fmac_f32_e32 v66, 0x36f5d7bd, v64
	v_add_f32_e32 v70, 0x40a00000, v64
	v_mul_f32_e32 v67, v67, v68
	v_cndmask_b32_e64 v68, 1.0, v69, s[4:5]
	v_cmp_lt_i32_e64 s[4:5], 5, v63
	v_fma_f32 v66, v64, v66, v16
	v_add_f32_e32 v71, 0x40c00000, v64
	v_mul_f32_e32 v67, v68, v67
	v_cndmask_b32_e64 v68, 1.0, v70, s[4:5]
	v_cmp_lt_i32_e64 s[4:5], 6, v63
	v_fma_f32 v66, v64, v66, v17
	v_mul_f32_e32 v67, v68, v67
	v_cndmask_b32_e64 v63, 1.0, v71, s[4:5]
	v_fmac_f32_e32 v65, 0x3805ff67, v64
	v_fma_f32 v66, v64, v66, v18
	v_mul_f32_e32 v63, v63, v67
	v_fma_f32 v65, v64, v65, v11
	v_fma_f32 v66, v64, v66, v19
	v_cmp_gt_f32_e64 s[4:5], s25, v63
	v_fma_f32 v65, v64, v65, v12
	v_fma_f32 v66, v64, v66, 1.0
	v_cndmask_b32_e64 v67, 0, 32, s[4:5]
	v_fma_f32 v65, v64, v65, v13
	v_rcp_f32_e32 v66, v66
	v_ldexp_f32 v63, v63, v67
	v_fma_f32 v65, v64, v65, v14
	v_log_f32_e32 v63, v63
	v_fma_f32 v65, v64, v65, v15
	v_mul_f32_e32 v65, v64, v65
	v_mul_f32_e32 v65, v65, v66
	v_fmac_f32_e32 v65, 0.5, v64
	v_mul_f32_e32 v64, 0x3f317217, v63
	v_fma_f32 v66, v63, s26, -v64
	v_fmac_f32_e32 v66, 0x3377d1cf, v63
	v_add_f32_e32 v64, v64, v66
	v_cmp_lt_f32_e64 s[6:7], |v63|, s27
	v_cndmask_b32_e64 v63, v63, v64, s[6:7]
	v_cndmask_b32_e64 v64, 0, v49, s[4:5]
	v_sub_f32_e32 v63, v63, v64
	v_add_f32_e32 v63, v63, v65
.LBB14_301:                             ;   in Loop: Header=BB14_177 Depth=1
	s_or_b64 exec, exec, s[16:17]
.LBB14_302:                             ;   in Loop: Header=BB14_177 Depth=1
	s_andn2_saveexec_b64 s[6:7], s[14:15]
	s_cbranch_execz .LBB14_320
; %bb.303:                              ;   in Loop: Header=BB14_177 Depth=1
	v_cmp_le_f32_e64 s[4:5], |v61|, s28
                                        ; implicit-def: $vgpr63
                                        ; implicit-def: $vgpr65
                                        ; implicit-def: $vgpr64
	s_and_saveexec_b64 s[14:15], s[4:5]
	s_xor_b64 s[14:15], exec, s[14:15]
	s_cbranch_execz .LBB14_305
; %bb.304:                              ;   in Loop: Header=BB14_177 Depth=1
	v_cmp_lt_f32_e64 s[4:5], |v61|, s25
	v_cndmask_b32_e64 v63, 0, 32, s[4:5]
	v_ldexp_f32 v63, |v61|, v63
	v_log_f32_e32 v63, v63
	v_cndmask_b32_e64 v64, 0, v49, s[4:5]
	v_mul_f32_e32 v65, 0x3f317217, v63
	v_fma_f32 v66, v63, s26, -v65
	v_fmac_f32_e32 v66, 0x3377d1cf, v63
	v_add_f32_e32 v65, v65, v66
	v_cmp_lt_f32_e64 s[4:5], |v63|, s27
	v_cndmask_b32_e64 v63, v63, v65, s[4:5]
	v_sub_f32_e32 v63, v63, v64
	v_sub_f32_e64 v64, 1.0, |v61|
	v_add_f32_e64 v65, |v61|, s30
	v_cmp_lt_f32_e64 s[4:5], |v61|, s29
	v_cndmask_b32_e64 v64, v64, v65, s[4:5]
	v_cndmask_b32_e64 v65, 0, 1, s[4:5]
	v_cmp_lt_f32_e64 s[4:5], |v61|, s31
	v_xor_b32_e32 v63, 0x80000000, v63
	v_cndmask_b32_e64 v64, v64, |v61|, s[4:5]
	v_cndmask_b32_e64 v65, v65, 2, s[4:5]
.LBB14_305:                             ;   in Loop: Header=BB14_177 Depth=1
	s_andn2_saveexec_b64 s[14:15], s[14:15]
	s_cbranch_execz .LBB14_307
; %bb.306:                              ;   in Loop: Header=BB14_177 Depth=1
	v_sub_f32_e64 v63, 2.0, |v61|
	v_add_f32_e64 v64, |v61|, s34
	v_cmp_lt_f32_e64 s[4:5], |v61|, s33
	v_cndmask_b32_e64 v64, v63, v64, s[4:5]
	v_cndmask_b32_e64 v63, v63, 1.0, s[4:5]
	v_cvt_i32_f32_e32 v63, v63
	v_add_f32_e64 v65, |v61|, -1.0
	v_cmp_lt_f32_e64 s[4:5], |v61|, s35
	v_cndmask_b32_e64 v64, v64, v65, s[4:5]
	v_cndmask_b32_e64 v65, v63, 2, s[4:5]
	v_mov_b32_e32 v63, 0
.LBB14_307:                             ;   in Loop: Header=BB14_177 Depth=1
	s_or_b64 exec, exec, s[14:15]
	v_cmp_lt_i32_e64 s[4:5], 0, v65
	s_and_saveexec_b64 s[14:15], s[4:5]
	s_xor_b64 s[14:15], exec, s[14:15]
	s_cbranch_execz .LBB14_315
; %bb.308:                              ;   in Loop: Header=BB14_177 Depth=1
	v_cmp_lt_i32_e64 s[4:5], 1, v65
	s_and_saveexec_b64 s[16:17], s[4:5]
	s_xor_b64 s[16:17], exec, s[16:17]
	s_cbranch_execz .LBB14_312
; %bb.309:                              ;   in Loop: Header=BB14_177 Depth=1
	v_cmp_eq_u32_e64 s[4:5], 2, v65
	s_and_saveexec_b64 s[18:19], s[4:5]
	s_cbranch_execz .LBB14_311
; %bb.310:                              ;   in Loop: Header=BB14_177 Depth=1
	v_mov_b32_e32 v66, 0x3dd572af
	v_fmac_f32_e32 v66, 0x3b52d5db, v64
	v_fma_f32 v66, v64, v66, v23
	v_mov_b32_e32 v65, 0x3e6a7578
	v_fma_f32 v66, v64, v66, v24
	v_fmac_f32_e32 v65, 0x3c5b3c5e, v64
	v_fma_f32 v66, v64, v66, v25
	v_fma_f32 v65, v64, v65, v20
	v_fma_f32 v66, v64, v66, 1.0
	v_fma_f32 v65, v64, v65, v21
	v_rcp_f32_e32 v66, v66
	v_fma_f32 v65, v64, v65, v22
	v_fma_f32 v65, v64, v65, v15
	v_mul_f32_e32 v65, v64, v65
	v_mul_f32_e32 v65, v65, v66
	v_fmac_f32_e32 v65, -0.5, v64
	v_add_f32_e32 v63, v63, v65
.LBB14_311:                             ;   in Loop: Header=BB14_177 Depth=1
	s_or_b64 exec, exec, s[18:19]
                                        ; implicit-def: $vgpr64
.LBB14_312:                             ;   in Loop: Header=BB14_177 Depth=1
	s_andn2_saveexec_b64 s[4:5], s[16:17]
	s_cbranch_execz .LBB14_314
; %bb.313:                              ;   in Loop: Header=BB14_177 Depth=1
	v_mul_f32_e32 v65, v64, v64
	v_mul_f32_e32 v66, v64, v65
	v_mov_b32_e32 v68, 0x3a66f867
	v_mov_b32_e32 v69, 0xba0d3085
	v_fmac_f32_e32 v68, 0xb9a3f927, v66
	v_fmac_f32_e32 v69, 0x39afe9f7, v66
	v_mov_b32_e32 v67, 0xbab7f476
	v_fma_f32 v68, v66, v68, v29
	v_fma_f32 v69, v66, v69, v32
	v_fmac_f32_e32 v67, 0x39a57b6b, v66
	v_fma_f32 v68, v66, v68, v30
	v_fma_f32 v69, v66, v69, v33
	;; [unrolled: 1-line block ×6, first 2 shown]
	v_fmac_f32_e32 v68, v64, v69
	v_fma_f32 v67, v66, v67, v28
	v_fma_f32 v64, v66, -v68, s36
	v_fma_f32 v64, v65, v67, -v64
	v_add_f32_e32 v64, 0xbdf8cdce, v64
	v_add_f32_e32 v63, v63, v64
.LBB14_314:                             ;   in Loop: Header=BB14_177 Depth=1
	s_or_b64 exec, exec, s[4:5]
                                        ; implicit-def: $vgpr65
                                        ; implicit-def: $vgpr64
.LBB14_315:                             ;   in Loop: Header=BB14_177 Depth=1
	s_andn2_saveexec_b64 s[14:15], s[14:15]
	s_cbranch_execz .LBB14_319
; %bb.316:                              ;   in Loop: Header=BB14_177 Depth=1
	v_cmp_eq_u32_e64 s[4:5], 0, v65
	s_and_saveexec_b64 s[16:17], s[4:5]
	s_cbranch_execz .LBB14_318
; %bb.317:                              ;   in Loop: Header=BB14_177 Depth=1
	v_mul_f32_e32 v65, v64, v64
	v_mov_b32_e32 v67, 0x38e28445
	v_mov_b32_e32 v66, 0x39679767
	v_fmac_f32_e32 v67, 0x383c2c75, v65
	v_fmac_f32_e32 v66, 0x37d383a2, v65
	v_fma_f32 v67, v65, v67, v39
	v_fma_f32 v66, v65, v66, v35
	v_fma_f32 v67, v65, v67, v40
	v_fma_f32 v66, v65, v66, v36
	v_fma_f32 v67, v65, v67, v41
	v_fma_f32 v66, v65, v66, v37
	v_fma_f32 v67, v65, v67, v42
	v_fma_f32 v66, v65, v66, v38
	v_mul_f32_e32 v65, v65, v67
	v_fmac_f32_e32 v65, v64, v66
	v_fmac_f32_e32 v65, -0.5, v64
	v_add_f32_e32 v63, v63, v65
.LBB14_318:                             ;   in Loop: Header=BB14_177 Depth=1
	s_or_b64 exec, exec, s[16:17]
.LBB14_319:                             ;   in Loop: Header=BB14_177 Depth=1
	s_or_b64 exec, exec, s[14:15]
.LBB14_320:                             ;   in Loop: Header=BB14_177 Depth=1
	s_or_b64 exec, exec, s[6:7]
.LBB14_321:                             ;   in Loop: Header=BB14_177 Depth=1
	s_andn2_saveexec_b64 s[8:9], s[8:9]
	s_cbranch_execz .LBB14_323
; %bb.322:                              ;   in Loop: Header=BB14_177 Depth=1
	v_cmp_lt_f32_e64 s[4:5], |v61|, s25
	v_cndmask_b32_e64 v63, 0, 32, s[4:5]
	v_ldexp_f32 v63, |v61|, v63
	v_log_f32_e32 v63, v63
	v_fma_f32 v64, |v61|, s37, v50
	v_fma_f32 v64, |v61|, v64, s38
	;; [unrolled: 1-line block ×3, first 2 shown]
	v_mul_f32_e32 v65, 0x3f317217, v63
	v_fma_f32 v66, v63, s26, -v65
	v_fmac_f32_e32 v66, 0x3377d1cf, v63
	v_add_f32_e32 v65, v65, v66
	v_cmp_lt_f32_e64 s[6:7], |v63|, s27
	v_cndmask_b32_e64 v63, v63, v65, s[6:7]
	v_cndmask_b32_e64 v65, 0, v49, s[4:5]
	v_sub_f32_e32 v63, v63, v65
	v_fma_f32 v63, |v61|, v64, -v63
.LBB14_323:                             ;   in Loop: Header=BB14_177 Depth=1
	s_or_b64 exec, exec, s[8:9]
	v_cmp_le_f16_e64 s[4:5], 0, v60
	v_cmp_nle_f16_e64 s[6:7], 0, v60
	s_and_saveexec_b64 s[8:9], s[6:7]
	s_xor_b64 s[14:15], exec, s[8:9]
	s_cbranch_execz .LBB14_327
; %bb.324:                              ;   in Loop: Header=BB14_177 Depth=1
	v_cmp_lt_f32_e64 s[6:7], |v61|, s40
	v_cmp_gt_f32_e64 s[8:9], |v61|, s41
	s_and_b64 s[6:7], s[6:7], s[8:9]
	s_and_saveexec_b64 s[16:17], s[6:7]
	s_cbranch_execz .LBB14_326
; %bb.325:                              ;   in Loop: Header=BB14_177 Depth=1
	v_mul_f32_e64 v64, |v61|, 0.5
	v_floor_f32_e32 v65, v64
	v_sub_f32_e32 v65, v64, v65
	v_min_f32_e32 v65, 0x3f7fffff, v65
	v_add_f32_e32 v65, v65, v65
	v_cmp_neq_f32_e64 s[6:7], s27, v64
	v_cndmask_b32_e64 v64, 0, v65, s[6:7]
	v_cmp_gt_f32_e64 s[6:7], |v61|, 1.0
	v_cndmask_b32_e64 v64, |v61|, v64, s[6:7]
	v_add_f32_e32 v65, v64, v64
	v_rndne_f32_e32 v65, v65
	v_fmac_f32_e32 v64, -0.5, v65
	v_mul_f32_e32 v66, v64, v64
	v_mov_b32_e32 v67, 0xbf1f24be
	v_fmac_f32_e32 v67, 0x3e75aa41, v66
	v_fma_f32 v67, v66, v67, v43
	v_fma_f32 v67, v66, v67, v44
	v_mul_f32_e32 v68, v64, v66
	v_mul_f32_e32 v67, v68, v67
	v_fmac_f32_e32 v67, 0x40490fdb, v64
	v_mov_b32_e32 v64, 0x3e642e9d
	v_cvt_i32_f32_e32 v65, v65
	v_fmac_f32_e32 v64, 0x3d4be544, v66
	v_fma_f32 v64, v66, v64, v45
	v_fma_f32 v64, v66, v64, v46
	;; [unrolled: 1-line block ×3, first 2 shown]
	v_fma_f32 v64, v66, v64, 1.0
	v_and_b32_e32 v66, 1, v65
	v_lshlrev_b32_e32 v65, 30, v65
	v_cmp_eq_u32_e64 s[6:7], 0, v66
	v_and_b32_e32 v65, 0x80000000, v65
	v_xor_b32_e32 v62, v62, v61
	v_cndmask_b32_e64 v64, v64, v67, s[6:7]
	v_xor_b32_e32 v62, v62, v65
	v_xor_b32_e32 v62, v62, v64
	v_mul_f32_e32 v62, v61, v62
	v_frexp_mant_f32_e64 v64, |v62|
	v_rcp_f32_e32 v64, v64
	v_frexp_exp_i32_f32_e32 v62, v62
	v_sub_u32_e32 v62, 2, v62
	v_mul_f32_e32 v64, 0x3f490fdb, v64
	v_ldexp_f32 v62, v64, v62
	v_cmp_gt_f32_e64 s[6:7], s25, v62
	v_cndmask_b32_e64 v64, 0, 32, s[6:7]
	v_ldexp_f32 v62, v62, v64
	v_log_f32_e32 v62, v62
	v_mul_f32_e32 v64, 0x3f317217, v62
	v_fma_f32 v65, v62, s26, -v64
	v_fmac_f32_e32 v65, 0x3377d1cf, v62
	v_add_f32_e32 v64, v64, v65
	v_cmp_lt_f32_e64 s[8:9], |v62|, s27
	v_cndmask_b32_e64 v62, v62, v64, s[8:9]
	v_cndmask_b32_e64 v64, 0, v49, s[6:7]
	v_sub_f32_e32 v62, v62, v64
	v_sub_f32_e32 v62, v62, v63
	v_floor_f32_e32 v63, v61
	v_sub_f32_e32 v63, v61, v63
	v_min_f32_e32 v63, 0x3f7fffff, v63
	v_cmp_neq_f32_e64 s[6:7], 0, v63
	v_cndmask_b32_e64 v63, v51, v62, s[6:7]
.LBB14_326:                             ;   in Loop: Header=BB14_177 Depth=1
	s_or_b64 exec, exec, s[16:17]
.LBB14_327:                             ;   in Loop: Header=BB14_177 Depth=1
	s_andn2_saveexec_b64 s[14:15], s[14:15]
	s_cbranch_execz .LBB14_176
; %bb.328:                              ;   in Loop: Header=BB14_177 Depth=1
	v_cmp_eq_f16_e64 s[6:7], 1.0, v60
	v_cmp_eq_f16_e64 s[8:9], 2.0, v60
	s_or_b64 s[6:7], s[6:7], s[8:9]
	v_cndmask_b32_e64 v63, v63, 0, s[6:7]
	s_branch .LBB14_176
.LBB14_329:
	s_endpgm
	.section	.rodata,"a",@progbits
	.p2align	6, 0x0
	.amdhsa_kernel _ZN2at6native12_GLOBAL__N_125multi_tensor_apply_kernelINS1_18TensorListMetadataILi1EEENS1_14UnaryOpFunctorIN3c104HalfELi1ELi1ELi0EEEJNS0_6LgammaIfEEEEEvT_T0_DpT1_
		.amdhsa_group_segment_fixed_size 0
		.amdhsa_private_segment_fixed_size 0
		.amdhsa_kernarg_size 3632
		.amdhsa_user_sgpr_count 6
		.amdhsa_user_sgpr_private_segment_buffer 1
		.amdhsa_user_sgpr_dispatch_ptr 0
		.amdhsa_user_sgpr_queue_ptr 0
		.amdhsa_user_sgpr_kernarg_segment_ptr 1
		.amdhsa_user_sgpr_dispatch_id 0
		.amdhsa_user_sgpr_flat_scratch_init 0
		.amdhsa_user_sgpr_private_segment_size 0
		.amdhsa_uses_dynamic_stack 0
		.amdhsa_system_sgpr_private_segment_wavefront_offset 0
		.amdhsa_system_sgpr_workgroup_id_x 1
		.amdhsa_system_sgpr_workgroup_id_y 0
		.amdhsa_system_sgpr_workgroup_id_z 0
		.amdhsa_system_sgpr_workgroup_info 0
		.amdhsa_system_vgpr_workitem_id 0
		.amdhsa_next_free_vgpr 79
		.amdhsa_next_free_sgpr 61
		.amdhsa_reserve_vcc 1
		.amdhsa_reserve_flat_scratch 0
		.amdhsa_float_round_mode_32 0
		.amdhsa_float_round_mode_16_64 0
		.amdhsa_float_denorm_mode_32 3
		.amdhsa_float_denorm_mode_16_64 3
		.amdhsa_dx10_clamp 1
		.amdhsa_ieee_mode 1
		.amdhsa_fp16_overflow 0
		.amdhsa_exception_fp_ieee_invalid_op 0
		.amdhsa_exception_fp_denorm_src 0
		.amdhsa_exception_fp_ieee_div_zero 0
		.amdhsa_exception_fp_ieee_overflow 0
		.amdhsa_exception_fp_ieee_underflow 0
		.amdhsa_exception_fp_ieee_inexact 0
		.amdhsa_exception_int_div_zero 0
	.end_amdhsa_kernel
	.section	.text._ZN2at6native12_GLOBAL__N_125multi_tensor_apply_kernelINS1_18TensorListMetadataILi1EEENS1_14UnaryOpFunctorIN3c104HalfELi1ELi1ELi0EEEJNS0_6LgammaIfEEEEEvT_T0_DpT1_,"axG",@progbits,_ZN2at6native12_GLOBAL__N_125multi_tensor_apply_kernelINS1_18TensorListMetadataILi1EEENS1_14UnaryOpFunctorIN3c104HalfELi1ELi1ELi0EEEJNS0_6LgammaIfEEEEEvT_T0_DpT1_,comdat
.Lfunc_end14:
	.size	_ZN2at6native12_GLOBAL__N_125multi_tensor_apply_kernelINS1_18TensorListMetadataILi1EEENS1_14UnaryOpFunctorIN3c104HalfELi1ELi1ELi0EEEJNS0_6LgammaIfEEEEEvT_T0_DpT1_, .Lfunc_end14-_ZN2at6native12_GLOBAL__N_125multi_tensor_apply_kernelINS1_18TensorListMetadataILi1EEENS1_14UnaryOpFunctorIN3c104HalfELi1ELi1ELi0EEEJNS0_6LgammaIfEEEEEvT_T0_DpT1_
                                        ; -- End function
	.set _ZN2at6native12_GLOBAL__N_125multi_tensor_apply_kernelINS1_18TensorListMetadataILi1EEENS1_14UnaryOpFunctorIN3c104HalfELi1ELi1ELi0EEEJNS0_6LgammaIfEEEEEvT_T0_DpT1_.num_vgpr, 79
	.set _ZN2at6native12_GLOBAL__N_125multi_tensor_apply_kernelINS1_18TensorListMetadataILi1EEENS1_14UnaryOpFunctorIN3c104HalfELi1ELi1ELi0EEEJNS0_6LgammaIfEEEEEvT_T0_DpT1_.num_agpr, 0
	.set _ZN2at6native12_GLOBAL__N_125multi_tensor_apply_kernelINS1_18TensorListMetadataILi1EEENS1_14UnaryOpFunctorIN3c104HalfELi1ELi1ELi0EEEJNS0_6LgammaIfEEEEEvT_T0_DpT1_.numbered_sgpr, 61
	.set _ZN2at6native12_GLOBAL__N_125multi_tensor_apply_kernelINS1_18TensorListMetadataILi1EEENS1_14UnaryOpFunctorIN3c104HalfELi1ELi1ELi0EEEJNS0_6LgammaIfEEEEEvT_T0_DpT1_.num_named_barrier, 0
	.set _ZN2at6native12_GLOBAL__N_125multi_tensor_apply_kernelINS1_18TensorListMetadataILi1EEENS1_14UnaryOpFunctorIN3c104HalfELi1ELi1ELi0EEEJNS0_6LgammaIfEEEEEvT_T0_DpT1_.private_seg_size, 0
	.set _ZN2at6native12_GLOBAL__N_125multi_tensor_apply_kernelINS1_18TensorListMetadataILi1EEENS1_14UnaryOpFunctorIN3c104HalfELi1ELi1ELi0EEEJNS0_6LgammaIfEEEEEvT_T0_DpT1_.uses_vcc, 1
	.set _ZN2at6native12_GLOBAL__N_125multi_tensor_apply_kernelINS1_18TensorListMetadataILi1EEENS1_14UnaryOpFunctorIN3c104HalfELi1ELi1ELi0EEEJNS0_6LgammaIfEEEEEvT_T0_DpT1_.uses_flat_scratch, 0
	.set _ZN2at6native12_GLOBAL__N_125multi_tensor_apply_kernelINS1_18TensorListMetadataILi1EEENS1_14UnaryOpFunctorIN3c104HalfELi1ELi1ELi0EEEJNS0_6LgammaIfEEEEEvT_T0_DpT1_.has_dyn_sized_stack, 0
	.set _ZN2at6native12_GLOBAL__N_125multi_tensor_apply_kernelINS1_18TensorListMetadataILi1EEENS1_14UnaryOpFunctorIN3c104HalfELi1ELi1ELi0EEEJNS0_6LgammaIfEEEEEvT_T0_DpT1_.has_recursion, 0
	.set _ZN2at6native12_GLOBAL__N_125multi_tensor_apply_kernelINS1_18TensorListMetadataILi1EEENS1_14UnaryOpFunctorIN3c104HalfELi1ELi1ELi0EEEJNS0_6LgammaIfEEEEEvT_T0_DpT1_.has_indirect_call, 0
	.section	.AMDGPU.csdata,"",@progbits
; Kernel info:
; codeLenInByte = 19248
; TotalNumSgprs: 65
; NumVgprs: 79
; ScratchSize: 0
; MemoryBound: 0
; FloatMode: 240
; IeeeMode: 1
; LDSByteSize: 0 bytes/workgroup (compile time only)
; SGPRBlocks: 8
; VGPRBlocks: 19
; NumSGPRsForWavesPerEU: 65
; NumVGPRsForWavesPerEU: 79
; Occupancy: 3
; WaveLimiterHint : 0
; COMPUTE_PGM_RSRC2:SCRATCH_EN: 0
; COMPUTE_PGM_RSRC2:USER_SGPR: 6
; COMPUTE_PGM_RSRC2:TRAP_HANDLER: 0
; COMPUTE_PGM_RSRC2:TGID_X_EN: 1
; COMPUTE_PGM_RSRC2:TGID_Y_EN: 0
; COMPUTE_PGM_RSRC2:TGID_Z_EN: 0
; COMPUTE_PGM_RSRC2:TIDIG_COMP_CNT: 0
	.section	.text._ZN2at6native12_GLOBAL__N_125multi_tensor_apply_kernelINS1_18TensorListMetadataILi1EEENS1_14UnaryOpFunctorIN3c108BFloat16ELi1ELi1ELi0EEEJNS0_6LgammaIfEEEEEvT_T0_DpT1_,"axG",@progbits,_ZN2at6native12_GLOBAL__N_125multi_tensor_apply_kernelINS1_18TensorListMetadataILi1EEENS1_14UnaryOpFunctorIN3c108BFloat16ELi1ELi1ELi0EEEJNS0_6LgammaIfEEEEEvT_T0_DpT1_,comdat
	.globl	_ZN2at6native12_GLOBAL__N_125multi_tensor_apply_kernelINS1_18TensorListMetadataILi1EEENS1_14UnaryOpFunctorIN3c108BFloat16ELi1ELi1ELi0EEEJNS0_6LgammaIfEEEEEvT_T0_DpT1_ ; -- Begin function _ZN2at6native12_GLOBAL__N_125multi_tensor_apply_kernelINS1_18TensorListMetadataILi1EEENS1_14UnaryOpFunctorIN3c108BFloat16ELi1ELi1ELi0EEEJNS0_6LgammaIfEEEEEvT_T0_DpT1_
	.p2align	8
	.type	_ZN2at6native12_GLOBAL__N_125multi_tensor_apply_kernelINS1_18TensorListMetadataILi1EEENS1_14UnaryOpFunctorIN3c108BFloat16ELi1ELi1ELi0EEEJNS0_6LgammaIfEEEEEvT_T0_DpT1_,@function
_ZN2at6native12_GLOBAL__N_125multi_tensor_apply_kernelINS1_18TensorListMetadataILi1EEENS1_14UnaryOpFunctorIN3c108BFloat16ELi1ELi1ELi0EEEJNS0_6LgammaIfEEEEEvT_T0_DpT1_: ; @_ZN2at6native12_GLOBAL__N_125multi_tensor_apply_kernelINS1_18TensorListMetadataILi1EEENS1_14UnaryOpFunctorIN3c108BFloat16ELi1ELi1ELi0EEEJNS0_6LgammaIfEEEEEvT_T0_DpT1_
; %bb.0:
	v_mov_b32_e32 v1, s6
	global_load_ubyte v1, v1, s[4:5] offset:1760
	s_add_u32 s0, s4, s6
	s_mul_hi_u32 s1, s6, 3
	s_mul_i32 s6, s6, 3
	s_addc_u32 s2, s5, 0
	s_add_u32 s0, s0, s6
	s_addc_u32 s1, s2, s1
	s_load_dword s0, s[0:1], 0x820
	s_mov_b32 s7, 0
	s_waitcnt vmcnt(0)
	v_readfirstlane_b32 s1, v1
	s_lshl_b32 s1, s1, 3
	s_load_dwordx2 s[2:3], s[4:5], s1 offset:0x370
	s_load_dwordx2 s[20:21], s[4:5], s1 offset:0x0
	s_waitcnt lgkmcnt(0)
	s_ashr_i32 s1, s0, 31
	s_lshl_b64 s[22:23], s[0:1], 17
	s_lshl_b64 s[0:1], s[0:1], 16
	s_and_b32 s6, s20, 7
	s_sub_u32 s24, s2, s0
	s_subb_u32 s25, s3, s1
	s_and_b32 s0, s2, 3
	s_mov_b32 s1, s7
	s_or_b64 s[0:1], s[6:7], s[0:1]
	s_cmp_eq_u64 s[0:1], 0
	s_cbranch_scc1 .LBB15_173
; %bb.1:
	v_cmp_lt_i64_e64 s[0:1], s[24:25], 1
	s_and_b64 vcc, exec, s[0:1]
	s_cbranch_vccnz .LBB15_172
; %bb.2:
	v_mov_b32_e32 v1, 0x10000
	s_load_dword s2, s[4:5], 0xd3c
	v_mov_b32_e32 v2, 0
	v_cmp_lt_i64_e32 vcc, s[24:25], v[1:2]
	s_mov_b64 s[30:31], 0
	s_and_b64 s[0:1], vcc, exec
	v_cmp_lt_u64_e32 vcc, s[24:25], v[1:2]
	s_cselect_b32 s27, s25, 0
	s_cselect_b32 s26, s24, 0x10000
	s_waitcnt lgkmcnt(0)
	s_and_b32 s2, s2, 0xffff
	s_and_b64 s[0:1], vcc, exec
	s_cselect_b32 s29, s25, 0
	s_cselect_b32 s28, s24, 0x10000
	s_lshl_b32 s3, s2, 1
	s_lshl_b32 s33, s2, 2
	s_add_u32 s6, s20, s22
	v_lshlrev_b32_e32 v1, 1, v0
	s_addc_u32 s7, s21, s23
	v_mov_b32_e32 v2, s7
	v_add_co_u32_e32 v1, vcc, s6, v1
	s_mul_i32 s0, s2, 3
	v_addc_co_u32_e32 v2, vcc, 0, v2, vcc
	v_add_co_u32_e32 v5, vcc, s0, v0
	v_addc_co_u32_e64 v6, s[0:1], 0, 0, vcc
	v_add_co_u32_e32 v7, vcc, s3, v0
	v_addc_co_u32_e64 v8, s[0:1], 0, 0, vcc
	v_add_co_u32_e32 v9, vcc, s2, v0
	v_lshlrev_b32_e32 v3, 1, v9
	v_addc_co_u32_e64 v10, s[0:1], 0, 0, vcc
	v_mov_b32_e32 v4, s7
	v_add_co_u32_e32 v3, vcc, s6, v3
	s_lshl_b32 s40, s2, 3
	s_mul_i32 s41, s2, 6
	v_addc_co_u32_e32 v4, vcc, 0, v4, vcc
	s_mov_b32 s42, 0x3c800000
	s_mov_b32 s43, 0x41000000
	;; [unrolled: 1-line block ×6, first 2 shown]
	v_mov_b32_e32 v11, 0xba1c065c
	v_mov_b32_e32 v12, 0x3a500cfd
	;; [unrolled: 1-line block ×8, first 2 shown]
	s_mov_b32 s48, 0x3f666666
	s_brev_b32 s49, 1
	s_mov_b32 s50, 0x3f3b4a23
	s_mov_b32 s51, 0xbeec5b0c
	;; [unrolled: 1-line block ×12, first 2 shown]
	s_movk_i32 s62, 0x7fff
	v_mov_b32_e32 v19, 0x3e5c245a
	v_mov_b32_e32 v20, 0xbd9e233f
	v_mov_b32_e32 v21, 0x3c98bf54
	v_mov_b32_e32 v22, 0x3e300f6e
	v_mov_b32_e32 v23, 0x3f38d0c5
	v_mov_b32_e32 v24, 0x3fb22d3b
	v_mov_b32_e32 v25, 0x3f7a4bb2
	v_mov_b32_e32 v26, 0x3fba3ae7
	v_mov_b32_e32 v27, 0x3f2200f4
	v_mov_b32_e32 v28, 0x3f44efdf
	v_mov_b32_e32 v29, 0x4008392d
	v_mov_b32_e32 v30, 0x401d2ebe
	v_mov_b32_e32 v31, 0x3bc7e707
	v_mov_b32_e32 v32, 0xbd064d47
	v_mov_b32_e32 v33, 0x3ef7b95e
	v_mov_b32_e32 v34, 0xbb7177fe
	v_mov_b32_e32 v35, 0x3c93373d
	v_mov_b32_e32 v36, 0xbe17213c
	v_mov_b32_e32 v37, 0x3b141699
	v_mov_b32_e32 v38, 0xbc28fcfe
	v_mov_b32_e32 v39, 0x3d845a15
	v_mov_b32_e32 v40, 0x3a9c54a1
	v_mov_b32_e32 v41, 0x3bf2027e
	v_mov_b32_e32 v42, 0x3d89f001
	v_mov_b32_e32 v43, 0x3d9e233f
	v_mov_b32_e32 v44, 0x3a05b634
	v_mov_b32_e32 v45, 0x3b3d6ec6
	v_mov_b32_e32 v46, 0x3ca89915
	v_mov_b32_e32 v47, 0x3ea51a66
	v_mov_b32_e32 v48, 0x40234736
	v_mov_b32_e32 v49, 0xc0a55e0e
	v_mov_b32_e32 v50, 0xbfaad1da
	v_mov_b32_e32 v51, 0x4081e0d3
	v_mov_b32_e32 v52, 0xc09de9e6
	v_mov_b32_e32 v53, 0x264
	v_mov_b32_e32 v54, 0x41b17218
	v_mov_b32_e32 v55, 0xbecd26ab
	v_mov_b32_e32 v56, 0x7f800000
	v_mov_b32_e32 v57, 0x7fc0
	s_branch .LBB15_4
.LBB15_3:                               ;   in Loop: Header=BB15_4 Depth=1
	s_or_b64 exec, exec, s[2:3]
	s_add_u32 s30, s30, s33
	v_add_co_u32_e32 v1, vcc, s40, v1
	v_mov_b32_e32 v59, s27
	s_addc_u32 s31, s31, 0
	v_addc_co_u32_e32 v2, vcc, 0, v2, vcc
	v_mov_b32_e32 v58, s26
	v_cmp_ge_i64_e32 vcc, s[30:31], v[58:59]
	v_add_co_u32_e64 v3, s[0:1], s40, v3
	v_addc_co_u32_e64 v4, s[0:1], 0, v4, s[0:1]
	s_cbranch_vccnz .LBB15_172
.LBB15_4:                               ; =>This Inner Loop Header: Depth=1
	v_mov_b32_e32 v59, s31
	v_add_co_u32_e32 v58, vcc, s30, v0
	v_addc_co_u32_e32 v59, vcc, 0, v59, vcc
	v_cmp_gt_u64_e32 vcc, s[28:29], v[58:59]
	v_mov_b32_e32 v61, 0
	s_and_saveexec_b64 s[0:1], vcc
	s_cbranch_execz .LBB15_6
; %bb.5:                                ;   in Loop: Header=BB15_4 Depth=1
	global_load_ushort v58, v[1:2], off
	s_waitcnt vmcnt(0)
	v_lshlrev_b32_e32 v61, 16, v58
.LBB15_6:                               ;   in Loop: Header=BB15_4 Depth=1
	s_or_b64 exec, exec, s[0:1]
	v_mov_b32_e32 v59, s31
	v_add_co_u32_e64 v58, s[0:1], s30, v9
	v_addc_co_u32_e64 v59, s[0:1], v10, v59, s[0:1]
	v_cmp_gt_u64_e64 s[6:7], s[28:29], v[58:59]
	v_mov_b32_e32 v58, 0
	v_mov_b32_e32 v60, 0
	s_and_saveexec_b64 s[0:1], s[6:7]
	s_cbranch_execz .LBB15_8
; %bb.7:                                ;   in Loop: Header=BB15_4 Depth=1
	global_load_ushort v59, v[3:4], off
	s_waitcnt vmcnt(0)
	v_lshlrev_b32_e32 v60, 16, v59
.LBB15_8:                               ;   in Loop: Header=BB15_4 Depth=1
	s_or_b64 exec, exec, s[0:1]
	v_mov_b32_e32 v59, s31
	v_add_co_u32_e64 v62, s[0:1], s30, v7
	v_addc_co_u32_e64 v63, s[0:1], v8, v59, s[0:1]
	v_cmp_gt_u64_e64 s[2:3], s[28:29], v[62:63]
	s_and_saveexec_b64 s[8:9], s[2:3]
	s_cbranch_execz .LBB15_10
; %bb.9:                                ;   in Loop: Header=BB15_4 Depth=1
	v_add_co_u32_e64 v58, s[0:1], s33, v1
	v_addc_co_u32_e64 v59, s[0:1], 0, v2, s[0:1]
	global_load_ushort v58, v[58:59], off
	s_waitcnt vmcnt(0)
	v_lshlrev_b32_e32 v58, 16, v58
.LBB15_10:                              ;   in Loop: Header=BB15_4 Depth=1
	s_or_b64 exec, exec, s[8:9]
	v_mov_b32_e32 v59, s31
	v_add_co_u32_e64 v62, s[0:1], s30, v5
	v_addc_co_u32_e64 v63, s[0:1], v6, v59, s[0:1]
	v_cmp_gt_u64_e64 s[0:1], s[28:29], v[62:63]
	v_mov_b32_e32 v59, 0
	s_and_saveexec_b64 s[10:11], s[0:1]
	s_cbranch_execz .LBB15_12
; %bb.11:                               ;   in Loop: Header=BB15_4 Depth=1
	v_add_co_u32_e64 v62, s[8:9], s41, v1
	v_addc_co_u32_e64 v63, s[8:9], 0, v2, s[8:9]
	global_load_ushort v59, v[62:63], off
	s_waitcnt vmcnt(0)
	v_lshlrev_b32_e32 v59, 16, v59
.LBB15_12:                              ;   in Loop: Header=BB15_4 Depth=1
	s_or_b64 exec, exec, s[10:11]
	v_and_b32_e32 v63, 0x7fffffff, v61
	v_cmp_nlt_f32_e64 s[8:9], |v61|, s42
                                        ; implicit-def: $vgpr62
	s_and_saveexec_b64 s[10:11], s[8:9]
	s_xor_b64 s[12:13], exec, s[10:11]
	s_cbranch_execz .LBB15_42
; %bb.13:                               ;   in Loop: Header=BB15_4 Depth=1
	v_cmp_nlt_f32_e64 s[8:9], |v61|, 2.0
                                        ; implicit-def: $vgpr62
	s_and_saveexec_b64 s[10:11], s[8:9]
	s_xor_b64 s[14:15], exec, s[10:11]
	s_cbranch_execz .LBB15_23
; %bb.14:                               ;   in Loop: Header=BB15_4 Depth=1
	v_cmp_nlt_f32_e64 s[8:9], |v61|, s43
                                        ; implicit-def: $vgpr62
	s_and_saveexec_b64 s[10:11], s[8:9]
	s_xor_b64 s[16:17], exec, s[10:11]
	s_cbranch_execz .LBB15_20
; %bb.15:                               ;   in Loop: Header=BB15_4 Depth=1
	v_cmp_nlt_f32_e64 s[8:9], |v61|, s44
                                        ; implicit-def: $vgpr62
	s_and_saveexec_b64 s[10:11], s[8:9]
	s_xor_b64 s[18:19], exec, s[10:11]
	s_cbranch_execz .LBB15_17
; %bb.16:                               ;   in Loop: Header=BB15_4 Depth=1
	v_cmp_lt_f32_e64 s[8:9], |v61|, s45
	v_cndmask_b32_e64 v62, 0, 32, s[8:9]
	v_ldexp_f32 v62, |v61|, v62
	v_log_f32_e32 v62, v62
	v_mul_f32_e32 v64, 0x3f317217, v62
	v_fma_f32 v65, v62, s46, -v64
	v_fmac_f32_e32 v65, 0x3377d1cf, v62
	v_add_f32_e32 v64, v64, v65
	v_cmp_lt_f32_e64 s[10:11], |v62|, s47
	v_cndmask_b32_e64 v62, v62, v64, s[10:11]
	v_cndmask_b32_e64 v64, 0, v54, s[8:9]
	v_sub_f32_e32 v62, v62, v64
	v_fma_f32 v62, |v61|, v62, -|v61|
.LBB15_17:                              ;   in Loop: Header=BB15_4 Depth=1
	s_andn2_saveexec_b64 s[18:19], s[18:19]
	s_cbranch_execz .LBB15_19
; %bb.18:                               ;   in Loop: Header=BB15_4 Depth=1
	v_rcp_f32_e64 v62, |v61|
	v_cmp_lt_f32_e64 s[8:9], |v61|, s45
	v_cndmask_b32_e64 v65, 0, 32, s[8:9]
	v_mov_b32_e32 v64, 0x3a5b3dd2
	v_mul_f32_e32 v66, v62, v62
	v_ldexp_f32 v65, |v61|, v65
	v_fmac_f32_e32 v64, 0xbad5c4e8, v66
	v_log_f32_e32 v65, v65
	v_fma_f32 v64, v66, v64, v11
	v_fma_f32 v64, v66, v64, v12
	;; [unrolled: 1-line block ×4, first 2 shown]
	v_mul_f32_e32 v66, 0x3f317217, v65
	v_fma_f32 v67, v65, s46, -v66
	v_fmac_f32_e32 v67, 0x3377d1cf, v65
	v_add_f32_e32 v66, v66, v67
	v_cmp_lt_f32_e64 s[10:11], |v65|, s47
	v_cndmask_b32_e64 v65, v65, v66, s[10:11]
	v_cndmask_b32_e64 v66, 0, v54, s[8:9]
	v_sub_f32_e32 v65, v65, v66
	v_fma_f32 v62, v62, v64, v15
	v_add_f32_e64 v64, |v61|, -0.5
	v_add_f32_e32 v65, -1.0, v65
	v_fmac_f32_e32 v62, v64, v65
.LBB15_19:                              ;   in Loop: Header=BB15_4 Depth=1
	s_or_b64 exec, exec, s[18:19]
.LBB15_20:                              ;   in Loop: Header=BB15_4 Depth=1
	s_andn2_saveexec_b64 s[16:17], s[16:17]
	s_cbranch_execz .LBB15_22
; %bb.21:                               ;   in Loop: Header=BB15_4 Depth=1
	v_cvt_i32_f32_e32 v62, v63
	v_mov_b32_e32 v66, 0x3a4beed6
	v_mov_b32_e32 v65, 0x3af135b4
	v_cvt_f32_i32_e32 v64, v62
	v_cmp_lt_i32_e64 s[8:9], 2, v62
	v_sub_f32_e64 v64, |v61|, v64
	v_add_f32_e32 v67, 2.0, v64
	v_add_f32_e32 v68, 0x40400000, v64
	v_cndmask_b32_e64 v67, 1.0, v67, s[8:9]
	v_cmp_lt_i32_e64 s[8:9], 3, v62
	v_add_f32_e32 v69, 4.0, v64
	v_cndmask_b32_e64 v68, 1.0, v68, s[8:9]
	v_cmp_lt_i32_e64 s[8:9], 4, v62
	v_fmac_f32_e32 v66, 0x36f5d7bd, v64
	v_add_f32_e32 v70, 0x40a00000, v64
	v_mul_f32_e32 v67, v67, v68
	v_cndmask_b32_e64 v68, 1.0, v69, s[8:9]
	v_cmp_lt_i32_e64 s[8:9], 5, v62
	v_fma_f32 v66, v64, v66, v21
	v_add_f32_e32 v71, 0x40c00000, v64
	v_mul_f32_e32 v67, v68, v67
	v_cndmask_b32_e64 v68, 1.0, v70, s[8:9]
	v_cmp_lt_i32_e64 s[8:9], 6, v62
	v_fma_f32 v66, v64, v66, v22
	v_mul_f32_e32 v67, v68, v67
	v_cndmask_b32_e64 v62, 1.0, v71, s[8:9]
	v_fmac_f32_e32 v65, 0x3805ff67, v64
	v_fma_f32 v66, v64, v66, v23
	v_mul_f32_e32 v62, v62, v67
	v_fma_f32 v65, v64, v65, v16
	v_fma_f32 v66, v64, v66, v24
	v_cmp_gt_f32_e64 s[8:9], s45, v62
	v_fma_f32 v65, v64, v65, v17
	v_fma_f32 v66, v64, v66, 1.0
	v_cndmask_b32_e64 v67, 0, 32, s[8:9]
	v_fma_f32 v65, v64, v65, v18
	v_rcp_f32_e32 v66, v66
	v_ldexp_f32 v62, v62, v67
	v_fma_f32 v65, v64, v65, v19
	v_log_f32_e32 v62, v62
	v_fma_f32 v65, v64, v65, v20
	v_mul_f32_e32 v65, v64, v65
	v_mul_f32_e32 v65, v65, v66
	v_fmac_f32_e32 v65, 0.5, v64
	v_mul_f32_e32 v64, 0x3f317217, v62
	v_fma_f32 v66, v62, s46, -v64
	v_fmac_f32_e32 v66, 0x3377d1cf, v62
	v_add_f32_e32 v64, v64, v66
	v_cmp_lt_f32_e64 s[10:11], |v62|, s47
	v_cndmask_b32_e64 v62, v62, v64, s[10:11]
	v_cndmask_b32_e64 v64, 0, v54, s[8:9]
	v_sub_f32_e32 v62, v62, v64
	v_add_f32_e32 v62, v62, v65
.LBB15_22:                              ;   in Loop: Header=BB15_4 Depth=1
	s_or_b64 exec, exec, s[16:17]
.LBB15_23:                              ;   in Loop: Header=BB15_4 Depth=1
	s_andn2_saveexec_b64 s[10:11], s[14:15]
	s_cbranch_execz .LBB15_41
; %bb.24:                               ;   in Loop: Header=BB15_4 Depth=1
	v_cmp_le_f32_e64 s[8:9], |v61|, s48
                                        ; implicit-def: $vgpr62
                                        ; implicit-def: $vgpr65
                                        ; implicit-def: $vgpr64
	s_and_saveexec_b64 s[14:15], s[8:9]
	s_xor_b64 s[14:15], exec, s[14:15]
	s_cbranch_execz .LBB15_26
; %bb.25:                               ;   in Loop: Header=BB15_4 Depth=1
	v_cmp_lt_f32_e64 s[8:9], |v61|, s45
	v_cndmask_b32_e64 v62, 0, 32, s[8:9]
	v_ldexp_f32 v62, |v61|, v62
	v_log_f32_e32 v62, v62
	v_cndmask_b32_e64 v64, 0, v54, s[8:9]
	v_mul_f32_e32 v65, 0x3f317217, v62
	v_fma_f32 v66, v62, s46, -v65
	v_fmac_f32_e32 v66, 0x3377d1cf, v62
	v_add_f32_e32 v65, v65, v66
	v_cmp_lt_f32_e64 s[8:9], |v62|, s47
	v_cndmask_b32_e64 v62, v62, v65, s[8:9]
	v_sub_f32_e32 v62, v62, v64
	v_sub_f32_e64 v64, 1.0, |v61|
	v_add_f32_e64 v65, |v61|, s51
	v_cmp_lt_f32_e64 s[8:9], |v61|, s50
	v_cndmask_b32_e64 v64, v64, v65, s[8:9]
	v_cndmask_b32_e64 v65, 0, 1, s[8:9]
	v_cmp_lt_f32_e64 s[8:9], |v61|, s52
	v_xor_b32_e32 v62, 0x80000000, v62
	v_cndmask_b32_e64 v64, v64, |v61|, s[8:9]
	v_cndmask_b32_e64 v65, v65, 2, s[8:9]
.LBB15_26:                              ;   in Loop: Header=BB15_4 Depth=1
	s_andn2_saveexec_b64 s[14:15], s[14:15]
	s_cbranch_execz .LBB15_28
; %bb.27:                               ;   in Loop: Header=BB15_4 Depth=1
	v_sub_f32_e64 v62, 2.0, |v61|
	v_add_f32_e64 v64, |v61|, s54
	v_cmp_lt_f32_e64 s[8:9], |v61|, s53
	v_cndmask_b32_e64 v64, v62, v64, s[8:9]
	v_cndmask_b32_e64 v62, v62, 1.0, s[8:9]
	v_cvt_i32_f32_e32 v62, v62
	v_add_f32_e64 v65, |v61|, -1.0
	v_cmp_lt_f32_e64 s[8:9], |v61|, s55
	v_cndmask_b32_e64 v64, v64, v65, s[8:9]
	v_cndmask_b32_e64 v65, v62, 2, s[8:9]
	v_mov_b32_e32 v62, 0
.LBB15_28:                              ;   in Loop: Header=BB15_4 Depth=1
	s_or_b64 exec, exec, s[14:15]
	v_cmp_lt_i32_e64 s[8:9], 0, v65
	s_and_saveexec_b64 s[14:15], s[8:9]
	s_xor_b64 s[14:15], exec, s[14:15]
	s_cbranch_execz .LBB15_36
; %bb.29:                               ;   in Loop: Header=BB15_4 Depth=1
	v_cmp_lt_i32_e64 s[8:9], 1, v65
	s_and_saveexec_b64 s[16:17], s[8:9]
	s_xor_b64 s[16:17], exec, s[16:17]
	s_cbranch_execz .LBB15_33
; %bb.30:                               ;   in Loop: Header=BB15_4 Depth=1
	v_cmp_eq_u32_e64 s[8:9], 2, v65
	s_and_saveexec_b64 s[18:19], s[8:9]
	s_cbranch_execz .LBB15_32
; %bb.31:                               ;   in Loop: Header=BB15_4 Depth=1
	v_mov_b32_e32 v66, 0x3dd572af
	v_fmac_f32_e32 v66, 0x3b52d5db, v64
	v_fma_f32 v66, v64, v66, v28
	v_mov_b32_e32 v65, 0x3e6a7578
	v_fma_f32 v66, v64, v66, v29
	v_fmac_f32_e32 v65, 0x3c5b3c5e, v64
	v_fma_f32 v66, v64, v66, v30
	v_fma_f32 v65, v64, v65, v25
	v_fma_f32 v66, v64, v66, 1.0
	v_fma_f32 v65, v64, v65, v26
	v_rcp_f32_e32 v66, v66
	v_fma_f32 v65, v64, v65, v27
	v_fma_f32 v65, v64, v65, v20
	v_mul_f32_e32 v65, v64, v65
	v_mul_f32_e32 v65, v65, v66
	v_fmac_f32_e32 v65, -0.5, v64
	v_add_f32_e32 v62, v62, v65
.LBB15_32:                              ;   in Loop: Header=BB15_4 Depth=1
	s_or_b64 exec, exec, s[18:19]
                                        ; implicit-def: $vgpr64
.LBB15_33:                              ;   in Loop: Header=BB15_4 Depth=1
	s_andn2_saveexec_b64 s[8:9], s[16:17]
	s_cbranch_execz .LBB15_35
; %bb.34:                               ;   in Loop: Header=BB15_4 Depth=1
	v_mul_f32_e32 v65, v64, v64
	v_mul_f32_e32 v66, v64, v65
	v_mov_b32_e32 v68, 0x3a66f867
	v_mov_b32_e32 v69, 0xba0d3085
	v_fmac_f32_e32 v68, 0xb9a3f927, v66
	v_fmac_f32_e32 v69, 0x39afe9f7, v66
	v_mov_b32_e32 v67, 0xbab7f476
	v_fma_f32 v68, v66, v68, v34
	v_fma_f32 v69, v66, v69, v37
	v_fmac_f32_e32 v67, 0x39a57b6b, v66
	v_fma_f32 v68, v66, v68, v35
	v_fma_f32 v69, v66, v69, v38
	;; [unrolled: 1-line block ×6, first 2 shown]
	v_fmac_f32_e32 v68, v64, v69
	v_fma_f32 v67, v66, v67, v33
	v_fma_f32 v64, v66, -v68, s56
	v_fma_f32 v64, v65, v67, -v64
	v_add_f32_e32 v64, 0xbdf8cdce, v64
	v_add_f32_e32 v62, v62, v64
.LBB15_35:                              ;   in Loop: Header=BB15_4 Depth=1
	s_or_b64 exec, exec, s[8:9]
                                        ; implicit-def: $vgpr65
                                        ; implicit-def: $vgpr64
.LBB15_36:                              ;   in Loop: Header=BB15_4 Depth=1
	s_andn2_saveexec_b64 s[14:15], s[14:15]
	s_cbranch_execz .LBB15_40
; %bb.37:                               ;   in Loop: Header=BB15_4 Depth=1
	v_cmp_eq_u32_e64 s[8:9], 0, v65
	s_and_saveexec_b64 s[16:17], s[8:9]
	s_cbranch_execz .LBB15_39
; %bb.38:                               ;   in Loop: Header=BB15_4 Depth=1
	v_mul_f32_e32 v65, v64, v64
	v_mov_b32_e32 v67, 0x38e28445
	v_mov_b32_e32 v66, 0x39679767
	v_fmac_f32_e32 v67, 0x383c2c75, v65
	v_fmac_f32_e32 v66, 0x37d383a2, v65
	v_fma_f32 v67, v65, v67, v44
	v_fma_f32 v66, v65, v66, v40
	;; [unrolled: 1-line block ×8, first 2 shown]
	v_mul_f32_e32 v65, v65, v67
	v_fmac_f32_e32 v65, v64, v66
	v_fmac_f32_e32 v65, -0.5, v64
	v_add_f32_e32 v62, v62, v65
.LBB15_39:                              ;   in Loop: Header=BB15_4 Depth=1
	s_or_b64 exec, exec, s[16:17]
.LBB15_40:                              ;   in Loop: Header=BB15_4 Depth=1
	s_or_b64 exec, exec, s[14:15]
.LBB15_41:                              ;   in Loop: Header=BB15_4 Depth=1
	s_or_b64 exec, exec, s[10:11]
.LBB15_42:                              ;   in Loop: Header=BB15_4 Depth=1
	s_andn2_saveexec_b64 s[12:13], s[12:13]
	s_cbranch_execz .LBB15_44
; %bb.43:                               ;   in Loop: Header=BB15_4 Depth=1
	v_cmp_lt_f32_e64 s[8:9], |v61|, s45
	v_cndmask_b32_e64 v62, 0, 32, s[8:9]
	v_ldexp_f32 v62, |v61|, v62
	v_log_f32_e32 v62, v62
	v_fma_f32 v64, |v61|, s57, v55
	v_fma_f32 v64, |v61|, v64, s58
	v_fma_f32 v64, |v61|, v64, s59
	v_mul_f32_e32 v65, 0x3f317217, v62
	v_fma_f32 v66, v62, s46, -v65
	v_fmac_f32_e32 v66, 0x3377d1cf, v62
	v_add_f32_e32 v65, v65, v66
	v_cmp_lt_f32_e64 s[10:11], |v62|, s47
	v_cndmask_b32_e64 v62, v62, v65, s[10:11]
	v_cndmask_b32_e64 v65, 0, v54, s[8:9]
	v_sub_f32_e32 v62, v62, v65
	v_fma_f32 v62, |v61|, v64, -v62
.LBB15_44:                              ;   in Loop: Header=BB15_4 Depth=1
	s_or_b64 exec, exec, s[12:13]
	v_cmp_le_f32_e64 s[8:9], 0, v61
	v_cmp_nle_f32_e64 s[10:11], 0, v61
	s_and_saveexec_b64 s[12:13], s[10:11]
	s_xor_b64 s[14:15], exec, s[12:13]
	s_cbranch_execz .LBB15_48
; %bb.45:                               ;   in Loop: Header=BB15_4 Depth=1
	v_cmp_lt_f32_e64 s[10:11], |v61|, s60
	v_cmp_gt_f32_e64 s[12:13], |v61|, s61
	s_and_b64 s[10:11], s[10:11], s[12:13]
	s_and_saveexec_b64 s[16:17], s[10:11]
	s_cbranch_execz .LBB15_47
; %bb.46:                               ;   in Loop: Header=BB15_4 Depth=1
	v_mul_f32_e64 v64, |v61|, 0.5
	v_floor_f32_e32 v65, v64
	v_sub_f32_e32 v65, v64, v65
	v_min_f32_e32 v65, 0x3f7fffff, v65
	v_add_f32_e32 v65, v65, v65
	v_cmp_neq_f32_e64 s[10:11], s47, v64
	v_cndmask_b32_e64 v64, 0, v65, s[10:11]
	v_cmp_gt_f32_e64 s[10:11], |v61|, 1.0
	v_cndmask_b32_e64 v64, |v61|, v64, s[10:11]
	v_add_f32_e32 v65, v64, v64
	v_rndne_f32_e32 v65, v65
	v_fmac_f32_e32 v64, -0.5, v65
	v_mul_f32_e32 v66, v64, v64
	v_mov_b32_e32 v67, 0xbf1f24be
	v_fmac_f32_e32 v67, 0x3e75aa41, v66
	v_fma_f32 v67, v66, v67, v48
	v_fma_f32 v67, v66, v67, v49
	v_mul_f32_e32 v68, v64, v66
	v_mul_f32_e32 v67, v68, v67
	v_fmac_f32_e32 v67, 0x40490fdb, v64
	v_mov_b32_e32 v64, 0x3e642e9d
	v_cvt_i32_f32_e32 v65, v65
	v_fmac_f32_e32 v64, 0x3d4be544, v66
	v_fma_f32 v64, v66, v64, v50
	v_fma_f32 v64, v66, v64, v51
	;; [unrolled: 1-line block ×3, first 2 shown]
	v_fma_f32 v64, v66, v64, 1.0
	v_and_b32_e32 v66, 1, v65
	v_cmp_eq_u32_e64 s[10:11], 0, v66
	v_lshlrev_b32_e32 v65, 30, v65
	v_cndmask_b32_e64 v64, v64, v67, s[10:11]
	v_and_or_b32 v63, v65, s49, v63
	v_xor_b32_e32 v63, v63, v64
	v_xor_b32_e32 v63, v63, v61
	v_mul_f32_e32 v63, v61, v63
	v_frexp_mant_f32_e64 v64, |v63|
	v_rcp_f32_e32 v64, v64
	v_frexp_exp_i32_f32_e32 v63, v63
	v_sub_u32_e32 v63, 2, v63
	v_mul_f32_e32 v64, 0x3f490fdb, v64
	v_ldexp_f32 v63, v64, v63
	v_cmp_gt_f32_e64 s[10:11], s45, v63
	v_cndmask_b32_e64 v64, 0, 32, s[10:11]
	v_ldexp_f32 v63, v63, v64
	v_log_f32_e32 v63, v63
	v_mul_f32_e32 v64, 0x3f317217, v63
	v_fma_f32 v65, v63, s46, -v64
	v_fmac_f32_e32 v65, 0x3377d1cf, v63
	v_add_f32_e32 v64, v64, v65
	v_cmp_lt_f32_e64 s[12:13], |v63|, s47
	v_cndmask_b32_e64 v63, v63, v64, s[12:13]
	v_cndmask_b32_e64 v64, 0, v54, s[10:11]
	v_sub_f32_e32 v63, v63, v64
	v_sub_f32_e32 v62, v63, v62
	v_floor_f32_e32 v63, v61
	v_sub_f32_e32 v63, v61, v63
	v_min_f32_e32 v63, 0x3f7fffff, v63
	v_cmp_neq_f32_e64 s[10:11], 0, v63
	v_cndmask_b32_e64 v62, v56, v62, s[10:11]
.LBB15_47:                              ;   in Loop: Header=BB15_4 Depth=1
	s_or_b64 exec, exec, s[16:17]
.LBB15_48:                              ;   in Loop: Header=BB15_4 Depth=1
	s_andn2_saveexec_b64 s[14:15], s[14:15]
; %bb.49:                               ;   in Loop: Header=BB15_4 Depth=1
	v_cmp_eq_f32_e64 s[10:11], 1.0, v61
	v_cmp_eq_f32_e64 s[12:13], 2.0, v61
	s_or_b64 s[10:11], s[10:11], s[12:13]
	v_cndmask_b32_e64 v62, v62, 0, s[10:11]
; %bb.50:                               ;   in Loop: Header=BB15_4 Depth=1
	s_or_b64 exec, exec, s[14:15]
	v_and_b32_e32 v64, 0x7fffffff, v60
	v_cmp_nlt_f32_e64 s[10:11], |v60|, s42
                                        ; implicit-def: $vgpr63
	s_and_saveexec_b64 s[12:13], s[10:11]
	s_xor_b64 s[14:15], exec, s[12:13]
	s_cbranch_execz .LBB15_80
; %bb.51:                               ;   in Loop: Header=BB15_4 Depth=1
	v_cmp_nlt_f32_e64 s[10:11], |v60|, 2.0
                                        ; implicit-def: $vgpr63
	s_and_saveexec_b64 s[12:13], s[10:11]
	s_xor_b64 s[16:17], exec, s[12:13]
	s_cbranch_execz .LBB15_61
; %bb.52:                               ;   in Loop: Header=BB15_4 Depth=1
	v_cmp_nlt_f32_e64 s[10:11], |v60|, s43
                                        ; implicit-def: $vgpr63
	s_and_saveexec_b64 s[12:13], s[10:11]
	s_xor_b64 s[18:19], exec, s[12:13]
	s_cbranch_execz .LBB15_58
; %bb.53:                               ;   in Loop: Header=BB15_4 Depth=1
	v_cmp_nlt_f32_e64 s[10:11], |v60|, s44
                                        ; implicit-def: $vgpr63
	s_and_saveexec_b64 s[12:13], s[10:11]
	s_xor_b64 s[34:35], exec, s[12:13]
	s_cbranch_execz .LBB15_55
; %bb.54:                               ;   in Loop: Header=BB15_4 Depth=1
	v_cmp_lt_f32_e64 s[10:11], |v60|, s45
	v_cndmask_b32_e64 v63, 0, 32, s[10:11]
	v_ldexp_f32 v63, |v60|, v63
	v_log_f32_e32 v63, v63
	v_mul_f32_e32 v65, 0x3f317217, v63
	v_fma_f32 v66, v63, s46, -v65
	v_fmac_f32_e32 v66, 0x3377d1cf, v63
	v_add_f32_e32 v65, v65, v66
	v_cmp_lt_f32_e64 s[12:13], |v63|, s47
	v_cndmask_b32_e64 v63, v63, v65, s[12:13]
	v_cndmask_b32_e64 v65, 0, v54, s[10:11]
	v_sub_f32_e32 v63, v63, v65
	v_fma_f32 v63, |v60|, v63, -|v60|
.LBB15_55:                              ;   in Loop: Header=BB15_4 Depth=1
	s_andn2_saveexec_b64 s[34:35], s[34:35]
	s_cbranch_execz .LBB15_57
; %bb.56:                               ;   in Loop: Header=BB15_4 Depth=1
	v_rcp_f32_e64 v63, |v60|
	v_cmp_lt_f32_e64 s[10:11], |v60|, s45
	v_cndmask_b32_e64 v66, 0, 32, s[10:11]
	v_mov_b32_e32 v65, 0x3a5b3dd2
	v_mul_f32_e32 v67, v63, v63
	v_ldexp_f32 v66, |v60|, v66
	v_fmac_f32_e32 v65, 0xbad5c4e8, v67
	v_log_f32_e32 v66, v66
	v_fma_f32 v65, v67, v65, v11
	v_fma_f32 v65, v67, v65, v12
	;; [unrolled: 1-line block ×4, first 2 shown]
	v_mul_f32_e32 v67, 0x3f317217, v66
	v_fma_f32 v68, v66, s46, -v67
	v_fmac_f32_e32 v68, 0x3377d1cf, v66
	v_add_f32_e32 v67, v67, v68
	v_cmp_lt_f32_e64 s[12:13], |v66|, s47
	v_cndmask_b32_e64 v66, v66, v67, s[12:13]
	v_cndmask_b32_e64 v67, 0, v54, s[10:11]
	v_sub_f32_e32 v66, v66, v67
	v_fma_f32 v63, v63, v65, v15
	v_add_f32_e64 v65, |v60|, -0.5
	v_add_f32_e32 v66, -1.0, v66
	v_fmac_f32_e32 v63, v65, v66
.LBB15_57:                              ;   in Loop: Header=BB15_4 Depth=1
	s_or_b64 exec, exec, s[34:35]
.LBB15_58:                              ;   in Loop: Header=BB15_4 Depth=1
	s_andn2_saveexec_b64 s[18:19], s[18:19]
	s_cbranch_execz .LBB15_60
; %bb.59:                               ;   in Loop: Header=BB15_4 Depth=1
	v_cvt_i32_f32_e32 v63, v64
	v_mov_b32_e32 v67, 0x3a4beed6
	v_mov_b32_e32 v66, 0x3af135b4
	v_cvt_f32_i32_e32 v65, v63
	v_cmp_lt_i32_e64 s[10:11], 2, v63
	v_sub_f32_e64 v65, |v60|, v65
	v_add_f32_e32 v68, 2.0, v65
	v_add_f32_e32 v69, 0x40400000, v65
	v_cndmask_b32_e64 v68, 1.0, v68, s[10:11]
	v_cmp_lt_i32_e64 s[10:11], 3, v63
	v_add_f32_e32 v70, 4.0, v65
	v_cndmask_b32_e64 v69, 1.0, v69, s[10:11]
	v_cmp_lt_i32_e64 s[10:11], 4, v63
	v_fmac_f32_e32 v67, 0x36f5d7bd, v65
	v_add_f32_e32 v71, 0x40a00000, v65
	v_mul_f32_e32 v68, v68, v69
	v_cndmask_b32_e64 v69, 1.0, v70, s[10:11]
	v_cmp_lt_i32_e64 s[10:11], 5, v63
	v_fma_f32 v67, v65, v67, v21
	v_add_f32_e32 v72, 0x40c00000, v65
	v_mul_f32_e32 v68, v69, v68
	v_cndmask_b32_e64 v69, 1.0, v71, s[10:11]
	v_cmp_lt_i32_e64 s[10:11], 6, v63
	v_fma_f32 v67, v65, v67, v22
	v_mul_f32_e32 v68, v69, v68
	v_cndmask_b32_e64 v63, 1.0, v72, s[10:11]
	v_fmac_f32_e32 v66, 0x3805ff67, v65
	v_fma_f32 v67, v65, v67, v23
	v_mul_f32_e32 v63, v63, v68
	v_fma_f32 v66, v65, v66, v16
	v_fma_f32 v67, v65, v67, v24
	v_cmp_gt_f32_e64 s[10:11], s45, v63
	v_fma_f32 v66, v65, v66, v17
	v_fma_f32 v67, v65, v67, 1.0
	v_cndmask_b32_e64 v68, 0, 32, s[10:11]
	v_fma_f32 v66, v65, v66, v18
	v_rcp_f32_e32 v67, v67
	v_ldexp_f32 v63, v63, v68
	v_fma_f32 v66, v65, v66, v19
	v_log_f32_e32 v63, v63
	v_fma_f32 v66, v65, v66, v20
	v_mul_f32_e32 v66, v65, v66
	v_mul_f32_e32 v66, v66, v67
	v_fmac_f32_e32 v66, 0.5, v65
	v_mul_f32_e32 v65, 0x3f317217, v63
	v_fma_f32 v67, v63, s46, -v65
	v_fmac_f32_e32 v67, 0x3377d1cf, v63
	v_add_f32_e32 v65, v65, v67
	v_cmp_lt_f32_e64 s[12:13], |v63|, s47
	v_cndmask_b32_e64 v63, v63, v65, s[12:13]
	v_cndmask_b32_e64 v65, 0, v54, s[10:11]
	v_sub_f32_e32 v63, v63, v65
	v_add_f32_e32 v63, v63, v66
.LBB15_60:                              ;   in Loop: Header=BB15_4 Depth=1
	s_or_b64 exec, exec, s[18:19]
.LBB15_61:                              ;   in Loop: Header=BB15_4 Depth=1
	s_andn2_saveexec_b64 s[12:13], s[16:17]
	s_cbranch_execz .LBB15_79
; %bb.62:                               ;   in Loop: Header=BB15_4 Depth=1
	v_cmp_le_f32_e64 s[10:11], |v60|, s48
                                        ; implicit-def: $vgpr63
                                        ; implicit-def: $vgpr66
                                        ; implicit-def: $vgpr65
	s_and_saveexec_b64 s[16:17], s[10:11]
	s_xor_b64 s[16:17], exec, s[16:17]
	s_cbranch_execz .LBB15_64
; %bb.63:                               ;   in Loop: Header=BB15_4 Depth=1
	v_cmp_lt_f32_e64 s[10:11], |v60|, s45
	v_cndmask_b32_e64 v63, 0, 32, s[10:11]
	v_ldexp_f32 v63, |v60|, v63
	v_log_f32_e32 v63, v63
	v_cndmask_b32_e64 v65, 0, v54, s[10:11]
	v_mul_f32_e32 v66, 0x3f317217, v63
	v_fma_f32 v67, v63, s46, -v66
	v_fmac_f32_e32 v67, 0x3377d1cf, v63
	v_add_f32_e32 v66, v66, v67
	v_cmp_lt_f32_e64 s[10:11], |v63|, s47
	v_cndmask_b32_e64 v63, v63, v66, s[10:11]
	v_sub_f32_e32 v63, v63, v65
	v_sub_f32_e64 v65, 1.0, |v60|
	v_add_f32_e64 v66, |v60|, s51
	v_cmp_lt_f32_e64 s[10:11], |v60|, s50
	v_cndmask_b32_e64 v65, v65, v66, s[10:11]
	v_cndmask_b32_e64 v66, 0, 1, s[10:11]
	v_cmp_lt_f32_e64 s[10:11], |v60|, s52
	v_xor_b32_e32 v63, 0x80000000, v63
	v_cndmask_b32_e64 v65, v65, |v60|, s[10:11]
	v_cndmask_b32_e64 v66, v66, 2, s[10:11]
.LBB15_64:                              ;   in Loop: Header=BB15_4 Depth=1
	s_andn2_saveexec_b64 s[16:17], s[16:17]
	s_cbranch_execz .LBB15_66
; %bb.65:                               ;   in Loop: Header=BB15_4 Depth=1
	v_sub_f32_e64 v63, 2.0, |v60|
	v_add_f32_e64 v65, |v60|, s54
	v_cmp_lt_f32_e64 s[10:11], |v60|, s53
	v_cndmask_b32_e64 v65, v63, v65, s[10:11]
	v_cndmask_b32_e64 v63, v63, 1.0, s[10:11]
	v_cvt_i32_f32_e32 v63, v63
	v_add_f32_e64 v66, |v60|, -1.0
	v_cmp_lt_f32_e64 s[10:11], |v60|, s55
	v_cndmask_b32_e64 v65, v65, v66, s[10:11]
	v_cndmask_b32_e64 v66, v63, 2, s[10:11]
	v_mov_b32_e32 v63, 0
.LBB15_66:                              ;   in Loop: Header=BB15_4 Depth=1
	s_or_b64 exec, exec, s[16:17]
	v_cmp_lt_i32_e64 s[10:11], 0, v66
	s_and_saveexec_b64 s[16:17], s[10:11]
	s_xor_b64 s[16:17], exec, s[16:17]
	s_cbranch_execz .LBB15_74
; %bb.67:                               ;   in Loop: Header=BB15_4 Depth=1
	v_cmp_lt_i32_e64 s[10:11], 1, v66
	s_and_saveexec_b64 s[18:19], s[10:11]
	s_xor_b64 s[18:19], exec, s[18:19]
	s_cbranch_execz .LBB15_71
; %bb.68:                               ;   in Loop: Header=BB15_4 Depth=1
	v_cmp_eq_u32_e64 s[10:11], 2, v66
	s_and_saveexec_b64 s[34:35], s[10:11]
	s_cbranch_execz .LBB15_70
; %bb.69:                               ;   in Loop: Header=BB15_4 Depth=1
	v_mov_b32_e32 v67, 0x3dd572af
	v_fmac_f32_e32 v67, 0x3b52d5db, v65
	v_fma_f32 v67, v65, v67, v28
	v_mov_b32_e32 v66, 0x3e6a7578
	v_fma_f32 v67, v65, v67, v29
	v_fmac_f32_e32 v66, 0x3c5b3c5e, v65
	v_fma_f32 v67, v65, v67, v30
	v_fma_f32 v66, v65, v66, v25
	v_fma_f32 v67, v65, v67, 1.0
	v_fma_f32 v66, v65, v66, v26
	v_rcp_f32_e32 v67, v67
	v_fma_f32 v66, v65, v66, v27
	v_fma_f32 v66, v65, v66, v20
	v_mul_f32_e32 v66, v65, v66
	v_mul_f32_e32 v66, v66, v67
	v_fmac_f32_e32 v66, -0.5, v65
	v_add_f32_e32 v63, v63, v66
.LBB15_70:                              ;   in Loop: Header=BB15_4 Depth=1
	s_or_b64 exec, exec, s[34:35]
                                        ; implicit-def: $vgpr65
.LBB15_71:                              ;   in Loop: Header=BB15_4 Depth=1
	s_andn2_saveexec_b64 s[10:11], s[18:19]
	s_cbranch_execz .LBB15_73
; %bb.72:                               ;   in Loop: Header=BB15_4 Depth=1
	v_mul_f32_e32 v66, v65, v65
	v_mul_f32_e32 v67, v65, v66
	v_mov_b32_e32 v69, 0x3a66f867
	v_mov_b32_e32 v70, 0xba0d3085
	v_fmac_f32_e32 v69, 0xb9a3f927, v67
	v_fmac_f32_e32 v70, 0x39afe9f7, v67
	v_mov_b32_e32 v68, 0xbab7f476
	v_fma_f32 v69, v67, v69, v34
	v_fma_f32 v70, v67, v70, v37
	v_fmac_f32_e32 v68, 0x39a57b6b, v67
	v_fma_f32 v69, v67, v69, v35
	v_fma_f32 v70, v67, v70, v38
	v_fma_f32 v68, v67, v68, v31
	v_fma_f32 v69, v67, v69, v36
	v_fma_f32 v70, v67, v70, v39
	v_fma_f32 v68, v67, v68, v32
	v_fmac_f32_e32 v69, v65, v70
	v_fma_f32 v68, v67, v68, v33
	v_fma_f32 v65, v67, -v69, s56
	v_fma_f32 v65, v66, v68, -v65
	v_add_f32_e32 v65, 0xbdf8cdce, v65
	v_add_f32_e32 v63, v63, v65
.LBB15_73:                              ;   in Loop: Header=BB15_4 Depth=1
	s_or_b64 exec, exec, s[10:11]
                                        ; implicit-def: $vgpr66
                                        ; implicit-def: $vgpr65
.LBB15_74:                              ;   in Loop: Header=BB15_4 Depth=1
	s_andn2_saveexec_b64 s[16:17], s[16:17]
	s_cbranch_execz .LBB15_78
; %bb.75:                               ;   in Loop: Header=BB15_4 Depth=1
	v_cmp_eq_u32_e64 s[10:11], 0, v66
	s_and_saveexec_b64 s[18:19], s[10:11]
	s_cbranch_execz .LBB15_77
; %bb.76:                               ;   in Loop: Header=BB15_4 Depth=1
	v_mul_f32_e32 v66, v65, v65
	v_mov_b32_e32 v68, 0x38e28445
	v_mov_b32_e32 v67, 0x39679767
	v_fmac_f32_e32 v68, 0x383c2c75, v66
	v_fmac_f32_e32 v67, 0x37d383a2, v66
	v_fma_f32 v68, v66, v68, v44
	v_fma_f32 v67, v66, v67, v40
	;; [unrolled: 1-line block ×8, first 2 shown]
	v_mul_f32_e32 v66, v66, v68
	v_fmac_f32_e32 v66, v65, v67
	v_fmac_f32_e32 v66, -0.5, v65
	v_add_f32_e32 v63, v63, v66
.LBB15_77:                              ;   in Loop: Header=BB15_4 Depth=1
	s_or_b64 exec, exec, s[18:19]
.LBB15_78:                              ;   in Loop: Header=BB15_4 Depth=1
	s_or_b64 exec, exec, s[16:17]
.LBB15_79:                              ;   in Loop: Header=BB15_4 Depth=1
	s_or_b64 exec, exec, s[12:13]
.LBB15_80:                              ;   in Loop: Header=BB15_4 Depth=1
	s_andn2_saveexec_b64 s[14:15], s[14:15]
	s_cbranch_execz .LBB15_82
; %bb.81:                               ;   in Loop: Header=BB15_4 Depth=1
	v_cmp_lt_f32_e64 s[10:11], |v60|, s45
	v_cndmask_b32_e64 v63, 0, 32, s[10:11]
	v_ldexp_f32 v63, |v60|, v63
	v_log_f32_e32 v63, v63
	v_fma_f32 v65, |v60|, s57, v55
	v_fma_f32 v65, |v60|, v65, s58
	;; [unrolled: 1-line block ×3, first 2 shown]
	v_mul_f32_e32 v66, 0x3f317217, v63
	v_fma_f32 v67, v63, s46, -v66
	v_fmac_f32_e32 v67, 0x3377d1cf, v63
	v_add_f32_e32 v66, v66, v67
	v_cmp_lt_f32_e64 s[12:13], |v63|, s47
	v_cndmask_b32_e64 v63, v63, v66, s[12:13]
	v_cndmask_b32_e64 v66, 0, v54, s[10:11]
	v_sub_f32_e32 v63, v63, v66
	v_fma_f32 v63, |v60|, v65, -v63
.LBB15_82:                              ;   in Loop: Header=BB15_4 Depth=1
	s_or_b64 exec, exec, s[14:15]
	v_cmp_le_f32_e64 s[10:11], 0, v60
	v_cmp_nle_f32_e64 s[12:13], 0, v60
	s_and_saveexec_b64 s[14:15], s[12:13]
	s_xor_b64 s[16:17], exec, s[14:15]
	s_cbranch_execz .LBB15_86
; %bb.83:                               ;   in Loop: Header=BB15_4 Depth=1
	v_cmp_lt_f32_e64 s[12:13], |v60|, s60
	v_cmp_gt_f32_e64 s[14:15], |v60|, s61
	s_and_b64 s[12:13], s[12:13], s[14:15]
	s_and_saveexec_b64 s[18:19], s[12:13]
	s_cbranch_execz .LBB15_85
; %bb.84:                               ;   in Loop: Header=BB15_4 Depth=1
	v_mul_f32_e64 v65, |v60|, 0.5
	v_floor_f32_e32 v66, v65
	v_sub_f32_e32 v66, v65, v66
	v_min_f32_e32 v66, 0x3f7fffff, v66
	v_add_f32_e32 v66, v66, v66
	v_cmp_neq_f32_e64 s[12:13], s47, v65
	v_cndmask_b32_e64 v65, 0, v66, s[12:13]
	v_cmp_gt_f32_e64 s[12:13], |v60|, 1.0
	v_cndmask_b32_e64 v65, |v60|, v65, s[12:13]
	v_add_f32_e32 v66, v65, v65
	v_rndne_f32_e32 v66, v66
	v_fmac_f32_e32 v65, -0.5, v66
	v_mul_f32_e32 v67, v65, v65
	v_mov_b32_e32 v68, 0xbf1f24be
	v_fmac_f32_e32 v68, 0x3e75aa41, v67
	v_fma_f32 v68, v67, v68, v48
	v_fma_f32 v68, v67, v68, v49
	v_mul_f32_e32 v69, v65, v67
	v_mul_f32_e32 v68, v69, v68
	v_fmac_f32_e32 v68, 0x40490fdb, v65
	v_mov_b32_e32 v65, 0x3e642e9d
	v_cvt_i32_f32_e32 v66, v66
	v_fmac_f32_e32 v65, 0x3d4be544, v67
	v_fma_f32 v65, v67, v65, v50
	v_fma_f32 v65, v67, v65, v51
	;; [unrolled: 1-line block ×3, first 2 shown]
	v_fma_f32 v65, v67, v65, 1.0
	v_and_b32_e32 v67, 1, v66
	v_cmp_eq_u32_e64 s[12:13], 0, v67
	v_lshlrev_b32_e32 v66, 30, v66
	v_cndmask_b32_e64 v65, v65, v68, s[12:13]
	v_and_or_b32 v64, v66, s49, v64
	v_xor_b32_e32 v64, v64, v65
	v_xor_b32_e32 v64, v64, v60
	v_mul_f32_e32 v64, v60, v64
	v_frexp_mant_f32_e64 v65, |v64|
	v_rcp_f32_e32 v65, v65
	v_frexp_exp_i32_f32_e32 v64, v64
	v_sub_u32_e32 v64, 2, v64
	v_mul_f32_e32 v65, 0x3f490fdb, v65
	v_ldexp_f32 v64, v65, v64
	v_cmp_gt_f32_e64 s[12:13], s45, v64
	v_cndmask_b32_e64 v65, 0, 32, s[12:13]
	v_ldexp_f32 v64, v64, v65
	v_log_f32_e32 v64, v64
	v_mul_f32_e32 v65, 0x3f317217, v64
	v_fma_f32 v66, v64, s46, -v65
	v_fmac_f32_e32 v66, 0x3377d1cf, v64
	v_add_f32_e32 v65, v65, v66
	v_cmp_lt_f32_e64 s[14:15], |v64|, s47
	v_cndmask_b32_e64 v64, v64, v65, s[14:15]
	v_cndmask_b32_e64 v65, 0, v54, s[12:13]
	v_sub_f32_e32 v64, v64, v65
	v_sub_f32_e32 v63, v64, v63
	v_floor_f32_e32 v64, v60
	v_sub_f32_e32 v64, v60, v64
	v_min_f32_e32 v64, 0x3f7fffff, v64
	v_cmp_neq_f32_e64 s[12:13], 0, v64
	v_cndmask_b32_e64 v63, v56, v63, s[12:13]
.LBB15_85:                              ;   in Loop: Header=BB15_4 Depth=1
	s_or_b64 exec, exec, s[18:19]
.LBB15_86:                              ;   in Loop: Header=BB15_4 Depth=1
	s_andn2_saveexec_b64 s[16:17], s[16:17]
; %bb.87:                               ;   in Loop: Header=BB15_4 Depth=1
	v_cmp_eq_f32_e64 s[12:13], 1.0, v60
	v_cmp_eq_f32_e64 s[14:15], 2.0, v60
	s_or_b64 s[12:13], s[12:13], s[14:15]
	v_cndmask_b32_e64 v63, v63, 0, s[12:13]
; %bb.88:                               ;   in Loop: Header=BB15_4 Depth=1
	s_or_b64 exec, exec, s[16:17]
	v_and_b32_e32 v65, 0x7fffffff, v58
	v_cmp_nlt_f32_e64 s[12:13], |v58|, s42
                                        ; implicit-def: $vgpr64
	s_and_saveexec_b64 s[14:15], s[12:13]
	s_xor_b64 s[16:17], exec, s[14:15]
	s_cbranch_execz .LBB15_118
; %bb.89:                               ;   in Loop: Header=BB15_4 Depth=1
	v_cmp_nlt_f32_e64 s[12:13], |v58|, 2.0
                                        ; implicit-def: $vgpr64
	s_and_saveexec_b64 s[14:15], s[12:13]
	s_xor_b64 s[18:19], exec, s[14:15]
	s_cbranch_execz .LBB15_99
; %bb.90:                               ;   in Loop: Header=BB15_4 Depth=1
	v_cmp_nlt_f32_e64 s[12:13], |v58|, s43
                                        ; implicit-def: $vgpr64
	s_and_saveexec_b64 s[14:15], s[12:13]
	s_xor_b64 s[34:35], exec, s[14:15]
	s_cbranch_execz .LBB15_96
; %bb.91:                               ;   in Loop: Header=BB15_4 Depth=1
	v_cmp_nlt_f32_e64 s[12:13], |v58|, s44
                                        ; implicit-def: $vgpr64
	s_and_saveexec_b64 s[14:15], s[12:13]
	s_xor_b64 s[36:37], exec, s[14:15]
	s_cbranch_execz .LBB15_93
; %bb.92:                               ;   in Loop: Header=BB15_4 Depth=1
	v_cmp_lt_f32_e64 s[12:13], |v58|, s45
	v_cndmask_b32_e64 v64, 0, 32, s[12:13]
	v_ldexp_f32 v64, |v58|, v64
	v_log_f32_e32 v64, v64
	v_mul_f32_e32 v66, 0x3f317217, v64
	v_fma_f32 v67, v64, s46, -v66
	v_fmac_f32_e32 v67, 0x3377d1cf, v64
	v_add_f32_e32 v66, v66, v67
	v_cmp_lt_f32_e64 s[14:15], |v64|, s47
	v_cndmask_b32_e64 v64, v64, v66, s[14:15]
	v_cndmask_b32_e64 v66, 0, v54, s[12:13]
	v_sub_f32_e32 v64, v64, v66
	v_fma_f32 v64, |v58|, v64, -|v58|
.LBB15_93:                              ;   in Loop: Header=BB15_4 Depth=1
	s_andn2_saveexec_b64 s[36:37], s[36:37]
	s_cbranch_execz .LBB15_95
; %bb.94:                               ;   in Loop: Header=BB15_4 Depth=1
	v_rcp_f32_e64 v64, |v58|
	v_cmp_lt_f32_e64 s[12:13], |v58|, s45
	v_cndmask_b32_e64 v67, 0, 32, s[12:13]
	v_mov_b32_e32 v66, 0x3a5b3dd2
	v_mul_f32_e32 v68, v64, v64
	v_ldexp_f32 v67, |v58|, v67
	v_fmac_f32_e32 v66, 0xbad5c4e8, v68
	v_log_f32_e32 v67, v67
	v_fma_f32 v66, v68, v66, v11
	v_fma_f32 v66, v68, v66, v12
	;; [unrolled: 1-line block ×4, first 2 shown]
	v_mul_f32_e32 v68, 0x3f317217, v67
	v_fma_f32 v69, v67, s46, -v68
	v_fmac_f32_e32 v69, 0x3377d1cf, v67
	v_add_f32_e32 v68, v68, v69
	v_cmp_lt_f32_e64 s[14:15], |v67|, s47
	v_cndmask_b32_e64 v67, v67, v68, s[14:15]
	v_cndmask_b32_e64 v68, 0, v54, s[12:13]
	v_sub_f32_e32 v67, v67, v68
	v_fma_f32 v64, v64, v66, v15
	v_add_f32_e64 v66, |v58|, -0.5
	v_add_f32_e32 v67, -1.0, v67
	v_fmac_f32_e32 v64, v66, v67
.LBB15_95:                              ;   in Loop: Header=BB15_4 Depth=1
	s_or_b64 exec, exec, s[36:37]
.LBB15_96:                              ;   in Loop: Header=BB15_4 Depth=1
	s_andn2_saveexec_b64 s[34:35], s[34:35]
	s_cbranch_execz .LBB15_98
; %bb.97:                               ;   in Loop: Header=BB15_4 Depth=1
	v_cvt_i32_f32_e32 v64, v65
	v_mov_b32_e32 v68, 0x3a4beed6
	v_mov_b32_e32 v67, 0x3af135b4
	v_cvt_f32_i32_e32 v66, v64
	v_cmp_lt_i32_e64 s[12:13], 2, v64
	v_sub_f32_e64 v66, |v58|, v66
	v_add_f32_e32 v69, 2.0, v66
	v_add_f32_e32 v70, 0x40400000, v66
	v_cndmask_b32_e64 v69, 1.0, v69, s[12:13]
	v_cmp_lt_i32_e64 s[12:13], 3, v64
	v_add_f32_e32 v71, 4.0, v66
	v_cndmask_b32_e64 v70, 1.0, v70, s[12:13]
	v_cmp_lt_i32_e64 s[12:13], 4, v64
	v_fmac_f32_e32 v68, 0x36f5d7bd, v66
	v_add_f32_e32 v72, 0x40a00000, v66
	v_mul_f32_e32 v69, v69, v70
	v_cndmask_b32_e64 v70, 1.0, v71, s[12:13]
	v_cmp_lt_i32_e64 s[12:13], 5, v64
	v_fma_f32 v68, v66, v68, v21
	v_add_f32_e32 v73, 0x40c00000, v66
	v_mul_f32_e32 v69, v70, v69
	v_cndmask_b32_e64 v70, 1.0, v72, s[12:13]
	v_cmp_lt_i32_e64 s[12:13], 6, v64
	v_fma_f32 v68, v66, v68, v22
	v_mul_f32_e32 v69, v70, v69
	v_cndmask_b32_e64 v64, 1.0, v73, s[12:13]
	v_fmac_f32_e32 v67, 0x3805ff67, v66
	v_fma_f32 v68, v66, v68, v23
	v_mul_f32_e32 v64, v64, v69
	v_fma_f32 v67, v66, v67, v16
	v_fma_f32 v68, v66, v68, v24
	v_cmp_gt_f32_e64 s[12:13], s45, v64
	v_fma_f32 v67, v66, v67, v17
	v_fma_f32 v68, v66, v68, 1.0
	v_cndmask_b32_e64 v69, 0, 32, s[12:13]
	v_fma_f32 v67, v66, v67, v18
	v_rcp_f32_e32 v68, v68
	v_ldexp_f32 v64, v64, v69
	v_fma_f32 v67, v66, v67, v19
	v_log_f32_e32 v64, v64
	v_fma_f32 v67, v66, v67, v20
	v_mul_f32_e32 v67, v66, v67
	v_mul_f32_e32 v67, v67, v68
	v_fmac_f32_e32 v67, 0.5, v66
	v_mul_f32_e32 v66, 0x3f317217, v64
	v_fma_f32 v68, v64, s46, -v66
	v_fmac_f32_e32 v68, 0x3377d1cf, v64
	v_add_f32_e32 v66, v66, v68
	v_cmp_lt_f32_e64 s[14:15], |v64|, s47
	v_cndmask_b32_e64 v64, v64, v66, s[14:15]
	v_cndmask_b32_e64 v66, 0, v54, s[12:13]
	v_sub_f32_e32 v64, v64, v66
	v_add_f32_e32 v64, v64, v67
.LBB15_98:                              ;   in Loop: Header=BB15_4 Depth=1
	s_or_b64 exec, exec, s[34:35]
.LBB15_99:                              ;   in Loop: Header=BB15_4 Depth=1
	s_andn2_saveexec_b64 s[14:15], s[18:19]
	s_cbranch_execz .LBB15_117
; %bb.100:                              ;   in Loop: Header=BB15_4 Depth=1
	v_cmp_le_f32_e64 s[12:13], |v58|, s48
                                        ; implicit-def: $vgpr64
                                        ; implicit-def: $vgpr67
                                        ; implicit-def: $vgpr66
	s_and_saveexec_b64 s[18:19], s[12:13]
	s_xor_b64 s[18:19], exec, s[18:19]
	s_cbranch_execz .LBB15_102
; %bb.101:                              ;   in Loop: Header=BB15_4 Depth=1
	v_cmp_lt_f32_e64 s[12:13], |v58|, s45
	v_cndmask_b32_e64 v64, 0, 32, s[12:13]
	v_ldexp_f32 v64, |v58|, v64
	v_log_f32_e32 v64, v64
	v_cndmask_b32_e64 v66, 0, v54, s[12:13]
	v_mul_f32_e32 v67, 0x3f317217, v64
	v_fma_f32 v68, v64, s46, -v67
	v_fmac_f32_e32 v68, 0x3377d1cf, v64
	v_add_f32_e32 v67, v67, v68
	v_cmp_lt_f32_e64 s[12:13], |v64|, s47
	v_cndmask_b32_e64 v64, v64, v67, s[12:13]
	v_sub_f32_e32 v64, v64, v66
	v_sub_f32_e64 v66, 1.0, |v58|
	v_add_f32_e64 v67, |v58|, s51
	v_cmp_lt_f32_e64 s[12:13], |v58|, s50
	v_cndmask_b32_e64 v66, v66, v67, s[12:13]
	v_cndmask_b32_e64 v67, 0, 1, s[12:13]
	v_cmp_lt_f32_e64 s[12:13], |v58|, s52
	v_xor_b32_e32 v64, 0x80000000, v64
	v_cndmask_b32_e64 v66, v66, |v58|, s[12:13]
	v_cndmask_b32_e64 v67, v67, 2, s[12:13]
.LBB15_102:                             ;   in Loop: Header=BB15_4 Depth=1
	s_andn2_saveexec_b64 s[18:19], s[18:19]
	s_cbranch_execz .LBB15_104
; %bb.103:                              ;   in Loop: Header=BB15_4 Depth=1
	v_sub_f32_e64 v64, 2.0, |v58|
	v_add_f32_e64 v66, |v58|, s54
	v_cmp_lt_f32_e64 s[12:13], |v58|, s53
	v_cndmask_b32_e64 v66, v64, v66, s[12:13]
	v_cndmask_b32_e64 v64, v64, 1.0, s[12:13]
	v_cvt_i32_f32_e32 v64, v64
	v_add_f32_e64 v67, |v58|, -1.0
	v_cmp_lt_f32_e64 s[12:13], |v58|, s55
	v_cndmask_b32_e64 v66, v66, v67, s[12:13]
	v_cndmask_b32_e64 v67, v64, 2, s[12:13]
	v_mov_b32_e32 v64, 0
.LBB15_104:                             ;   in Loop: Header=BB15_4 Depth=1
	s_or_b64 exec, exec, s[18:19]
	v_cmp_lt_i32_e64 s[12:13], 0, v67
	s_and_saveexec_b64 s[18:19], s[12:13]
	s_xor_b64 s[18:19], exec, s[18:19]
	s_cbranch_execz .LBB15_112
; %bb.105:                              ;   in Loop: Header=BB15_4 Depth=1
	v_cmp_lt_i32_e64 s[12:13], 1, v67
	s_and_saveexec_b64 s[34:35], s[12:13]
	s_xor_b64 s[34:35], exec, s[34:35]
	s_cbranch_execz .LBB15_109
; %bb.106:                              ;   in Loop: Header=BB15_4 Depth=1
	v_cmp_eq_u32_e64 s[12:13], 2, v67
	s_and_saveexec_b64 s[36:37], s[12:13]
	s_cbranch_execz .LBB15_108
; %bb.107:                              ;   in Loop: Header=BB15_4 Depth=1
	v_mov_b32_e32 v68, 0x3dd572af
	v_fmac_f32_e32 v68, 0x3b52d5db, v66
	v_fma_f32 v68, v66, v68, v28
	v_mov_b32_e32 v67, 0x3e6a7578
	v_fma_f32 v68, v66, v68, v29
	v_fmac_f32_e32 v67, 0x3c5b3c5e, v66
	v_fma_f32 v68, v66, v68, v30
	v_fma_f32 v67, v66, v67, v25
	v_fma_f32 v68, v66, v68, 1.0
	v_fma_f32 v67, v66, v67, v26
	v_rcp_f32_e32 v68, v68
	v_fma_f32 v67, v66, v67, v27
	v_fma_f32 v67, v66, v67, v20
	v_mul_f32_e32 v67, v66, v67
	v_mul_f32_e32 v67, v67, v68
	v_fmac_f32_e32 v67, -0.5, v66
	v_add_f32_e32 v64, v64, v67
.LBB15_108:                             ;   in Loop: Header=BB15_4 Depth=1
	s_or_b64 exec, exec, s[36:37]
                                        ; implicit-def: $vgpr66
.LBB15_109:                             ;   in Loop: Header=BB15_4 Depth=1
	s_andn2_saveexec_b64 s[12:13], s[34:35]
	s_cbranch_execz .LBB15_111
; %bb.110:                              ;   in Loop: Header=BB15_4 Depth=1
	v_mul_f32_e32 v67, v66, v66
	v_mul_f32_e32 v68, v66, v67
	v_mov_b32_e32 v70, 0x3a66f867
	v_mov_b32_e32 v71, 0xba0d3085
	v_fmac_f32_e32 v70, 0xb9a3f927, v68
	v_fmac_f32_e32 v71, 0x39afe9f7, v68
	v_mov_b32_e32 v69, 0xbab7f476
	v_fma_f32 v70, v68, v70, v34
	v_fma_f32 v71, v68, v71, v37
	v_fmac_f32_e32 v69, 0x39a57b6b, v68
	v_fma_f32 v70, v68, v70, v35
	v_fma_f32 v71, v68, v71, v38
	;; [unrolled: 1-line block ×6, first 2 shown]
	v_fmac_f32_e32 v70, v66, v71
	v_fma_f32 v69, v68, v69, v33
	v_fma_f32 v66, v68, -v70, s56
	v_fma_f32 v66, v67, v69, -v66
	v_add_f32_e32 v66, 0xbdf8cdce, v66
	v_add_f32_e32 v64, v64, v66
.LBB15_111:                             ;   in Loop: Header=BB15_4 Depth=1
	s_or_b64 exec, exec, s[12:13]
                                        ; implicit-def: $vgpr67
                                        ; implicit-def: $vgpr66
.LBB15_112:                             ;   in Loop: Header=BB15_4 Depth=1
	s_andn2_saveexec_b64 s[18:19], s[18:19]
	s_cbranch_execz .LBB15_116
; %bb.113:                              ;   in Loop: Header=BB15_4 Depth=1
	v_cmp_eq_u32_e64 s[12:13], 0, v67
	s_and_saveexec_b64 s[34:35], s[12:13]
	s_cbranch_execz .LBB15_115
; %bb.114:                              ;   in Loop: Header=BB15_4 Depth=1
	v_mul_f32_e32 v67, v66, v66
	v_mov_b32_e32 v69, 0x38e28445
	v_mov_b32_e32 v68, 0x39679767
	v_fmac_f32_e32 v69, 0x383c2c75, v67
	v_fmac_f32_e32 v68, 0x37d383a2, v67
	v_fma_f32 v69, v67, v69, v44
	v_fma_f32 v68, v67, v68, v40
	;; [unrolled: 1-line block ×8, first 2 shown]
	v_mul_f32_e32 v67, v67, v69
	v_fmac_f32_e32 v67, v66, v68
	v_fmac_f32_e32 v67, -0.5, v66
	v_add_f32_e32 v64, v64, v67
.LBB15_115:                             ;   in Loop: Header=BB15_4 Depth=1
	s_or_b64 exec, exec, s[34:35]
.LBB15_116:                             ;   in Loop: Header=BB15_4 Depth=1
	s_or_b64 exec, exec, s[18:19]
.LBB15_117:                             ;   in Loop: Header=BB15_4 Depth=1
	s_or_b64 exec, exec, s[14:15]
.LBB15_118:                             ;   in Loop: Header=BB15_4 Depth=1
	s_andn2_saveexec_b64 s[16:17], s[16:17]
	s_cbranch_execz .LBB15_120
; %bb.119:                              ;   in Loop: Header=BB15_4 Depth=1
	v_cmp_lt_f32_e64 s[12:13], |v58|, s45
	v_cndmask_b32_e64 v64, 0, 32, s[12:13]
	v_ldexp_f32 v64, |v58|, v64
	v_log_f32_e32 v64, v64
	v_fma_f32 v66, |v58|, s57, v55
	v_fma_f32 v66, |v58|, v66, s58
	;; [unrolled: 1-line block ×3, first 2 shown]
	v_mul_f32_e32 v67, 0x3f317217, v64
	v_fma_f32 v68, v64, s46, -v67
	v_fmac_f32_e32 v68, 0x3377d1cf, v64
	v_add_f32_e32 v67, v67, v68
	v_cmp_lt_f32_e64 s[14:15], |v64|, s47
	v_cndmask_b32_e64 v64, v64, v67, s[14:15]
	v_cndmask_b32_e64 v67, 0, v54, s[12:13]
	v_sub_f32_e32 v64, v64, v67
	v_fma_f32 v64, |v58|, v66, -v64
.LBB15_120:                             ;   in Loop: Header=BB15_4 Depth=1
	s_or_b64 exec, exec, s[16:17]
	v_cmp_le_f32_e64 s[12:13], 0, v58
	v_cmp_nle_f32_e64 s[14:15], 0, v58
	s_and_saveexec_b64 s[16:17], s[14:15]
	s_xor_b64 s[18:19], exec, s[16:17]
	s_cbranch_execz .LBB15_124
; %bb.121:                              ;   in Loop: Header=BB15_4 Depth=1
	v_cmp_lt_f32_e64 s[14:15], |v58|, s60
	v_cmp_gt_f32_e64 s[16:17], |v58|, s61
	s_and_b64 s[14:15], s[14:15], s[16:17]
	s_and_saveexec_b64 s[34:35], s[14:15]
	s_cbranch_execz .LBB15_123
; %bb.122:                              ;   in Loop: Header=BB15_4 Depth=1
	v_mul_f32_e64 v66, |v58|, 0.5
	v_floor_f32_e32 v67, v66
	v_sub_f32_e32 v67, v66, v67
	v_min_f32_e32 v67, 0x3f7fffff, v67
	v_add_f32_e32 v67, v67, v67
	v_cmp_neq_f32_e64 s[14:15], s47, v66
	v_cndmask_b32_e64 v66, 0, v67, s[14:15]
	v_cmp_gt_f32_e64 s[14:15], |v58|, 1.0
	v_cndmask_b32_e64 v66, |v58|, v66, s[14:15]
	v_add_f32_e32 v67, v66, v66
	v_rndne_f32_e32 v67, v67
	v_fmac_f32_e32 v66, -0.5, v67
	v_mul_f32_e32 v68, v66, v66
	v_mov_b32_e32 v69, 0xbf1f24be
	v_fmac_f32_e32 v69, 0x3e75aa41, v68
	v_fma_f32 v69, v68, v69, v48
	v_fma_f32 v69, v68, v69, v49
	v_mul_f32_e32 v70, v66, v68
	v_mul_f32_e32 v69, v70, v69
	v_fmac_f32_e32 v69, 0x40490fdb, v66
	v_mov_b32_e32 v66, 0x3e642e9d
	v_cvt_i32_f32_e32 v67, v67
	v_fmac_f32_e32 v66, 0x3d4be544, v68
	v_fma_f32 v66, v68, v66, v50
	v_fma_f32 v66, v68, v66, v51
	v_fma_f32 v66, v68, v66, v52
	v_fma_f32 v66, v68, v66, 1.0
	v_and_b32_e32 v68, 1, v67
	v_cmp_eq_u32_e64 s[14:15], 0, v68
	v_lshlrev_b32_e32 v67, 30, v67
	v_cndmask_b32_e64 v66, v66, v69, s[14:15]
	v_and_or_b32 v65, v67, s49, v65
	v_xor_b32_e32 v65, v65, v66
	v_xor_b32_e32 v65, v65, v58
	v_mul_f32_e32 v65, v58, v65
	v_frexp_mant_f32_e64 v66, |v65|
	v_rcp_f32_e32 v66, v66
	v_frexp_exp_i32_f32_e32 v65, v65
	v_sub_u32_e32 v65, 2, v65
	v_mul_f32_e32 v66, 0x3f490fdb, v66
	v_ldexp_f32 v65, v66, v65
	v_cmp_gt_f32_e64 s[14:15], s45, v65
	v_cndmask_b32_e64 v66, 0, 32, s[14:15]
	v_ldexp_f32 v65, v65, v66
	v_log_f32_e32 v65, v65
	v_mul_f32_e32 v66, 0x3f317217, v65
	v_fma_f32 v67, v65, s46, -v66
	v_fmac_f32_e32 v67, 0x3377d1cf, v65
	v_add_f32_e32 v66, v66, v67
	v_cmp_lt_f32_e64 s[16:17], |v65|, s47
	v_cndmask_b32_e64 v65, v65, v66, s[16:17]
	v_cndmask_b32_e64 v66, 0, v54, s[14:15]
	v_sub_f32_e32 v65, v65, v66
	v_sub_f32_e32 v64, v65, v64
	v_floor_f32_e32 v65, v58
	v_sub_f32_e32 v65, v58, v65
	v_min_f32_e32 v65, 0x3f7fffff, v65
	v_cmp_neq_f32_e64 s[14:15], 0, v65
	v_cndmask_b32_e64 v64, v56, v64, s[14:15]
.LBB15_123:                             ;   in Loop: Header=BB15_4 Depth=1
	s_or_b64 exec, exec, s[34:35]
.LBB15_124:                             ;   in Loop: Header=BB15_4 Depth=1
	s_andn2_saveexec_b64 s[18:19], s[18:19]
; %bb.125:                              ;   in Loop: Header=BB15_4 Depth=1
	v_cmp_eq_f32_e64 s[14:15], 1.0, v58
	v_cmp_eq_f32_e64 s[16:17], 2.0, v58
	s_or_b64 s[14:15], s[14:15], s[16:17]
	v_cndmask_b32_e64 v64, v64, 0, s[14:15]
; %bb.126:                              ;   in Loop: Header=BB15_4 Depth=1
	s_or_b64 exec, exec, s[18:19]
	v_and_b32_e32 v65, 0x7fffffff, v59
	v_cmp_nlt_f32_e64 s[14:15], |v59|, s42
                                        ; implicit-def: $vgpr66
	s_and_saveexec_b64 s[16:17], s[14:15]
	s_xor_b64 s[18:19], exec, s[16:17]
	s_cbranch_execz .LBB15_156
; %bb.127:                              ;   in Loop: Header=BB15_4 Depth=1
	v_cmp_nlt_f32_e64 s[14:15], |v59|, 2.0
                                        ; implicit-def: $vgpr66
	s_and_saveexec_b64 s[16:17], s[14:15]
	s_xor_b64 s[34:35], exec, s[16:17]
	s_cbranch_execz .LBB15_137
; %bb.128:                              ;   in Loop: Header=BB15_4 Depth=1
	v_cmp_nlt_f32_e64 s[14:15], |v59|, s43
                                        ; implicit-def: $vgpr66
	s_and_saveexec_b64 s[16:17], s[14:15]
	s_xor_b64 s[36:37], exec, s[16:17]
	s_cbranch_execz .LBB15_134
; %bb.129:                              ;   in Loop: Header=BB15_4 Depth=1
	v_cmp_nlt_f32_e64 s[14:15], |v59|, s44
                                        ; implicit-def: $vgpr66
	s_and_saveexec_b64 s[16:17], s[14:15]
	s_xor_b64 s[38:39], exec, s[16:17]
	s_cbranch_execz .LBB15_131
; %bb.130:                              ;   in Loop: Header=BB15_4 Depth=1
	v_cmp_lt_f32_e64 s[14:15], |v59|, s45
	v_cndmask_b32_e64 v66, 0, 32, s[14:15]
	v_ldexp_f32 v66, |v59|, v66
	v_log_f32_e32 v66, v66
	v_mul_f32_e32 v67, 0x3f317217, v66
	v_fma_f32 v68, v66, s46, -v67
	v_fmac_f32_e32 v68, 0x3377d1cf, v66
	v_add_f32_e32 v67, v67, v68
	v_cmp_lt_f32_e64 s[16:17], |v66|, s47
	v_cndmask_b32_e64 v66, v66, v67, s[16:17]
	v_cndmask_b32_e64 v67, 0, v54, s[14:15]
	v_sub_f32_e32 v66, v66, v67
	v_fma_f32 v66, |v59|, v66, -|v59|
.LBB15_131:                             ;   in Loop: Header=BB15_4 Depth=1
	s_andn2_saveexec_b64 s[38:39], s[38:39]
	s_cbranch_execz .LBB15_133
; %bb.132:                              ;   in Loop: Header=BB15_4 Depth=1
	v_rcp_f32_e64 v66, |v59|
	v_cmp_lt_f32_e64 s[14:15], |v59|, s45
	v_cndmask_b32_e64 v68, 0, 32, s[14:15]
	v_mov_b32_e32 v67, 0x3a5b3dd2
	v_mul_f32_e32 v69, v66, v66
	v_ldexp_f32 v68, |v59|, v68
	v_fmac_f32_e32 v67, 0xbad5c4e8, v69
	v_log_f32_e32 v68, v68
	v_fma_f32 v67, v69, v67, v11
	v_fma_f32 v67, v69, v67, v12
	;; [unrolled: 1-line block ×4, first 2 shown]
	v_mul_f32_e32 v69, 0x3f317217, v68
	v_fma_f32 v70, v68, s46, -v69
	v_fmac_f32_e32 v70, 0x3377d1cf, v68
	v_add_f32_e32 v69, v69, v70
	v_cmp_lt_f32_e64 s[16:17], |v68|, s47
	v_cndmask_b32_e64 v68, v68, v69, s[16:17]
	v_cndmask_b32_e64 v69, 0, v54, s[14:15]
	v_sub_f32_e32 v68, v68, v69
	v_fma_f32 v66, v66, v67, v15
	v_add_f32_e64 v67, |v59|, -0.5
	v_add_f32_e32 v68, -1.0, v68
	v_fmac_f32_e32 v66, v67, v68
.LBB15_133:                             ;   in Loop: Header=BB15_4 Depth=1
	s_or_b64 exec, exec, s[38:39]
.LBB15_134:                             ;   in Loop: Header=BB15_4 Depth=1
	s_andn2_saveexec_b64 s[36:37], s[36:37]
	s_cbranch_execz .LBB15_136
; %bb.135:                              ;   in Loop: Header=BB15_4 Depth=1
	v_cvt_i32_f32_e32 v66, v65
	v_mov_b32_e32 v69, 0x3a4beed6
	v_mov_b32_e32 v68, 0x3af135b4
	v_cvt_f32_i32_e32 v67, v66
	v_cmp_lt_i32_e64 s[14:15], 2, v66
	v_sub_f32_e64 v67, |v59|, v67
	v_add_f32_e32 v70, 2.0, v67
	v_add_f32_e32 v71, 0x40400000, v67
	v_cndmask_b32_e64 v70, 1.0, v70, s[14:15]
	v_cmp_lt_i32_e64 s[14:15], 3, v66
	v_add_f32_e32 v72, 4.0, v67
	v_cndmask_b32_e64 v71, 1.0, v71, s[14:15]
	v_cmp_lt_i32_e64 s[14:15], 4, v66
	v_fmac_f32_e32 v69, 0x36f5d7bd, v67
	v_add_f32_e32 v73, 0x40a00000, v67
	v_mul_f32_e32 v70, v70, v71
	v_cndmask_b32_e64 v71, 1.0, v72, s[14:15]
	v_cmp_lt_i32_e64 s[14:15], 5, v66
	v_fma_f32 v69, v67, v69, v21
	v_add_f32_e32 v74, 0x40c00000, v67
	v_mul_f32_e32 v70, v71, v70
	v_cndmask_b32_e64 v71, 1.0, v73, s[14:15]
	v_cmp_lt_i32_e64 s[14:15], 6, v66
	v_fma_f32 v69, v67, v69, v22
	v_mul_f32_e32 v70, v71, v70
	v_cndmask_b32_e64 v66, 1.0, v74, s[14:15]
	v_fmac_f32_e32 v68, 0x3805ff67, v67
	v_fma_f32 v69, v67, v69, v23
	v_mul_f32_e32 v66, v66, v70
	v_fma_f32 v68, v67, v68, v16
	v_fma_f32 v69, v67, v69, v24
	v_cmp_gt_f32_e64 s[14:15], s45, v66
	v_fma_f32 v68, v67, v68, v17
	v_fma_f32 v69, v67, v69, 1.0
	v_cndmask_b32_e64 v70, 0, 32, s[14:15]
	v_fma_f32 v68, v67, v68, v18
	v_rcp_f32_e32 v69, v69
	v_ldexp_f32 v66, v66, v70
	v_fma_f32 v68, v67, v68, v19
	v_log_f32_e32 v66, v66
	v_fma_f32 v68, v67, v68, v20
	v_mul_f32_e32 v68, v67, v68
	v_mul_f32_e32 v68, v68, v69
	v_fmac_f32_e32 v68, 0.5, v67
	v_mul_f32_e32 v67, 0x3f317217, v66
	v_fma_f32 v69, v66, s46, -v67
	v_fmac_f32_e32 v69, 0x3377d1cf, v66
	v_add_f32_e32 v67, v67, v69
	v_cmp_lt_f32_e64 s[16:17], |v66|, s47
	v_cndmask_b32_e64 v66, v66, v67, s[16:17]
	v_cndmask_b32_e64 v67, 0, v54, s[14:15]
	v_sub_f32_e32 v66, v66, v67
	v_add_f32_e32 v66, v66, v68
.LBB15_136:                             ;   in Loop: Header=BB15_4 Depth=1
	s_or_b64 exec, exec, s[36:37]
.LBB15_137:                             ;   in Loop: Header=BB15_4 Depth=1
	s_andn2_saveexec_b64 s[16:17], s[34:35]
	s_cbranch_execz .LBB15_155
; %bb.138:                              ;   in Loop: Header=BB15_4 Depth=1
	v_cmp_le_f32_e64 s[14:15], |v59|, s48
                                        ; implicit-def: $vgpr66
                                        ; implicit-def: $vgpr68
                                        ; implicit-def: $vgpr67
	s_and_saveexec_b64 s[34:35], s[14:15]
	s_xor_b64 s[34:35], exec, s[34:35]
	s_cbranch_execz .LBB15_140
; %bb.139:                              ;   in Loop: Header=BB15_4 Depth=1
	v_cmp_lt_f32_e64 s[14:15], |v59|, s45
	v_cndmask_b32_e64 v66, 0, 32, s[14:15]
	v_ldexp_f32 v66, |v59|, v66
	v_log_f32_e32 v66, v66
	v_cndmask_b32_e64 v67, 0, v54, s[14:15]
	v_mul_f32_e32 v68, 0x3f317217, v66
	v_fma_f32 v69, v66, s46, -v68
	v_fmac_f32_e32 v69, 0x3377d1cf, v66
	v_add_f32_e32 v68, v68, v69
	v_cmp_lt_f32_e64 s[14:15], |v66|, s47
	v_cndmask_b32_e64 v66, v66, v68, s[14:15]
	v_sub_f32_e32 v66, v66, v67
	v_sub_f32_e64 v67, 1.0, |v59|
	v_add_f32_e64 v68, |v59|, s51
	v_cmp_lt_f32_e64 s[14:15], |v59|, s50
	v_cndmask_b32_e64 v67, v67, v68, s[14:15]
	v_cndmask_b32_e64 v68, 0, 1, s[14:15]
	v_cmp_lt_f32_e64 s[14:15], |v59|, s52
	v_xor_b32_e32 v66, 0x80000000, v66
	v_cndmask_b32_e64 v67, v67, |v59|, s[14:15]
	v_cndmask_b32_e64 v68, v68, 2, s[14:15]
.LBB15_140:                             ;   in Loop: Header=BB15_4 Depth=1
	s_andn2_saveexec_b64 s[34:35], s[34:35]
	s_cbranch_execz .LBB15_142
; %bb.141:                              ;   in Loop: Header=BB15_4 Depth=1
	v_sub_f32_e64 v66, 2.0, |v59|
	v_add_f32_e64 v67, |v59|, s54
	v_cmp_lt_f32_e64 s[14:15], |v59|, s53
	v_cndmask_b32_e64 v67, v66, v67, s[14:15]
	v_cndmask_b32_e64 v66, v66, 1.0, s[14:15]
	v_cvt_i32_f32_e32 v66, v66
	v_add_f32_e64 v68, |v59|, -1.0
	v_cmp_lt_f32_e64 s[14:15], |v59|, s55
	v_cndmask_b32_e64 v67, v67, v68, s[14:15]
	v_cndmask_b32_e64 v68, v66, 2, s[14:15]
	v_mov_b32_e32 v66, 0
.LBB15_142:                             ;   in Loop: Header=BB15_4 Depth=1
	s_or_b64 exec, exec, s[34:35]
	v_cmp_lt_i32_e64 s[14:15], 0, v68
	s_and_saveexec_b64 s[34:35], s[14:15]
	s_xor_b64 s[34:35], exec, s[34:35]
	s_cbranch_execz .LBB15_150
; %bb.143:                              ;   in Loop: Header=BB15_4 Depth=1
	v_cmp_lt_i32_e64 s[14:15], 1, v68
	s_and_saveexec_b64 s[36:37], s[14:15]
	s_xor_b64 s[36:37], exec, s[36:37]
	s_cbranch_execz .LBB15_147
; %bb.144:                              ;   in Loop: Header=BB15_4 Depth=1
	v_cmp_eq_u32_e64 s[14:15], 2, v68
	s_and_saveexec_b64 s[38:39], s[14:15]
	s_cbranch_execz .LBB15_146
; %bb.145:                              ;   in Loop: Header=BB15_4 Depth=1
	v_mov_b32_e32 v69, 0x3dd572af
	v_fmac_f32_e32 v69, 0x3b52d5db, v67
	v_fma_f32 v69, v67, v69, v28
	v_mov_b32_e32 v68, 0x3e6a7578
	v_fma_f32 v69, v67, v69, v29
	v_fmac_f32_e32 v68, 0x3c5b3c5e, v67
	v_fma_f32 v69, v67, v69, v30
	v_fma_f32 v68, v67, v68, v25
	v_fma_f32 v69, v67, v69, 1.0
	v_fma_f32 v68, v67, v68, v26
	v_rcp_f32_e32 v69, v69
	v_fma_f32 v68, v67, v68, v27
	v_fma_f32 v68, v67, v68, v20
	v_mul_f32_e32 v68, v67, v68
	v_mul_f32_e32 v68, v68, v69
	v_fmac_f32_e32 v68, -0.5, v67
	v_add_f32_e32 v66, v66, v68
.LBB15_146:                             ;   in Loop: Header=BB15_4 Depth=1
	s_or_b64 exec, exec, s[38:39]
                                        ; implicit-def: $vgpr67
.LBB15_147:                             ;   in Loop: Header=BB15_4 Depth=1
	s_andn2_saveexec_b64 s[14:15], s[36:37]
	s_cbranch_execz .LBB15_149
; %bb.148:                              ;   in Loop: Header=BB15_4 Depth=1
	v_mul_f32_e32 v68, v67, v67
	v_mul_f32_e32 v69, v67, v68
	v_mov_b32_e32 v71, 0x3a66f867
	v_mov_b32_e32 v72, 0xba0d3085
	v_fmac_f32_e32 v71, 0xb9a3f927, v69
	v_fmac_f32_e32 v72, 0x39afe9f7, v69
	v_mov_b32_e32 v70, 0xbab7f476
	v_fma_f32 v71, v69, v71, v34
	v_fma_f32 v72, v69, v72, v37
	v_fmac_f32_e32 v70, 0x39a57b6b, v69
	v_fma_f32 v71, v69, v71, v35
	v_fma_f32 v72, v69, v72, v38
	;; [unrolled: 1-line block ×6, first 2 shown]
	v_fmac_f32_e32 v71, v67, v72
	v_fma_f32 v70, v69, v70, v33
	v_fma_f32 v67, v69, -v71, s56
	v_fma_f32 v67, v68, v70, -v67
	v_add_f32_e32 v67, 0xbdf8cdce, v67
	v_add_f32_e32 v66, v66, v67
.LBB15_149:                             ;   in Loop: Header=BB15_4 Depth=1
	s_or_b64 exec, exec, s[14:15]
                                        ; implicit-def: $vgpr68
                                        ; implicit-def: $vgpr67
.LBB15_150:                             ;   in Loop: Header=BB15_4 Depth=1
	s_andn2_saveexec_b64 s[34:35], s[34:35]
	s_cbranch_execz .LBB15_154
; %bb.151:                              ;   in Loop: Header=BB15_4 Depth=1
	v_cmp_eq_u32_e64 s[14:15], 0, v68
	s_and_saveexec_b64 s[36:37], s[14:15]
	s_cbranch_execz .LBB15_153
; %bb.152:                              ;   in Loop: Header=BB15_4 Depth=1
	v_mul_f32_e32 v68, v67, v67
	v_mov_b32_e32 v70, 0x38e28445
	v_mov_b32_e32 v69, 0x39679767
	v_fmac_f32_e32 v70, 0x383c2c75, v68
	v_fmac_f32_e32 v69, 0x37d383a2, v68
	v_fma_f32 v70, v68, v70, v44
	v_fma_f32 v69, v68, v69, v40
	;; [unrolled: 1-line block ×8, first 2 shown]
	v_mul_f32_e32 v68, v68, v70
	v_fmac_f32_e32 v68, v67, v69
	v_fmac_f32_e32 v68, -0.5, v67
	v_add_f32_e32 v66, v66, v68
.LBB15_153:                             ;   in Loop: Header=BB15_4 Depth=1
	s_or_b64 exec, exec, s[36:37]
.LBB15_154:                             ;   in Loop: Header=BB15_4 Depth=1
	s_or_b64 exec, exec, s[34:35]
.LBB15_155:                             ;   in Loop: Header=BB15_4 Depth=1
	s_or_b64 exec, exec, s[16:17]
.LBB15_156:                             ;   in Loop: Header=BB15_4 Depth=1
	s_andn2_saveexec_b64 s[18:19], s[18:19]
	s_cbranch_execz .LBB15_158
; %bb.157:                              ;   in Loop: Header=BB15_4 Depth=1
	v_cmp_lt_f32_e64 s[14:15], |v59|, s45
	v_cndmask_b32_e64 v66, 0, 32, s[14:15]
	v_ldexp_f32 v66, |v59|, v66
	v_log_f32_e32 v66, v66
	v_fma_f32 v67, |v59|, s57, v55
	v_fma_f32 v67, |v59|, v67, s58
	;; [unrolled: 1-line block ×3, first 2 shown]
	v_mul_f32_e32 v68, 0x3f317217, v66
	v_fma_f32 v69, v66, s46, -v68
	v_fmac_f32_e32 v69, 0x3377d1cf, v66
	v_add_f32_e32 v68, v68, v69
	v_cmp_lt_f32_e64 s[16:17], |v66|, s47
	v_cndmask_b32_e64 v66, v66, v68, s[16:17]
	v_cndmask_b32_e64 v68, 0, v54, s[14:15]
	v_sub_f32_e32 v66, v66, v68
	v_fma_f32 v66, |v59|, v67, -v66
.LBB15_158:                             ;   in Loop: Header=BB15_4 Depth=1
	s_or_b64 exec, exec, s[18:19]
	v_cmp_le_f32_e64 s[14:15], 0, v59
	v_cmp_nle_f32_e64 s[16:17], 0, v59
	s_and_saveexec_b64 s[18:19], s[16:17]
	s_xor_b64 s[34:35], exec, s[18:19]
	s_cbranch_execnz .LBB15_164
; %bb.159:                              ;   in Loop: Header=BB15_4 Depth=1
	s_andn2_saveexec_b64 s[34:35], s[34:35]
	s_cbranch_execnz .LBB15_167
.LBB15_160:                             ;   in Loop: Header=BB15_4 Depth=1
	s_or_b64 exec, exec, s[34:35]
	s_and_saveexec_b64 s[16:17], vcc
	s_xor_b64 s[16:17], exec, s[16:17]
	s_cbranch_execnz .LBB15_168
.LBB15_161:                             ;   in Loop: Header=BB15_4 Depth=1
	s_or_b64 exec, exec, s[16:17]
	s_and_saveexec_b64 s[8:9], s[6:7]
	s_cbranch_execnz .LBB15_169
.LBB15_162:                             ;   in Loop: Header=BB15_4 Depth=1
	s_or_b64 exec, exec, s[8:9]
	s_and_saveexec_b64 s[6:7], s[2:3]
	s_cbranch_execnz .LBB15_170
.LBB15_163:                             ;   in Loop: Header=BB15_4 Depth=1
	s_or_b64 exec, exec, s[6:7]
	s_and_saveexec_b64 s[2:3], s[0:1]
	s_cbranch_execz .LBB15_3
	s_branch .LBB15_171
.LBB15_164:                             ;   in Loop: Header=BB15_4 Depth=1
	v_cmp_lt_f32_e64 s[16:17], |v59|, s60
	v_cmp_gt_f32_e64 s[18:19], |v59|, s61
	s_and_b64 s[16:17], s[16:17], s[18:19]
	s_and_saveexec_b64 s[36:37], s[16:17]
	s_cbranch_execz .LBB15_166
; %bb.165:                              ;   in Loop: Header=BB15_4 Depth=1
	v_mul_f32_e64 v67, |v59|, 0.5
	v_floor_f32_e32 v68, v67
	v_sub_f32_e32 v68, v67, v68
	v_min_f32_e32 v68, 0x3f7fffff, v68
	v_add_f32_e32 v68, v68, v68
	v_cmp_neq_f32_e64 s[16:17], s47, v67
	v_cndmask_b32_e64 v67, 0, v68, s[16:17]
	v_cmp_gt_f32_e64 s[16:17], |v59|, 1.0
	v_cndmask_b32_e64 v67, |v59|, v67, s[16:17]
	v_add_f32_e32 v68, v67, v67
	v_rndne_f32_e32 v68, v68
	v_fmac_f32_e32 v67, -0.5, v68
	v_mul_f32_e32 v69, v67, v67
	v_mov_b32_e32 v70, 0xbf1f24be
	v_fmac_f32_e32 v70, 0x3e75aa41, v69
	v_fma_f32 v70, v69, v70, v48
	v_fma_f32 v70, v69, v70, v49
	v_mul_f32_e32 v71, v67, v69
	v_mul_f32_e32 v70, v71, v70
	v_fmac_f32_e32 v70, 0x40490fdb, v67
	v_mov_b32_e32 v67, 0x3e642e9d
	v_cvt_i32_f32_e32 v68, v68
	v_fmac_f32_e32 v67, 0x3d4be544, v69
	v_fma_f32 v67, v69, v67, v50
	v_fma_f32 v67, v69, v67, v51
	;; [unrolled: 1-line block ×3, first 2 shown]
	v_fma_f32 v67, v69, v67, 1.0
	v_and_b32_e32 v69, 1, v68
	v_cmp_eq_u32_e64 s[16:17], 0, v69
	v_lshlrev_b32_e32 v68, 30, v68
	v_cndmask_b32_e64 v67, v67, v70, s[16:17]
	v_and_or_b32 v65, v68, s49, v65
	v_xor_b32_e32 v65, v65, v67
	v_xor_b32_e32 v65, v65, v59
	v_mul_f32_e32 v65, v59, v65
	v_frexp_mant_f32_e64 v67, |v65|
	v_rcp_f32_e32 v67, v67
	v_frexp_exp_i32_f32_e32 v65, v65
	v_sub_u32_e32 v65, 2, v65
	v_mul_f32_e32 v67, 0x3f490fdb, v67
	v_ldexp_f32 v65, v67, v65
	v_cmp_gt_f32_e64 s[16:17], s45, v65
	v_cndmask_b32_e64 v67, 0, 32, s[16:17]
	v_ldexp_f32 v65, v65, v67
	v_log_f32_e32 v65, v65
	v_mul_f32_e32 v67, 0x3f317217, v65
	v_fma_f32 v68, v65, s46, -v67
	v_fmac_f32_e32 v68, 0x3377d1cf, v65
	v_add_f32_e32 v67, v67, v68
	v_cmp_lt_f32_e64 s[18:19], |v65|, s47
	v_cndmask_b32_e64 v65, v65, v67, s[18:19]
	v_cndmask_b32_e64 v67, 0, v54, s[16:17]
	v_sub_f32_e32 v65, v65, v67
	v_sub_f32_e32 v65, v65, v66
	v_floor_f32_e32 v66, v59
	v_sub_f32_e32 v66, v59, v66
	v_min_f32_e32 v66, 0x3f7fffff, v66
	v_cmp_neq_f32_e64 s[16:17], 0, v66
	v_cndmask_b32_e64 v66, v56, v65, s[16:17]
.LBB15_166:                             ;   in Loop: Header=BB15_4 Depth=1
	s_or_b64 exec, exec, s[36:37]
	s_andn2_saveexec_b64 s[34:35], s[34:35]
	s_cbranch_execz .LBB15_160
.LBB15_167:                             ;   in Loop: Header=BB15_4 Depth=1
	v_cmp_eq_f32_e64 s[16:17], 1.0, v59
	v_cmp_eq_f32_e64 s[18:19], 2.0, v59
	s_or_b64 s[16:17], s[16:17], s[18:19]
	v_cndmask_b32_e64 v66, v66, 0, s[16:17]
	s_or_b64 exec, exec, s[34:35]
	s_and_saveexec_b64 s[16:17], vcc
	s_xor_b64 s[16:17], exec, s[16:17]
	s_cbranch_execz .LBB15_161
.LBB15_168:                             ;   in Loop: Header=BB15_4 Depth=1
	v_cmp_lt_f32_e64 s[18:19], |v61|, s60
	s_or_b64 vcc, s[8:9], s[18:19]
	v_cndmask_b32_e32 v62, v56, v62, vcc
	v_cmp_class_f32_e32 vcc, v61, v53
	v_cndmask_b32_e32 v62, v62, v56, vcc
	v_cmp_u_f32_e32 vcc, v61, v61
	v_cndmask_b32_e32 v61, v62, v61, vcc
	v_bfe_u32 v62, v61, 16, 1
	v_add3_u32 v62, v61, v62, s62
	v_cmp_o_f32_e32 vcc, v61, v61
	v_cndmask_b32_sdwa v61, v57, v62, vcc dst_sel:DWORD dst_unused:UNUSED_PAD src0_sel:DWORD src1_sel:WORD_1
	global_store_short v[1:2], v61, off
	s_or_b64 exec, exec, s[16:17]
	s_and_saveexec_b64 s[8:9], s[6:7]
	s_cbranch_execz .LBB15_162
.LBB15_169:                             ;   in Loop: Header=BB15_4 Depth=1
	v_cmp_lt_f32_e64 s[6:7], |v60|, s60
	s_or_b64 vcc, s[10:11], s[6:7]
	v_cndmask_b32_e32 v61, v56, v63, vcc
	v_cmp_class_f32_e32 vcc, v60, v53
	v_cndmask_b32_e32 v61, v61, v56, vcc
	v_cmp_u_f32_e32 vcc, v60, v60
	v_cndmask_b32_e32 v60, v61, v60, vcc
	v_bfe_u32 v61, v60, 16, 1
	v_add3_u32 v61, v60, v61, s62
	v_cmp_o_f32_e32 vcc, v60, v60
	v_cndmask_b32_sdwa v60, v57, v61, vcc dst_sel:DWORD dst_unused:UNUSED_PAD src0_sel:DWORD src1_sel:WORD_1
	global_store_short v[3:4], v60, off
	s_or_b64 exec, exec, s[8:9]
	s_and_saveexec_b64 s[6:7], s[2:3]
	s_cbranch_execz .LBB15_163
.LBB15_170:                             ;   in Loop: Header=BB15_4 Depth=1
	v_cmp_lt_f32_e64 s[2:3], |v58|, s60
	s_or_b64 vcc, s[12:13], s[2:3]
	v_cndmask_b32_e32 v60, v56, v64, vcc
	v_cmp_class_f32_e32 vcc, v58, v53
	v_cndmask_b32_e32 v60, v60, v56, vcc
	v_cmp_u_f32_e32 vcc, v58, v58
	v_cndmask_b32_e32 v58, v60, v58, vcc
	v_bfe_u32 v60, v58, 16, 1
	v_add3_u32 v60, v58, v60, s62
	v_cmp_o_f32_e32 vcc, v58, v58
	v_cndmask_b32_sdwa v58, v57, v60, vcc dst_sel:DWORD dst_unused:UNUSED_PAD src0_sel:DWORD src1_sel:WORD_1
	v_add_co_u32_e32 v60, vcc, s33, v1
	v_addc_co_u32_e32 v61, vcc, 0, v2, vcc
	global_store_short v[60:61], v58, off
	s_or_b64 exec, exec, s[6:7]
	s_and_saveexec_b64 s[2:3], s[0:1]
	s_cbranch_execz .LBB15_3
.LBB15_171:                             ;   in Loop: Header=BB15_4 Depth=1
	v_cmp_lt_f32_e64 s[0:1], |v59|, s60
	s_or_b64 vcc, s[14:15], s[0:1]
	v_cndmask_b32_e32 v58, v56, v66, vcc
	v_cmp_class_f32_e32 vcc, v59, v53
	v_cndmask_b32_e32 v58, v58, v56, vcc
	v_cmp_u_f32_e32 vcc, v59, v59
	v_cndmask_b32_e32 v58, v58, v59, vcc
	v_bfe_u32 v59, v58, 16, 1
	v_add3_u32 v59, v58, v59, s62
	v_cmp_o_f32_e32 vcc, v58, v58
	v_cndmask_b32_sdwa v60, v57, v59, vcc dst_sel:DWORD dst_unused:UNUSED_PAD src0_sel:DWORD src1_sel:WORD_1
	v_add_co_u32_e32 v58, vcc, s41, v1
	v_addc_co_u32_e32 v59, vcc, 0, v2, vcc
	global_store_short v[58:59], v60, off
	s_branch .LBB15_3
.LBB15_172:
	s_cbranch_execz .LBB15_174
	s_branch .LBB15_329
.LBB15_173:
.LBB15_174:
	v_mov_b32_e32 v1, 0x10000
	v_mov_b32_e32 v2, 0
	v_cmp_lt_i64_e32 vcc, s[24:25], v[1:2]
	v_mov_b32_e32 v2, 0
	s_and_b64 s[0:1], vcc, exec
	s_cselect_b32 s11, s25, 0
	s_cselect_b32 s10, s24, 0x10000
	v_lshlrev_b32_e32 v1, 2, v0
	v_cmp_gt_i64_e32 vcc, s[10:11], v[1:2]
	s_and_saveexec_b64 s[0:1], vcc
	s_cbranch_execz .LBB15_329
; %bb.175:
	s_load_dword s0, s[4:5], 0xd3c
	v_mov_b32_e32 v1, v2
	v_lshlrev_b32_e32 v2, 3, v0
	s_mov_b64 s[12:13], 0
	s_mov_b32 s25, 0x800000
	s_waitcnt lgkmcnt(0)
	s_and_b32 s24, s0, 0xffff
	s_add_u32 s0, s20, s22
	s_addc_u32 s1, s21, s23
	v_mov_b32_e32 v3, s1
	v_add_co_u32_e32 v2, vcc, s0, v2
	v_addc_co_u32_e32 v3, vcc, 0, v3, vcc
	s_lshl_b32 s20, s24, 3
	s_mov_b32 s21, 0x3c800000
	s_mov_b32 s22, 0x41000000
	s_mov_b32 s23, 0x5c800000
	s_mov_b32 s26, 0x3f317217
	s_mov_b32 s27, 0x7f800000
	v_mov_b32_e32 v6, 0xba1c065c
	v_mov_b32_e32 v7, 0x3a500cfd
	;; [unrolled: 1-line block ×14, first 2 shown]
	s_mov_b32 s28, 0x3f666666
	s_brev_b32 s29, 1
	s_mov_b32 s30, 0x3f3b4a23
	s_mov_b32 s31, 0xbeec5b0c
	;; [unrolled: 1-line block ×6, first 2 shown]
	v_mov_b32_e32 v20, 0x3f7a4bb2
	v_mov_b32_e32 v21, 0x3fba3ae7
	;; [unrolled: 1-line block ×15, first 2 shown]
	s_mov_b32 s37, 0xa2863e55
	v_mov_b32_e32 v35, 0x3a9c54a1
	v_mov_b32_e32 v36, 0x3bf2027e
	;; [unrolled: 1-line block ×8, first 2 shown]
	s_mov_b32 s38, 0x3e8a8991
	s_mov_b32 s39, 0x3f528d33
	s_mov_b32 s40, 0xbf13c468
	s_mov_b32 s41, 0x4b000000
	s_mov_b32 s42, 0x35000000
	v_mov_b32_e32 v43, 0x40234736
	v_mov_b32_e32 v44, 0xc0a55e0e
	;; [unrolled: 1-line block ×6, first 2 shown]
	s_movk_i32 s43, 0x7fff
	v_mov_b32_e32 v49, 0x41b17218
	v_mov_b32_e32 v50, 0xbecd26ab
	;; [unrolled: 1-line block ×5, first 2 shown]
	s_branch .LBB15_177
.LBB15_176:                             ;   in Loop: Header=BB15_177 Depth=1
	s_or_b64 exec, exec, s[14:15]
	v_cmp_lt_f32_e64 s[6:7], |v4|, s41
	s_or_b64 s[2:3], s[2:3], s[6:7]
	v_cndmask_b32_e64 v58, v51, v58, s[2:3]
	v_cmp_class_f32_e64 s[2:3], v4, v48
	v_cndmask_b32_e64 v58, v58, v51, s[2:3]
	v_cmp_u_f32_e64 s[2:3], v4, v4
	v_cndmask_b32_e64 v4, v58, v4, s[2:3]
	v_cmp_lt_f32_e64 s[2:3], |v56|, s41
	s_or_b64 s[0:1], s[0:1], s[2:3]
	v_cndmask_b32_e64 v57, v51, v57, s[0:1]
	v_cmp_class_f32_e64 s[0:1], v56, v48
	v_cndmask_b32_e64 v57, v57, v51, s[0:1]
	v_cmp_u_f32_e64 s[0:1], v56, v56
	v_cndmask_b32_e64 v56, v57, v56, s[0:1]
	v_cmp_lt_f32_e64 s[0:1], |v54|, s41
	s_or_b64 vcc, vcc, s[0:1]
	v_cndmask_b32_e32 v55, v51, v55, vcc
	v_cmp_class_f32_e32 vcc, v54, v48
	v_cndmask_b32_e32 v55, v55, v51, vcc
	v_cmp_u_f32_e32 vcc, v54, v54
	v_cmp_lt_f32_e64 s[0:1], |v5|, s41
	v_cndmask_b32_e32 v54, v55, v54, vcc
	s_or_b64 vcc, s[4:5], s[0:1]
	v_cndmask_b32_e32 v59, v51, v60, vcc
	v_cmp_class_f32_e32 vcc, v5, v48
	v_cndmask_b32_e32 v59, v59, v51, vcc
	v_cmp_u_f32_e32 vcc, v5, v5
	v_cndmask_b32_e32 v5, v59, v5, vcc
	v_bfe_u32 v59, v5, 16, 1
	v_bfe_u32 v58, v4, 16, 1
	v_add3_u32 v59, v5, v59, s43
	v_add3_u32 v58, v4, v58, s43
	v_bfe_u32 v57, v56, 16, 1
	v_and_b32_e32 v59, 0xffff0000, v59
	v_cmp_o_f32_e32 vcc, v5, v5
	v_lshrrev_b32_e32 v58, 16, v58
	v_add3_u32 v57, v56, v57, s43
	v_bfe_u32 v55, v54, 16, 1
	v_cndmask_b32_e32 v5, v52, v59, vcc
	v_cmp_o_f32_e32 vcc, v4, v4
	v_and_b32_e32 v57, 0xffff0000, v57
	v_add3_u32 v55, v54, v55, s43
	v_cndmask_b32_e32 v4, v53, v58, vcc
	v_cmp_o_f32_e32 vcc, v56, v56
	v_lshrrev_b32_e32 v55, 16, v55
	v_cndmask_b32_e32 v56, v52, v57, vcc
	v_cmp_o_f32_e32 vcc, v54, v54
	v_cndmask_b32_e32 v54, v53, v55, vcc
	v_add_co_u32_e32 v0, vcc, s24, v0
	v_addc_co_u32_e32 v1, vcc, 0, v1, vcc
	v_or_b32_e32 v56, v56, v54
	v_lshlrev_b64 v[54:55], 2, v[0:1]
	v_or3_b32 v5, 0, v4, v5
	v_cmp_le_i64_e32 vcc, s[10:11], v[54:55]
	v_or3_b32 v4, v56, 0, 0
	global_store_dwordx2 v[2:3], v[4:5], off
	s_or_b64 s[12:13], vcc, s[12:13]
	v_add_co_u32_e32 v2, vcc, s20, v2
	v_addc_co_u32_e32 v3, vcc, 0, v3, vcc
	s_andn2_b64 exec, exec, s[12:13]
	s_cbranch_execz .LBB15_329
.LBB15_177:                             ; =>This Inner Loop Header: Depth=1
	global_load_dwordx2 v[4:5], v[2:3], off
                                        ; implicit-def: $vgpr55
	s_waitcnt vmcnt(0)
	v_lshlrev_b32_e32 v54, 16, v4
	v_and_b32_e32 v56, 0x7fffffff, v54
	v_cmp_nlt_f32_e64 s[0:1], |v54|, s21
	s_and_saveexec_b64 s[2:3], s[0:1]
	s_xor_b64 s[2:3], exec, s[2:3]
	s_cbranch_execz .LBB15_207
; %bb.178:                              ;   in Loop: Header=BB15_177 Depth=1
	v_cmp_nlt_f32_e64 s[0:1], |v54|, 2.0
                                        ; implicit-def: $vgpr55
	s_and_saveexec_b64 s[4:5], s[0:1]
	s_xor_b64 s[4:5], exec, s[4:5]
	s_cbranch_execz .LBB15_188
; %bb.179:                              ;   in Loop: Header=BB15_177 Depth=1
	v_cmp_nlt_f32_e64 s[0:1], |v54|, s22
                                        ; implicit-def: $vgpr55
	s_and_saveexec_b64 s[6:7], s[0:1]
	s_xor_b64 s[6:7], exec, s[6:7]
	s_cbranch_execz .LBB15_185
; %bb.180:                              ;   in Loop: Header=BB15_177 Depth=1
	v_cmp_nlt_f32_e64 s[0:1], |v54|, s23
                                        ; implicit-def: $vgpr55
	s_and_saveexec_b64 s[8:9], s[0:1]
	s_xor_b64 s[8:9], exec, s[8:9]
	s_cbranch_execz .LBB15_182
; %bb.181:                              ;   in Loop: Header=BB15_177 Depth=1
	v_cmp_lt_f32_e64 vcc, |v54|, s25
	v_cndmask_b32_e64 v55, 0, 32, vcc
	v_ldexp_f32 v55, |v54|, v55
	v_log_f32_e32 v55, v55
	v_mul_f32_e32 v57, 0x3f317217, v55
	v_fma_f32 v58, v55, s26, -v57
	v_fmac_f32_e32 v58, 0x3377d1cf, v55
	v_add_f32_e32 v57, v57, v58
	v_cmp_lt_f32_e64 s[0:1], |v55|, s27
	v_cndmask_b32_e64 v55, v55, v57, s[0:1]
	v_cndmask_b32_e32 v57, 0, v49, vcc
	v_sub_f32_e32 v55, v55, v57
	v_fma_f32 v55, |v54|, v55, -|v54|
.LBB15_182:                             ;   in Loop: Header=BB15_177 Depth=1
	s_andn2_saveexec_b64 s[8:9], s[8:9]
	s_cbranch_execz .LBB15_184
; %bb.183:                              ;   in Loop: Header=BB15_177 Depth=1
	v_rcp_f32_e64 v55, |v54|
	v_cmp_lt_f32_e64 vcc, |v54|, s25
	v_cndmask_b32_e64 v58, 0, 32, vcc
	v_mov_b32_e32 v57, 0x3a5b3dd2
	v_mul_f32_e32 v59, v55, v55
	v_ldexp_f32 v58, |v54|, v58
	v_fmac_f32_e32 v57, 0xbad5c4e8, v59
	v_log_f32_e32 v58, v58
	v_fma_f32 v57, v59, v57, v6
	v_fma_f32 v57, v59, v57, v7
	v_fma_f32 v57, v59, v57, v8
	v_fma_f32 v57, v59, v57, v9
	v_mul_f32_e32 v59, 0x3f317217, v58
	v_fma_f32 v60, v58, s26, -v59
	v_fmac_f32_e32 v60, 0x3377d1cf, v58
	v_add_f32_e32 v59, v59, v60
	v_cmp_lt_f32_e64 s[0:1], |v58|, s27
	v_cndmask_b32_e64 v58, v58, v59, s[0:1]
	v_cndmask_b32_e32 v59, 0, v49, vcc
	v_sub_f32_e32 v58, v58, v59
	v_fma_f32 v55, v55, v57, v10
	v_add_f32_e64 v57, |v54|, -0.5
	v_add_f32_e32 v58, -1.0, v58
	v_fmac_f32_e32 v55, v57, v58
.LBB15_184:                             ;   in Loop: Header=BB15_177 Depth=1
	s_or_b64 exec, exec, s[8:9]
.LBB15_185:                             ;   in Loop: Header=BB15_177 Depth=1
	s_andn2_saveexec_b64 s[6:7], s[6:7]
	s_cbranch_execz .LBB15_187
; %bb.186:                              ;   in Loop: Header=BB15_177 Depth=1
	v_cvt_i32_f32_e32 v55, v56
	v_mov_b32_e32 v59, 0x3a4beed6
	v_mov_b32_e32 v58, 0x3af135b4
	v_cvt_f32_i32_e32 v57, v55
	v_cmp_lt_i32_e32 vcc, 2, v55
	v_sub_f32_e64 v57, |v54|, v57
	v_fmac_f32_e32 v59, 0x36f5d7bd, v57
	v_fma_f32 v59, v57, v59, v16
	v_fma_f32 v59, v57, v59, v17
	v_fmac_f32_e32 v58, 0x3805ff67, v57
	v_fma_f32 v59, v57, v59, v18
	v_fma_f32 v58, v57, v58, v11
	;; [unrolled: 1-line block ×4, first 2 shown]
	v_fma_f32 v59, v57, v59, 1.0
	v_fma_f32 v58, v57, v58, v13
	v_rcp_f32_e32 v59, v59
	v_fma_f32 v58, v57, v58, v14
	v_fma_f32 v58, v57, v58, v15
	v_mul_f32_e32 v58, v57, v58
	v_mul_f32_e32 v58, v58, v59
	v_add_f32_e32 v59, 2.0, v57
	v_add_f32_e32 v60, 0x40400000, v57
	v_cndmask_b32_e32 v59, 1.0, v59, vcc
	v_cmp_lt_i32_e32 vcc, 3, v55
	v_add_f32_e32 v61, 4.0, v57
	v_cndmask_b32_e32 v60, 1.0, v60, vcc
	v_cmp_lt_i32_e32 vcc, 4, v55
	v_add_f32_e32 v62, 0x40a00000, v57
	v_mul_f32_e32 v59, v59, v60
	v_cndmask_b32_e32 v60, 1.0, v61, vcc
	v_cmp_lt_i32_e32 vcc, 5, v55
	v_fmac_f32_e32 v58, 0.5, v57
	v_add_f32_e32 v57, 0x40c00000, v57
	v_mul_f32_e32 v59, v60, v59
	v_cndmask_b32_e32 v60, 1.0, v62, vcc
	v_cmp_lt_i32_e32 vcc, 6, v55
	v_mul_f32_e32 v59, v60, v59
	v_cndmask_b32_e32 v55, 1.0, v57, vcc
	v_mul_f32_e32 v55, v55, v59
	v_cmp_gt_f32_e32 vcc, s25, v55
	v_cndmask_b32_e64 v57, 0, 32, vcc
	v_ldexp_f32 v55, v55, v57
	v_log_f32_e32 v55, v55
	v_mul_f32_e32 v57, 0x3f317217, v55
	v_fma_f32 v59, v55, s26, -v57
	v_fmac_f32_e32 v59, 0x3377d1cf, v55
	v_add_f32_e32 v57, v57, v59
	v_cmp_lt_f32_e64 s[0:1], |v55|, s27
	v_cndmask_b32_e64 v55, v55, v57, s[0:1]
	v_cndmask_b32_e32 v57, 0, v49, vcc
	v_sub_f32_e32 v55, v55, v57
	v_add_f32_e32 v55, v55, v58
.LBB15_187:                             ;   in Loop: Header=BB15_177 Depth=1
	s_or_b64 exec, exec, s[6:7]
.LBB15_188:                             ;   in Loop: Header=BB15_177 Depth=1
	s_andn2_saveexec_b64 s[0:1], s[4:5]
	s_cbranch_execz .LBB15_206
; %bb.189:                              ;   in Loop: Header=BB15_177 Depth=1
	v_cmp_le_f32_e64 s[4:5], |v54|, s28
                                        ; implicit-def: $vgpr55
                                        ; implicit-def: $vgpr58
                                        ; implicit-def: $vgpr57
	s_and_saveexec_b64 s[6:7], s[4:5]
	s_xor_b64 s[4:5], exec, s[6:7]
	s_cbranch_execz .LBB15_191
; %bb.190:                              ;   in Loop: Header=BB15_177 Depth=1
	v_cmp_lt_f32_e64 vcc, |v54|, s25
	v_cndmask_b32_e64 v55, 0, 32, vcc
	v_ldexp_f32 v55, |v54|, v55
	v_log_f32_e32 v55, v55
	v_cndmask_b32_e32 v57, 0, v49, vcc
	v_cmp_lt_f32_e64 s[6:7], |v54|, s33
	v_mul_f32_e32 v58, 0x3f317217, v55
	v_fma_f32 v59, v55, s26, -v58
	v_fmac_f32_e32 v59, 0x3377d1cf, v55
	v_add_f32_e32 v58, v58, v59
	v_cmp_lt_f32_e64 vcc, |v55|, s27
	v_cndmask_b32_e32 v55, v55, v58, vcc
	v_sub_f32_e32 v55, v55, v57
	v_sub_f32_e64 v57, 1.0, |v54|
	v_add_f32_e64 v58, |v54|, s31
	v_cmp_lt_f32_e64 vcc, |v54|, s30
	v_cndmask_b32_e32 v57, v57, v58, vcc
	v_cndmask_b32_e64 v58, 0, 1, vcc
	v_xor_b32_e32 v55, 0x80000000, v55
	v_cndmask_b32_e64 v57, v57, |v54|, s[6:7]
	v_cndmask_b32_e64 v58, v58, 2, s[6:7]
.LBB15_191:                             ;   in Loop: Header=BB15_177 Depth=1
	s_andn2_saveexec_b64 s[4:5], s[4:5]
	s_cbranch_execz .LBB15_193
; %bb.192:                              ;   in Loop: Header=BB15_177 Depth=1
	v_sub_f32_e64 v55, 2.0, |v54|
	v_add_f32_e64 v57, |v54|, s35
	v_cmp_lt_f32_e64 vcc, |v54|, s34
	v_cndmask_b32_e32 v57, v55, v57, vcc
	v_cndmask_b32_e64 v55, v55, 1.0, vcc
	v_cvt_i32_f32_e32 v55, v55
	v_add_f32_e64 v58, |v54|, -1.0
	v_cmp_lt_f32_e64 vcc, |v54|, s36
	v_cndmask_b32_e32 v57, v57, v58, vcc
	v_cndmask_b32_e64 v58, v55, 2, vcc
	v_mov_b32_e32 v55, 0
.LBB15_193:                             ;   in Loop: Header=BB15_177 Depth=1
	s_or_b64 exec, exec, s[4:5]
	v_cmp_lt_i32_e32 vcc, 0, v58
	s_and_saveexec_b64 s[4:5], vcc
	s_xor_b64 s[4:5], exec, s[4:5]
	s_cbranch_execz .LBB15_201
; %bb.194:                              ;   in Loop: Header=BB15_177 Depth=1
	v_cmp_lt_i32_e32 vcc, 1, v58
	s_and_saveexec_b64 s[6:7], vcc
	s_xor_b64 s[6:7], exec, s[6:7]
	s_cbranch_execz .LBB15_198
; %bb.195:                              ;   in Loop: Header=BB15_177 Depth=1
	v_cmp_eq_u32_e32 vcc, 2, v58
	s_and_saveexec_b64 s[8:9], vcc
	s_cbranch_execz .LBB15_197
; %bb.196:                              ;   in Loop: Header=BB15_177 Depth=1
	v_mov_b32_e32 v59, 0x3dd572af
	v_fmac_f32_e32 v59, 0x3b52d5db, v57
	v_fma_f32 v59, v57, v59, v23
	v_mov_b32_e32 v58, 0x3e6a7578
	v_fma_f32 v59, v57, v59, v24
	v_fmac_f32_e32 v58, 0x3c5b3c5e, v57
	v_fma_f32 v59, v57, v59, v25
	v_fma_f32 v58, v57, v58, v20
	v_fma_f32 v59, v57, v59, 1.0
	v_fma_f32 v58, v57, v58, v21
	v_rcp_f32_e32 v59, v59
	v_fma_f32 v58, v57, v58, v22
	v_fma_f32 v58, v57, v58, v15
	v_mul_f32_e32 v58, v57, v58
	v_mul_f32_e32 v58, v58, v59
	v_fmac_f32_e32 v58, -0.5, v57
	v_add_f32_e32 v55, v55, v58
.LBB15_197:                             ;   in Loop: Header=BB15_177 Depth=1
	s_or_b64 exec, exec, s[8:9]
                                        ; implicit-def: $vgpr57
.LBB15_198:                             ;   in Loop: Header=BB15_177 Depth=1
	s_andn2_saveexec_b64 s[6:7], s[6:7]
	s_cbranch_execz .LBB15_200
; %bb.199:                              ;   in Loop: Header=BB15_177 Depth=1
	v_mul_f32_e32 v58, v57, v57
	v_mul_f32_e32 v59, v57, v58
	v_mov_b32_e32 v61, 0x3a66f867
	v_mov_b32_e32 v62, 0xba0d3085
	v_fmac_f32_e32 v61, 0xb9a3f927, v59
	v_fmac_f32_e32 v62, 0x39afe9f7, v59
	v_mov_b32_e32 v60, 0xbab7f476
	v_fma_f32 v61, v59, v61, v29
	v_fma_f32 v62, v59, v62, v32
	v_fmac_f32_e32 v60, 0x39a57b6b, v59
	v_fma_f32 v61, v59, v61, v30
	v_fma_f32 v62, v59, v62, v33
	;; [unrolled: 1-line block ×6, first 2 shown]
	v_fmac_f32_e32 v61, v57, v62
	v_fma_f32 v60, v59, v60, v28
	v_fma_f32 v57, v59, -v61, s37
	v_fma_f32 v57, v58, v60, -v57
	v_add_f32_e32 v57, 0xbdf8cdce, v57
	v_add_f32_e32 v55, v55, v57
.LBB15_200:                             ;   in Loop: Header=BB15_177 Depth=1
	s_or_b64 exec, exec, s[6:7]
                                        ; implicit-def: $vgpr58
                                        ; implicit-def: $vgpr57
.LBB15_201:                             ;   in Loop: Header=BB15_177 Depth=1
	s_andn2_saveexec_b64 s[4:5], s[4:5]
	s_cbranch_execz .LBB15_205
; %bb.202:                              ;   in Loop: Header=BB15_177 Depth=1
	v_cmp_eq_u32_e32 vcc, 0, v58
	s_and_saveexec_b64 s[6:7], vcc
	s_cbranch_execz .LBB15_204
; %bb.203:                              ;   in Loop: Header=BB15_177 Depth=1
	v_mul_f32_e32 v58, v57, v57
	v_mov_b32_e32 v60, 0x38e28445
	v_mov_b32_e32 v59, 0x39679767
	v_fmac_f32_e32 v60, 0x383c2c75, v58
	v_fmac_f32_e32 v59, 0x37d383a2, v58
	v_fma_f32 v60, v58, v60, v39
	v_fma_f32 v59, v58, v59, v35
	;; [unrolled: 1-line block ×8, first 2 shown]
	v_mul_f32_e32 v58, v58, v60
	v_fmac_f32_e32 v58, v57, v59
	v_fmac_f32_e32 v58, -0.5, v57
	v_add_f32_e32 v55, v55, v58
.LBB15_204:                             ;   in Loop: Header=BB15_177 Depth=1
	s_or_b64 exec, exec, s[6:7]
.LBB15_205:                             ;   in Loop: Header=BB15_177 Depth=1
	s_or_b64 exec, exec, s[4:5]
.LBB15_206:                             ;   in Loop: Header=BB15_177 Depth=1
	s_or_b64 exec, exec, s[0:1]
.LBB15_207:                             ;   in Loop: Header=BB15_177 Depth=1
	s_andn2_saveexec_b64 s[2:3], s[2:3]
	s_cbranch_execz .LBB15_209
; %bb.208:                              ;   in Loop: Header=BB15_177 Depth=1
	v_cmp_lt_f32_e64 vcc, |v54|, s25
	v_cndmask_b32_e64 v55, 0, 32, vcc
	v_ldexp_f32 v55, |v54|, v55
	v_log_f32_e32 v55, v55
	v_fma_f32 v57, |v54|, s38, v50
	v_fma_f32 v57, |v54|, v57, s39
	;; [unrolled: 1-line block ×3, first 2 shown]
	v_mul_f32_e32 v58, 0x3f317217, v55
	v_fma_f32 v59, v55, s26, -v58
	v_fmac_f32_e32 v59, 0x3377d1cf, v55
	v_add_f32_e32 v58, v58, v59
	v_cmp_lt_f32_e64 s[0:1], |v55|, s27
	v_cndmask_b32_e64 v55, v55, v58, s[0:1]
	v_cndmask_b32_e32 v58, 0, v49, vcc
	v_sub_f32_e32 v55, v55, v58
	v_fma_f32 v55, |v54|, v57, -v55
.LBB15_209:                             ;   in Loop: Header=BB15_177 Depth=1
	s_or_b64 exec, exec, s[2:3]
	v_cmp_le_f32_e32 vcc, 0, v54
	v_cmp_nle_f32_e64 s[0:1], 0, v54
	s_and_saveexec_b64 s[2:3], s[0:1]
	s_xor_b64 s[4:5], exec, s[2:3]
	s_cbranch_execz .LBB15_213
; %bb.210:                              ;   in Loop: Header=BB15_177 Depth=1
	v_cmp_lt_f32_e64 s[0:1], |v54|, s41
	v_cmp_gt_f32_e64 s[2:3], |v54|, s42
	s_and_b64 s[0:1], s[0:1], s[2:3]
	s_and_saveexec_b64 s[6:7], s[0:1]
	s_cbranch_execz .LBB15_212
; %bb.211:                              ;   in Loop: Header=BB15_177 Depth=1
	v_mul_f32_e64 v57, |v54|, 0.5
	v_floor_f32_e32 v58, v57
	v_sub_f32_e32 v58, v57, v58
	v_min_f32_e32 v58, 0x3f7fffff, v58
	v_add_f32_e32 v58, v58, v58
	v_cmp_neq_f32_e64 s[0:1], s27, v57
	v_cndmask_b32_e64 v57, 0, v58, s[0:1]
	v_cmp_gt_f32_e64 s[0:1], |v54|, 1.0
	v_cndmask_b32_e64 v57, |v54|, v57, s[0:1]
	v_add_f32_e32 v58, v57, v57
	v_rndne_f32_e32 v58, v58
	v_fmac_f32_e32 v57, -0.5, v58
	v_mul_f32_e32 v59, v57, v57
	v_mov_b32_e32 v60, 0xbf1f24be
	v_fmac_f32_e32 v60, 0x3e75aa41, v59
	v_fma_f32 v60, v59, v60, v43
	v_fma_f32 v60, v59, v60, v44
	v_mul_f32_e32 v61, v57, v59
	v_mul_f32_e32 v60, v61, v60
	v_fmac_f32_e32 v60, 0x40490fdb, v57
	v_mov_b32_e32 v57, 0x3e642e9d
	v_cvt_i32_f32_e32 v58, v58
	v_fmac_f32_e32 v57, 0x3d4be544, v59
	v_fma_f32 v57, v59, v57, v45
	v_fma_f32 v57, v59, v57, v46
	;; [unrolled: 1-line block ×3, first 2 shown]
	v_fma_f32 v57, v59, v57, 1.0
	v_and_b32_e32 v59, 1, v58
	v_cmp_eq_u32_e64 s[0:1], 0, v59
	v_lshlrev_b32_e32 v58, 30, v58
	v_cndmask_b32_e64 v57, v57, v60, s[0:1]
	v_and_or_b32 v56, v58, s29, v56
	v_xor_b32_e32 v56, v56, v57
	v_xor_b32_e32 v56, v56, v54
	v_mul_f32_e32 v56, v54, v56
	v_frexp_mant_f32_e64 v57, |v56|
	v_rcp_f32_e32 v57, v57
	v_frexp_exp_i32_f32_e32 v56, v56
	v_sub_u32_e32 v56, 2, v56
	v_mul_f32_e32 v57, 0x3f490fdb, v57
	v_ldexp_f32 v56, v57, v56
	v_cmp_gt_f32_e64 s[0:1], s25, v56
	v_cndmask_b32_e64 v57, 0, 32, s[0:1]
	v_ldexp_f32 v56, v56, v57
	v_log_f32_e32 v56, v56
	v_mul_f32_e32 v57, 0x3f317217, v56
	v_fma_f32 v58, v56, s26, -v57
	v_fmac_f32_e32 v58, 0x3377d1cf, v56
	v_add_f32_e32 v57, v57, v58
	v_cmp_lt_f32_e64 s[2:3], |v56|, s27
	v_cndmask_b32_e64 v56, v56, v57, s[2:3]
	v_cndmask_b32_e64 v57, 0, v49, s[0:1]
	v_sub_f32_e32 v56, v56, v57
	v_sub_f32_e32 v55, v56, v55
	v_floor_f32_e32 v56, v54
	v_sub_f32_e32 v56, v54, v56
	v_min_f32_e32 v56, 0x3f7fffff, v56
	v_cmp_neq_f32_e64 s[0:1], 0, v56
	v_cndmask_b32_e64 v55, v51, v55, s[0:1]
.LBB15_212:                             ;   in Loop: Header=BB15_177 Depth=1
	s_or_b64 exec, exec, s[6:7]
.LBB15_213:                             ;   in Loop: Header=BB15_177 Depth=1
	s_andn2_saveexec_b64 s[4:5], s[4:5]
; %bb.214:                              ;   in Loop: Header=BB15_177 Depth=1
	v_cmp_eq_f32_e64 s[0:1], 1.0, v54
	v_cmp_eq_f32_e64 s[2:3], 2.0, v54
	s_or_b64 s[0:1], s[0:1], s[2:3]
	v_cndmask_b32_e64 v55, v55, 0, s[0:1]
; %bb.215:                              ;   in Loop: Header=BB15_177 Depth=1
	s_or_b64 exec, exec, s[4:5]
	v_and_b32_e32 v56, 0xffff0000, v4
	v_and_b32_e32 v58, 0x7fffffff, v56
	v_cmp_nlt_f32_e64 s[0:1], |v56|, s21
                                        ; implicit-def: $vgpr57
	s_and_saveexec_b64 s[2:3], s[0:1]
	s_xor_b64 s[4:5], exec, s[2:3]
	s_cbranch_execz .LBB15_245
; %bb.216:                              ;   in Loop: Header=BB15_177 Depth=1
	v_cmp_nlt_f32_e64 s[0:1], |v56|, 2.0
                                        ; implicit-def: $vgpr57
	s_and_saveexec_b64 s[2:3], s[0:1]
	s_xor_b64 s[6:7], exec, s[2:3]
	s_cbranch_execz .LBB15_226
; %bb.217:                              ;   in Loop: Header=BB15_177 Depth=1
	v_cmp_nlt_f32_e64 s[0:1], |v56|, s22
                                        ; implicit-def: $vgpr57
	s_and_saveexec_b64 s[2:3], s[0:1]
	s_xor_b64 s[8:9], exec, s[2:3]
	s_cbranch_execz .LBB15_223
; %bb.218:                              ;   in Loop: Header=BB15_177 Depth=1
	v_cmp_nlt_f32_e64 s[0:1], |v56|, s23
                                        ; implicit-def: $vgpr57
	s_and_saveexec_b64 s[2:3], s[0:1]
	s_xor_b64 s[14:15], exec, s[2:3]
	s_cbranch_execz .LBB15_220
; %bb.219:                              ;   in Loop: Header=BB15_177 Depth=1
	v_cmp_lt_f32_e64 s[0:1], |v56|, s25
	v_cndmask_b32_e64 v57, 0, 32, s[0:1]
	v_ldexp_f32 v57, |v56|, v57
	v_log_f32_e32 v57, v57
	v_mul_f32_e32 v59, 0x3f317217, v57
	v_fma_f32 v60, v57, s26, -v59
	v_fmac_f32_e32 v60, 0x3377d1cf, v57
	v_add_f32_e32 v59, v59, v60
	v_cmp_lt_f32_e64 s[2:3], |v57|, s27
	v_cndmask_b32_e64 v57, v57, v59, s[2:3]
	v_cndmask_b32_e64 v59, 0, v49, s[0:1]
	v_sub_f32_e32 v57, v57, v59
	v_fma_f32 v57, |v56|, v57, -|v56|
.LBB15_220:                             ;   in Loop: Header=BB15_177 Depth=1
	s_andn2_saveexec_b64 s[14:15], s[14:15]
	s_cbranch_execz .LBB15_222
; %bb.221:                              ;   in Loop: Header=BB15_177 Depth=1
	v_rcp_f32_e64 v57, |v56|
	v_cmp_lt_f32_e64 s[0:1], |v56|, s25
	v_cndmask_b32_e64 v60, 0, 32, s[0:1]
	v_mov_b32_e32 v59, 0x3a5b3dd2
	v_mul_f32_e32 v61, v57, v57
	v_ldexp_f32 v60, |v56|, v60
	v_fmac_f32_e32 v59, 0xbad5c4e8, v61
	v_log_f32_e32 v60, v60
	v_fma_f32 v59, v61, v59, v6
	v_fma_f32 v59, v61, v59, v7
	;; [unrolled: 1-line block ×4, first 2 shown]
	v_mul_f32_e32 v61, 0x3f317217, v60
	v_fma_f32 v62, v60, s26, -v61
	v_fmac_f32_e32 v62, 0x3377d1cf, v60
	v_add_f32_e32 v61, v61, v62
	v_cmp_lt_f32_e64 s[2:3], |v60|, s27
	v_cndmask_b32_e64 v60, v60, v61, s[2:3]
	v_cndmask_b32_e64 v61, 0, v49, s[0:1]
	v_sub_f32_e32 v60, v60, v61
	v_fma_f32 v57, v57, v59, v10
	v_add_f32_e64 v59, |v56|, -0.5
	v_add_f32_e32 v60, -1.0, v60
	v_fmac_f32_e32 v57, v59, v60
.LBB15_222:                             ;   in Loop: Header=BB15_177 Depth=1
	s_or_b64 exec, exec, s[14:15]
.LBB15_223:                             ;   in Loop: Header=BB15_177 Depth=1
	s_andn2_saveexec_b64 s[8:9], s[8:9]
	s_cbranch_execz .LBB15_225
; %bb.224:                              ;   in Loop: Header=BB15_177 Depth=1
	v_cvt_i32_f32_e32 v57, v58
	v_mov_b32_e32 v61, 0x3a4beed6
	v_mov_b32_e32 v60, 0x3af135b4
	v_cvt_f32_i32_e32 v59, v57
	v_cmp_lt_i32_e64 s[0:1], 2, v57
	v_sub_f32_e64 v59, |v56|, v59
	v_add_f32_e32 v62, 2.0, v59
	v_add_f32_e32 v63, 0x40400000, v59
	v_cndmask_b32_e64 v62, 1.0, v62, s[0:1]
	v_cmp_lt_i32_e64 s[0:1], 3, v57
	v_add_f32_e32 v64, 4.0, v59
	v_cndmask_b32_e64 v63, 1.0, v63, s[0:1]
	v_cmp_lt_i32_e64 s[0:1], 4, v57
	v_fmac_f32_e32 v61, 0x36f5d7bd, v59
	v_add_f32_e32 v65, 0x40a00000, v59
	v_mul_f32_e32 v62, v62, v63
	v_cndmask_b32_e64 v63, 1.0, v64, s[0:1]
	v_cmp_lt_i32_e64 s[0:1], 5, v57
	v_fma_f32 v61, v59, v61, v16
	v_add_f32_e32 v66, 0x40c00000, v59
	v_mul_f32_e32 v62, v63, v62
	v_cndmask_b32_e64 v63, 1.0, v65, s[0:1]
	v_cmp_lt_i32_e64 s[0:1], 6, v57
	v_fma_f32 v61, v59, v61, v17
	v_mul_f32_e32 v62, v63, v62
	v_cndmask_b32_e64 v57, 1.0, v66, s[0:1]
	v_fmac_f32_e32 v60, 0x3805ff67, v59
	v_fma_f32 v61, v59, v61, v18
	v_mul_f32_e32 v57, v57, v62
	v_fma_f32 v60, v59, v60, v11
	v_fma_f32 v61, v59, v61, v19
	v_cmp_gt_f32_e64 s[0:1], s25, v57
	v_fma_f32 v60, v59, v60, v12
	v_fma_f32 v61, v59, v61, 1.0
	v_cndmask_b32_e64 v62, 0, 32, s[0:1]
	v_fma_f32 v60, v59, v60, v13
	v_rcp_f32_e32 v61, v61
	v_ldexp_f32 v57, v57, v62
	v_fma_f32 v60, v59, v60, v14
	v_log_f32_e32 v57, v57
	v_fma_f32 v60, v59, v60, v15
	v_mul_f32_e32 v60, v59, v60
	v_mul_f32_e32 v60, v60, v61
	v_fmac_f32_e32 v60, 0.5, v59
	v_mul_f32_e32 v59, 0x3f317217, v57
	v_fma_f32 v61, v57, s26, -v59
	v_fmac_f32_e32 v61, 0x3377d1cf, v57
	v_add_f32_e32 v59, v59, v61
	v_cmp_lt_f32_e64 s[2:3], |v57|, s27
	v_cndmask_b32_e64 v57, v57, v59, s[2:3]
	v_cndmask_b32_e64 v59, 0, v49, s[0:1]
	v_sub_f32_e32 v57, v57, v59
	v_add_f32_e32 v57, v57, v60
.LBB15_225:                             ;   in Loop: Header=BB15_177 Depth=1
	s_or_b64 exec, exec, s[8:9]
.LBB15_226:                             ;   in Loop: Header=BB15_177 Depth=1
	s_andn2_saveexec_b64 s[2:3], s[6:7]
	s_cbranch_execz .LBB15_244
; %bb.227:                              ;   in Loop: Header=BB15_177 Depth=1
	v_cmp_le_f32_e64 s[0:1], |v56|, s28
                                        ; implicit-def: $vgpr57
                                        ; implicit-def: $vgpr60
                                        ; implicit-def: $vgpr59
	s_and_saveexec_b64 s[6:7], s[0:1]
	s_xor_b64 s[6:7], exec, s[6:7]
	s_cbranch_execz .LBB15_229
; %bb.228:                              ;   in Loop: Header=BB15_177 Depth=1
	v_cmp_lt_f32_e64 s[0:1], |v56|, s25
	v_cndmask_b32_e64 v57, 0, 32, s[0:1]
	v_ldexp_f32 v57, |v56|, v57
	v_log_f32_e32 v57, v57
	v_cndmask_b32_e64 v59, 0, v49, s[0:1]
	v_mul_f32_e32 v60, 0x3f317217, v57
	v_fma_f32 v61, v57, s26, -v60
	v_fmac_f32_e32 v61, 0x3377d1cf, v57
	v_add_f32_e32 v60, v60, v61
	v_cmp_lt_f32_e64 s[0:1], |v57|, s27
	v_cndmask_b32_e64 v57, v57, v60, s[0:1]
	v_sub_f32_e32 v57, v57, v59
	v_sub_f32_e64 v59, 1.0, |v56|
	v_add_f32_e64 v60, |v56|, s31
	v_cmp_lt_f32_e64 s[0:1], |v56|, s30
	v_cndmask_b32_e64 v59, v59, v60, s[0:1]
	v_cndmask_b32_e64 v60, 0, 1, s[0:1]
	v_cmp_lt_f32_e64 s[0:1], |v56|, s33
	v_xor_b32_e32 v57, 0x80000000, v57
	v_cndmask_b32_e64 v59, v59, |v56|, s[0:1]
	v_cndmask_b32_e64 v60, v60, 2, s[0:1]
.LBB15_229:                             ;   in Loop: Header=BB15_177 Depth=1
	s_andn2_saveexec_b64 s[6:7], s[6:7]
	s_cbranch_execz .LBB15_231
; %bb.230:                              ;   in Loop: Header=BB15_177 Depth=1
	v_sub_f32_e64 v57, 2.0, |v56|
	v_add_f32_e64 v59, |v56|, s35
	v_cmp_lt_f32_e64 s[0:1], |v56|, s34
	v_cndmask_b32_e64 v59, v57, v59, s[0:1]
	v_cndmask_b32_e64 v57, v57, 1.0, s[0:1]
	v_cvt_i32_f32_e32 v57, v57
	v_add_f32_e64 v60, |v56|, -1.0
	v_cmp_lt_f32_e64 s[0:1], |v56|, s36
	v_cndmask_b32_e64 v59, v59, v60, s[0:1]
	v_cndmask_b32_e64 v60, v57, 2, s[0:1]
	v_mov_b32_e32 v57, 0
.LBB15_231:                             ;   in Loop: Header=BB15_177 Depth=1
	s_or_b64 exec, exec, s[6:7]
	v_cmp_lt_i32_e64 s[0:1], 0, v60
	s_and_saveexec_b64 s[6:7], s[0:1]
	s_xor_b64 s[6:7], exec, s[6:7]
	s_cbranch_execz .LBB15_239
; %bb.232:                              ;   in Loop: Header=BB15_177 Depth=1
	v_cmp_lt_i32_e64 s[0:1], 1, v60
	s_and_saveexec_b64 s[8:9], s[0:1]
	s_xor_b64 s[8:9], exec, s[8:9]
	s_cbranch_execz .LBB15_236
; %bb.233:                              ;   in Loop: Header=BB15_177 Depth=1
	v_cmp_eq_u32_e64 s[0:1], 2, v60
	s_and_saveexec_b64 s[14:15], s[0:1]
	s_cbranch_execz .LBB15_235
; %bb.234:                              ;   in Loop: Header=BB15_177 Depth=1
	v_mov_b32_e32 v61, 0x3dd572af
	v_fmac_f32_e32 v61, 0x3b52d5db, v59
	v_fma_f32 v61, v59, v61, v23
	v_mov_b32_e32 v60, 0x3e6a7578
	v_fma_f32 v61, v59, v61, v24
	v_fmac_f32_e32 v60, 0x3c5b3c5e, v59
	v_fma_f32 v61, v59, v61, v25
	v_fma_f32 v60, v59, v60, v20
	v_fma_f32 v61, v59, v61, 1.0
	v_fma_f32 v60, v59, v60, v21
	v_rcp_f32_e32 v61, v61
	v_fma_f32 v60, v59, v60, v22
	v_fma_f32 v60, v59, v60, v15
	v_mul_f32_e32 v60, v59, v60
	v_mul_f32_e32 v60, v60, v61
	v_fmac_f32_e32 v60, -0.5, v59
	v_add_f32_e32 v57, v57, v60
.LBB15_235:                             ;   in Loop: Header=BB15_177 Depth=1
	s_or_b64 exec, exec, s[14:15]
                                        ; implicit-def: $vgpr59
.LBB15_236:                             ;   in Loop: Header=BB15_177 Depth=1
	s_andn2_saveexec_b64 s[0:1], s[8:9]
	s_cbranch_execz .LBB15_238
; %bb.237:                              ;   in Loop: Header=BB15_177 Depth=1
	v_mul_f32_e32 v60, v59, v59
	v_mul_f32_e32 v61, v59, v60
	v_mov_b32_e32 v63, 0x3a66f867
	v_mov_b32_e32 v64, 0xba0d3085
	v_fmac_f32_e32 v63, 0xb9a3f927, v61
	v_fmac_f32_e32 v64, 0x39afe9f7, v61
	v_mov_b32_e32 v62, 0xbab7f476
	v_fma_f32 v63, v61, v63, v29
	v_fma_f32 v64, v61, v64, v32
	v_fmac_f32_e32 v62, 0x39a57b6b, v61
	v_fma_f32 v63, v61, v63, v30
	v_fma_f32 v64, v61, v64, v33
	;; [unrolled: 1-line block ×6, first 2 shown]
	v_fmac_f32_e32 v63, v59, v64
	v_fma_f32 v62, v61, v62, v28
	v_fma_f32 v59, v61, -v63, s37
	v_fma_f32 v59, v60, v62, -v59
	v_add_f32_e32 v59, 0xbdf8cdce, v59
	v_add_f32_e32 v57, v57, v59
.LBB15_238:                             ;   in Loop: Header=BB15_177 Depth=1
	s_or_b64 exec, exec, s[0:1]
                                        ; implicit-def: $vgpr60
                                        ; implicit-def: $vgpr59
.LBB15_239:                             ;   in Loop: Header=BB15_177 Depth=1
	s_andn2_saveexec_b64 s[6:7], s[6:7]
	s_cbranch_execz .LBB15_243
; %bb.240:                              ;   in Loop: Header=BB15_177 Depth=1
	v_cmp_eq_u32_e64 s[0:1], 0, v60
	s_and_saveexec_b64 s[8:9], s[0:1]
	s_cbranch_execz .LBB15_242
; %bb.241:                              ;   in Loop: Header=BB15_177 Depth=1
	v_mul_f32_e32 v60, v59, v59
	v_mov_b32_e32 v62, 0x38e28445
	v_mov_b32_e32 v61, 0x39679767
	v_fmac_f32_e32 v62, 0x383c2c75, v60
	v_fmac_f32_e32 v61, 0x37d383a2, v60
	v_fma_f32 v62, v60, v62, v39
	v_fma_f32 v61, v60, v61, v35
	;; [unrolled: 1-line block ×8, first 2 shown]
	v_mul_f32_e32 v60, v60, v62
	v_fmac_f32_e32 v60, v59, v61
	v_fmac_f32_e32 v60, -0.5, v59
	v_add_f32_e32 v57, v57, v60
.LBB15_242:                             ;   in Loop: Header=BB15_177 Depth=1
	s_or_b64 exec, exec, s[8:9]
.LBB15_243:                             ;   in Loop: Header=BB15_177 Depth=1
	s_or_b64 exec, exec, s[6:7]
.LBB15_244:                             ;   in Loop: Header=BB15_177 Depth=1
	s_or_b64 exec, exec, s[2:3]
.LBB15_245:                             ;   in Loop: Header=BB15_177 Depth=1
	s_andn2_saveexec_b64 s[4:5], s[4:5]
	s_cbranch_execz .LBB15_247
; %bb.246:                              ;   in Loop: Header=BB15_177 Depth=1
	v_cmp_lt_f32_e64 s[0:1], |v56|, s25
	v_cndmask_b32_e64 v57, 0, 32, s[0:1]
	v_ldexp_f32 v57, |v56|, v57
	v_log_f32_e32 v57, v57
	v_fma_f32 v59, |v56|, s38, v50
	v_fma_f32 v59, |v56|, v59, s39
	;; [unrolled: 1-line block ×3, first 2 shown]
	v_mul_f32_e32 v60, 0x3f317217, v57
	v_fma_f32 v61, v57, s26, -v60
	v_fmac_f32_e32 v61, 0x3377d1cf, v57
	v_add_f32_e32 v60, v60, v61
	v_cmp_lt_f32_e64 s[2:3], |v57|, s27
	v_cndmask_b32_e64 v57, v57, v60, s[2:3]
	v_cndmask_b32_e64 v60, 0, v49, s[0:1]
	v_sub_f32_e32 v57, v57, v60
	v_fma_f32 v57, |v56|, v59, -v57
.LBB15_247:                             ;   in Loop: Header=BB15_177 Depth=1
	s_or_b64 exec, exec, s[4:5]
	v_cmp_le_f32_e64 s[0:1], 0, v56
	v_cmp_nle_f32_e64 s[2:3], 0, v56
	s_and_saveexec_b64 s[4:5], s[2:3]
	s_xor_b64 s[6:7], exec, s[4:5]
	s_cbranch_execz .LBB15_251
; %bb.248:                              ;   in Loop: Header=BB15_177 Depth=1
	v_cmp_lt_f32_e64 s[2:3], |v56|, s41
	v_cmp_gt_f32_e64 s[4:5], |v56|, s42
	s_and_b64 s[2:3], s[2:3], s[4:5]
	s_and_saveexec_b64 s[8:9], s[2:3]
	s_cbranch_execz .LBB15_250
; %bb.249:                              ;   in Loop: Header=BB15_177 Depth=1
	v_mul_f32_e64 v59, |v56|, 0.5
	v_floor_f32_e32 v60, v59
	v_sub_f32_e32 v60, v59, v60
	v_min_f32_e32 v60, 0x3f7fffff, v60
	v_add_f32_e32 v60, v60, v60
	v_cmp_neq_f32_e64 s[2:3], s27, v59
	v_cndmask_b32_e64 v59, 0, v60, s[2:3]
	v_cmp_gt_f32_e64 s[2:3], |v56|, 1.0
	v_cndmask_b32_e64 v59, |v56|, v59, s[2:3]
	v_add_f32_e32 v60, v59, v59
	v_rndne_f32_e32 v60, v60
	v_fmac_f32_e32 v59, -0.5, v60
	v_mul_f32_e32 v61, v59, v59
	v_mov_b32_e32 v62, 0xbf1f24be
	v_fmac_f32_e32 v62, 0x3e75aa41, v61
	v_fma_f32 v62, v61, v62, v43
	v_fma_f32 v62, v61, v62, v44
	v_mul_f32_e32 v63, v59, v61
	v_mul_f32_e32 v62, v63, v62
	v_fmac_f32_e32 v62, 0x40490fdb, v59
	v_mov_b32_e32 v59, 0x3e642e9d
	v_cvt_i32_f32_e32 v60, v60
	v_fmac_f32_e32 v59, 0x3d4be544, v61
	v_fma_f32 v59, v61, v59, v45
	v_fma_f32 v59, v61, v59, v46
	;; [unrolled: 1-line block ×3, first 2 shown]
	v_fma_f32 v59, v61, v59, 1.0
	v_and_b32_e32 v61, 1, v60
	v_cmp_eq_u32_e64 s[2:3], 0, v61
	v_lshlrev_b32_e32 v60, 30, v60
	v_cndmask_b32_e64 v59, v59, v62, s[2:3]
	v_and_or_b32 v58, v60, s29, v58
	v_xor_b32_e32 v58, v58, v59
	v_xor_b32_e32 v58, v58, v56
	v_mul_f32_e32 v58, v56, v58
	v_frexp_mant_f32_e64 v59, |v58|
	v_rcp_f32_e32 v59, v59
	v_frexp_exp_i32_f32_e32 v58, v58
	v_sub_u32_e32 v58, 2, v58
	v_mul_f32_e32 v59, 0x3f490fdb, v59
	v_ldexp_f32 v58, v59, v58
	v_cmp_gt_f32_e64 s[2:3], s25, v58
	v_cndmask_b32_e64 v59, 0, 32, s[2:3]
	v_ldexp_f32 v58, v58, v59
	v_log_f32_e32 v58, v58
	v_mul_f32_e32 v59, 0x3f317217, v58
	v_fma_f32 v60, v58, s26, -v59
	v_fmac_f32_e32 v60, 0x3377d1cf, v58
	v_add_f32_e32 v59, v59, v60
	v_cmp_lt_f32_e64 s[4:5], |v58|, s27
	v_cndmask_b32_e64 v58, v58, v59, s[4:5]
	v_cndmask_b32_e64 v59, 0, v49, s[2:3]
	v_sub_f32_e32 v58, v58, v59
	v_sub_f32_e32 v57, v58, v57
	v_floor_f32_e32 v58, v56
	v_sub_f32_e32 v58, v56, v58
	v_min_f32_e32 v58, 0x3f7fffff, v58
	v_cmp_neq_f32_e64 s[2:3], 0, v58
	v_cndmask_b32_e64 v57, v51, v57, s[2:3]
.LBB15_250:                             ;   in Loop: Header=BB15_177 Depth=1
	s_or_b64 exec, exec, s[8:9]
.LBB15_251:                             ;   in Loop: Header=BB15_177 Depth=1
	s_andn2_saveexec_b64 s[6:7], s[6:7]
; %bb.252:                              ;   in Loop: Header=BB15_177 Depth=1
	v_cmp_eq_f32_e64 s[2:3], 1.0, v56
	v_cmp_eq_f32_e64 s[4:5], 2.0, v56
	s_or_b64 s[2:3], s[2:3], s[4:5]
	v_cndmask_b32_e64 v57, v57, 0, s[2:3]
; %bb.253:                              ;   in Loop: Header=BB15_177 Depth=1
	s_or_b64 exec, exec, s[6:7]
	v_alignbit_b32 v4, v5, v4, 16
	v_and_b32_e32 v4, 0xffff0000, v4
	v_and_b32_e32 v59, 0x7fffffff, v4
	v_cmp_nlt_f32_e64 s[2:3], |v4|, s21
                                        ; implicit-def: $vgpr58
	s_and_saveexec_b64 s[4:5], s[2:3]
	s_xor_b64 s[6:7], exec, s[4:5]
	s_cbranch_execz .LBB15_283
; %bb.254:                              ;   in Loop: Header=BB15_177 Depth=1
	v_cmp_nlt_f32_e64 s[2:3], |v4|, 2.0
                                        ; implicit-def: $vgpr58
	s_and_saveexec_b64 s[4:5], s[2:3]
	s_xor_b64 s[8:9], exec, s[4:5]
	s_cbranch_execz .LBB15_264
; %bb.255:                              ;   in Loop: Header=BB15_177 Depth=1
	v_cmp_nlt_f32_e64 s[2:3], |v4|, s22
                                        ; implicit-def: $vgpr58
	s_and_saveexec_b64 s[4:5], s[2:3]
	s_xor_b64 s[14:15], exec, s[4:5]
	s_cbranch_execz .LBB15_261
; %bb.256:                              ;   in Loop: Header=BB15_177 Depth=1
	v_cmp_nlt_f32_e64 s[2:3], |v4|, s23
                                        ; implicit-def: $vgpr58
	s_and_saveexec_b64 s[4:5], s[2:3]
	s_xor_b64 s[16:17], exec, s[4:5]
	s_cbranch_execz .LBB15_258
; %bb.257:                              ;   in Loop: Header=BB15_177 Depth=1
	v_cmp_lt_f32_e64 s[2:3], |v4|, s25
	v_cndmask_b32_e64 v58, 0, 32, s[2:3]
	v_ldexp_f32 v58, |v4|, v58
	v_log_f32_e32 v58, v58
	v_mul_f32_e32 v60, 0x3f317217, v58
	v_fma_f32 v61, v58, s26, -v60
	v_fmac_f32_e32 v61, 0x3377d1cf, v58
	v_add_f32_e32 v60, v60, v61
	v_cmp_lt_f32_e64 s[4:5], |v58|, s27
	v_cndmask_b32_e64 v58, v58, v60, s[4:5]
	v_cndmask_b32_e64 v60, 0, v49, s[2:3]
	v_sub_f32_e32 v58, v58, v60
	v_fma_f32 v58, |v4|, v58, -|v4|
.LBB15_258:                             ;   in Loop: Header=BB15_177 Depth=1
	s_andn2_saveexec_b64 s[16:17], s[16:17]
	s_cbranch_execz .LBB15_260
; %bb.259:                              ;   in Loop: Header=BB15_177 Depth=1
	v_rcp_f32_e64 v58, |v4|
	v_cmp_lt_f32_e64 s[2:3], |v4|, s25
	v_cndmask_b32_e64 v61, 0, 32, s[2:3]
	v_mov_b32_e32 v60, 0x3a5b3dd2
	v_mul_f32_e32 v62, v58, v58
	v_ldexp_f32 v61, |v4|, v61
	v_fmac_f32_e32 v60, 0xbad5c4e8, v62
	v_log_f32_e32 v61, v61
	v_fma_f32 v60, v62, v60, v6
	v_fma_f32 v60, v62, v60, v7
	;; [unrolled: 1-line block ×4, first 2 shown]
	v_mul_f32_e32 v62, 0x3f317217, v61
	v_fma_f32 v63, v61, s26, -v62
	v_fmac_f32_e32 v63, 0x3377d1cf, v61
	v_add_f32_e32 v62, v62, v63
	v_cmp_lt_f32_e64 s[4:5], |v61|, s27
	v_cndmask_b32_e64 v61, v61, v62, s[4:5]
	v_cndmask_b32_e64 v62, 0, v49, s[2:3]
	v_sub_f32_e32 v61, v61, v62
	v_fma_f32 v58, v58, v60, v10
	v_add_f32_e64 v60, |v4|, -0.5
	v_add_f32_e32 v61, -1.0, v61
	v_fmac_f32_e32 v58, v60, v61
.LBB15_260:                             ;   in Loop: Header=BB15_177 Depth=1
	s_or_b64 exec, exec, s[16:17]
.LBB15_261:                             ;   in Loop: Header=BB15_177 Depth=1
	s_andn2_saveexec_b64 s[14:15], s[14:15]
	s_cbranch_execz .LBB15_263
; %bb.262:                              ;   in Loop: Header=BB15_177 Depth=1
	v_cvt_i32_f32_e32 v58, v59
	v_mov_b32_e32 v62, 0x3a4beed6
	v_mov_b32_e32 v61, 0x3af135b4
	v_cvt_f32_i32_e32 v60, v58
	v_cmp_lt_i32_e64 s[2:3], 2, v58
	v_sub_f32_e64 v60, |v4|, v60
	v_add_f32_e32 v63, 2.0, v60
	v_add_f32_e32 v64, 0x40400000, v60
	v_cndmask_b32_e64 v63, 1.0, v63, s[2:3]
	v_cmp_lt_i32_e64 s[2:3], 3, v58
	v_add_f32_e32 v65, 4.0, v60
	v_cndmask_b32_e64 v64, 1.0, v64, s[2:3]
	v_cmp_lt_i32_e64 s[2:3], 4, v58
	v_fmac_f32_e32 v62, 0x36f5d7bd, v60
	v_add_f32_e32 v66, 0x40a00000, v60
	v_mul_f32_e32 v63, v63, v64
	v_cndmask_b32_e64 v64, 1.0, v65, s[2:3]
	v_cmp_lt_i32_e64 s[2:3], 5, v58
	v_fma_f32 v62, v60, v62, v16
	v_add_f32_e32 v67, 0x40c00000, v60
	v_mul_f32_e32 v63, v64, v63
	v_cndmask_b32_e64 v64, 1.0, v66, s[2:3]
	v_cmp_lt_i32_e64 s[2:3], 6, v58
	v_fma_f32 v62, v60, v62, v17
	v_mul_f32_e32 v63, v64, v63
	v_cndmask_b32_e64 v58, 1.0, v67, s[2:3]
	v_fmac_f32_e32 v61, 0x3805ff67, v60
	v_fma_f32 v62, v60, v62, v18
	v_mul_f32_e32 v58, v58, v63
	v_fma_f32 v61, v60, v61, v11
	v_fma_f32 v62, v60, v62, v19
	v_cmp_gt_f32_e64 s[2:3], s25, v58
	v_fma_f32 v61, v60, v61, v12
	v_fma_f32 v62, v60, v62, 1.0
	v_cndmask_b32_e64 v63, 0, 32, s[2:3]
	v_fma_f32 v61, v60, v61, v13
	v_rcp_f32_e32 v62, v62
	v_ldexp_f32 v58, v58, v63
	v_fma_f32 v61, v60, v61, v14
	v_log_f32_e32 v58, v58
	v_fma_f32 v61, v60, v61, v15
	v_mul_f32_e32 v61, v60, v61
	v_mul_f32_e32 v61, v61, v62
	v_fmac_f32_e32 v61, 0.5, v60
	v_mul_f32_e32 v60, 0x3f317217, v58
	v_fma_f32 v62, v58, s26, -v60
	v_fmac_f32_e32 v62, 0x3377d1cf, v58
	v_add_f32_e32 v60, v60, v62
	v_cmp_lt_f32_e64 s[4:5], |v58|, s27
	v_cndmask_b32_e64 v58, v58, v60, s[4:5]
	v_cndmask_b32_e64 v60, 0, v49, s[2:3]
	v_sub_f32_e32 v58, v58, v60
	v_add_f32_e32 v58, v58, v61
.LBB15_263:                             ;   in Loop: Header=BB15_177 Depth=1
	s_or_b64 exec, exec, s[14:15]
.LBB15_264:                             ;   in Loop: Header=BB15_177 Depth=1
	s_andn2_saveexec_b64 s[4:5], s[8:9]
	s_cbranch_execz .LBB15_282
; %bb.265:                              ;   in Loop: Header=BB15_177 Depth=1
	v_cmp_le_f32_e64 s[2:3], |v4|, s28
                                        ; implicit-def: $vgpr58
                                        ; implicit-def: $vgpr61
                                        ; implicit-def: $vgpr60
	s_and_saveexec_b64 s[8:9], s[2:3]
	s_xor_b64 s[8:9], exec, s[8:9]
	s_cbranch_execz .LBB15_267
; %bb.266:                              ;   in Loop: Header=BB15_177 Depth=1
	v_cmp_lt_f32_e64 s[2:3], |v4|, s25
	v_cndmask_b32_e64 v58, 0, 32, s[2:3]
	v_ldexp_f32 v58, |v4|, v58
	v_log_f32_e32 v58, v58
	v_cndmask_b32_e64 v60, 0, v49, s[2:3]
	v_mul_f32_e32 v61, 0x3f317217, v58
	v_fma_f32 v62, v58, s26, -v61
	v_fmac_f32_e32 v62, 0x3377d1cf, v58
	v_add_f32_e32 v61, v61, v62
	v_cmp_lt_f32_e64 s[2:3], |v58|, s27
	v_cndmask_b32_e64 v58, v58, v61, s[2:3]
	v_sub_f32_e32 v58, v58, v60
	v_sub_f32_e64 v60, 1.0, |v4|
	v_add_f32_e64 v61, |v4|, s31
	v_cmp_lt_f32_e64 s[2:3], |v4|, s30
	v_cndmask_b32_e64 v60, v60, v61, s[2:3]
	v_cndmask_b32_e64 v61, 0, 1, s[2:3]
	v_cmp_lt_f32_e64 s[2:3], |v4|, s33
	v_xor_b32_e32 v58, 0x80000000, v58
	v_cndmask_b32_e64 v60, v60, |v4|, s[2:3]
	v_cndmask_b32_e64 v61, v61, 2, s[2:3]
.LBB15_267:                             ;   in Loop: Header=BB15_177 Depth=1
	s_andn2_saveexec_b64 s[8:9], s[8:9]
	s_cbranch_execz .LBB15_269
; %bb.268:                              ;   in Loop: Header=BB15_177 Depth=1
	v_sub_f32_e64 v58, 2.0, |v4|
	v_add_f32_e64 v60, |v4|, s35
	v_cmp_lt_f32_e64 s[2:3], |v4|, s34
	v_cndmask_b32_e64 v60, v58, v60, s[2:3]
	v_cndmask_b32_e64 v58, v58, 1.0, s[2:3]
	v_cvt_i32_f32_e32 v58, v58
	v_add_f32_e64 v61, |v4|, -1.0
	v_cmp_lt_f32_e64 s[2:3], |v4|, s36
	v_cndmask_b32_e64 v60, v60, v61, s[2:3]
	v_cndmask_b32_e64 v61, v58, 2, s[2:3]
	v_mov_b32_e32 v58, 0
.LBB15_269:                             ;   in Loop: Header=BB15_177 Depth=1
	s_or_b64 exec, exec, s[8:9]
	v_cmp_lt_i32_e64 s[2:3], 0, v61
	s_and_saveexec_b64 s[8:9], s[2:3]
	s_xor_b64 s[8:9], exec, s[8:9]
	s_cbranch_execz .LBB15_277
; %bb.270:                              ;   in Loop: Header=BB15_177 Depth=1
	v_cmp_lt_i32_e64 s[2:3], 1, v61
	s_and_saveexec_b64 s[14:15], s[2:3]
	s_xor_b64 s[14:15], exec, s[14:15]
	s_cbranch_execz .LBB15_274
; %bb.271:                              ;   in Loop: Header=BB15_177 Depth=1
	v_cmp_eq_u32_e64 s[2:3], 2, v61
	s_and_saveexec_b64 s[16:17], s[2:3]
	s_cbranch_execz .LBB15_273
; %bb.272:                              ;   in Loop: Header=BB15_177 Depth=1
	v_mov_b32_e32 v62, 0x3dd572af
	v_fmac_f32_e32 v62, 0x3b52d5db, v60
	v_fma_f32 v62, v60, v62, v23
	v_mov_b32_e32 v61, 0x3e6a7578
	v_fma_f32 v62, v60, v62, v24
	v_fmac_f32_e32 v61, 0x3c5b3c5e, v60
	v_fma_f32 v62, v60, v62, v25
	v_fma_f32 v61, v60, v61, v20
	v_fma_f32 v62, v60, v62, 1.0
	v_fma_f32 v61, v60, v61, v21
	v_rcp_f32_e32 v62, v62
	v_fma_f32 v61, v60, v61, v22
	v_fma_f32 v61, v60, v61, v15
	v_mul_f32_e32 v61, v60, v61
	v_mul_f32_e32 v61, v61, v62
	v_fmac_f32_e32 v61, -0.5, v60
	v_add_f32_e32 v58, v58, v61
.LBB15_273:                             ;   in Loop: Header=BB15_177 Depth=1
	s_or_b64 exec, exec, s[16:17]
                                        ; implicit-def: $vgpr60
.LBB15_274:                             ;   in Loop: Header=BB15_177 Depth=1
	s_andn2_saveexec_b64 s[2:3], s[14:15]
	s_cbranch_execz .LBB15_276
; %bb.275:                              ;   in Loop: Header=BB15_177 Depth=1
	v_mul_f32_e32 v61, v60, v60
	v_mul_f32_e32 v62, v60, v61
	v_mov_b32_e32 v64, 0x3a66f867
	v_mov_b32_e32 v65, 0xba0d3085
	v_fmac_f32_e32 v64, 0xb9a3f927, v62
	v_fmac_f32_e32 v65, 0x39afe9f7, v62
	v_mov_b32_e32 v63, 0xbab7f476
	v_fma_f32 v64, v62, v64, v29
	v_fma_f32 v65, v62, v65, v32
	v_fmac_f32_e32 v63, 0x39a57b6b, v62
	v_fma_f32 v64, v62, v64, v30
	v_fma_f32 v65, v62, v65, v33
	;; [unrolled: 1-line block ×6, first 2 shown]
	v_fmac_f32_e32 v64, v60, v65
	v_fma_f32 v63, v62, v63, v28
	v_fma_f32 v60, v62, -v64, s37
	v_fma_f32 v60, v61, v63, -v60
	v_add_f32_e32 v60, 0xbdf8cdce, v60
	v_add_f32_e32 v58, v58, v60
.LBB15_276:                             ;   in Loop: Header=BB15_177 Depth=1
	s_or_b64 exec, exec, s[2:3]
                                        ; implicit-def: $vgpr61
                                        ; implicit-def: $vgpr60
.LBB15_277:                             ;   in Loop: Header=BB15_177 Depth=1
	s_andn2_saveexec_b64 s[8:9], s[8:9]
	s_cbranch_execz .LBB15_281
; %bb.278:                              ;   in Loop: Header=BB15_177 Depth=1
	v_cmp_eq_u32_e64 s[2:3], 0, v61
	s_and_saveexec_b64 s[14:15], s[2:3]
	s_cbranch_execz .LBB15_280
; %bb.279:                              ;   in Loop: Header=BB15_177 Depth=1
	v_mul_f32_e32 v61, v60, v60
	v_mov_b32_e32 v63, 0x38e28445
	v_mov_b32_e32 v62, 0x39679767
	v_fmac_f32_e32 v63, 0x383c2c75, v61
	v_fmac_f32_e32 v62, 0x37d383a2, v61
	v_fma_f32 v63, v61, v63, v39
	v_fma_f32 v62, v61, v62, v35
	;; [unrolled: 1-line block ×8, first 2 shown]
	v_mul_f32_e32 v61, v61, v63
	v_fmac_f32_e32 v61, v60, v62
	v_fmac_f32_e32 v61, -0.5, v60
	v_add_f32_e32 v58, v58, v61
.LBB15_280:                             ;   in Loop: Header=BB15_177 Depth=1
	s_or_b64 exec, exec, s[14:15]
.LBB15_281:                             ;   in Loop: Header=BB15_177 Depth=1
	s_or_b64 exec, exec, s[8:9]
.LBB15_282:                             ;   in Loop: Header=BB15_177 Depth=1
	s_or_b64 exec, exec, s[4:5]
.LBB15_283:                             ;   in Loop: Header=BB15_177 Depth=1
	s_andn2_saveexec_b64 s[6:7], s[6:7]
	s_cbranch_execz .LBB15_285
; %bb.284:                              ;   in Loop: Header=BB15_177 Depth=1
	v_cmp_lt_f32_e64 s[2:3], |v4|, s25
	v_cndmask_b32_e64 v58, 0, 32, s[2:3]
	v_ldexp_f32 v58, |v4|, v58
	v_log_f32_e32 v58, v58
	v_fma_f32 v60, |v4|, s38, v50
	v_fma_f32 v60, |v4|, v60, s39
	;; [unrolled: 1-line block ×3, first 2 shown]
	v_mul_f32_e32 v61, 0x3f317217, v58
	v_fma_f32 v62, v58, s26, -v61
	v_fmac_f32_e32 v62, 0x3377d1cf, v58
	v_add_f32_e32 v61, v61, v62
	v_cmp_lt_f32_e64 s[4:5], |v58|, s27
	v_cndmask_b32_e64 v58, v58, v61, s[4:5]
	v_cndmask_b32_e64 v61, 0, v49, s[2:3]
	v_sub_f32_e32 v58, v58, v61
	v_fma_f32 v58, |v4|, v60, -v58
.LBB15_285:                             ;   in Loop: Header=BB15_177 Depth=1
	s_or_b64 exec, exec, s[6:7]
	v_cmp_le_f32_e64 s[2:3], 0, v4
	v_cmp_nle_f32_e64 s[4:5], 0, v4
	s_and_saveexec_b64 s[6:7], s[4:5]
	s_xor_b64 s[8:9], exec, s[6:7]
	s_cbranch_execz .LBB15_289
; %bb.286:                              ;   in Loop: Header=BB15_177 Depth=1
	v_cmp_lt_f32_e64 s[4:5], |v4|, s41
	v_cmp_gt_f32_e64 s[6:7], |v4|, s42
	s_and_b64 s[4:5], s[4:5], s[6:7]
	s_and_saveexec_b64 s[14:15], s[4:5]
	s_cbranch_execz .LBB15_288
; %bb.287:                              ;   in Loop: Header=BB15_177 Depth=1
	v_mul_f32_e64 v60, |v4|, 0.5
	v_floor_f32_e32 v61, v60
	v_sub_f32_e32 v61, v60, v61
	v_min_f32_e32 v61, 0x3f7fffff, v61
	v_add_f32_e32 v61, v61, v61
	v_cmp_neq_f32_e64 s[4:5], s27, v60
	v_cndmask_b32_e64 v60, 0, v61, s[4:5]
	v_cmp_gt_f32_e64 s[4:5], |v4|, 1.0
	v_cndmask_b32_e64 v60, |v4|, v60, s[4:5]
	v_add_f32_e32 v61, v60, v60
	v_rndne_f32_e32 v61, v61
	v_fmac_f32_e32 v60, -0.5, v61
	v_mul_f32_e32 v62, v60, v60
	v_mov_b32_e32 v63, 0xbf1f24be
	v_fmac_f32_e32 v63, 0x3e75aa41, v62
	v_fma_f32 v63, v62, v63, v43
	v_fma_f32 v63, v62, v63, v44
	v_mul_f32_e32 v64, v60, v62
	v_mul_f32_e32 v63, v64, v63
	v_fmac_f32_e32 v63, 0x40490fdb, v60
	v_mov_b32_e32 v60, 0x3e642e9d
	v_cvt_i32_f32_e32 v61, v61
	v_fmac_f32_e32 v60, 0x3d4be544, v62
	v_fma_f32 v60, v62, v60, v45
	v_fma_f32 v60, v62, v60, v46
	;; [unrolled: 1-line block ×3, first 2 shown]
	v_fma_f32 v60, v62, v60, 1.0
	v_and_b32_e32 v62, 1, v61
	v_cmp_eq_u32_e64 s[4:5], 0, v62
	v_lshlrev_b32_e32 v61, 30, v61
	v_cndmask_b32_e64 v60, v60, v63, s[4:5]
	v_and_or_b32 v59, v61, s29, v59
	v_xor_b32_e32 v59, v59, v60
	v_xor_b32_e32 v59, v59, v4
	v_mul_f32_e32 v59, v4, v59
	v_frexp_mant_f32_e64 v60, |v59|
	v_rcp_f32_e32 v60, v60
	v_frexp_exp_i32_f32_e32 v59, v59
	v_sub_u32_e32 v59, 2, v59
	v_mul_f32_e32 v60, 0x3f490fdb, v60
	v_ldexp_f32 v59, v60, v59
	v_cmp_gt_f32_e64 s[4:5], s25, v59
	v_cndmask_b32_e64 v60, 0, 32, s[4:5]
	v_ldexp_f32 v59, v59, v60
	v_log_f32_e32 v59, v59
	v_mul_f32_e32 v60, 0x3f317217, v59
	v_fma_f32 v61, v59, s26, -v60
	v_fmac_f32_e32 v61, 0x3377d1cf, v59
	v_add_f32_e32 v60, v60, v61
	v_cmp_lt_f32_e64 s[6:7], |v59|, s27
	v_cndmask_b32_e64 v59, v59, v60, s[6:7]
	v_cndmask_b32_e64 v60, 0, v49, s[4:5]
	v_sub_f32_e32 v59, v59, v60
	v_sub_f32_e32 v58, v59, v58
	v_floor_f32_e32 v59, v4
	v_sub_f32_e32 v59, v4, v59
	v_min_f32_e32 v59, 0x3f7fffff, v59
	v_cmp_neq_f32_e64 s[4:5], 0, v59
	v_cndmask_b32_e64 v58, v51, v58, s[4:5]
.LBB15_288:                             ;   in Loop: Header=BB15_177 Depth=1
	s_or_b64 exec, exec, s[14:15]
.LBB15_289:                             ;   in Loop: Header=BB15_177 Depth=1
	s_andn2_saveexec_b64 s[8:9], s[8:9]
; %bb.290:                              ;   in Loop: Header=BB15_177 Depth=1
	v_cmp_eq_f32_e64 s[4:5], 1.0, v4
	v_cmp_eq_f32_e64 s[6:7], 2.0, v4
	s_or_b64 s[4:5], s[4:5], s[6:7]
	v_cndmask_b32_e64 v58, v58, 0, s[4:5]
; %bb.291:                              ;   in Loop: Header=BB15_177 Depth=1
	s_or_b64 exec, exec, s[8:9]
	v_and_b32_e32 v5, 0xffff0000, v5
	v_and_b32_e32 v59, 0x7fffffff, v5
	v_cmp_nlt_f32_e64 s[4:5], |v5|, s21
                                        ; implicit-def: $vgpr60
	s_and_saveexec_b64 s[6:7], s[4:5]
	s_xor_b64 s[8:9], exec, s[6:7]
	s_cbranch_execz .LBB15_321
; %bb.292:                              ;   in Loop: Header=BB15_177 Depth=1
	v_cmp_nlt_f32_e64 s[4:5], |v5|, 2.0
                                        ; implicit-def: $vgpr60
	s_and_saveexec_b64 s[6:7], s[4:5]
	s_xor_b64 s[14:15], exec, s[6:7]
	s_cbranch_execz .LBB15_302
; %bb.293:                              ;   in Loop: Header=BB15_177 Depth=1
	v_cmp_nlt_f32_e64 s[4:5], |v5|, s22
                                        ; implicit-def: $vgpr60
	s_and_saveexec_b64 s[6:7], s[4:5]
	s_xor_b64 s[16:17], exec, s[6:7]
	s_cbranch_execz .LBB15_299
; %bb.294:                              ;   in Loop: Header=BB15_177 Depth=1
	v_cmp_nlt_f32_e64 s[4:5], |v5|, s23
                                        ; implicit-def: $vgpr60
	s_and_saveexec_b64 s[6:7], s[4:5]
	s_xor_b64 s[18:19], exec, s[6:7]
	s_cbranch_execz .LBB15_296
; %bb.295:                              ;   in Loop: Header=BB15_177 Depth=1
	v_cmp_lt_f32_e64 s[4:5], |v5|, s25
	v_cndmask_b32_e64 v60, 0, 32, s[4:5]
	v_ldexp_f32 v60, |v5|, v60
	v_log_f32_e32 v60, v60
	v_mul_f32_e32 v61, 0x3f317217, v60
	v_fma_f32 v62, v60, s26, -v61
	v_fmac_f32_e32 v62, 0x3377d1cf, v60
	v_add_f32_e32 v61, v61, v62
	v_cmp_lt_f32_e64 s[6:7], |v60|, s27
	v_cndmask_b32_e64 v60, v60, v61, s[6:7]
	v_cndmask_b32_e64 v61, 0, v49, s[4:5]
	v_sub_f32_e32 v60, v60, v61
	v_fma_f32 v60, |v5|, v60, -|v5|
.LBB15_296:                             ;   in Loop: Header=BB15_177 Depth=1
	s_andn2_saveexec_b64 s[18:19], s[18:19]
	s_cbranch_execz .LBB15_298
; %bb.297:                              ;   in Loop: Header=BB15_177 Depth=1
	v_rcp_f32_e64 v60, |v5|
	v_cmp_lt_f32_e64 s[4:5], |v5|, s25
	v_cndmask_b32_e64 v62, 0, 32, s[4:5]
	v_mov_b32_e32 v61, 0x3a5b3dd2
	v_mul_f32_e32 v63, v60, v60
	v_ldexp_f32 v62, |v5|, v62
	v_fmac_f32_e32 v61, 0xbad5c4e8, v63
	v_log_f32_e32 v62, v62
	v_fma_f32 v61, v63, v61, v6
	v_fma_f32 v61, v63, v61, v7
	;; [unrolled: 1-line block ×4, first 2 shown]
	v_mul_f32_e32 v63, 0x3f317217, v62
	v_fma_f32 v64, v62, s26, -v63
	v_fmac_f32_e32 v64, 0x3377d1cf, v62
	v_add_f32_e32 v63, v63, v64
	v_cmp_lt_f32_e64 s[6:7], |v62|, s27
	v_cndmask_b32_e64 v62, v62, v63, s[6:7]
	v_cndmask_b32_e64 v63, 0, v49, s[4:5]
	v_sub_f32_e32 v62, v62, v63
	v_fma_f32 v60, v60, v61, v10
	v_add_f32_e64 v61, |v5|, -0.5
	v_add_f32_e32 v62, -1.0, v62
	v_fmac_f32_e32 v60, v61, v62
.LBB15_298:                             ;   in Loop: Header=BB15_177 Depth=1
	s_or_b64 exec, exec, s[18:19]
.LBB15_299:                             ;   in Loop: Header=BB15_177 Depth=1
	s_andn2_saveexec_b64 s[16:17], s[16:17]
	s_cbranch_execz .LBB15_301
; %bb.300:                              ;   in Loop: Header=BB15_177 Depth=1
	v_cvt_i32_f32_e32 v60, v59
	v_mov_b32_e32 v63, 0x3a4beed6
	v_mov_b32_e32 v62, 0x3af135b4
	v_cvt_f32_i32_e32 v61, v60
	v_cmp_lt_i32_e64 s[4:5], 2, v60
	v_sub_f32_e64 v61, |v5|, v61
	v_add_f32_e32 v64, 2.0, v61
	v_add_f32_e32 v65, 0x40400000, v61
	v_cndmask_b32_e64 v64, 1.0, v64, s[4:5]
	v_cmp_lt_i32_e64 s[4:5], 3, v60
	v_add_f32_e32 v66, 4.0, v61
	v_cndmask_b32_e64 v65, 1.0, v65, s[4:5]
	v_cmp_lt_i32_e64 s[4:5], 4, v60
	v_fmac_f32_e32 v63, 0x36f5d7bd, v61
	v_add_f32_e32 v67, 0x40a00000, v61
	v_mul_f32_e32 v64, v64, v65
	v_cndmask_b32_e64 v65, 1.0, v66, s[4:5]
	v_cmp_lt_i32_e64 s[4:5], 5, v60
	v_fma_f32 v63, v61, v63, v16
	v_add_f32_e32 v68, 0x40c00000, v61
	v_mul_f32_e32 v64, v65, v64
	v_cndmask_b32_e64 v65, 1.0, v67, s[4:5]
	v_cmp_lt_i32_e64 s[4:5], 6, v60
	v_fma_f32 v63, v61, v63, v17
	v_mul_f32_e32 v64, v65, v64
	v_cndmask_b32_e64 v60, 1.0, v68, s[4:5]
	v_fmac_f32_e32 v62, 0x3805ff67, v61
	v_fma_f32 v63, v61, v63, v18
	v_mul_f32_e32 v60, v60, v64
	v_fma_f32 v62, v61, v62, v11
	v_fma_f32 v63, v61, v63, v19
	v_cmp_gt_f32_e64 s[4:5], s25, v60
	v_fma_f32 v62, v61, v62, v12
	v_fma_f32 v63, v61, v63, 1.0
	v_cndmask_b32_e64 v64, 0, 32, s[4:5]
	v_fma_f32 v62, v61, v62, v13
	v_rcp_f32_e32 v63, v63
	v_ldexp_f32 v60, v60, v64
	v_fma_f32 v62, v61, v62, v14
	v_log_f32_e32 v60, v60
	v_fma_f32 v62, v61, v62, v15
	v_mul_f32_e32 v62, v61, v62
	v_mul_f32_e32 v62, v62, v63
	v_fmac_f32_e32 v62, 0.5, v61
	v_mul_f32_e32 v61, 0x3f317217, v60
	v_fma_f32 v63, v60, s26, -v61
	v_fmac_f32_e32 v63, 0x3377d1cf, v60
	v_add_f32_e32 v61, v61, v63
	v_cmp_lt_f32_e64 s[6:7], |v60|, s27
	v_cndmask_b32_e64 v60, v60, v61, s[6:7]
	v_cndmask_b32_e64 v61, 0, v49, s[4:5]
	v_sub_f32_e32 v60, v60, v61
	v_add_f32_e32 v60, v60, v62
.LBB15_301:                             ;   in Loop: Header=BB15_177 Depth=1
	s_or_b64 exec, exec, s[16:17]
.LBB15_302:                             ;   in Loop: Header=BB15_177 Depth=1
	s_andn2_saveexec_b64 s[6:7], s[14:15]
	s_cbranch_execz .LBB15_320
; %bb.303:                              ;   in Loop: Header=BB15_177 Depth=1
	v_cmp_le_f32_e64 s[4:5], |v5|, s28
                                        ; implicit-def: $vgpr60
                                        ; implicit-def: $vgpr62
                                        ; implicit-def: $vgpr61
	s_and_saveexec_b64 s[14:15], s[4:5]
	s_xor_b64 s[14:15], exec, s[14:15]
	s_cbranch_execz .LBB15_305
; %bb.304:                              ;   in Loop: Header=BB15_177 Depth=1
	v_cmp_lt_f32_e64 s[4:5], |v5|, s25
	v_cndmask_b32_e64 v60, 0, 32, s[4:5]
	v_ldexp_f32 v60, |v5|, v60
	v_log_f32_e32 v60, v60
	v_cndmask_b32_e64 v61, 0, v49, s[4:5]
	v_mul_f32_e32 v62, 0x3f317217, v60
	v_fma_f32 v63, v60, s26, -v62
	v_fmac_f32_e32 v63, 0x3377d1cf, v60
	v_add_f32_e32 v62, v62, v63
	v_cmp_lt_f32_e64 s[4:5], |v60|, s27
	v_cndmask_b32_e64 v60, v60, v62, s[4:5]
	v_sub_f32_e32 v60, v60, v61
	v_sub_f32_e64 v61, 1.0, |v5|
	v_add_f32_e64 v62, |v5|, s31
	v_cmp_lt_f32_e64 s[4:5], |v5|, s30
	v_cndmask_b32_e64 v61, v61, v62, s[4:5]
	v_cndmask_b32_e64 v62, 0, 1, s[4:5]
	v_cmp_lt_f32_e64 s[4:5], |v5|, s33
	v_xor_b32_e32 v60, 0x80000000, v60
	v_cndmask_b32_e64 v61, v61, |v5|, s[4:5]
	v_cndmask_b32_e64 v62, v62, 2, s[4:5]
.LBB15_305:                             ;   in Loop: Header=BB15_177 Depth=1
	s_andn2_saveexec_b64 s[14:15], s[14:15]
	s_cbranch_execz .LBB15_307
; %bb.306:                              ;   in Loop: Header=BB15_177 Depth=1
	v_sub_f32_e64 v60, 2.0, |v5|
	v_add_f32_e64 v61, |v5|, s35
	v_cmp_lt_f32_e64 s[4:5], |v5|, s34
	v_cndmask_b32_e64 v61, v60, v61, s[4:5]
	v_cndmask_b32_e64 v60, v60, 1.0, s[4:5]
	v_cvt_i32_f32_e32 v60, v60
	v_add_f32_e64 v62, |v5|, -1.0
	v_cmp_lt_f32_e64 s[4:5], |v5|, s36
	v_cndmask_b32_e64 v61, v61, v62, s[4:5]
	v_cndmask_b32_e64 v62, v60, 2, s[4:5]
	v_mov_b32_e32 v60, 0
.LBB15_307:                             ;   in Loop: Header=BB15_177 Depth=1
	s_or_b64 exec, exec, s[14:15]
	v_cmp_lt_i32_e64 s[4:5], 0, v62
	s_and_saveexec_b64 s[14:15], s[4:5]
	s_xor_b64 s[14:15], exec, s[14:15]
	s_cbranch_execz .LBB15_315
; %bb.308:                              ;   in Loop: Header=BB15_177 Depth=1
	v_cmp_lt_i32_e64 s[4:5], 1, v62
	s_and_saveexec_b64 s[16:17], s[4:5]
	s_xor_b64 s[16:17], exec, s[16:17]
	s_cbranch_execz .LBB15_312
; %bb.309:                              ;   in Loop: Header=BB15_177 Depth=1
	v_cmp_eq_u32_e64 s[4:5], 2, v62
	s_and_saveexec_b64 s[18:19], s[4:5]
	s_cbranch_execz .LBB15_311
; %bb.310:                              ;   in Loop: Header=BB15_177 Depth=1
	v_mov_b32_e32 v63, 0x3dd572af
	v_fmac_f32_e32 v63, 0x3b52d5db, v61
	v_fma_f32 v63, v61, v63, v23
	v_mov_b32_e32 v62, 0x3e6a7578
	v_fma_f32 v63, v61, v63, v24
	v_fmac_f32_e32 v62, 0x3c5b3c5e, v61
	v_fma_f32 v63, v61, v63, v25
	v_fma_f32 v62, v61, v62, v20
	v_fma_f32 v63, v61, v63, 1.0
	v_fma_f32 v62, v61, v62, v21
	v_rcp_f32_e32 v63, v63
	v_fma_f32 v62, v61, v62, v22
	v_fma_f32 v62, v61, v62, v15
	v_mul_f32_e32 v62, v61, v62
	v_mul_f32_e32 v62, v62, v63
	v_fmac_f32_e32 v62, -0.5, v61
	v_add_f32_e32 v60, v60, v62
.LBB15_311:                             ;   in Loop: Header=BB15_177 Depth=1
	s_or_b64 exec, exec, s[18:19]
                                        ; implicit-def: $vgpr61
.LBB15_312:                             ;   in Loop: Header=BB15_177 Depth=1
	s_andn2_saveexec_b64 s[4:5], s[16:17]
	s_cbranch_execz .LBB15_314
; %bb.313:                              ;   in Loop: Header=BB15_177 Depth=1
	v_mul_f32_e32 v62, v61, v61
	v_mul_f32_e32 v63, v61, v62
	v_mov_b32_e32 v65, 0x3a66f867
	v_mov_b32_e32 v66, 0xba0d3085
	v_fmac_f32_e32 v65, 0xb9a3f927, v63
	v_fmac_f32_e32 v66, 0x39afe9f7, v63
	v_mov_b32_e32 v64, 0xbab7f476
	v_fma_f32 v65, v63, v65, v29
	v_fma_f32 v66, v63, v66, v32
	v_fmac_f32_e32 v64, 0x39a57b6b, v63
	v_fma_f32 v65, v63, v65, v30
	v_fma_f32 v66, v63, v66, v33
	;; [unrolled: 1-line block ×6, first 2 shown]
	v_fmac_f32_e32 v65, v61, v66
	v_fma_f32 v64, v63, v64, v28
	v_fma_f32 v61, v63, -v65, s37
	v_fma_f32 v61, v62, v64, -v61
	v_add_f32_e32 v61, 0xbdf8cdce, v61
	v_add_f32_e32 v60, v60, v61
.LBB15_314:                             ;   in Loop: Header=BB15_177 Depth=1
	s_or_b64 exec, exec, s[4:5]
                                        ; implicit-def: $vgpr62
                                        ; implicit-def: $vgpr61
.LBB15_315:                             ;   in Loop: Header=BB15_177 Depth=1
	s_andn2_saveexec_b64 s[14:15], s[14:15]
	s_cbranch_execz .LBB15_319
; %bb.316:                              ;   in Loop: Header=BB15_177 Depth=1
	v_cmp_eq_u32_e64 s[4:5], 0, v62
	s_and_saveexec_b64 s[16:17], s[4:5]
	s_cbranch_execz .LBB15_318
; %bb.317:                              ;   in Loop: Header=BB15_177 Depth=1
	v_mul_f32_e32 v62, v61, v61
	v_mov_b32_e32 v64, 0x38e28445
	v_mov_b32_e32 v63, 0x39679767
	v_fmac_f32_e32 v64, 0x383c2c75, v62
	v_fmac_f32_e32 v63, 0x37d383a2, v62
	v_fma_f32 v64, v62, v64, v39
	v_fma_f32 v63, v62, v63, v35
	;; [unrolled: 1-line block ×8, first 2 shown]
	v_mul_f32_e32 v62, v62, v64
	v_fmac_f32_e32 v62, v61, v63
	v_fmac_f32_e32 v62, -0.5, v61
	v_add_f32_e32 v60, v60, v62
.LBB15_318:                             ;   in Loop: Header=BB15_177 Depth=1
	s_or_b64 exec, exec, s[16:17]
.LBB15_319:                             ;   in Loop: Header=BB15_177 Depth=1
	s_or_b64 exec, exec, s[14:15]
.LBB15_320:                             ;   in Loop: Header=BB15_177 Depth=1
	s_or_b64 exec, exec, s[6:7]
.LBB15_321:                             ;   in Loop: Header=BB15_177 Depth=1
	s_andn2_saveexec_b64 s[8:9], s[8:9]
	s_cbranch_execz .LBB15_323
; %bb.322:                              ;   in Loop: Header=BB15_177 Depth=1
	v_cmp_lt_f32_e64 s[4:5], |v5|, s25
	v_cndmask_b32_e64 v60, 0, 32, s[4:5]
	v_ldexp_f32 v60, |v5|, v60
	v_log_f32_e32 v60, v60
	v_fma_f32 v61, |v5|, s38, v50
	v_fma_f32 v61, |v5|, v61, s39
	;; [unrolled: 1-line block ×3, first 2 shown]
	v_mul_f32_e32 v62, 0x3f317217, v60
	v_fma_f32 v63, v60, s26, -v62
	v_fmac_f32_e32 v63, 0x3377d1cf, v60
	v_add_f32_e32 v62, v62, v63
	v_cmp_lt_f32_e64 s[6:7], |v60|, s27
	v_cndmask_b32_e64 v60, v60, v62, s[6:7]
	v_cndmask_b32_e64 v62, 0, v49, s[4:5]
	v_sub_f32_e32 v60, v60, v62
	v_fma_f32 v60, |v5|, v61, -v60
.LBB15_323:                             ;   in Loop: Header=BB15_177 Depth=1
	s_or_b64 exec, exec, s[8:9]
	v_cmp_le_f32_e64 s[4:5], 0, v5
	v_cmp_nle_f32_e64 s[6:7], 0, v5
	s_and_saveexec_b64 s[8:9], s[6:7]
	s_xor_b64 s[14:15], exec, s[8:9]
	s_cbranch_execz .LBB15_327
; %bb.324:                              ;   in Loop: Header=BB15_177 Depth=1
	v_cmp_lt_f32_e64 s[6:7], |v5|, s41
	v_cmp_gt_f32_e64 s[8:9], |v5|, s42
	s_and_b64 s[6:7], s[6:7], s[8:9]
	s_and_saveexec_b64 s[16:17], s[6:7]
	s_cbranch_execz .LBB15_326
; %bb.325:                              ;   in Loop: Header=BB15_177 Depth=1
	v_mul_f32_e64 v61, |v5|, 0.5
	v_floor_f32_e32 v62, v61
	v_sub_f32_e32 v62, v61, v62
	v_min_f32_e32 v62, 0x3f7fffff, v62
	v_add_f32_e32 v62, v62, v62
	v_cmp_neq_f32_e64 s[6:7], s27, v61
	v_cndmask_b32_e64 v61, 0, v62, s[6:7]
	v_cmp_gt_f32_e64 s[6:7], |v5|, 1.0
	v_cndmask_b32_e64 v61, |v5|, v61, s[6:7]
	v_add_f32_e32 v62, v61, v61
	v_rndne_f32_e32 v62, v62
	v_fmac_f32_e32 v61, -0.5, v62
	v_mul_f32_e32 v63, v61, v61
	v_mov_b32_e32 v64, 0xbf1f24be
	v_fmac_f32_e32 v64, 0x3e75aa41, v63
	v_fma_f32 v64, v63, v64, v43
	v_fma_f32 v64, v63, v64, v44
	v_mul_f32_e32 v65, v61, v63
	v_mul_f32_e32 v64, v65, v64
	v_fmac_f32_e32 v64, 0x40490fdb, v61
	v_mov_b32_e32 v61, 0x3e642e9d
	v_cvt_i32_f32_e32 v62, v62
	v_fmac_f32_e32 v61, 0x3d4be544, v63
	v_fma_f32 v61, v63, v61, v45
	v_fma_f32 v61, v63, v61, v46
	;; [unrolled: 1-line block ×3, first 2 shown]
	v_fma_f32 v61, v63, v61, 1.0
	v_and_b32_e32 v63, 1, v62
	v_cmp_eq_u32_e64 s[6:7], 0, v63
	v_lshlrev_b32_e32 v62, 30, v62
	v_cndmask_b32_e64 v61, v61, v64, s[6:7]
	v_and_or_b32 v59, v62, s29, v59
	v_xor_b32_e32 v59, v59, v61
	v_xor_b32_e32 v59, v59, v5
	v_mul_f32_e32 v59, v5, v59
	v_frexp_mant_f32_e64 v61, |v59|
	v_rcp_f32_e32 v61, v61
	v_frexp_exp_i32_f32_e32 v59, v59
	v_sub_u32_e32 v59, 2, v59
	v_mul_f32_e32 v61, 0x3f490fdb, v61
	v_ldexp_f32 v59, v61, v59
	v_cmp_gt_f32_e64 s[6:7], s25, v59
	v_cndmask_b32_e64 v61, 0, 32, s[6:7]
	v_ldexp_f32 v59, v59, v61
	v_log_f32_e32 v59, v59
	v_mul_f32_e32 v61, 0x3f317217, v59
	v_fma_f32 v62, v59, s26, -v61
	v_fmac_f32_e32 v62, 0x3377d1cf, v59
	v_add_f32_e32 v61, v61, v62
	v_cmp_lt_f32_e64 s[8:9], |v59|, s27
	v_cndmask_b32_e64 v59, v59, v61, s[8:9]
	v_cndmask_b32_e64 v61, 0, v49, s[6:7]
	v_sub_f32_e32 v59, v59, v61
	v_sub_f32_e32 v59, v59, v60
	v_floor_f32_e32 v60, v5
	v_sub_f32_e32 v60, v5, v60
	v_min_f32_e32 v60, 0x3f7fffff, v60
	v_cmp_neq_f32_e64 s[6:7], 0, v60
	v_cndmask_b32_e64 v60, v51, v59, s[6:7]
.LBB15_326:                             ;   in Loop: Header=BB15_177 Depth=1
	s_or_b64 exec, exec, s[16:17]
.LBB15_327:                             ;   in Loop: Header=BB15_177 Depth=1
	s_andn2_saveexec_b64 s[14:15], s[14:15]
	s_cbranch_execz .LBB15_176
; %bb.328:                              ;   in Loop: Header=BB15_177 Depth=1
	v_cmp_eq_f32_e64 s[6:7], 1.0, v5
	v_cmp_eq_f32_e64 s[8:9], 2.0, v5
	s_or_b64 s[6:7], s[6:7], s[8:9]
	v_cndmask_b32_e64 v60, v60, 0, s[6:7]
	s_branch .LBB15_176
.LBB15_329:
	s_endpgm
	.section	.rodata,"a",@progbits
	.p2align	6, 0x0
	.amdhsa_kernel _ZN2at6native12_GLOBAL__N_125multi_tensor_apply_kernelINS1_18TensorListMetadataILi1EEENS1_14UnaryOpFunctorIN3c108BFloat16ELi1ELi1ELi0EEEJNS0_6LgammaIfEEEEEvT_T0_DpT1_
		.amdhsa_group_segment_fixed_size 0
		.amdhsa_private_segment_fixed_size 0
		.amdhsa_kernarg_size 3632
		.amdhsa_user_sgpr_count 6
		.amdhsa_user_sgpr_private_segment_buffer 1
		.amdhsa_user_sgpr_dispatch_ptr 0
		.amdhsa_user_sgpr_queue_ptr 0
		.amdhsa_user_sgpr_kernarg_segment_ptr 1
		.amdhsa_user_sgpr_dispatch_id 0
		.amdhsa_user_sgpr_flat_scratch_init 0
		.amdhsa_user_sgpr_private_segment_size 0
		.amdhsa_uses_dynamic_stack 0
		.amdhsa_system_sgpr_private_segment_wavefront_offset 0
		.amdhsa_system_sgpr_workgroup_id_x 1
		.amdhsa_system_sgpr_workgroup_id_y 0
		.amdhsa_system_sgpr_workgroup_id_z 0
		.amdhsa_system_sgpr_workgroup_info 0
		.amdhsa_system_vgpr_workitem_id 0
		.amdhsa_next_free_vgpr 75
		.amdhsa_next_free_sgpr 63
		.amdhsa_reserve_vcc 1
		.amdhsa_reserve_flat_scratch 0
		.amdhsa_float_round_mode_32 0
		.amdhsa_float_round_mode_16_64 0
		.amdhsa_float_denorm_mode_32 3
		.amdhsa_float_denorm_mode_16_64 3
		.amdhsa_dx10_clamp 1
		.amdhsa_ieee_mode 1
		.amdhsa_fp16_overflow 0
		.amdhsa_exception_fp_ieee_invalid_op 0
		.amdhsa_exception_fp_denorm_src 0
		.amdhsa_exception_fp_ieee_div_zero 0
		.amdhsa_exception_fp_ieee_overflow 0
		.amdhsa_exception_fp_ieee_underflow 0
		.amdhsa_exception_fp_ieee_inexact 0
		.amdhsa_exception_int_div_zero 0
	.end_amdhsa_kernel
	.section	.text._ZN2at6native12_GLOBAL__N_125multi_tensor_apply_kernelINS1_18TensorListMetadataILi1EEENS1_14UnaryOpFunctorIN3c108BFloat16ELi1ELi1ELi0EEEJNS0_6LgammaIfEEEEEvT_T0_DpT1_,"axG",@progbits,_ZN2at6native12_GLOBAL__N_125multi_tensor_apply_kernelINS1_18TensorListMetadataILi1EEENS1_14UnaryOpFunctorIN3c108BFloat16ELi1ELi1ELi0EEEJNS0_6LgammaIfEEEEEvT_T0_DpT1_,comdat
.Lfunc_end15:
	.size	_ZN2at6native12_GLOBAL__N_125multi_tensor_apply_kernelINS1_18TensorListMetadataILi1EEENS1_14UnaryOpFunctorIN3c108BFloat16ELi1ELi1ELi0EEEJNS0_6LgammaIfEEEEEvT_T0_DpT1_, .Lfunc_end15-_ZN2at6native12_GLOBAL__N_125multi_tensor_apply_kernelINS1_18TensorListMetadataILi1EEENS1_14UnaryOpFunctorIN3c108BFloat16ELi1ELi1ELi0EEEJNS0_6LgammaIfEEEEEvT_T0_DpT1_
                                        ; -- End function
	.set _ZN2at6native12_GLOBAL__N_125multi_tensor_apply_kernelINS1_18TensorListMetadataILi1EEENS1_14UnaryOpFunctorIN3c108BFloat16ELi1ELi1ELi0EEEJNS0_6LgammaIfEEEEEvT_T0_DpT1_.num_vgpr, 75
	.set _ZN2at6native12_GLOBAL__N_125multi_tensor_apply_kernelINS1_18TensorListMetadataILi1EEENS1_14UnaryOpFunctorIN3c108BFloat16ELi1ELi1ELi0EEEJNS0_6LgammaIfEEEEEvT_T0_DpT1_.num_agpr, 0
	.set _ZN2at6native12_GLOBAL__N_125multi_tensor_apply_kernelINS1_18TensorListMetadataILi1EEENS1_14UnaryOpFunctorIN3c108BFloat16ELi1ELi1ELi0EEEJNS0_6LgammaIfEEEEEvT_T0_DpT1_.numbered_sgpr, 63
	.set _ZN2at6native12_GLOBAL__N_125multi_tensor_apply_kernelINS1_18TensorListMetadataILi1EEENS1_14UnaryOpFunctorIN3c108BFloat16ELi1ELi1ELi0EEEJNS0_6LgammaIfEEEEEvT_T0_DpT1_.num_named_barrier, 0
	.set _ZN2at6native12_GLOBAL__N_125multi_tensor_apply_kernelINS1_18TensorListMetadataILi1EEENS1_14UnaryOpFunctorIN3c108BFloat16ELi1ELi1ELi0EEEJNS0_6LgammaIfEEEEEvT_T0_DpT1_.private_seg_size, 0
	.set _ZN2at6native12_GLOBAL__N_125multi_tensor_apply_kernelINS1_18TensorListMetadataILi1EEENS1_14UnaryOpFunctorIN3c108BFloat16ELi1ELi1ELi0EEEJNS0_6LgammaIfEEEEEvT_T0_DpT1_.uses_vcc, 1
	.set _ZN2at6native12_GLOBAL__N_125multi_tensor_apply_kernelINS1_18TensorListMetadataILi1EEENS1_14UnaryOpFunctorIN3c108BFloat16ELi1ELi1ELi0EEEJNS0_6LgammaIfEEEEEvT_T0_DpT1_.uses_flat_scratch, 0
	.set _ZN2at6native12_GLOBAL__N_125multi_tensor_apply_kernelINS1_18TensorListMetadataILi1EEENS1_14UnaryOpFunctorIN3c108BFloat16ELi1ELi1ELi0EEEJNS0_6LgammaIfEEEEEvT_T0_DpT1_.has_dyn_sized_stack, 0
	.set _ZN2at6native12_GLOBAL__N_125multi_tensor_apply_kernelINS1_18TensorListMetadataILi1EEENS1_14UnaryOpFunctorIN3c108BFloat16ELi1ELi1ELi0EEEJNS0_6LgammaIfEEEEEvT_T0_DpT1_.has_recursion, 0
	.set _ZN2at6native12_GLOBAL__N_125multi_tensor_apply_kernelINS1_18TensorListMetadataILi1EEENS1_14UnaryOpFunctorIN3c108BFloat16ELi1ELi1ELi0EEEJNS0_6LgammaIfEEEEEvT_T0_DpT1_.has_indirect_call, 0
	.section	.AMDGPU.csdata,"",@progbits
; Kernel info:
; codeLenInByte = 19416
; TotalNumSgprs: 67
; NumVgprs: 75
; ScratchSize: 0
; MemoryBound: 0
; FloatMode: 240
; IeeeMode: 1
; LDSByteSize: 0 bytes/workgroup (compile time only)
; SGPRBlocks: 8
; VGPRBlocks: 18
; NumSGPRsForWavesPerEU: 67
; NumVGPRsForWavesPerEU: 75
; Occupancy: 3
; WaveLimiterHint : 0
; COMPUTE_PGM_RSRC2:SCRATCH_EN: 0
; COMPUTE_PGM_RSRC2:USER_SGPR: 6
; COMPUTE_PGM_RSRC2:TRAP_HANDLER: 0
; COMPUTE_PGM_RSRC2:TGID_X_EN: 1
; COMPUTE_PGM_RSRC2:TGID_Y_EN: 0
; COMPUTE_PGM_RSRC2:TGID_Z_EN: 0
; COMPUTE_PGM_RSRC2:TIDIG_COMP_CNT: 0
	.section	.text._ZN2at6native12_GLOBAL__N_125multi_tensor_apply_kernelINS1_18TensorListMetadataILi2EEENS1_14UnaryOpFunctorIdLi2ELi1ELi1EEEJNS0_6TruncfIdEEEEEvT_T0_DpT1_,"axG",@progbits,_ZN2at6native12_GLOBAL__N_125multi_tensor_apply_kernelINS1_18TensorListMetadataILi2EEENS1_14UnaryOpFunctorIdLi2ELi1ELi1EEEJNS0_6TruncfIdEEEEEvT_T0_DpT1_,comdat
	.globl	_ZN2at6native12_GLOBAL__N_125multi_tensor_apply_kernelINS1_18TensorListMetadataILi2EEENS1_14UnaryOpFunctorIdLi2ELi1ELi1EEEJNS0_6TruncfIdEEEEEvT_T0_DpT1_ ; -- Begin function _ZN2at6native12_GLOBAL__N_125multi_tensor_apply_kernelINS1_18TensorListMetadataILi2EEENS1_14UnaryOpFunctorIdLi2ELi1ELi1EEEJNS0_6TruncfIdEEEEEvT_T0_DpT1_
	.p2align	8
	.type	_ZN2at6native12_GLOBAL__N_125multi_tensor_apply_kernelINS1_18TensorListMetadataILi2EEENS1_14UnaryOpFunctorIdLi2ELi1ELi1EEEJNS0_6TruncfIdEEEEEvT_T0_DpT1_,@function
_ZN2at6native12_GLOBAL__N_125multi_tensor_apply_kernelINS1_18TensorListMetadataILi2EEENS1_14UnaryOpFunctorIdLi2ELi1ELi1EEEJNS0_6TruncfIdEEEEEvT_T0_DpT1_: ; @_ZN2at6native12_GLOBAL__N_125multi_tensor_apply_kernelINS1_18TensorListMetadataILi2EEENS1_14UnaryOpFunctorIdLi2ELi1ELi1EEEJNS0_6TruncfIdEEEEEvT_T0_DpT1_
; %bb.0:
	v_mov_b32_e32 v1, s6
	global_load_ubyte v1, v1, s[4:5] offset:1536
	s_add_u32 s0, s4, s6
	s_mul_hi_u32 s1, s6, 3
	s_mul_i32 s6, s6, 3
	s_addc_u32 s2, s5, 0
	s_add_u32 s0, s0, s6
	s_addc_u32 s1, s2, s1
	s_load_dword s6, s[0:1], 0x740
	s_mov_b32 s11, 0
	s_mov_b32 s13, s11
	s_waitcnt vmcnt(0)
	v_readfirstlane_b32 s0, v1
	s_lshl_b32 s7, s0, 3
	s_load_dwordx2 s[14:15], s[4:5], s7 offset:0x400
	s_load_dwordx2 s[2:3], s[4:5], s7 offset:0x0
	;; [unrolled: 1-line block ×3, first 2 shown]
	s_waitcnt lgkmcnt(0)
	s_ashr_i32 s7, s6, 31
	s_lshl_b64 s[8:9], s[6:7], 19
	s_lshl_b64 s[6:7], s[6:7], 16
	s_add_u32 s10, s2, s8
	s_and_b32 s12, s0, 31
	s_and_b32 s10, s10, 31
	s_sub_u32 s6, s14, s6
	s_subb_u32 s7, s15, s7
	s_and_b32 s14, s14, 3
	s_mov_b32 s15, s11
	s_or_b64 s[12:13], s[12:13], s[14:15]
	s_or_b64 s[10:11], s[12:13], s[10:11]
	s_cmp_eq_u64 s[10:11], 0
	s_mov_b64 s[10:11], -1
	s_cbranch_scc0 .LBB16_5
; %bb.1:
	v_mov_b32_e32 v1, 0x10000
	v_mov_b32_e32 v2, 0
	v_cmp_lt_i64_e32 vcc, s[6:7], v[1:2]
	v_mov_b32_e32 v2, 0
	s_and_b64 s[10:11], vcc, exec
	s_cselect_b32 s11, s7, 0
	s_cselect_b32 s10, s6, 0x10000
	v_lshlrev_b32_e32 v1, 2, v0
	v_cmp_gt_i64_e32 vcc, s[10:11], v[1:2]
	s_and_saveexec_b64 s[12:13], vcc
	s_cbranch_execz .LBB16_4
; %bb.2:
	s_load_dword s14, s[4:5], 0xc5c
	v_mov_b32_e32 v1, v2
	v_lshlrev_b32_e32 v2, 5, v0
	v_mov_b32_e32 v4, s9
	v_add_co_u32_e32 v3, vcc, s8, v2
	s_waitcnt lgkmcnt(0)
	s_and_b32 s16, s14, 0xffff
	v_mov_b32_e32 v2, v1
	v_addc_co_u32_e32 v4, vcc, 0, v4, vcc
	s_lshl_b32 s17, s16, 5
	s_mov_b64 s[14:15], 0
	v_mov_b32_e32 v5, s3
	v_mov_b32_e32 v6, s1
	;; [unrolled: 1-line block ×3, first 2 shown]
.LBB16_3:                               ; =>This Inner Loop Header: Depth=1
	v_add_co_u32_e32 v15, vcc, s2, v3
	v_addc_co_u32_e32 v16, vcc, v5, v4, vcc
	global_load_dwordx4 v[7:10], v[15:16], off
	global_load_dwordx4 v[11:14], v[15:16], off offset:16
	v_add_co_u32_e32 v15, vcc, s0, v3
	v_addc_co_u32_e32 v16, vcc, v6, v4, vcc
	v_add_co_u32_e32 v1, vcc, s16, v1
	v_addc_co_u32_e32 v2, vcc, 0, v2, vcc
	v_add_co_u32_e32 v3, vcc, s17, v3
	v_lshlrev_b64 v[17:18], 2, v[1:2]
	v_addc_co_u32_e32 v4, vcc, 0, v4, vcc
	v_cmp_le_i64_e32 vcc, s[10:11], v[17:18]
	s_or_b64 s[14:15], vcc, s[14:15]
	s_waitcnt vmcnt(1)
	v_trunc_f64_e32 v[7:8], v[7:8]
	v_trunc_f64_e32 v[9:10], v[9:10]
	s_waitcnt vmcnt(0)
	v_trunc_f64_e32 v[11:12], v[11:12]
	v_trunc_f64_e32 v[13:14], v[13:14]
	global_store_dwordx4 v[15:16], v[7:10], off
	global_store_dwordx4 v[15:16], v[11:14], off offset:16
	s_andn2_b64 exec, exec, s[14:15]
	s_cbranch_execnz .LBB16_3
.LBB16_4:
	s_or_b64 exec, exec, s[12:13]
	s_mov_b64 s[10:11], 0
.LBB16_5:
	s_andn2_b64 vcc, exec, s[10:11]
	s_cbranch_vccnz .LBB16_25
; %bb.6:
	v_cmp_lt_i64_e64 s[10:11], s[6:7], 1
	s_and_b64 vcc, exec, s[10:11]
	s_cbranch_vccnz .LBB16_25
; %bb.7:
	v_mov_b32_e32 v1, 0x10000
	s_load_dword s12, s[4:5], 0xc5c
	v_mov_b32_e32 v2, 0
	v_cmp_lt_i64_e32 vcc, s[6:7], v[1:2]
	v_mov_b32_e32 v3, 0
	s_and_b64 s[4:5], vcc, exec
	v_cmp_lt_u64_e32 vcc, s[6:7], v[1:2]
	s_cselect_b32 s11, s7, 0
	s_cselect_b32 s10, s6, 0x10000
	s_waitcnt lgkmcnt(0)
	s_and_b32 s14, s12, 0xffff
	v_lshlrev_b32_e32 v2, 3, v0
	s_and_b64 s[4:5], vcc, exec
	v_mov_b32_e32 v1, s3
	v_add_co_u32_e32 v9, vcc, s2, v2
	v_mad_u64_u32 v[3:4], s[4:5], s14, 24, v[2:3]
	v_addc_co_u32_e32 v10, vcc, 0, v1, vcc
	v_mov_b32_e32 v1, s1
	v_add_co_u32_e32 v11, vcc, s0, v2
	v_addc_co_u32_e32 v12, vcc, 0, v1, vcc
	v_mov_b32_e32 v1, s3
	v_add_co_u32_e32 v13, vcc, s2, v3
	;; [unrolled: 3-line block ×3, first 2 shown]
	s_cselect_b32 s13, s7, 0
	s_cselect_b32 s12, s6, 0x10000
	v_addc_co_u32_e32 v16, vcc, v1, v4, vcc
	s_lshl_b32 s4, s14, 4
	v_add_co_u32_e32 v1, vcc, s4, v2
	v_addc_co_u32_e64 v2, s[4:5], 0, 0, vcc
	v_mov_b32_e32 v3, s3
	v_add_co_u32_e32 v17, vcc, s2, v1
	v_addc_co_u32_e32 v18, vcc, v3, v2, vcc
	v_mov_b32_e32 v3, s1
	v_add_co_u32_e32 v19, vcc, s0, v1
	v_addc_co_u32_e32 v20, vcc, v3, v2, vcc
	v_add_co_u32_e32 v21, vcc, s14, v0
	v_lshlrev_b32_e32 v1, 3, v21
	v_addc_co_u32_e64 v22, s[4:5], 0, 0, vcc
	v_mov_b32_e32 v2, s3
	v_add_co_u32_e32 v23, vcc, s2, v1
	v_addc_co_u32_e32 v24, vcc, 0, v2, vcc
	v_mov_b32_e32 v2, s1
	v_add_co_u32_e32 v25, vcc, s0, v1
	s_mul_i32 s7, s14, 3
	v_addc_co_u32_e32 v26, vcc, 0, v2, vcc
	s_lshl_b32 s6, s14, 1
	v_add_co_u32_e32 v27, vcc, s7, v0
	v_addc_co_u32_e64 v28, s[0:1], 0, 0, vcc
	v_add_co_u32_e32 v29, vcc, s6, v0
	s_lshl_b32 s18, s14, 2
	s_lshl_b32 s19, s14, 5
	s_mov_b64 s[14:15], 0
	v_addc_co_u32_e64 v30, s[0:1], 0, 0, vcc
	s_branch .LBB16_9
.LBB16_8:                               ;   in Loop: Header=BB16_9 Depth=1
	s_or_b64 exec, exec, s[0:1]
	v_add_co_u32_e32 v9, vcc, s19, v9
	v_addc_co_u32_e32 v10, vcc, 0, v10, vcc
	v_add_co_u32_e32 v11, vcc, s19, v11
	v_addc_co_u32_e32 v12, vcc, 0, v12, vcc
	;; [unrolled: 2-line block ×6, first 2 shown]
	s_add_u32 s14, s14, s18
	v_add_co_u32_e32 v23, vcc, s19, v23
	v_mov_b32_e32 v1, s10
	s_addc_u32 s15, s15, 0
	v_addc_co_u32_e32 v24, vcc, 0, v24, vcc
	v_mov_b32_e32 v2, s11
	v_cmp_ge_i64_e32 vcc, s[14:15], v[1:2]
	v_add_co_u32_e64 v25, s[0:1], s19, v25
	v_addc_co_u32_e64 v26, s[0:1], 0, v26, s[0:1]
	s_cbranch_vccnz .LBB16_25
.LBB16_9:                               ; =>This Inner Loop Header: Depth=1
	v_mov_b32_e32 v2, s15
	v_add_co_u32_e32 v1, vcc, s14, v0
	v_addc_co_u32_e32 v2, vcc, 0, v2, vcc
	v_cmp_gt_u64_e32 vcc, s[12:13], v[1:2]
	v_mov_b32_e32 v1, 0
	v_mov_b32_e32 v3, 0
	;; [unrolled: 1-line block ×4, first 2 shown]
	s_and_saveexec_b64 s[2:3], vcc
	s_cbranch_execz .LBB16_11
; %bb.10:                               ;   in Loop: Header=BB16_9 Depth=1
	v_mov_b32_e32 v4, s9
	v_add_co_u32_e64 v3, s[0:1], s8, v9
	v_addc_co_u32_e64 v4, s[0:1], v10, v4, s[0:1]
	global_load_dwordx2 v[3:4], v[3:4], off
	s_waitcnt vmcnt(0)
	v_trunc_f64_e32 v[3:4], v[3:4]
.LBB16_11:                              ;   in Loop: Header=BB16_9 Depth=1
	s_or_b64 exec, exec, s[2:3]
	v_mov_b32_e32 v6, s15
	v_add_co_u32_e64 v5, s[0:1], s14, v21
	v_addc_co_u32_e64 v6, s[0:1], v22, v6, s[0:1]
	v_cmp_gt_u64_e64 s[0:1], s[12:13], v[5:6]
	s_and_saveexec_b64 s[4:5], s[0:1]
	s_cbranch_execz .LBB16_13
; %bb.12:                               ;   in Loop: Header=BB16_9 Depth=1
	v_mov_b32_e32 v2, s9
	v_add_co_u32_e64 v1, s[2:3], s8, v23
	v_addc_co_u32_e64 v2, s[2:3], v24, v2, s[2:3]
	global_load_dwordx2 v[1:2], v[1:2], off
	s_waitcnt vmcnt(0)
	v_trunc_f64_e32 v[1:2], v[1:2]
.LBB16_13:                              ;   in Loop: Header=BB16_9 Depth=1
	s_or_b64 exec, exec, s[4:5]
	v_mov_b32_e32 v6, s15
	v_add_co_u32_e64 v5, s[2:3], s14, v29
	v_addc_co_u32_e64 v6, s[2:3], v30, v6, s[2:3]
	v_cmp_gt_u64_e64 s[2:3], s[12:13], v[5:6]
	v_mov_b32_e32 v5, 0
	v_mov_b32_e32 v7, 0
	;; [unrolled: 1-line block ×4, first 2 shown]
	s_and_saveexec_b64 s[6:7], s[2:3]
	s_cbranch_execz .LBB16_15
; %bb.14:                               ;   in Loop: Header=BB16_9 Depth=1
	v_mov_b32_e32 v8, s9
	v_add_co_u32_e64 v7, s[4:5], s8, v17
	v_addc_co_u32_e64 v8, s[4:5], v18, v8, s[4:5]
	global_load_dwordx2 v[7:8], v[7:8], off
	s_waitcnt vmcnt(0)
	v_trunc_f64_e32 v[7:8], v[7:8]
.LBB16_15:                              ;   in Loop: Header=BB16_9 Depth=1
	s_or_b64 exec, exec, s[6:7]
	v_mov_b32_e32 v32, s15
	v_add_co_u32_e64 v31, s[4:5], s14, v27
	v_addc_co_u32_e64 v32, s[4:5], v28, v32, s[4:5]
	v_cmp_gt_u64_e64 s[4:5], s[12:13], v[31:32]
	s_and_saveexec_b64 s[16:17], s[4:5]
	s_cbranch_execnz .LBB16_20
; %bb.16:                               ;   in Loop: Header=BB16_9 Depth=1
	s_or_b64 exec, exec, s[16:17]
	s_and_saveexec_b64 s[6:7], vcc
	s_cbranch_execnz .LBB16_21
.LBB16_17:                              ;   in Loop: Header=BB16_9 Depth=1
	s_or_b64 exec, exec, s[6:7]
	s_and_saveexec_b64 s[6:7], s[0:1]
	s_cbranch_execnz .LBB16_22
.LBB16_18:                              ;   in Loop: Header=BB16_9 Depth=1
	s_or_b64 exec, exec, s[6:7]
	s_and_saveexec_b64 s[0:1], s[2:3]
	s_cbranch_execnz .LBB16_23
.LBB16_19:                              ;   in Loop: Header=BB16_9 Depth=1
	s_or_b64 exec, exec, s[0:1]
	s_and_saveexec_b64 s[0:1], s[4:5]
	s_cbranch_execz .LBB16_8
	s_branch .LBB16_24
.LBB16_20:                              ;   in Loop: Header=BB16_9 Depth=1
	v_mov_b32_e32 v6, s9
	v_add_co_u32_e64 v5, s[6:7], s8, v13
	v_addc_co_u32_e64 v6, s[6:7], v14, v6, s[6:7]
	global_load_dwordx2 v[5:6], v[5:6], off
	s_waitcnt vmcnt(0)
	v_trunc_f64_e32 v[5:6], v[5:6]
	s_or_b64 exec, exec, s[16:17]
	s_and_saveexec_b64 s[6:7], vcc
	s_cbranch_execz .LBB16_17
.LBB16_21:                              ;   in Loop: Header=BB16_9 Depth=1
	v_mov_b32_e32 v32, s9
	v_add_co_u32_e32 v31, vcc, s8, v11
	v_addc_co_u32_e32 v32, vcc, v12, v32, vcc
	global_store_dwordx2 v[31:32], v[3:4], off
	s_or_b64 exec, exec, s[6:7]
	s_and_saveexec_b64 s[6:7], s[0:1]
	s_cbranch_execz .LBB16_18
.LBB16_22:                              ;   in Loop: Header=BB16_9 Depth=1
	v_mov_b32_e32 v4, s9
	v_add_co_u32_e32 v3, vcc, s8, v25
	v_addc_co_u32_e32 v4, vcc, v26, v4, vcc
	global_store_dwordx2 v[3:4], v[1:2], off
	s_or_b64 exec, exec, s[6:7]
	s_and_saveexec_b64 s[0:1], s[2:3]
	s_cbranch_execz .LBB16_19
.LBB16_23:                              ;   in Loop: Header=BB16_9 Depth=1
	v_mov_b32_e32 v2, s9
	v_add_co_u32_e32 v1, vcc, s8, v19
	v_addc_co_u32_e32 v2, vcc, v20, v2, vcc
	global_store_dwordx2 v[1:2], v[7:8], off
	s_or_b64 exec, exec, s[0:1]
	s_and_saveexec_b64 s[0:1], s[4:5]
	s_cbranch_execz .LBB16_8
.LBB16_24:                              ;   in Loop: Header=BB16_9 Depth=1
	v_mov_b32_e32 v2, s9
	v_add_co_u32_e32 v1, vcc, s8, v15
	v_addc_co_u32_e32 v2, vcc, v16, v2, vcc
	global_store_dwordx2 v[1:2], v[5:6], off
	s_branch .LBB16_8
.LBB16_25:
	s_endpgm
	.section	.rodata,"a",@progbits
	.p2align	6, 0x0
	.amdhsa_kernel _ZN2at6native12_GLOBAL__N_125multi_tensor_apply_kernelINS1_18TensorListMetadataILi2EEENS1_14UnaryOpFunctorIdLi2ELi1ELi1EEEJNS0_6TruncfIdEEEEEvT_T0_DpT1_
		.amdhsa_group_segment_fixed_size 0
		.amdhsa_private_segment_fixed_size 0
		.amdhsa_kernarg_size 3408
		.amdhsa_user_sgpr_count 6
		.amdhsa_user_sgpr_private_segment_buffer 1
		.amdhsa_user_sgpr_dispatch_ptr 0
		.amdhsa_user_sgpr_queue_ptr 0
		.amdhsa_user_sgpr_kernarg_segment_ptr 1
		.amdhsa_user_sgpr_dispatch_id 0
		.amdhsa_user_sgpr_flat_scratch_init 0
		.amdhsa_user_sgpr_private_segment_size 0
		.amdhsa_uses_dynamic_stack 0
		.amdhsa_system_sgpr_private_segment_wavefront_offset 0
		.amdhsa_system_sgpr_workgroup_id_x 1
		.amdhsa_system_sgpr_workgroup_id_y 0
		.amdhsa_system_sgpr_workgroup_id_z 0
		.amdhsa_system_sgpr_workgroup_info 0
		.amdhsa_system_vgpr_workitem_id 0
		.amdhsa_next_free_vgpr 33
		.amdhsa_next_free_sgpr 20
		.amdhsa_reserve_vcc 1
		.amdhsa_reserve_flat_scratch 0
		.amdhsa_float_round_mode_32 0
		.amdhsa_float_round_mode_16_64 0
		.amdhsa_float_denorm_mode_32 3
		.amdhsa_float_denorm_mode_16_64 3
		.amdhsa_dx10_clamp 1
		.amdhsa_ieee_mode 1
		.amdhsa_fp16_overflow 0
		.amdhsa_exception_fp_ieee_invalid_op 0
		.amdhsa_exception_fp_denorm_src 0
		.amdhsa_exception_fp_ieee_div_zero 0
		.amdhsa_exception_fp_ieee_overflow 0
		.amdhsa_exception_fp_ieee_underflow 0
		.amdhsa_exception_fp_ieee_inexact 0
		.amdhsa_exception_int_div_zero 0
	.end_amdhsa_kernel
	.section	.text._ZN2at6native12_GLOBAL__N_125multi_tensor_apply_kernelINS1_18TensorListMetadataILi2EEENS1_14UnaryOpFunctorIdLi2ELi1ELi1EEEJNS0_6TruncfIdEEEEEvT_T0_DpT1_,"axG",@progbits,_ZN2at6native12_GLOBAL__N_125multi_tensor_apply_kernelINS1_18TensorListMetadataILi2EEENS1_14UnaryOpFunctorIdLi2ELi1ELi1EEEJNS0_6TruncfIdEEEEEvT_T0_DpT1_,comdat
.Lfunc_end16:
	.size	_ZN2at6native12_GLOBAL__N_125multi_tensor_apply_kernelINS1_18TensorListMetadataILi2EEENS1_14UnaryOpFunctorIdLi2ELi1ELi1EEEJNS0_6TruncfIdEEEEEvT_T0_DpT1_, .Lfunc_end16-_ZN2at6native12_GLOBAL__N_125multi_tensor_apply_kernelINS1_18TensorListMetadataILi2EEENS1_14UnaryOpFunctorIdLi2ELi1ELi1EEEJNS0_6TruncfIdEEEEEvT_T0_DpT1_
                                        ; -- End function
	.set _ZN2at6native12_GLOBAL__N_125multi_tensor_apply_kernelINS1_18TensorListMetadataILi2EEENS1_14UnaryOpFunctorIdLi2ELi1ELi1EEEJNS0_6TruncfIdEEEEEvT_T0_DpT1_.num_vgpr, 33
	.set _ZN2at6native12_GLOBAL__N_125multi_tensor_apply_kernelINS1_18TensorListMetadataILi2EEENS1_14UnaryOpFunctorIdLi2ELi1ELi1EEEJNS0_6TruncfIdEEEEEvT_T0_DpT1_.num_agpr, 0
	.set _ZN2at6native12_GLOBAL__N_125multi_tensor_apply_kernelINS1_18TensorListMetadataILi2EEENS1_14UnaryOpFunctorIdLi2ELi1ELi1EEEJNS0_6TruncfIdEEEEEvT_T0_DpT1_.numbered_sgpr, 20
	.set _ZN2at6native12_GLOBAL__N_125multi_tensor_apply_kernelINS1_18TensorListMetadataILi2EEENS1_14UnaryOpFunctorIdLi2ELi1ELi1EEEJNS0_6TruncfIdEEEEEvT_T0_DpT1_.num_named_barrier, 0
	.set _ZN2at6native12_GLOBAL__N_125multi_tensor_apply_kernelINS1_18TensorListMetadataILi2EEENS1_14UnaryOpFunctorIdLi2ELi1ELi1EEEJNS0_6TruncfIdEEEEEvT_T0_DpT1_.private_seg_size, 0
	.set _ZN2at6native12_GLOBAL__N_125multi_tensor_apply_kernelINS1_18TensorListMetadataILi2EEENS1_14UnaryOpFunctorIdLi2ELi1ELi1EEEJNS0_6TruncfIdEEEEEvT_T0_DpT1_.uses_vcc, 1
	.set _ZN2at6native12_GLOBAL__N_125multi_tensor_apply_kernelINS1_18TensorListMetadataILi2EEENS1_14UnaryOpFunctorIdLi2ELi1ELi1EEEJNS0_6TruncfIdEEEEEvT_T0_DpT1_.uses_flat_scratch, 0
	.set _ZN2at6native12_GLOBAL__N_125multi_tensor_apply_kernelINS1_18TensorListMetadataILi2EEENS1_14UnaryOpFunctorIdLi2ELi1ELi1EEEJNS0_6TruncfIdEEEEEvT_T0_DpT1_.has_dyn_sized_stack, 0
	.set _ZN2at6native12_GLOBAL__N_125multi_tensor_apply_kernelINS1_18TensorListMetadataILi2EEENS1_14UnaryOpFunctorIdLi2ELi1ELi1EEEJNS0_6TruncfIdEEEEEvT_T0_DpT1_.has_recursion, 0
	.set _ZN2at6native12_GLOBAL__N_125multi_tensor_apply_kernelINS1_18TensorListMetadataILi2EEENS1_14UnaryOpFunctorIdLi2ELi1ELi1EEEJNS0_6TruncfIdEEEEEvT_T0_DpT1_.has_indirect_call, 0
	.section	.AMDGPU.csdata,"",@progbits
; Kernel info:
; codeLenInByte = 1284
; TotalNumSgprs: 24
; NumVgprs: 33
; ScratchSize: 0
; MemoryBound: 0
; FloatMode: 240
; IeeeMode: 1
; LDSByteSize: 0 bytes/workgroup (compile time only)
; SGPRBlocks: 2
; VGPRBlocks: 8
; NumSGPRsForWavesPerEU: 24
; NumVGPRsForWavesPerEU: 33
; Occupancy: 7
; WaveLimiterHint : 0
; COMPUTE_PGM_RSRC2:SCRATCH_EN: 0
; COMPUTE_PGM_RSRC2:USER_SGPR: 6
; COMPUTE_PGM_RSRC2:TRAP_HANDLER: 0
; COMPUTE_PGM_RSRC2:TGID_X_EN: 1
; COMPUTE_PGM_RSRC2:TGID_Y_EN: 0
; COMPUTE_PGM_RSRC2:TGID_Z_EN: 0
; COMPUTE_PGM_RSRC2:TIDIG_COMP_CNT: 0
	.section	.text._ZN2at6native12_GLOBAL__N_125multi_tensor_apply_kernelINS1_18TensorListMetadataILi2EEENS1_14UnaryOpFunctorIfLi2ELi1ELi1EEEJNS0_6TruncfIfEEEEEvT_T0_DpT1_,"axG",@progbits,_ZN2at6native12_GLOBAL__N_125multi_tensor_apply_kernelINS1_18TensorListMetadataILi2EEENS1_14UnaryOpFunctorIfLi2ELi1ELi1EEEJNS0_6TruncfIfEEEEEvT_T0_DpT1_,comdat
	.globl	_ZN2at6native12_GLOBAL__N_125multi_tensor_apply_kernelINS1_18TensorListMetadataILi2EEENS1_14UnaryOpFunctorIfLi2ELi1ELi1EEEJNS0_6TruncfIfEEEEEvT_T0_DpT1_ ; -- Begin function _ZN2at6native12_GLOBAL__N_125multi_tensor_apply_kernelINS1_18TensorListMetadataILi2EEENS1_14UnaryOpFunctorIfLi2ELi1ELi1EEEJNS0_6TruncfIfEEEEEvT_T0_DpT1_
	.p2align	8
	.type	_ZN2at6native12_GLOBAL__N_125multi_tensor_apply_kernelINS1_18TensorListMetadataILi2EEENS1_14UnaryOpFunctorIfLi2ELi1ELi1EEEJNS0_6TruncfIfEEEEEvT_T0_DpT1_,@function
_ZN2at6native12_GLOBAL__N_125multi_tensor_apply_kernelINS1_18TensorListMetadataILi2EEENS1_14UnaryOpFunctorIfLi2ELi1ELi1EEEJNS0_6TruncfIfEEEEEvT_T0_DpT1_: ; @_ZN2at6native12_GLOBAL__N_125multi_tensor_apply_kernelINS1_18TensorListMetadataILi2EEENS1_14UnaryOpFunctorIfLi2ELi1ELi1EEEJNS0_6TruncfIfEEEEEvT_T0_DpT1_
; %bb.0:
	v_mov_b32_e32 v1, s6
	global_load_ubyte v1, v1, s[4:5] offset:1536
	s_add_u32 s0, s4, s6
	s_mul_hi_u32 s1, s6, 3
	s_mul_i32 s6, s6, 3
	s_addc_u32 s2, s5, 0
	s_add_u32 s0, s0, s6
	s_addc_u32 s1, s2, s1
	s_load_dword s6, s[0:1], 0x740
	s_mov_b32 s11, 0
	s_mov_b32 s13, s11
	s_waitcnt vmcnt(0)
	v_readfirstlane_b32 s0, v1
	s_lshl_b32 s7, s0, 3
	s_load_dwordx2 s[14:15], s[4:5], s7 offset:0x400
	s_load_dwordx2 s[2:3], s[4:5], s7 offset:0x0
	;; [unrolled: 1-line block ×3, first 2 shown]
	s_waitcnt lgkmcnt(0)
	s_ashr_i32 s7, s6, 31
	s_lshl_b64 s[8:9], s[6:7], 18
	s_lshl_b64 s[6:7], s[6:7], 16
	s_add_u32 s10, s2, s8
	s_and_b32 s12, s0, 15
	s_and_b32 s10, s10, 15
	s_sub_u32 s6, s14, s6
	s_subb_u32 s7, s15, s7
	s_and_b32 s14, s14, 3
	s_mov_b32 s15, s11
	s_or_b64 s[12:13], s[12:13], s[14:15]
	s_or_b64 s[10:11], s[12:13], s[10:11]
	s_cmp_eq_u64 s[10:11], 0
	s_mov_b64 s[10:11], -1
	s_cbranch_scc0 .LBB17_5
; %bb.1:
	v_mov_b32_e32 v1, 0x10000
	v_mov_b32_e32 v2, 0
	v_cmp_lt_i64_e32 vcc, s[6:7], v[1:2]
	v_mov_b32_e32 v2, 0
	s_and_b64 s[10:11], vcc, exec
	s_cselect_b32 s11, s7, 0
	s_cselect_b32 s10, s6, 0x10000
	v_lshlrev_b32_e32 v1, 2, v0
	v_cmp_gt_i64_e32 vcc, s[10:11], v[1:2]
	s_and_saveexec_b64 s[12:13], vcc
	s_cbranch_execz .LBB17_4
; %bb.2:
	s_load_dword s14, s[4:5], 0xc5c
	v_mov_b32_e32 v1, v2
	v_lshlrev_b32_e32 v2, 4, v0
	v_mov_b32_e32 v4, s9
	v_add_co_u32_e32 v3, vcc, s8, v2
	s_waitcnt lgkmcnt(0)
	s_and_b32 s16, s14, 0xffff
	v_mov_b32_e32 v2, v1
	v_addc_co_u32_e32 v4, vcc, 0, v4, vcc
	s_lshl_b32 s17, s16, 4
	s_mov_b64 s[14:15], 0
	v_mov_b32_e32 v5, s3
	v_mov_b32_e32 v6, s1
	;; [unrolled: 1-line block ×3, first 2 shown]
.LBB17_3:                               ; =>This Inner Loop Header: Depth=1
	v_add_co_u32_e32 v7, vcc, s2, v3
	v_addc_co_u32_e32 v8, vcc, v5, v4, vcc
	global_load_dwordx4 v[7:10], v[7:8], off
	v_add_co_u32_e32 v11, vcc, s0, v3
	v_addc_co_u32_e32 v12, vcc, v6, v4, vcc
	v_add_co_u32_e32 v1, vcc, s16, v1
	v_addc_co_u32_e32 v2, vcc, 0, v2, vcc
	v_add_co_u32_e32 v3, vcc, s17, v3
	v_lshlrev_b64 v[13:14], 2, v[1:2]
	v_addc_co_u32_e32 v4, vcc, 0, v4, vcc
	v_cmp_le_i64_e32 vcc, s[10:11], v[13:14]
	s_or_b64 s[14:15], vcc, s[14:15]
	s_waitcnt vmcnt(0)
	v_trunc_f32_e32 v7, v7
	v_trunc_f32_e32 v8, v8
	;; [unrolled: 1-line block ×4, first 2 shown]
	global_store_dwordx4 v[11:12], v[7:10], off
	s_andn2_b64 exec, exec, s[14:15]
	s_cbranch_execnz .LBB17_3
.LBB17_4:
	s_or_b64 exec, exec, s[12:13]
	s_mov_b64 s[10:11], 0
.LBB17_5:
	s_andn2_b64 vcc, exec, s[10:11]
	s_cbranch_vccnz .LBB17_25
; %bb.6:
	v_cmp_lt_i64_e64 s[10:11], s[6:7], 1
	s_and_b64 vcc, exec, s[10:11]
	s_cbranch_vccnz .LBB17_25
; %bb.7:
	v_mov_b32_e32 v1, 0x10000
	s_load_dword s12, s[4:5], 0xc5c
	v_mov_b32_e32 v2, 0
	v_cmp_lt_i64_e32 vcc, s[6:7], v[1:2]
	v_mov_b32_e32 v10, 0
	s_and_b64 s[4:5], vcc, exec
	v_cmp_lt_u64_e32 vcc, s[6:7], v[1:2]
	s_cselect_b32 s11, s7, 0
	s_cselect_b32 s10, s6, 0x10000
	s_waitcnt lgkmcnt(0)
	s_and_b32 s14, s12, 0xffff
	v_lshlrev_b32_e32 v9, 2, v0
	s_and_b64 s[4:5], vcc, exec
	v_mov_b32_e32 v2, s3
	v_add_co_u32_e32 v1, vcc, s2, v9
	v_mad_u64_u32 v[7:8], s[4:5], s14, 12, v[9:10]
	v_addc_co_u32_e32 v2, vcc, 0, v2, vcc
	v_mov_b32_e32 v4, s1
	v_add_co_u32_e32 v3, vcc, s0, v9
	v_addc_co_u32_e32 v4, vcc, 0, v4, vcc
	v_mov_b32_e32 v6, s3
	v_add_co_u32_e32 v5, vcc, s2, v7
	;; [unrolled: 3-line block ×3, first 2 shown]
	s_cselect_b32 s13, s7, 0
	s_cselect_b32 s12, s6, 0x10000
	v_addc_co_u32_e32 v8, vcc, v10, v8, vcc
	s_lshl_b32 s4, s14, 3
	v_add_co_u32_e32 v11, vcc, s4, v9
	v_addc_co_u32_e64 v12, s[4:5], 0, 0, vcc
	v_mov_b32_e32 v10, s3
	v_add_co_u32_e32 v9, vcc, s2, v11
	v_addc_co_u32_e32 v10, vcc, v10, v12, vcc
	v_mov_b32_e32 v13, s1
	v_add_co_u32_e32 v11, vcc, s0, v11
	v_addc_co_u32_e32 v12, vcc, v13, v12, vcc
	v_add_co_u32_e32 v13, vcc, s14, v0
	v_lshlrev_b32_e32 v17, 2, v13
	v_addc_co_u32_e64 v14, s[4:5], 0, 0, vcc
	v_mov_b32_e32 v16, s3
	v_add_co_u32_e32 v15, vcc, s2, v17
	v_addc_co_u32_e32 v16, vcc, 0, v16, vcc
	v_mov_b32_e32 v18, s1
	v_add_co_u32_e32 v17, vcc, s0, v17
	s_mul_i32 s7, s14, 3
	v_addc_co_u32_e32 v18, vcc, 0, v18, vcc
	s_lshl_b32 s6, s14, 1
	v_add_co_u32_e32 v19, vcc, s7, v0
	v_addc_co_u32_e64 v20, s[0:1], 0, 0, vcc
	v_add_co_u32_e32 v21, vcc, s6, v0
	s_lshl_b32 s18, s14, 2
	s_lshl_b32 s19, s14, 4
	s_mov_b64 s[14:15], 0
	v_addc_co_u32_e64 v22, s[0:1], 0, 0, vcc
	s_branch .LBB17_9
.LBB17_8:                               ;   in Loop: Header=BB17_9 Depth=1
	s_or_b64 exec, exec, s[0:1]
	v_add_co_u32_e32 v1, vcc, s19, v1
	v_addc_co_u32_e32 v2, vcc, 0, v2, vcc
	v_add_co_u32_e32 v3, vcc, s19, v3
	v_addc_co_u32_e32 v4, vcc, 0, v4, vcc
	;; [unrolled: 2-line block ×6, first 2 shown]
	s_add_u32 s14, s14, s18
	v_add_co_u32_e32 v15, vcc, s19, v15
	v_mov_b32_e32 v24, s11
	s_addc_u32 s15, s15, 0
	v_addc_co_u32_e32 v16, vcc, 0, v16, vcc
	v_mov_b32_e32 v23, s10
	v_cmp_ge_i64_e32 vcc, s[14:15], v[23:24]
	v_add_co_u32_e64 v17, s[0:1], s19, v17
	v_addc_co_u32_e64 v18, s[0:1], 0, v18, s[0:1]
	s_cbranch_vccnz .LBB17_25
.LBB17_9:                               ; =>This Inner Loop Header: Depth=1
	v_mov_b32_e32 v24, s15
	v_add_co_u32_e32 v23, vcc, s14, v0
	v_addc_co_u32_e32 v24, vcc, 0, v24, vcc
	v_cmp_gt_u64_e32 vcc, s[12:13], v[23:24]
	v_mov_b32_e32 v24, 0
	s_and_saveexec_b64 s[2:3], vcc
	s_cbranch_execz .LBB17_11
; %bb.10:                               ;   in Loop: Header=BB17_9 Depth=1
	v_mov_b32_e32 v24, s9
	v_add_co_u32_e64 v23, s[0:1], s8, v1
	v_addc_co_u32_e64 v24, s[0:1], v2, v24, s[0:1]
	global_load_dword v23, v[23:24], off
	s_waitcnt vmcnt(0)
	v_trunc_f32_e32 v24, v23
.LBB17_11:                              ;   in Loop: Header=BB17_9 Depth=1
	s_or_b64 exec, exec, s[2:3]
	v_mov_b32_e32 v23, s15
	v_add_co_u32_e64 v25, s[0:1], s14, v13
	v_addc_co_u32_e64 v26, s[0:1], v14, v23, s[0:1]
	v_cmp_gt_u64_e64 s[0:1], s[12:13], v[25:26]
	v_mov_b32_e32 v23, 0
	v_mov_b32_e32 v25, 0
	s_and_saveexec_b64 s[4:5], s[0:1]
	s_cbranch_execz .LBB17_13
; %bb.12:                               ;   in Loop: Header=BB17_9 Depth=1
	v_mov_b32_e32 v26, s9
	v_add_co_u32_e64 v25, s[2:3], s8, v15
	v_addc_co_u32_e64 v26, s[2:3], v16, v26, s[2:3]
	global_load_dword v25, v[25:26], off
	s_waitcnt vmcnt(0)
	v_trunc_f32_e32 v25, v25
.LBB17_13:                              ;   in Loop: Header=BB17_9 Depth=1
	s_or_b64 exec, exec, s[4:5]
	v_mov_b32_e32 v27, s15
	v_add_co_u32_e64 v26, s[2:3], s14, v21
	v_addc_co_u32_e64 v27, s[2:3], v22, v27, s[2:3]
	v_cmp_gt_u64_e64 s[2:3], s[12:13], v[26:27]
	s_and_saveexec_b64 s[6:7], s[2:3]
	s_cbranch_execz .LBB17_15
; %bb.14:                               ;   in Loop: Header=BB17_9 Depth=1
	v_mov_b32_e32 v23, s9
	v_add_co_u32_e64 v26, s[4:5], s8, v9
	v_addc_co_u32_e64 v27, s[4:5], v10, v23, s[4:5]
	global_load_dword v23, v[26:27], off
	s_waitcnt vmcnt(0)
	v_trunc_f32_e32 v23, v23
.LBB17_15:                              ;   in Loop: Header=BB17_9 Depth=1
	s_or_b64 exec, exec, s[6:7]
	v_mov_b32_e32 v27, s15
	v_add_co_u32_e64 v26, s[4:5], s14, v19
	v_addc_co_u32_e64 v27, s[4:5], v20, v27, s[4:5]
	v_cmp_gt_u64_e64 s[4:5], s[12:13], v[26:27]
	v_mov_b32_e32 v26, 0
	s_and_saveexec_b64 s[16:17], s[4:5]
	s_cbranch_execnz .LBB17_20
; %bb.16:                               ;   in Loop: Header=BB17_9 Depth=1
	s_or_b64 exec, exec, s[16:17]
	s_and_saveexec_b64 s[6:7], vcc
	s_cbranch_execnz .LBB17_21
.LBB17_17:                              ;   in Loop: Header=BB17_9 Depth=1
	s_or_b64 exec, exec, s[6:7]
	s_and_saveexec_b64 s[6:7], s[0:1]
	s_cbranch_execnz .LBB17_22
.LBB17_18:                              ;   in Loop: Header=BB17_9 Depth=1
	s_or_b64 exec, exec, s[6:7]
	s_and_saveexec_b64 s[0:1], s[2:3]
	s_cbranch_execnz .LBB17_23
.LBB17_19:                              ;   in Loop: Header=BB17_9 Depth=1
	s_or_b64 exec, exec, s[0:1]
	s_and_saveexec_b64 s[0:1], s[4:5]
	s_cbranch_execz .LBB17_8
	s_branch .LBB17_24
.LBB17_20:                              ;   in Loop: Header=BB17_9 Depth=1
	v_mov_b32_e32 v27, s9
	v_add_co_u32_e64 v26, s[6:7], s8, v5
	v_addc_co_u32_e64 v27, s[6:7], v6, v27, s[6:7]
	global_load_dword v26, v[26:27], off
	s_waitcnt vmcnt(0)
	v_trunc_f32_e32 v26, v26
	s_or_b64 exec, exec, s[16:17]
	s_and_saveexec_b64 s[6:7], vcc
	s_cbranch_execz .LBB17_17
.LBB17_21:                              ;   in Loop: Header=BB17_9 Depth=1
	v_mov_b32_e32 v28, s9
	v_add_co_u32_e32 v27, vcc, s8, v3
	v_addc_co_u32_e32 v28, vcc, v4, v28, vcc
	global_store_dword v[27:28], v24, off
	s_or_b64 exec, exec, s[6:7]
	s_and_saveexec_b64 s[6:7], s[0:1]
	s_cbranch_execz .LBB17_18
.LBB17_22:                              ;   in Loop: Header=BB17_9 Depth=1
	v_mov_b32_e32 v24, s9
	v_add_co_u32_e32 v27, vcc, s8, v17
	v_addc_co_u32_e32 v28, vcc, v18, v24, vcc
	global_store_dword v[27:28], v25, off
	s_or_b64 exec, exec, s[6:7]
	s_and_saveexec_b64 s[0:1], s[2:3]
	s_cbranch_execz .LBB17_19
.LBB17_23:                              ;   in Loop: Header=BB17_9 Depth=1
	v_mov_b32_e32 v25, s9
	v_add_co_u32_e32 v24, vcc, s8, v11
	v_addc_co_u32_e32 v25, vcc, v12, v25, vcc
	global_store_dword v[24:25], v23, off
	s_or_b64 exec, exec, s[0:1]
	s_and_saveexec_b64 s[0:1], s[4:5]
	s_cbranch_execz .LBB17_8
.LBB17_24:                              ;   in Loop: Header=BB17_9 Depth=1
	v_mov_b32_e32 v24, s9
	v_add_co_u32_e32 v23, vcc, s8, v7
	v_addc_co_u32_e32 v24, vcc, v8, v24, vcc
	global_store_dword v[23:24], v26, off
	s_branch .LBB17_8
.LBB17_25:
	s_endpgm
	.section	.rodata,"a",@progbits
	.p2align	6, 0x0
	.amdhsa_kernel _ZN2at6native12_GLOBAL__N_125multi_tensor_apply_kernelINS1_18TensorListMetadataILi2EEENS1_14UnaryOpFunctorIfLi2ELi1ELi1EEEJNS0_6TruncfIfEEEEEvT_T0_DpT1_
		.amdhsa_group_segment_fixed_size 0
		.amdhsa_private_segment_fixed_size 0
		.amdhsa_kernarg_size 3408
		.amdhsa_user_sgpr_count 6
		.amdhsa_user_sgpr_private_segment_buffer 1
		.amdhsa_user_sgpr_dispatch_ptr 0
		.amdhsa_user_sgpr_queue_ptr 0
		.amdhsa_user_sgpr_kernarg_segment_ptr 1
		.amdhsa_user_sgpr_dispatch_id 0
		.amdhsa_user_sgpr_flat_scratch_init 0
		.amdhsa_user_sgpr_private_segment_size 0
		.amdhsa_uses_dynamic_stack 0
		.amdhsa_system_sgpr_private_segment_wavefront_offset 0
		.amdhsa_system_sgpr_workgroup_id_x 1
		.amdhsa_system_sgpr_workgroup_id_y 0
		.amdhsa_system_sgpr_workgroup_id_z 0
		.amdhsa_system_sgpr_workgroup_info 0
		.amdhsa_system_vgpr_workitem_id 0
		.amdhsa_next_free_vgpr 29
		.amdhsa_next_free_sgpr 20
		.amdhsa_reserve_vcc 1
		.amdhsa_reserve_flat_scratch 0
		.amdhsa_float_round_mode_32 0
		.amdhsa_float_round_mode_16_64 0
		.amdhsa_float_denorm_mode_32 3
		.amdhsa_float_denorm_mode_16_64 3
		.amdhsa_dx10_clamp 1
		.amdhsa_ieee_mode 1
		.amdhsa_fp16_overflow 0
		.amdhsa_exception_fp_ieee_invalid_op 0
		.amdhsa_exception_fp_denorm_src 0
		.amdhsa_exception_fp_ieee_div_zero 0
		.amdhsa_exception_fp_ieee_overflow 0
		.amdhsa_exception_fp_ieee_underflow 0
		.amdhsa_exception_fp_ieee_inexact 0
		.amdhsa_exception_int_div_zero 0
	.end_amdhsa_kernel
	.section	.text._ZN2at6native12_GLOBAL__N_125multi_tensor_apply_kernelINS1_18TensorListMetadataILi2EEENS1_14UnaryOpFunctorIfLi2ELi1ELi1EEEJNS0_6TruncfIfEEEEEvT_T0_DpT1_,"axG",@progbits,_ZN2at6native12_GLOBAL__N_125multi_tensor_apply_kernelINS1_18TensorListMetadataILi2EEENS1_14UnaryOpFunctorIfLi2ELi1ELi1EEEJNS0_6TruncfIfEEEEEvT_T0_DpT1_,comdat
.Lfunc_end17:
	.size	_ZN2at6native12_GLOBAL__N_125multi_tensor_apply_kernelINS1_18TensorListMetadataILi2EEENS1_14UnaryOpFunctorIfLi2ELi1ELi1EEEJNS0_6TruncfIfEEEEEvT_T0_DpT1_, .Lfunc_end17-_ZN2at6native12_GLOBAL__N_125multi_tensor_apply_kernelINS1_18TensorListMetadataILi2EEENS1_14UnaryOpFunctorIfLi2ELi1ELi1EEEJNS0_6TruncfIfEEEEEvT_T0_DpT1_
                                        ; -- End function
	.set _ZN2at6native12_GLOBAL__N_125multi_tensor_apply_kernelINS1_18TensorListMetadataILi2EEENS1_14UnaryOpFunctorIfLi2ELi1ELi1EEEJNS0_6TruncfIfEEEEEvT_T0_DpT1_.num_vgpr, 29
	.set _ZN2at6native12_GLOBAL__N_125multi_tensor_apply_kernelINS1_18TensorListMetadataILi2EEENS1_14UnaryOpFunctorIfLi2ELi1ELi1EEEJNS0_6TruncfIfEEEEEvT_T0_DpT1_.num_agpr, 0
	.set _ZN2at6native12_GLOBAL__N_125multi_tensor_apply_kernelINS1_18TensorListMetadataILi2EEENS1_14UnaryOpFunctorIfLi2ELi1ELi1EEEJNS0_6TruncfIfEEEEEvT_T0_DpT1_.numbered_sgpr, 20
	.set _ZN2at6native12_GLOBAL__N_125multi_tensor_apply_kernelINS1_18TensorListMetadataILi2EEENS1_14UnaryOpFunctorIfLi2ELi1ELi1EEEJNS0_6TruncfIfEEEEEvT_T0_DpT1_.num_named_barrier, 0
	.set _ZN2at6native12_GLOBAL__N_125multi_tensor_apply_kernelINS1_18TensorListMetadataILi2EEENS1_14UnaryOpFunctorIfLi2ELi1ELi1EEEJNS0_6TruncfIfEEEEEvT_T0_DpT1_.private_seg_size, 0
	.set _ZN2at6native12_GLOBAL__N_125multi_tensor_apply_kernelINS1_18TensorListMetadataILi2EEENS1_14UnaryOpFunctorIfLi2ELi1ELi1EEEJNS0_6TruncfIfEEEEEvT_T0_DpT1_.uses_vcc, 1
	.set _ZN2at6native12_GLOBAL__N_125multi_tensor_apply_kernelINS1_18TensorListMetadataILi2EEENS1_14UnaryOpFunctorIfLi2ELi1ELi1EEEJNS0_6TruncfIfEEEEEvT_T0_DpT1_.uses_flat_scratch, 0
	.set _ZN2at6native12_GLOBAL__N_125multi_tensor_apply_kernelINS1_18TensorListMetadataILi2EEENS1_14UnaryOpFunctorIfLi2ELi1ELi1EEEJNS0_6TruncfIfEEEEEvT_T0_DpT1_.has_dyn_sized_stack, 0
	.set _ZN2at6native12_GLOBAL__N_125multi_tensor_apply_kernelINS1_18TensorListMetadataILi2EEENS1_14UnaryOpFunctorIfLi2ELi1ELi1EEEJNS0_6TruncfIfEEEEEvT_T0_DpT1_.has_recursion, 0
	.set _ZN2at6native12_GLOBAL__N_125multi_tensor_apply_kernelINS1_18TensorListMetadataILi2EEENS1_14UnaryOpFunctorIfLi2ELi1ELi1EEEJNS0_6TruncfIfEEEEEvT_T0_DpT1_.has_indirect_call, 0
	.section	.AMDGPU.csdata,"",@progbits
; Kernel info:
; codeLenInByte = 1248
; TotalNumSgprs: 24
; NumVgprs: 29
; ScratchSize: 0
; MemoryBound: 0
; FloatMode: 240
; IeeeMode: 1
; LDSByteSize: 0 bytes/workgroup (compile time only)
; SGPRBlocks: 2
; VGPRBlocks: 7
; NumSGPRsForWavesPerEU: 24
; NumVGPRsForWavesPerEU: 29
; Occupancy: 8
; WaveLimiterHint : 0
; COMPUTE_PGM_RSRC2:SCRATCH_EN: 0
; COMPUTE_PGM_RSRC2:USER_SGPR: 6
; COMPUTE_PGM_RSRC2:TRAP_HANDLER: 0
; COMPUTE_PGM_RSRC2:TGID_X_EN: 1
; COMPUTE_PGM_RSRC2:TGID_Y_EN: 0
; COMPUTE_PGM_RSRC2:TGID_Z_EN: 0
; COMPUTE_PGM_RSRC2:TIDIG_COMP_CNT: 0
	.section	.text._ZN2at6native12_GLOBAL__N_125multi_tensor_apply_kernelINS1_18TensorListMetadataILi2EEENS1_14UnaryOpFunctorIN3c104HalfELi2ELi1ELi1EEEJNS0_6TruncfIfEEEEEvT_T0_DpT1_,"axG",@progbits,_ZN2at6native12_GLOBAL__N_125multi_tensor_apply_kernelINS1_18TensorListMetadataILi2EEENS1_14UnaryOpFunctorIN3c104HalfELi2ELi1ELi1EEEJNS0_6TruncfIfEEEEEvT_T0_DpT1_,comdat
	.globl	_ZN2at6native12_GLOBAL__N_125multi_tensor_apply_kernelINS1_18TensorListMetadataILi2EEENS1_14UnaryOpFunctorIN3c104HalfELi2ELi1ELi1EEEJNS0_6TruncfIfEEEEEvT_T0_DpT1_ ; -- Begin function _ZN2at6native12_GLOBAL__N_125multi_tensor_apply_kernelINS1_18TensorListMetadataILi2EEENS1_14UnaryOpFunctorIN3c104HalfELi2ELi1ELi1EEEJNS0_6TruncfIfEEEEEvT_T0_DpT1_
	.p2align	8
	.type	_ZN2at6native12_GLOBAL__N_125multi_tensor_apply_kernelINS1_18TensorListMetadataILi2EEENS1_14UnaryOpFunctorIN3c104HalfELi2ELi1ELi1EEEJNS0_6TruncfIfEEEEEvT_T0_DpT1_,@function
_ZN2at6native12_GLOBAL__N_125multi_tensor_apply_kernelINS1_18TensorListMetadataILi2EEENS1_14UnaryOpFunctorIN3c104HalfELi2ELi1ELi1EEEJNS0_6TruncfIfEEEEEvT_T0_DpT1_: ; @_ZN2at6native12_GLOBAL__N_125multi_tensor_apply_kernelINS1_18TensorListMetadataILi2EEENS1_14UnaryOpFunctorIN3c104HalfELi2ELi1ELi1EEEJNS0_6TruncfIfEEEEEvT_T0_DpT1_
; %bb.0:
	v_mov_b32_e32 v1, s6
	global_load_ubyte v1, v1, s[4:5] offset:1536
	s_add_u32 s0, s4, s6
	s_mul_hi_u32 s1, s6, 3
	s_mul_i32 s6, s6, 3
	s_addc_u32 s2, s5, 0
	s_add_u32 s0, s0, s6
	s_addc_u32 s1, s2, s1
	s_load_dword s6, s[0:1], 0x740
	s_mov_b32 s11, 0
	s_mov_b32 s13, s11
	s_waitcnt vmcnt(0)
	v_readfirstlane_b32 s0, v1
	s_lshl_b32 s7, s0, 3
	s_load_dwordx2 s[14:15], s[4:5], s7 offset:0x400
	s_load_dwordx2 s[2:3], s[4:5], s7 offset:0x0
	;; [unrolled: 1-line block ×3, first 2 shown]
	s_waitcnt lgkmcnt(0)
	s_ashr_i32 s7, s6, 31
	s_lshl_b64 s[8:9], s[6:7], 17
	s_lshl_b64 s[6:7], s[6:7], 16
	s_add_u32 s10, s2, s8
	s_and_b32 s12, s0, 7
	s_and_b32 s10, s10, 7
	s_sub_u32 s6, s14, s6
	s_subb_u32 s7, s15, s7
	s_and_b32 s14, s14, 3
	s_mov_b32 s15, s11
	s_or_b64 s[12:13], s[12:13], s[14:15]
	s_or_b64 s[10:11], s[12:13], s[10:11]
	s_cmp_eq_u64 s[10:11], 0
	s_mov_b64 s[10:11], -1
	s_cbranch_scc0 .LBB18_5
; %bb.1:
	v_mov_b32_e32 v1, 0x10000
	v_mov_b32_e32 v2, 0
	v_cmp_lt_i64_e32 vcc, s[6:7], v[1:2]
	v_mov_b32_e32 v2, 0
	s_and_b64 s[10:11], vcc, exec
	s_cselect_b32 s11, s7, 0
	s_cselect_b32 s10, s6, 0x10000
	v_lshlrev_b32_e32 v1, 2, v0
	v_cmp_gt_i64_e32 vcc, s[10:11], v[1:2]
	s_and_saveexec_b64 s[12:13], vcc
	s_cbranch_execz .LBB18_4
; %bb.2:
	s_load_dword s14, s[4:5], 0xc5c
	v_mov_b32_e32 v1, v2
	v_lshlrev_b32_e32 v2, 3, v0
	v_mov_b32_e32 v4, s9
	v_add_co_u32_e32 v3, vcc, s8, v2
	s_waitcnt lgkmcnt(0)
	s_and_b32 s16, s14, 0xffff
	v_mov_b32_e32 v2, v1
	v_addc_co_u32_e32 v4, vcc, 0, v4, vcc
	s_lshl_b32 s17, s16, 3
	s_mov_b64 s[14:15], 0
	v_mov_b32_e32 v5, s3
	v_mov_b32_e32 v6, s1
	;; [unrolled: 1-line block ×3, first 2 shown]
.LBB18_3:                               ; =>This Inner Loop Header: Depth=1
	v_add_co_u32_e32 v7, vcc, s2, v3
	v_addc_co_u32_e32 v8, vcc, v5, v4, vcc
	global_load_dwordx2 v[7:8], v[7:8], off
	v_add_co_u32_e32 v9, vcc, s0, v3
	v_addc_co_u32_e32 v10, vcc, v6, v4, vcc
	v_add_co_u32_e32 v1, vcc, s16, v1
	v_addc_co_u32_e32 v2, vcc, 0, v2, vcc
	v_add_co_u32_e32 v3, vcc, s17, v3
	v_lshlrev_b64 v[11:12], 2, v[1:2]
	v_addc_co_u32_e32 v4, vcc, 0, v4, vcc
	v_cmp_le_i64_e32 vcc, s[10:11], v[11:12]
	s_or_b64 s[14:15], vcc, s[14:15]
	s_waitcnt vmcnt(0)
	v_trunc_f16_e32 v11, v7
	v_trunc_f16_sdwa v7, v7 dst_sel:DWORD dst_unused:UNUSED_PAD src0_sel:WORD_1
	v_trunc_f16_e32 v12, v8
	v_trunc_f16_sdwa v8, v8 dst_sel:DWORD dst_unused:UNUSED_PAD src0_sel:WORD_1
	v_pack_b32_f16 v8, v12, v8
	v_pack_b32_f16 v7, v11, v7
	global_store_dwordx2 v[9:10], v[7:8], off
	s_andn2_b64 exec, exec, s[14:15]
	s_cbranch_execnz .LBB18_3
.LBB18_4:
	s_or_b64 exec, exec, s[12:13]
	s_mov_b64 s[10:11], 0
.LBB18_5:
	s_andn2_b64 vcc, exec, s[10:11]
	s_cbranch_vccnz .LBB18_25
; %bb.6:
	v_cmp_lt_i64_e64 s[10:11], s[6:7], 1
	s_and_b64 vcc, exec, s[10:11]
	s_cbranch_vccnz .LBB18_25
; %bb.7:
	v_mov_b32_e32 v1, 0x10000
	s_load_dword s12, s[4:5], 0xc5c
	v_mov_b32_e32 v2, 0
	v_cmp_lt_i64_e32 vcc, s[6:7], v[1:2]
	v_mov_b32_e32 v10, 0
	s_and_b64 s[4:5], vcc, exec
	v_cmp_lt_u64_e32 vcc, s[6:7], v[1:2]
	s_cselect_b32 s11, s7, 0
	s_cselect_b32 s10, s6, 0x10000
	s_waitcnt lgkmcnt(0)
	s_and_b32 s14, s12, 0xffff
	v_lshlrev_b32_e32 v9, 1, v0
	s_and_b64 s[4:5], vcc, exec
	v_mov_b32_e32 v2, s3
	v_add_co_u32_e32 v1, vcc, s2, v9
	v_mad_u64_u32 v[7:8], s[4:5], s14, 6, v[9:10]
	v_addc_co_u32_e32 v2, vcc, 0, v2, vcc
	v_mov_b32_e32 v4, s1
	v_add_co_u32_e32 v3, vcc, s0, v9
	v_addc_co_u32_e32 v4, vcc, 0, v4, vcc
	v_mov_b32_e32 v6, s3
	v_add_co_u32_e32 v5, vcc, s2, v7
	;; [unrolled: 3-line block ×3, first 2 shown]
	s_cselect_b32 s13, s7, 0
	s_cselect_b32 s12, s6, 0x10000
	s_lshl_b32 s18, s14, 2
	v_addc_co_u32_e32 v8, vcc, v10, v8, vcc
	v_add_co_u32_e32 v11, vcc, s18, v9
	v_addc_co_u32_e64 v12, s[4:5], 0, 0, vcc
	v_mov_b32_e32 v10, s3
	v_add_co_u32_e32 v9, vcc, s2, v11
	v_addc_co_u32_e32 v10, vcc, v10, v12, vcc
	v_mov_b32_e32 v13, s1
	v_add_co_u32_e32 v11, vcc, s0, v11
	v_addc_co_u32_e32 v12, vcc, v13, v12, vcc
	v_add_co_u32_e32 v13, vcc, s14, v0
	v_lshlrev_b32_e32 v17, 1, v13
	v_addc_co_u32_e64 v14, s[4:5], 0, 0, vcc
	v_mov_b32_e32 v16, s3
	v_add_co_u32_e32 v15, vcc, s2, v17
	v_addc_co_u32_e32 v16, vcc, 0, v16, vcc
	v_mov_b32_e32 v18, s1
	v_add_co_u32_e32 v17, vcc, s0, v17
	s_mul_i32 s7, s14, 3
	v_addc_co_u32_e32 v18, vcc, 0, v18, vcc
	s_lshl_b32 s6, s14, 1
	v_add_co_u32_e32 v19, vcc, s7, v0
	v_addc_co_u32_e64 v20, s[0:1], 0, 0, vcc
	v_add_co_u32_e32 v21, vcc, s6, v0
	s_lshl_b32 s19, s14, 3
	s_mov_b64 s[14:15], 0
	v_addc_co_u32_e64 v22, s[0:1], 0, 0, vcc
	s_branch .LBB18_9
.LBB18_8:                               ;   in Loop: Header=BB18_9 Depth=1
	s_or_b64 exec, exec, s[0:1]
	v_add_co_u32_e32 v1, vcc, s19, v1
	v_addc_co_u32_e32 v2, vcc, 0, v2, vcc
	v_add_co_u32_e32 v3, vcc, s19, v3
	v_addc_co_u32_e32 v4, vcc, 0, v4, vcc
	;; [unrolled: 2-line block ×6, first 2 shown]
	s_add_u32 s14, s14, s18
	v_add_co_u32_e32 v15, vcc, s19, v15
	v_mov_b32_e32 v24, s11
	s_addc_u32 s15, s15, 0
	v_addc_co_u32_e32 v16, vcc, 0, v16, vcc
	v_mov_b32_e32 v23, s10
	v_cmp_ge_i64_e32 vcc, s[14:15], v[23:24]
	v_add_co_u32_e64 v17, s[0:1], s19, v17
	v_addc_co_u32_e64 v18, s[0:1], 0, v18, s[0:1]
	s_cbranch_vccnz .LBB18_25
.LBB18_9:                               ; =>This Inner Loop Header: Depth=1
	v_mov_b32_e32 v24, s15
	v_add_co_u32_e32 v23, vcc, s14, v0
	v_addc_co_u32_e32 v24, vcc, 0, v24, vcc
	v_cmp_gt_u64_e32 vcc, s[12:13], v[23:24]
	v_mov_b32_e32 v24, 0
	s_and_saveexec_b64 s[2:3], vcc
	s_cbranch_execz .LBB18_11
; %bb.10:                               ;   in Loop: Header=BB18_9 Depth=1
	v_mov_b32_e32 v24, s9
	v_add_co_u32_e64 v23, s[0:1], s8, v1
	v_addc_co_u32_e64 v24, s[0:1], v2, v24, s[0:1]
	global_load_ushort v23, v[23:24], off
	s_waitcnt vmcnt(0)
	v_trunc_f16_e32 v24, v23
.LBB18_11:                              ;   in Loop: Header=BB18_9 Depth=1
	s_or_b64 exec, exec, s[2:3]
	v_mov_b32_e32 v23, s15
	v_add_co_u32_e64 v25, s[0:1], s14, v13
	v_addc_co_u32_e64 v26, s[0:1], v14, v23, s[0:1]
	v_cmp_gt_u64_e64 s[0:1], s[12:13], v[25:26]
	v_mov_b32_e32 v23, 0
	v_mov_b32_e32 v25, 0
	s_and_saveexec_b64 s[4:5], s[0:1]
	s_cbranch_execz .LBB18_13
; %bb.12:                               ;   in Loop: Header=BB18_9 Depth=1
	v_mov_b32_e32 v26, s9
	v_add_co_u32_e64 v25, s[2:3], s8, v15
	v_addc_co_u32_e64 v26, s[2:3], v16, v26, s[2:3]
	global_load_ushort v25, v[25:26], off
	s_waitcnt vmcnt(0)
	v_trunc_f16_e32 v25, v25
.LBB18_13:                              ;   in Loop: Header=BB18_9 Depth=1
	s_or_b64 exec, exec, s[4:5]
	v_mov_b32_e32 v27, s15
	v_add_co_u32_e64 v26, s[2:3], s14, v21
	v_addc_co_u32_e64 v27, s[2:3], v22, v27, s[2:3]
	v_cmp_gt_u64_e64 s[2:3], s[12:13], v[26:27]
	s_and_saveexec_b64 s[6:7], s[2:3]
	s_cbranch_execz .LBB18_15
; %bb.14:                               ;   in Loop: Header=BB18_9 Depth=1
	v_mov_b32_e32 v23, s9
	v_add_co_u32_e64 v26, s[4:5], s8, v9
	v_addc_co_u32_e64 v27, s[4:5], v10, v23, s[4:5]
	global_load_ushort v23, v[26:27], off
	s_waitcnt vmcnt(0)
	v_trunc_f16_e32 v23, v23
.LBB18_15:                              ;   in Loop: Header=BB18_9 Depth=1
	s_or_b64 exec, exec, s[6:7]
	v_mov_b32_e32 v27, s15
	v_add_co_u32_e64 v26, s[4:5], s14, v19
	v_addc_co_u32_e64 v27, s[4:5], v20, v27, s[4:5]
	v_cmp_gt_u64_e64 s[4:5], s[12:13], v[26:27]
	v_mov_b32_e32 v26, 0
	s_and_saveexec_b64 s[16:17], s[4:5]
	s_cbranch_execnz .LBB18_20
; %bb.16:                               ;   in Loop: Header=BB18_9 Depth=1
	s_or_b64 exec, exec, s[16:17]
	s_and_saveexec_b64 s[6:7], vcc
	s_cbranch_execnz .LBB18_21
.LBB18_17:                              ;   in Loop: Header=BB18_9 Depth=1
	s_or_b64 exec, exec, s[6:7]
	s_and_saveexec_b64 s[6:7], s[0:1]
	s_cbranch_execnz .LBB18_22
.LBB18_18:                              ;   in Loop: Header=BB18_9 Depth=1
	s_or_b64 exec, exec, s[6:7]
	s_and_saveexec_b64 s[0:1], s[2:3]
	s_cbranch_execnz .LBB18_23
.LBB18_19:                              ;   in Loop: Header=BB18_9 Depth=1
	s_or_b64 exec, exec, s[0:1]
	s_and_saveexec_b64 s[0:1], s[4:5]
	s_cbranch_execz .LBB18_8
	s_branch .LBB18_24
.LBB18_20:                              ;   in Loop: Header=BB18_9 Depth=1
	v_mov_b32_e32 v27, s9
	v_add_co_u32_e64 v26, s[6:7], s8, v5
	v_addc_co_u32_e64 v27, s[6:7], v6, v27, s[6:7]
	global_load_ushort v26, v[26:27], off
	s_waitcnt vmcnt(0)
	v_trunc_f16_e32 v26, v26
	s_or_b64 exec, exec, s[16:17]
	s_and_saveexec_b64 s[6:7], vcc
	s_cbranch_execz .LBB18_17
.LBB18_21:                              ;   in Loop: Header=BB18_9 Depth=1
	v_mov_b32_e32 v28, s9
	v_add_co_u32_e32 v27, vcc, s8, v3
	v_addc_co_u32_e32 v28, vcc, v4, v28, vcc
	global_store_short v[27:28], v24, off
	s_or_b64 exec, exec, s[6:7]
	s_and_saveexec_b64 s[6:7], s[0:1]
	s_cbranch_execz .LBB18_18
.LBB18_22:                              ;   in Loop: Header=BB18_9 Depth=1
	v_mov_b32_e32 v24, s9
	v_add_co_u32_e32 v27, vcc, s8, v17
	v_addc_co_u32_e32 v28, vcc, v18, v24, vcc
	global_store_short v[27:28], v25, off
	s_or_b64 exec, exec, s[6:7]
	s_and_saveexec_b64 s[0:1], s[2:3]
	s_cbranch_execz .LBB18_19
.LBB18_23:                              ;   in Loop: Header=BB18_9 Depth=1
	v_mov_b32_e32 v25, s9
	v_add_co_u32_e32 v24, vcc, s8, v11
	v_addc_co_u32_e32 v25, vcc, v12, v25, vcc
	global_store_short v[24:25], v23, off
	s_or_b64 exec, exec, s[0:1]
	s_and_saveexec_b64 s[0:1], s[4:5]
	s_cbranch_execz .LBB18_8
.LBB18_24:                              ;   in Loop: Header=BB18_9 Depth=1
	v_mov_b32_e32 v24, s9
	v_add_co_u32_e32 v23, vcc, s8, v7
	v_addc_co_u32_e32 v24, vcc, v8, v24, vcc
	global_store_short v[23:24], v26, off
	s_branch .LBB18_8
.LBB18_25:
	s_endpgm
	.section	.rodata,"a",@progbits
	.p2align	6, 0x0
	.amdhsa_kernel _ZN2at6native12_GLOBAL__N_125multi_tensor_apply_kernelINS1_18TensorListMetadataILi2EEENS1_14UnaryOpFunctorIN3c104HalfELi2ELi1ELi1EEEJNS0_6TruncfIfEEEEEvT_T0_DpT1_
		.amdhsa_group_segment_fixed_size 0
		.amdhsa_private_segment_fixed_size 0
		.amdhsa_kernarg_size 3408
		.amdhsa_user_sgpr_count 6
		.amdhsa_user_sgpr_private_segment_buffer 1
		.amdhsa_user_sgpr_dispatch_ptr 0
		.amdhsa_user_sgpr_queue_ptr 0
		.amdhsa_user_sgpr_kernarg_segment_ptr 1
		.amdhsa_user_sgpr_dispatch_id 0
		.amdhsa_user_sgpr_flat_scratch_init 0
		.amdhsa_user_sgpr_private_segment_size 0
		.amdhsa_uses_dynamic_stack 0
		.amdhsa_system_sgpr_private_segment_wavefront_offset 0
		.amdhsa_system_sgpr_workgroup_id_x 1
		.amdhsa_system_sgpr_workgroup_id_y 0
		.amdhsa_system_sgpr_workgroup_id_z 0
		.amdhsa_system_sgpr_workgroup_info 0
		.amdhsa_system_vgpr_workitem_id 0
		.amdhsa_next_free_vgpr 29
		.amdhsa_next_free_sgpr 20
		.amdhsa_reserve_vcc 1
		.amdhsa_reserve_flat_scratch 0
		.amdhsa_float_round_mode_32 0
		.amdhsa_float_round_mode_16_64 0
		.amdhsa_float_denorm_mode_32 3
		.amdhsa_float_denorm_mode_16_64 3
		.amdhsa_dx10_clamp 1
		.amdhsa_ieee_mode 1
		.amdhsa_fp16_overflow 0
		.amdhsa_exception_fp_ieee_invalid_op 0
		.amdhsa_exception_fp_denorm_src 0
		.amdhsa_exception_fp_ieee_div_zero 0
		.amdhsa_exception_fp_ieee_overflow 0
		.amdhsa_exception_fp_ieee_underflow 0
		.amdhsa_exception_fp_ieee_inexact 0
		.amdhsa_exception_int_div_zero 0
	.end_amdhsa_kernel
	.section	.text._ZN2at6native12_GLOBAL__N_125multi_tensor_apply_kernelINS1_18TensorListMetadataILi2EEENS1_14UnaryOpFunctorIN3c104HalfELi2ELi1ELi1EEEJNS0_6TruncfIfEEEEEvT_T0_DpT1_,"axG",@progbits,_ZN2at6native12_GLOBAL__N_125multi_tensor_apply_kernelINS1_18TensorListMetadataILi2EEENS1_14UnaryOpFunctorIN3c104HalfELi2ELi1ELi1EEEJNS0_6TruncfIfEEEEEvT_T0_DpT1_,comdat
.Lfunc_end18:
	.size	_ZN2at6native12_GLOBAL__N_125multi_tensor_apply_kernelINS1_18TensorListMetadataILi2EEENS1_14UnaryOpFunctorIN3c104HalfELi2ELi1ELi1EEEJNS0_6TruncfIfEEEEEvT_T0_DpT1_, .Lfunc_end18-_ZN2at6native12_GLOBAL__N_125multi_tensor_apply_kernelINS1_18TensorListMetadataILi2EEENS1_14UnaryOpFunctorIN3c104HalfELi2ELi1ELi1EEEJNS0_6TruncfIfEEEEEvT_T0_DpT1_
                                        ; -- End function
	.set _ZN2at6native12_GLOBAL__N_125multi_tensor_apply_kernelINS1_18TensorListMetadataILi2EEENS1_14UnaryOpFunctorIN3c104HalfELi2ELi1ELi1EEEJNS0_6TruncfIfEEEEEvT_T0_DpT1_.num_vgpr, 29
	.set _ZN2at6native12_GLOBAL__N_125multi_tensor_apply_kernelINS1_18TensorListMetadataILi2EEENS1_14UnaryOpFunctorIN3c104HalfELi2ELi1ELi1EEEJNS0_6TruncfIfEEEEEvT_T0_DpT1_.num_agpr, 0
	.set _ZN2at6native12_GLOBAL__N_125multi_tensor_apply_kernelINS1_18TensorListMetadataILi2EEENS1_14UnaryOpFunctorIN3c104HalfELi2ELi1ELi1EEEJNS0_6TruncfIfEEEEEvT_T0_DpT1_.numbered_sgpr, 20
	.set _ZN2at6native12_GLOBAL__N_125multi_tensor_apply_kernelINS1_18TensorListMetadataILi2EEENS1_14UnaryOpFunctorIN3c104HalfELi2ELi1ELi1EEEJNS0_6TruncfIfEEEEEvT_T0_DpT1_.num_named_barrier, 0
	.set _ZN2at6native12_GLOBAL__N_125multi_tensor_apply_kernelINS1_18TensorListMetadataILi2EEENS1_14UnaryOpFunctorIN3c104HalfELi2ELi1ELi1EEEJNS0_6TruncfIfEEEEEvT_T0_DpT1_.private_seg_size, 0
	.set _ZN2at6native12_GLOBAL__N_125multi_tensor_apply_kernelINS1_18TensorListMetadataILi2EEENS1_14UnaryOpFunctorIN3c104HalfELi2ELi1ELi1EEEJNS0_6TruncfIfEEEEEvT_T0_DpT1_.uses_vcc, 1
	.set _ZN2at6native12_GLOBAL__N_125multi_tensor_apply_kernelINS1_18TensorListMetadataILi2EEENS1_14UnaryOpFunctorIN3c104HalfELi2ELi1ELi1EEEJNS0_6TruncfIfEEEEEvT_T0_DpT1_.uses_flat_scratch, 0
	.set _ZN2at6native12_GLOBAL__N_125multi_tensor_apply_kernelINS1_18TensorListMetadataILi2EEENS1_14UnaryOpFunctorIN3c104HalfELi2ELi1ELi1EEEJNS0_6TruncfIfEEEEEvT_T0_DpT1_.has_dyn_sized_stack, 0
	.set _ZN2at6native12_GLOBAL__N_125multi_tensor_apply_kernelINS1_18TensorListMetadataILi2EEENS1_14UnaryOpFunctorIN3c104HalfELi2ELi1ELi1EEEJNS0_6TruncfIfEEEEEvT_T0_DpT1_.has_recursion, 0
	.set _ZN2at6native12_GLOBAL__N_125multi_tensor_apply_kernelINS1_18TensorListMetadataILi2EEENS1_14UnaryOpFunctorIN3c104HalfELi2ELi1ELi1EEEJNS0_6TruncfIfEEEEEvT_T0_DpT1_.has_indirect_call, 0
	.section	.AMDGPU.csdata,"",@progbits
; Kernel info:
; codeLenInByte = 1268
; TotalNumSgprs: 24
; NumVgprs: 29
; ScratchSize: 0
; MemoryBound: 0
; FloatMode: 240
; IeeeMode: 1
; LDSByteSize: 0 bytes/workgroup (compile time only)
; SGPRBlocks: 2
; VGPRBlocks: 7
; NumSGPRsForWavesPerEU: 24
; NumVGPRsForWavesPerEU: 29
; Occupancy: 8
; WaveLimiterHint : 0
; COMPUTE_PGM_RSRC2:SCRATCH_EN: 0
; COMPUTE_PGM_RSRC2:USER_SGPR: 6
; COMPUTE_PGM_RSRC2:TRAP_HANDLER: 0
; COMPUTE_PGM_RSRC2:TGID_X_EN: 1
; COMPUTE_PGM_RSRC2:TGID_Y_EN: 0
; COMPUTE_PGM_RSRC2:TGID_Z_EN: 0
; COMPUTE_PGM_RSRC2:TIDIG_COMP_CNT: 0
	.section	.text._ZN2at6native12_GLOBAL__N_125multi_tensor_apply_kernelINS1_18TensorListMetadataILi2EEENS1_14UnaryOpFunctorIN3c108BFloat16ELi2ELi1ELi1EEEJNS0_6TruncfIfEEEEEvT_T0_DpT1_,"axG",@progbits,_ZN2at6native12_GLOBAL__N_125multi_tensor_apply_kernelINS1_18TensorListMetadataILi2EEENS1_14UnaryOpFunctorIN3c108BFloat16ELi2ELi1ELi1EEEJNS0_6TruncfIfEEEEEvT_T0_DpT1_,comdat
	.globl	_ZN2at6native12_GLOBAL__N_125multi_tensor_apply_kernelINS1_18TensorListMetadataILi2EEENS1_14UnaryOpFunctorIN3c108BFloat16ELi2ELi1ELi1EEEJNS0_6TruncfIfEEEEEvT_T0_DpT1_ ; -- Begin function _ZN2at6native12_GLOBAL__N_125multi_tensor_apply_kernelINS1_18TensorListMetadataILi2EEENS1_14UnaryOpFunctorIN3c108BFloat16ELi2ELi1ELi1EEEJNS0_6TruncfIfEEEEEvT_T0_DpT1_
	.p2align	8
	.type	_ZN2at6native12_GLOBAL__N_125multi_tensor_apply_kernelINS1_18TensorListMetadataILi2EEENS1_14UnaryOpFunctorIN3c108BFloat16ELi2ELi1ELi1EEEJNS0_6TruncfIfEEEEEvT_T0_DpT1_,@function
_ZN2at6native12_GLOBAL__N_125multi_tensor_apply_kernelINS1_18TensorListMetadataILi2EEENS1_14UnaryOpFunctorIN3c108BFloat16ELi2ELi1ELi1EEEJNS0_6TruncfIfEEEEEvT_T0_DpT1_: ; @_ZN2at6native12_GLOBAL__N_125multi_tensor_apply_kernelINS1_18TensorListMetadataILi2EEENS1_14UnaryOpFunctorIN3c108BFloat16ELi2ELi1ELi1EEEJNS0_6TruncfIfEEEEEvT_T0_DpT1_
; %bb.0:
	v_mov_b32_e32 v1, s6
	global_load_ubyte v1, v1, s[4:5] offset:1536
	s_add_u32 s0, s4, s6
	s_mul_hi_u32 s2, s6, 3
	s_mul_i32 s6, s6, 3
	s_addc_u32 s7, s5, 0
	s_add_u32 s6, s0, s6
	s_addc_u32 s7, s7, s2
	s_load_dword s10, s[6:7], 0x740
	s_mov_b32 s1, 0
	s_mov_b32 s3, s1
	s_waitcnt lgkmcnt(0)
	s_ashr_i32 s11, s10, 31
	s_lshl_b64 s[8:9], s[10:11], 17
	s_lshl_b64 s[10:11], s[10:11], 16
	s_waitcnt vmcnt(0)
	v_readfirstlane_b32 s0, v1
	s_lshl_b32 s0, s0, 3
	s_load_dwordx2 s[16:17], s[4:5], s0 offset:0x400
	s_load_dwordx2 s[14:15], s[4:5], s0 offset:0x0
	;; [unrolled: 1-line block ×3, first 2 shown]
	s_waitcnt lgkmcnt(0)
	s_add_u32 s0, s14, s8
	s_and_b32 s2, s6, 7
	s_and_b32 s0, s0, 7
	s_sub_u32 s12, s16, s10
	s_subb_u32 s13, s17, s11
	s_and_b32 s10, s16, 3
	s_mov_b32 s11, s1
	s_or_b64 s[2:3], s[2:3], s[10:11]
	s_or_b64 s[0:1], s[2:3], s[0:1]
	s_cmp_eq_u64 s[0:1], 0
	s_mov_b64 s[0:1], -1
	s_cbranch_scc0 .LBB19_5
; %bb.1:
	v_mov_b32_e32 v1, 0x10000
	v_mov_b32_e32 v2, 0
	v_cmp_lt_i64_e32 vcc, s[12:13], v[1:2]
	v_mov_b32_e32 v2, 0
	s_and_b64 s[0:1], vcc, exec
	s_cselect_b32 s11, s13, 0
	s_cselect_b32 s10, s12, 0x10000
	v_lshlrev_b32_e32 v1, 2, v0
	v_cmp_gt_i64_e32 vcc, s[10:11], v[1:2]
	s_and_saveexec_b64 s[16:17], vcc
	s_cbranch_execz .LBB19_4
; %bb.2:
	s_load_dword s0, s[4:5], 0xc5c
	v_mov_b32_e32 v1, v2
	v_lshlrev_b32_e32 v2, 3, v0
	v_mov_b32_e32 v4, s9
	v_add_co_u32_e32 v3, vcc, s8, v2
	s_waitcnt lgkmcnt(0)
	s_and_b32 s20, s0, 0xffff
	v_mov_b32_e32 v2, v1
	v_addc_co_u32_e32 v4, vcc, 0, v4, vcc
	s_lshl_b32 s21, s20, 3
	s_mov_b64 s[18:19], 0
	v_mov_b32_e32 v5, s15
	s_movk_i32 s22, 0x7fff
	v_mov_b32_e32 v6, s7
	v_mov_b32_e32 v7, 0x7fc00000
	;; [unrolled: 1-line block ×4, first 2 shown]
.LBB19_3:                               ; =>This Inner Loop Header: Depth=1
	v_add_co_u32_e32 v9, vcc, s14, v3
	v_addc_co_u32_e32 v10, vcc, v5, v4, vcc
	global_load_dwordx2 v[9:10], v[9:10], off
	v_add_co_u32_e32 v11, vcc, s6, v3
	v_addc_co_u32_e32 v12, vcc, v6, v4, vcc
	v_add_co_u32_e32 v1, vcc, s20, v1
	v_addc_co_u32_e32 v2, vcc, 0, v2, vcc
	v_add_co_u32_e32 v3, vcc, s21, v3
	v_lshlrev_b64 v[13:14], 2, v[1:2]
	v_addc_co_u32_e32 v4, vcc, 0, v4, vcc
	v_cmp_le_i64_e32 vcc, s[10:11], v[13:14]
	s_or_b64 s[18:19], vcc, s[18:19]
	s_waitcnt vmcnt(0)
	v_and_b32_e32 v13, 0xffff0000, v9
	v_lshlrev_b32_e32 v14, 16, v9
	v_alignbit_b32 v9, v10, v9, 16
	v_and_b32_e32 v10, 0xffff0000, v10
	v_trunc_f32_e32 v14, v14
	v_trunc_f32_e32 v13, v13
	v_and_b32_e32 v9, 0xffff0000, v9
	v_trunc_f32_e32 v10, v10
	v_bfe_u32 v15, v14, 16, 1
	v_bfe_u32 v16, v13, 16, 1
	v_trunc_f32_e32 v9, v9
	v_bfe_u32 v17, v10, 16, 1
	v_add3_u32 v15, v14, v15, s22
	v_add3_u32 v16, v13, v16, s22
	v_bfe_u32 v18, v9, 16, 1
	v_add3_u32 v17, v10, v17, s22
	v_lshrrev_b32_e32 v15, 16, v15
	v_and_b32_e32 v16, 0xffff0000, v16
	v_add3_u32 v18, v9, v18, s22
	v_and_b32_e32 v17, 0xffff0000, v17
	v_cmp_o_f32_e32 vcc, v10, v10
	v_cmp_o_f32_e64 s[0:1], v13, v13
	v_cmp_o_f32_e64 s[2:3], v14, v14
	v_lshrrev_b32_e32 v10, 16, v18
	v_cndmask_b32_e32 v13, v7, v17, vcc
	v_cndmask_b32_e64 v14, v7, v16, s[0:1]
	v_cndmask_b32_e64 v15, v8, v15, s[2:3]
	v_cmp_o_f32_e32 vcc, v9, v9
	v_cndmask_b32_e32 v9, v8, v10, vcc
	v_or_b32_e32 v14, v15, v14
	v_or3_b32 v10, 0, v9, v13
	v_or3_b32 v9, v14, 0, 0
	global_store_dwordx2 v[11:12], v[9:10], off
	s_andn2_b64 exec, exec, s[18:19]
	s_cbranch_execnz .LBB19_3
.LBB19_4:
	s_or_b64 exec, exec, s[16:17]
	s_mov_b64 s[0:1], 0
.LBB19_5:
	s_andn2_b64 vcc, exec, s[0:1]
	s_cbranch_vccnz .LBB19_25
; %bb.6:
	v_cmp_lt_i64_e64 s[0:1], s[12:13], 1
	s_and_b64 vcc, exec, s[0:1]
	s_cbranch_vccnz .LBB19_25
; %bb.7:
	v_mov_b32_e32 v1, 0x10000
	s_load_dword s2, s[4:5], 0xc5c
	v_mov_b32_e32 v2, 0
	v_cmp_lt_i64_e32 vcc, s[12:13], v[1:2]
	v_mov_b32_e32 v10, 0
	s_and_b64 s[0:1], vcc, exec
	v_cmp_lt_u64_e32 vcc, s[12:13], v[1:2]
	s_cselect_b32 s11, s13, 0
	s_cselect_b32 s10, s12, 0x10000
	s_waitcnt lgkmcnt(0)
	s_and_b32 s2, s2, 0xffff
	v_lshlrev_b32_e32 v9, 1, v0
	s_and_b64 s[0:1], vcc, exec
	v_mov_b32_e32 v2, s15
	v_add_co_u32_e32 v1, vcc, s14, v9
	v_mad_u64_u32 v[7:8], s[0:1], s2, 6, v[9:10]
	v_addc_co_u32_e32 v2, vcc, 0, v2, vcc
	v_mov_b32_e32 v4, s7
	v_add_co_u32_e32 v3, vcc, s6, v9
	v_addc_co_u32_e32 v4, vcc, 0, v4, vcc
	v_mov_b32_e32 v6, s15
	v_add_co_u32_e32 v5, vcc, s14, v7
	v_addc_co_u32_e32 v6, vcc, v6, v8, vcc
	v_mov_b32_e32 v10, s7
	v_add_co_u32_e32 v7, vcc, s6, v7
	s_cselect_b32 s13, s13, 0
	s_cselect_b32 s12, s12, 0x10000
	s_lshl_b32 s18, s2, 2
	v_addc_co_u32_e32 v8, vcc, v10, v8, vcc
	v_add_co_u32_e32 v11, vcc, s18, v9
	v_addc_co_u32_e64 v12, s[0:1], 0, 0, vcc
	v_mov_b32_e32 v10, s15
	v_add_co_u32_e32 v9, vcc, s14, v11
	v_addc_co_u32_e32 v10, vcc, v10, v12, vcc
	v_mov_b32_e32 v13, s7
	v_add_co_u32_e32 v11, vcc, s6, v11
	v_addc_co_u32_e32 v12, vcc, v13, v12, vcc
	v_add_co_u32_e32 v13, vcc, s2, v0
	v_lshlrev_b32_e32 v17, 1, v13
	v_addc_co_u32_e64 v14, s[0:1], 0, 0, vcc
	v_mov_b32_e32 v16, s15
	v_add_co_u32_e32 v15, vcc, s14, v17
	v_addc_co_u32_e32 v16, vcc, 0, v16, vcc
	v_mov_b32_e32 v18, s7
	v_add_co_u32_e32 v17, vcc, s6, v17
	s_mul_i32 s4, s2, 3
	v_addc_co_u32_e32 v18, vcc, 0, v18, vcc
	s_lshl_b32 s3, s2, 1
	v_add_co_u32_e32 v19, vcc, s4, v0
	v_addc_co_u32_e64 v20, s[0:1], 0, 0, vcc
	v_add_co_u32_e32 v21, vcc, s3, v0
	s_lshl_b32 s19, s2, 3
	s_mov_b64 s[14:15], 0
	s_movk_i32 s20, 0x7fff
	v_addc_co_u32_e64 v22, s[0:1], 0, 0, vcc
	v_mov_b32_e32 v23, 0x7fc0
	s_branch .LBB19_9
.LBB19_8:                               ;   in Loop: Header=BB19_9 Depth=1
	s_or_b64 exec, exec, s[0:1]
	v_add_co_u32_e32 v1, vcc, s19, v1
	v_addc_co_u32_e32 v2, vcc, 0, v2, vcc
	v_add_co_u32_e32 v3, vcc, s19, v3
	v_addc_co_u32_e32 v4, vcc, 0, v4, vcc
	;; [unrolled: 2-line block ×6, first 2 shown]
	s_add_u32 s14, s14, s18
	v_add_co_u32_e32 v15, vcc, s19, v15
	v_mov_b32_e32 v25, s11
	s_addc_u32 s15, s15, 0
	v_addc_co_u32_e32 v16, vcc, 0, v16, vcc
	v_mov_b32_e32 v24, s10
	v_cmp_ge_i64_e32 vcc, s[14:15], v[24:25]
	v_add_co_u32_e64 v17, s[0:1], s19, v17
	v_addc_co_u32_e64 v18, s[0:1], 0, v18, s[0:1]
	s_cbranch_vccnz .LBB19_25
.LBB19_9:                               ; =>This Inner Loop Header: Depth=1
	v_mov_b32_e32 v25, s15
	v_add_co_u32_e32 v24, vcc, s14, v0
	v_addc_co_u32_e32 v25, vcc, 0, v25, vcc
	v_cmp_gt_u64_e32 vcc, s[12:13], v[24:25]
	v_mov_b32_e32 v25, 0
	s_and_saveexec_b64 s[2:3], vcc
	s_cbranch_execz .LBB19_11
; %bb.10:                               ;   in Loop: Header=BB19_9 Depth=1
	v_mov_b32_e32 v25, s9
	v_add_co_u32_e64 v24, s[0:1], s8, v1
	v_addc_co_u32_e64 v25, s[0:1], v2, v25, s[0:1]
	global_load_ushort v24, v[24:25], off
	s_waitcnt vmcnt(0)
	v_lshlrev_b32_e32 v24, 16, v24
	v_trunc_f32_e32 v25, v24
.LBB19_11:                              ;   in Loop: Header=BB19_9 Depth=1
	s_or_b64 exec, exec, s[2:3]
	v_mov_b32_e32 v24, s15
	v_add_co_u32_e64 v26, s[0:1], s14, v13
	v_addc_co_u32_e64 v27, s[0:1], v14, v24, s[0:1]
	v_cmp_gt_u64_e64 s[0:1], s[12:13], v[26:27]
	v_mov_b32_e32 v24, 0
	v_mov_b32_e32 v26, 0
	s_and_saveexec_b64 s[4:5], s[0:1]
	s_cbranch_execz .LBB19_13
; %bb.12:                               ;   in Loop: Header=BB19_9 Depth=1
	v_mov_b32_e32 v27, s9
	v_add_co_u32_e64 v26, s[2:3], s8, v15
	v_addc_co_u32_e64 v27, s[2:3], v16, v27, s[2:3]
	global_load_ushort v26, v[26:27], off
	s_waitcnt vmcnt(0)
	v_lshlrev_b32_e32 v26, 16, v26
	v_trunc_f32_e32 v26, v26
.LBB19_13:                              ;   in Loop: Header=BB19_9 Depth=1
	s_or_b64 exec, exec, s[4:5]
	v_mov_b32_e32 v28, s15
	v_add_co_u32_e64 v27, s[2:3], s14, v21
	v_addc_co_u32_e64 v28, s[2:3], v22, v28, s[2:3]
	v_cmp_gt_u64_e64 s[2:3], s[12:13], v[27:28]
	s_and_saveexec_b64 s[6:7], s[2:3]
	s_cbranch_execz .LBB19_15
; %bb.14:                               ;   in Loop: Header=BB19_9 Depth=1
	v_mov_b32_e32 v24, s9
	v_add_co_u32_e64 v27, s[4:5], s8, v9
	v_addc_co_u32_e64 v28, s[4:5], v10, v24, s[4:5]
	global_load_ushort v24, v[27:28], off
	s_waitcnt vmcnt(0)
	v_lshlrev_b32_e32 v24, 16, v24
	v_trunc_f32_e32 v24, v24
.LBB19_15:                              ;   in Loop: Header=BB19_9 Depth=1
	s_or_b64 exec, exec, s[6:7]
	v_mov_b32_e32 v28, s15
	v_add_co_u32_e64 v27, s[4:5], s14, v19
	v_addc_co_u32_e64 v28, s[4:5], v20, v28, s[4:5]
	v_cmp_gt_u64_e64 s[4:5], s[12:13], v[27:28]
	v_mov_b32_e32 v27, 0
	s_and_saveexec_b64 s[16:17], s[4:5]
	s_cbranch_execnz .LBB19_20
; %bb.16:                               ;   in Loop: Header=BB19_9 Depth=1
	s_or_b64 exec, exec, s[16:17]
	s_and_saveexec_b64 s[6:7], vcc
	s_cbranch_execnz .LBB19_21
.LBB19_17:                              ;   in Loop: Header=BB19_9 Depth=1
	s_or_b64 exec, exec, s[6:7]
	s_and_saveexec_b64 s[6:7], s[0:1]
	s_cbranch_execnz .LBB19_22
.LBB19_18:                              ;   in Loop: Header=BB19_9 Depth=1
	s_or_b64 exec, exec, s[6:7]
	s_and_saveexec_b64 s[0:1], s[2:3]
	s_cbranch_execnz .LBB19_23
.LBB19_19:                              ;   in Loop: Header=BB19_9 Depth=1
	s_or_b64 exec, exec, s[0:1]
	s_and_saveexec_b64 s[0:1], s[4:5]
	s_cbranch_execz .LBB19_8
	s_branch .LBB19_24
.LBB19_20:                              ;   in Loop: Header=BB19_9 Depth=1
	v_mov_b32_e32 v28, s9
	v_add_co_u32_e64 v27, s[6:7], s8, v5
	v_addc_co_u32_e64 v28, s[6:7], v6, v28, s[6:7]
	global_load_ushort v27, v[27:28], off
	s_waitcnt vmcnt(0)
	v_lshlrev_b32_e32 v27, 16, v27
	v_trunc_f32_e32 v27, v27
	s_or_b64 exec, exec, s[16:17]
	s_and_saveexec_b64 s[6:7], vcc
	s_cbranch_execz .LBB19_17
.LBB19_21:                              ;   in Loop: Header=BB19_9 Depth=1
	v_bfe_u32 v28, v25, 16, 1
	v_add3_u32 v28, v25, v28, s20
	v_cmp_o_f32_e32 vcc, v25, v25
	v_cndmask_b32_sdwa v25, v23, v28, vcc dst_sel:DWORD dst_unused:UNUSED_PAD src0_sel:DWORD src1_sel:WORD_1
	v_mov_b32_e32 v29, s9
	v_add_co_u32_e32 v28, vcc, s8, v3
	v_addc_co_u32_e32 v29, vcc, v4, v29, vcc
	global_store_short v[28:29], v25, off
	s_or_b64 exec, exec, s[6:7]
	s_and_saveexec_b64 s[6:7], s[0:1]
	s_cbranch_execz .LBB19_18
.LBB19_22:                              ;   in Loop: Header=BB19_9 Depth=1
	v_bfe_u32 v25, v26, 16, 1
	v_add3_u32 v25, v26, v25, s20
	v_cmp_o_f32_e32 vcc, v26, v26
	v_cndmask_b32_sdwa v28, v23, v25, vcc dst_sel:DWORD dst_unused:UNUSED_PAD src0_sel:DWORD src1_sel:WORD_1
	v_mov_b32_e32 v26, s9
	v_add_co_u32_e32 v25, vcc, s8, v17
	v_addc_co_u32_e32 v26, vcc, v18, v26, vcc
	global_store_short v[25:26], v28, off
	s_or_b64 exec, exec, s[6:7]
	s_and_saveexec_b64 s[0:1], s[2:3]
	s_cbranch_execz .LBB19_19
.LBB19_23:                              ;   in Loop: Header=BB19_9 Depth=1
	v_bfe_u32 v25, v24, 16, 1
	v_add3_u32 v25, v24, v25, s20
	v_cmp_o_f32_e32 vcc, v24, v24
	v_cndmask_b32_sdwa v26, v23, v25, vcc dst_sel:DWORD dst_unused:UNUSED_PAD src0_sel:DWORD src1_sel:WORD_1
	v_mov_b32_e32 v25, s9
	v_add_co_u32_e32 v24, vcc, s8, v11
	v_addc_co_u32_e32 v25, vcc, v12, v25, vcc
	global_store_short v[24:25], v26, off
	s_or_b64 exec, exec, s[0:1]
	s_and_saveexec_b64 s[0:1], s[4:5]
	s_cbranch_execz .LBB19_8
.LBB19_24:                              ;   in Loop: Header=BB19_9 Depth=1
	v_bfe_u32 v24, v27, 16, 1
	v_add3_u32 v24, v27, v24, s20
	v_cmp_o_f32_e32 vcc, v27, v27
	v_cndmask_b32_sdwa v26, v23, v24, vcc dst_sel:DWORD dst_unused:UNUSED_PAD src0_sel:DWORD src1_sel:WORD_1
	v_mov_b32_e32 v25, s9
	v_add_co_u32_e32 v24, vcc, s8, v7
	v_addc_co_u32_e32 v25, vcc, v8, v25, vcc
	global_store_short v[24:25], v26, off
	s_branch .LBB19_8
.LBB19_25:
	s_endpgm
	.section	.rodata,"a",@progbits
	.p2align	6, 0x0
	.amdhsa_kernel _ZN2at6native12_GLOBAL__N_125multi_tensor_apply_kernelINS1_18TensorListMetadataILi2EEENS1_14UnaryOpFunctorIN3c108BFloat16ELi2ELi1ELi1EEEJNS0_6TruncfIfEEEEEvT_T0_DpT1_
		.amdhsa_group_segment_fixed_size 0
		.amdhsa_private_segment_fixed_size 0
		.amdhsa_kernarg_size 3408
		.amdhsa_user_sgpr_count 6
		.amdhsa_user_sgpr_private_segment_buffer 1
		.amdhsa_user_sgpr_dispatch_ptr 0
		.amdhsa_user_sgpr_queue_ptr 0
		.amdhsa_user_sgpr_kernarg_segment_ptr 1
		.amdhsa_user_sgpr_dispatch_id 0
		.amdhsa_user_sgpr_flat_scratch_init 0
		.amdhsa_user_sgpr_private_segment_size 0
		.amdhsa_uses_dynamic_stack 0
		.amdhsa_system_sgpr_private_segment_wavefront_offset 0
		.amdhsa_system_sgpr_workgroup_id_x 1
		.amdhsa_system_sgpr_workgroup_id_y 0
		.amdhsa_system_sgpr_workgroup_id_z 0
		.amdhsa_system_sgpr_workgroup_info 0
		.amdhsa_system_vgpr_workitem_id 0
		.amdhsa_next_free_vgpr 30
		.amdhsa_next_free_sgpr 23
		.amdhsa_reserve_vcc 1
		.amdhsa_reserve_flat_scratch 0
		.amdhsa_float_round_mode_32 0
		.amdhsa_float_round_mode_16_64 0
		.amdhsa_float_denorm_mode_32 3
		.amdhsa_float_denorm_mode_16_64 3
		.amdhsa_dx10_clamp 1
		.amdhsa_ieee_mode 1
		.amdhsa_fp16_overflow 0
		.amdhsa_exception_fp_ieee_invalid_op 0
		.amdhsa_exception_fp_denorm_src 0
		.amdhsa_exception_fp_ieee_div_zero 0
		.amdhsa_exception_fp_ieee_overflow 0
		.amdhsa_exception_fp_ieee_underflow 0
		.amdhsa_exception_fp_ieee_inexact 0
		.amdhsa_exception_int_div_zero 0
	.end_amdhsa_kernel
	.section	.text._ZN2at6native12_GLOBAL__N_125multi_tensor_apply_kernelINS1_18TensorListMetadataILi2EEENS1_14UnaryOpFunctorIN3c108BFloat16ELi2ELi1ELi1EEEJNS0_6TruncfIfEEEEEvT_T0_DpT1_,"axG",@progbits,_ZN2at6native12_GLOBAL__N_125multi_tensor_apply_kernelINS1_18TensorListMetadataILi2EEENS1_14UnaryOpFunctorIN3c108BFloat16ELi2ELi1ELi1EEEJNS0_6TruncfIfEEEEEvT_T0_DpT1_,comdat
.Lfunc_end19:
	.size	_ZN2at6native12_GLOBAL__N_125multi_tensor_apply_kernelINS1_18TensorListMetadataILi2EEENS1_14UnaryOpFunctorIN3c108BFloat16ELi2ELi1ELi1EEEJNS0_6TruncfIfEEEEEvT_T0_DpT1_, .Lfunc_end19-_ZN2at6native12_GLOBAL__N_125multi_tensor_apply_kernelINS1_18TensorListMetadataILi2EEENS1_14UnaryOpFunctorIN3c108BFloat16ELi2ELi1ELi1EEEJNS0_6TruncfIfEEEEEvT_T0_DpT1_
                                        ; -- End function
	.set _ZN2at6native12_GLOBAL__N_125multi_tensor_apply_kernelINS1_18TensorListMetadataILi2EEENS1_14UnaryOpFunctorIN3c108BFloat16ELi2ELi1ELi1EEEJNS0_6TruncfIfEEEEEvT_T0_DpT1_.num_vgpr, 30
	.set _ZN2at6native12_GLOBAL__N_125multi_tensor_apply_kernelINS1_18TensorListMetadataILi2EEENS1_14UnaryOpFunctorIN3c108BFloat16ELi2ELi1ELi1EEEJNS0_6TruncfIfEEEEEvT_T0_DpT1_.num_agpr, 0
	.set _ZN2at6native12_GLOBAL__N_125multi_tensor_apply_kernelINS1_18TensorListMetadataILi2EEENS1_14UnaryOpFunctorIN3c108BFloat16ELi2ELi1ELi1EEEJNS0_6TruncfIfEEEEEvT_T0_DpT1_.numbered_sgpr, 23
	.set _ZN2at6native12_GLOBAL__N_125multi_tensor_apply_kernelINS1_18TensorListMetadataILi2EEENS1_14UnaryOpFunctorIN3c108BFloat16ELi2ELi1ELi1EEEJNS0_6TruncfIfEEEEEvT_T0_DpT1_.num_named_barrier, 0
	.set _ZN2at6native12_GLOBAL__N_125multi_tensor_apply_kernelINS1_18TensorListMetadataILi2EEENS1_14UnaryOpFunctorIN3c108BFloat16ELi2ELi1ELi1EEEJNS0_6TruncfIfEEEEEvT_T0_DpT1_.private_seg_size, 0
	.set _ZN2at6native12_GLOBAL__N_125multi_tensor_apply_kernelINS1_18TensorListMetadataILi2EEENS1_14UnaryOpFunctorIN3c108BFloat16ELi2ELi1ELi1EEEJNS0_6TruncfIfEEEEEvT_T0_DpT1_.uses_vcc, 1
	.set _ZN2at6native12_GLOBAL__N_125multi_tensor_apply_kernelINS1_18TensorListMetadataILi2EEENS1_14UnaryOpFunctorIN3c108BFloat16ELi2ELi1ELi1EEEJNS0_6TruncfIfEEEEEvT_T0_DpT1_.uses_flat_scratch, 0
	.set _ZN2at6native12_GLOBAL__N_125multi_tensor_apply_kernelINS1_18TensorListMetadataILi2EEENS1_14UnaryOpFunctorIN3c108BFloat16ELi2ELi1ELi1EEEJNS0_6TruncfIfEEEEEvT_T0_DpT1_.has_dyn_sized_stack, 0
	.set _ZN2at6native12_GLOBAL__N_125multi_tensor_apply_kernelINS1_18TensorListMetadataILi2EEENS1_14UnaryOpFunctorIN3c108BFloat16ELi2ELi1ELi1EEEJNS0_6TruncfIfEEEEEvT_T0_DpT1_.has_recursion, 0
	.set _ZN2at6native12_GLOBAL__N_125multi_tensor_apply_kernelINS1_18TensorListMetadataILi2EEENS1_14UnaryOpFunctorIN3c108BFloat16ELi2ELi1ELi1EEEJNS0_6TruncfIfEEEEEvT_T0_DpT1_.has_indirect_call, 0
	.section	.AMDGPU.csdata,"",@progbits
; Kernel info:
; codeLenInByte = 1600
; TotalNumSgprs: 27
; NumVgprs: 30
; ScratchSize: 0
; MemoryBound: 0
; FloatMode: 240
; IeeeMode: 1
; LDSByteSize: 0 bytes/workgroup (compile time only)
; SGPRBlocks: 3
; VGPRBlocks: 7
; NumSGPRsForWavesPerEU: 27
; NumVGPRsForWavesPerEU: 30
; Occupancy: 8
; WaveLimiterHint : 0
; COMPUTE_PGM_RSRC2:SCRATCH_EN: 0
; COMPUTE_PGM_RSRC2:USER_SGPR: 6
; COMPUTE_PGM_RSRC2:TRAP_HANDLER: 0
; COMPUTE_PGM_RSRC2:TGID_X_EN: 1
; COMPUTE_PGM_RSRC2:TGID_Y_EN: 0
; COMPUTE_PGM_RSRC2:TGID_Z_EN: 0
; COMPUTE_PGM_RSRC2:TIDIG_COMP_CNT: 0
	.section	.text._ZN2at6native12_GLOBAL__N_125multi_tensor_apply_kernelINS1_18TensorListMetadataILi1EEENS1_14UnaryOpFunctorIdLi1ELi1ELi0EEEJNS0_6TruncfIdEEEEEvT_T0_DpT1_,"axG",@progbits,_ZN2at6native12_GLOBAL__N_125multi_tensor_apply_kernelINS1_18TensorListMetadataILi1EEENS1_14UnaryOpFunctorIdLi1ELi1ELi0EEEJNS0_6TruncfIdEEEEEvT_T0_DpT1_,comdat
	.globl	_ZN2at6native12_GLOBAL__N_125multi_tensor_apply_kernelINS1_18TensorListMetadataILi1EEENS1_14UnaryOpFunctorIdLi1ELi1ELi0EEEJNS0_6TruncfIdEEEEEvT_T0_DpT1_ ; -- Begin function _ZN2at6native12_GLOBAL__N_125multi_tensor_apply_kernelINS1_18TensorListMetadataILi1EEENS1_14UnaryOpFunctorIdLi1ELi1ELi0EEEJNS0_6TruncfIdEEEEEvT_T0_DpT1_
	.p2align	8
	.type	_ZN2at6native12_GLOBAL__N_125multi_tensor_apply_kernelINS1_18TensorListMetadataILi1EEENS1_14UnaryOpFunctorIdLi1ELi1ELi0EEEJNS0_6TruncfIdEEEEEvT_T0_DpT1_,@function
_ZN2at6native12_GLOBAL__N_125multi_tensor_apply_kernelINS1_18TensorListMetadataILi1EEENS1_14UnaryOpFunctorIdLi1ELi1ELi0EEEJNS0_6TruncfIdEEEEEvT_T0_DpT1_: ; @_ZN2at6native12_GLOBAL__N_125multi_tensor_apply_kernelINS1_18TensorListMetadataILi1EEENS1_14UnaryOpFunctorIdLi1ELi1ELi0EEEJNS0_6TruncfIdEEEEEvT_T0_DpT1_
; %bb.0:
	v_mov_b32_e32 v1, s6
	global_load_ubyte v1, v1, s[4:5] offset:1760
	s_add_u32 s0, s4, s6
	s_mul_hi_u32 s1, s6, 3
	s_mul_i32 s6, s6, 3
	s_addc_u32 s2, s5, 0
	s_add_u32 s0, s0, s6
	s_addc_u32 s1, s2, s1
	s_load_dword s0, s[0:1], 0x820
	s_mov_b32 s7, 0
	s_waitcnt vmcnt(0)
	v_readfirstlane_b32 s1, v1
	s_lshl_b32 s1, s1, 3
	s_load_dwordx2 s[2:3], s[4:5], s1 offset:0x370
	s_load_dwordx2 s[10:11], s[4:5], s1 offset:0x0
	s_waitcnt lgkmcnt(0)
	s_ashr_i32 s1, s0, 31
	s_lshl_b64 s[12:13], s[0:1], 19
	s_lshl_b64 s[0:1], s[0:1], 16
	s_and_b32 s6, s10, 31
	s_sub_u32 s14, s2, s0
	s_subb_u32 s15, s3, s1
	s_and_b32 s0, s2, 3
	s_mov_b32 s1, s7
	s_or_b64 s[0:1], s[6:7], s[0:1]
	s_cmp_eq_u64 s[0:1], 0
	s_cbranch_scc1 .LBB20_21
; %bb.1:
	v_cmp_lt_i64_e64 s[0:1], s[14:15], 1
	s_and_b64 vcc, exec, s[0:1]
	s_cbranch_vccnz .LBB20_20
; %bb.2:
	v_mov_b32_e32 v1, 0x10000
	s_load_dword s2, s[4:5], 0xd3c
	v_mov_b32_e32 v2, 0
	v_cmp_lt_i64_e32 vcc, s[14:15], v[1:2]
	s_mov_b64 s[20:21], 0
	s_and_b64 s[0:1], vcc, exec
	v_cmp_lt_u64_e32 vcc, s[14:15], v[1:2]
	s_cselect_b32 s17, s15, 0
	s_cselect_b32 s16, s14, 0x10000
	s_waitcnt lgkmcnt(0)
	s_and_b32 s2, s2, 0xffff
	s_and_b64 s[0:1], vcc, exec
	s_cselect_b32 s19, s15, 0
	s_cselect_b32 s18, s14, 0x10000
	s_lshl_b32 s3, s2, 1
	s_lshl_b32 s24, s2, 2
	s_add_u32 s6, s10, s12
	v_lshlrev_b32_e32 v1, 3, v0
	s_addc_u32 s7, s11, s13
	v_mov_b32_e32 v2, s7
	v_add_co_u32_e32 v1, vcc, s6, v1
	s_mul_i32 s0, s2, 3
	v_addc_co_u32_e32 v2, vcc, 0, v2, vcc
	v_add_co_u32_e32 v13, vcc, s0, v0
	v_addc_co_u32_e64 v14, s[0:1], 0, 0, vcc
	v_add_co_u32_e32 v15, vcc, s3, v0
	v_addc_co_u32_e64 v16, s[0:1], 0, 0, vcc
	v_add_co_u32_e32 v17, vcc, s2, v0
	v_lshlrev_b32_e32 v3, 3, v17
	v_addc_co_u32_e64 v18, s[0:1], 0, 0, vcc
	v_mov_b32_e32 v4, s7
	v_add_co_u32_e32 v3, vcc, s6, v3
	s_lshl_b32 s25, s2, 5
	s_mul_i32 s26, s2, 24
	s_lshl_b32 s27, s2, 4
	v_addc_co_u32_e32 v4, vcc, 0, v4, vcc
	s_branch .LBB20_4
.LBB20_3:                               ;   in Loop: Header=BB20_4 Depth=1
	s_or_b64 exec, exec, s[0:1]
	s_add_u32 s20, s20, s24
	v_add_co_u32_e32 v1, vcc, s25, v1
	v_mov_b32_e32 v5, s16
	s_addc_u32 s21, s21, 0
	v_addc_co_u32_e32 v2, vcc, 0, v2, vcc
	v_mov_b32_e32 v6, s17
	v_cmp_lt_i64_e32 vcc, s[20:21], v[5:6]
	v_add_co_u32_e64 v3, s[0:1], s25, v3
	v_addc_co_u32_e64 v4, s[0:1], 0, v4, s[0:1]
	s_cbranch_vccz .LBB20_20
.LBB20_4:                               ; =>This Inner Loop Header: Depth=1
	v_mov_b32_e32 v6, s21
	v_add_co_u32_e32 v5, vcc, s20, v0
	v_addc_co_u32_e32 v6, vcc, 0, v6, vcc
	v_cmp_gt_u64_e32 vcc, s[18:19], v[5:6]
	v_mov_b32_e32 v5, 0
	v_mov_b32_e32 v7, 0
	;; [unrolled: 1-line block ×4, first 2 shown]
	s_and_saveexec_b64 s[0:1], vcc
	s_cbranch_execz .LBB20_6
; %bb.5:                                ;   in Loop: Header=BB20_4 Depth=1
	global_load_dwordx2 v[7:8], v[1:2], off
	s_waitcnt vmcnt(0)
	v_trunc_f64_e32 v[7:8], v[7:8]
.LBB20_6:                               ;   in Loop: Header=BB20_4 Depth=1
	s_or_b64 exec, exec, s[0:1]
	v_mov_b32_e32 v10, s21
	v_add_co_u32_e64 v9, s[0:1], s20, v17
	v_addc_co_u32_e64 v10, s[0:1], v18, v10, s[0:1]
	v_cmp_gt_u64_e64 s[0:1], s[18:19], v[9:10]
	s_and_saveexec_b64 s[2:3], s[0:1]
	s_cbranch_execz .LBB20_8
; %bb.7:                                ;   in Loop: Header=BB20_4 Depth=1
	global_load_dwordx2 v[5:6], v[3:4], off
	s_waitcnt vmcnt(0)
	v_trunc_f64_e32 v[5:6], v[5:6]
.LBB20_8:                               ;   in Loop: Header=BB20_4 Depth=1
	s_or_b64 exec, exec, s[2:3]
	v_mov_b32_e32 v10, s21
	v_add_co_u32_e64 v9, s[2:3], s20, v15
	v_addc_co_u32_e64 v10, s[2:3], v16, v10, s[2:3]
	v_cmp_gt_u64_e64 s[2:3], s[18:19], v[9:10]
	v_mov_b32_e32 v9, 0
	v_mov_b32_e32 v11, 0
	;; [unrolled: 1-line block ×4, first 2 shown]
	s_and_saveexec_b64 s[8:9], s[2:3]
	s_cbranch_execz .LBB20_10
; %bb.9:                                ;   in Loop: Header=BB20_4 Depth=1
	v_add_co_u32_e64 v11, s[6:7], s27, v1
	v_addc_co_u32_e64 v12, s[6:7], 0, v2, s[6:7]
	global_load_dwordx2 v[11:12], v[11:12], off
	s_waitcnt vmcnt(0)
	v_trunc_f64_e32 v[11:12], v[11:12]
.LBB20_10:                              ;   in Loop: Header=BB20_4 Depth=1
	s_or_b64 exec, exec, s[8:9]
	v_mov_b32_e32 v20, s21
	v_add_co_u32_e64 v19, s[6:7], s20, v13
	v_addc_co_u32_e64 v20, s[6:7], v14, v20, s[6:7]
	v_cmp_gt_u64_e64 s[6:7], s[18:19], v[19:20]
	s_and_saveexec_b64 s[22:23], s[6:7]
	s_cbranch_execnz .LBB20_15
; %bb.11:                               ;   in Loop: Header=BB20_4 Depth=1
	s_or_b64 exec, exec, s[22:23]
	s_and_saveexec_b64 s[8:9], vcc
	s_cbranch_execnz .LBB20_16
.LBB20_12:                              ;   in Loop: Header=BB20_4 Depth=1
	s_or_b64 exec, exec, s[8:9]
	s_and_saveexec_b64 s[8:9], s[0:1]
	s_cbranch_execnz .LBB20_17
.LBB20_13:                              ;   in Loop: Header=BB20_4 Depth=1
	s_or_b64 exec, exec, s[8:9]
	s_and_saveexec_b64 s[0:1], s[2:3]
	s_cbranch_execnz .LBB20_18
.LBB20_14:                              ;   in Loop: Header=BB20_4 Depth=1
	s_or_b64 exec, exec, s[0:1]
	s_and_saveexec_b64 s[0:1], s[6:7]
	s_cbranch_execz .LBB20_3
	s_branch .LBB20_19
.LBB20_15:                              ;   in Loop: Header=BB20_4 Depth=1
	v_add_co_u32_e64 v9, s[8:9], s26, v1
	v_addc_co_u32_e64 v10, s[8:9], 0, v2, s[8:9]
	global_load_dwordx2 v[9:10], v[9:10], off
	s_waitcnt vmcnt(0)
	v_trunc_f64_e32 v[9:10], v[9:10]
	s_or_b64 exec, exec, s[22:23]
	s_and_saveexec_b64 s[8:9], vcc
	s_cbranch_execz .LBB20_12
.LBB20_16:                              ;   in Loop: Header=BB20_4 Depth=1
	global_store_dwordx2 v[1:2], v[7:8], off
	s_or_b64 exec, exec, s[8:9]
	s_and_saveexec_b64 s[8:9], s[0:1]
	s_cbranch_execz .LBB20_13
.LBB20_17:                              ;   in Loop: Header=BB20_4 Depth=1
	global_store_dwordx2 v[3:4], v[5:6], off
	s_or_b64 exec, exec, s[8:9]
	s_and_saveexec_b64 s[0:1], s[2:3]
	s_cbranch_execz .LBB20_14
.LBB20_18:                              ;   in Loop: Header=BB20_4 Depth=1
	v_add_co_u32_e32 v5, vcc, s27, v1
	v_addc_co_u32_e32 v6, vcc, 0, v2, vcc
	global_store_dwordx2 v[5:6], v[11:12], off
	s_or_b64 exec, exec, s[0:1]
	s_and_saveexec_b64 s[0:1], s[6:7]
	s_cbranch_execz .LBB20_3
.LBB20_19:                              ;   in Loop: Header=BB20_4 Depth=1
	v_add_co_u32_e32 v5, vcc, s26, v1
	v_addc_co_u32_e32 v6, vcc, 0, v2, vcc
	global_store_dwordx2 v[5:6], v[9:10], off
	s_branch .LBB20_3
.LBB20_20:
	s_cbranch_execz .LBB20_22
	s_branch .LBB20_25
.LBB20_21:
.LBB20_22:
	v_mov_b32_e32 v1, 0x10000
	v_mov_b32_e32 v2, 0
	v_cmp_lt_i64_e32 vcc, s[14:15], v[1:2]
	v_mov_b32_e32 v2, 0
	s_and_b64 s[0:1], vcc, exec
	s_cselect_b32 s1, s15, 0
	s_cselect_b32 s0, s14, 0x10000
	v_lshlrev_b32_e32 v1, 2, v0
	v_cmp_gt_i64_e32 vcc, s[0:1], v[1:2]
	s_and_saveexec_b64 s[2:3], vcc
	s_cbranch_execz .LBB20_25
; %bb.23:
	s_load_dword s2, s[4:5], 0xd3c
	v_mov_b32_e32 v1, v2
	v_lshlrev_b32_e32 v2, 5, v0
	s_waitcnt lgkmcnt(0)
	s_and_b32 s4, s2, 0xffff
	s_add_u32 s2, s10, s12
	s_addc_u32 s3, s11, s13
	v_mov_b32_e32 v3, s3
	v_add_co_u32_e32 v2, vcc, s2, v2
	v_addc_co_u32_e32 v3, vcc, 0, v3, vcc
	v_add_co_u32_e32 v2, vcc, 16, v2
	v_addc_co_u32_e32 v3, vcc, 0, v3, vcc
	s_lshl_b32 s5, s4, 5
	s_mov_b64 s[2:3], 0
.LBB20_24:                              ; =>This Inner Loop Header: Depth=1
	global_load_dwordx4 v[4:7], v[2:3], off offset:-16
	global_load_dwordx4 v[8:11], v[2:3], off
	v_add_co_u32_e32 v0, vcc, s4, v0
	v_addc_co_u32_e32 v1, vcc, 0, v1, vcc
	v_lshlrev_b64 v[12:13], 2, v[0:1]
	v_cmp_le_i64_e32 vcc, s[0:1], v[12:13]
	s_or_b64 s[2:3], vcc, s[2:3]
	s_waitcnt vmcnt(1)
	v_trunc_f64_e32 v[4:5], v[4:5]
	v_trunc_f64_e32 v[6:7], v[6:7]
	s_waitcnt vmcnt(0)
	v_trunc_f64_e32 v[8:9], v[8:9]
	v_trunc_f64_e32 v[10:11], v[10:11]
	global_store_dwordx4 v[2:3], v[4:7], off offset:-16
	global_store_dwordx4 v[2:3], v[8:11], off
	v_add_co_u32_e32 v2, vcc, s5, v2
	v_addc_co_u32_e32 v3, vcc, 0, v3, vcc
	s_andn2_b64 exec, exec, s[2:3]
	s_cbranch_execnz .LBB20_24
.LBB20_25:
	s_endpgm
	.section	.rodata,"a",@progbits
	.p2align	6, 0x0
	.amdhsa_kernel _ZN2at6native12_GLOBAL__N_125multi_tensor_apply_kernelINS1_18TensorListMetadataILi1EEENS1_14UnaryOpFunctorIdLi1ELi1ELi0EEEJNS0_6TruncfIdEEEEEvT_T0_DpT1_
		.amdhsa_group_segment_fixed_size 0
		.amdhsa_private_segment_fixed_size 0
		.amdhsa_kernarg_size 3632
		.amdhsa_user_sgpr_count 6
		.amdhsa_user_sgpr_private_segment_buffer 1
		.amdhsa_user_sgpr_dispatch_ptr 0
		.amdhsa_user_sgpr_queue_ptr 0
		.amdhsa_user_sgpr_kernarg_segment_ptr 1
		.amdhsa_user_sgpr_dispatch_id 0
		.amdhsa_user_sgpr_flat_scratch_init 0
		.amdhsa_user_sgpr_private_segment_size 0
		.amdhsa_uses_dynamic_stack 0
		.amdhsa_system_sgpr_private_segment_wavefront_offset 0
		.amdhsa_system_sgpr_workgroup_id_x 1
		.amdhsa_system_sgpr_workgroup_id_y 0
		.amdhsa_system_sgpr_workgroup_id_z 0
		.amdhsa_system_sgpr_workgroup_info 0
		.amdhsa_system_vgpr_workitem_id 0
		.amdhsa_next_free_vgpr 21
		.amdhsa_next_free_sgpr 28
		.amdhsa_reserve_vcc 1
		.amdhsa_reserve_flat_scratch 0
		.amdhsa_float_round_mode_32 0
		.amdhsa_float_round_mode_16_64 0
		.amdhsa_float_denorm_mode_32 3
		.amdhsa_float_denorm_mode_16_64 3
		.amdhsa_dx10_clamp 1
		.amdhsa_ieee_mode 1
		.amdhsa_fp16_overflow 0
		.amdhsa_exception_fp_ieee_invalid_op 0
		.amdhsa_exception_fp_denorm_src 0
		.amdhsa_exception_fp_ieee_div_zero 0
		.amdhsa_exception_fp_ieee_overflow 0
		.amdhsa_exception_fp_ieee_underflow 0
		.amdhsa_exception_fp_ieee_inexact 0
		.amdhsa_exception_int_div_zero 0
	.end_amdhsa_kernel
	.section	.text._ZN2at6native12_GLOBAL__N_125multi_tensor_apply_kernelINS1_18TensorListMetadataILi1EEENS1_14UnaryOpFunctorIdLi1ELi1ELi0EEEJNS0_6TruncfIdEEEEEvT_T0_DpT1_,"axG",@progbits,_ZN2at6native12_GLOBAL__N_125multi_tensor_apply_kernelINS1_18TensorListMetadataILi1EEENS1_14UnaryOpFunctorIdLi1ELi1ELi0EEEJNS0_6TruncfIdEEEEEvT_T0_DpT1_,comdat
.Lfunc_end20:
	.size	_ZN2at6native12_GLOBAL__N_125multi_tensor_apply_kernelINS1_18TensorListMetadataILi1EEENS1_14UnaryOpFunctorIdLi1ELi1ELi0EEEJNS0_6TruncfIdEEEEEvT_T0_DpT1_, .Lfunc_end20-_ZN2at6native12_GLOBAL__N_125multi_tensor_apply_kernelINS1_18TensorListMetadataILi1EEENS1_14UnaryOpFunctorIdLi1ELi1ELi0EEEJNS0_6TruncfIdEEEEEvT_T0_DpT1_
                                        ; -- End function
	.set _ZN2at6native12_GLOBAL__N_125multi_tensor_apply_kernelINS1_18TensorListMetadataILi1EEENS1_14UnaryOpFunctorIdLi1ELi1ELi0EEEJNS0_6TruncfIdEEEEEvT_T0_DpT1_.num_vgpr, 21
	.set _ZN2at6native12_GLOBAL__N_125multi_tensor_apply_kernelINS1_18TensorListMetadataILi1EEENS1_14UnaryOpFunctorIdLi1ELi1ELi0EEEJNS0_6TruncfIdEEEEEvT_T0_DpT1_.num_agpr, 0
	.set _ZN2at6native12_GLOBAL__N_125multi_tensor_apply_kernelINS1_18TensorListMetadataILi1EEENS1_14UnaryOpFunctorIdLi1ELi1ELi0EEEJNS0_6TruncfIdEEEEEvT_T0_DpT1_.numbered_sgpr, 28
	.set _ZN2at6native12_GLOBAL__N_125multi_tensor_apply_kernelINS1_18TensorListMetadataILi1EEENS1_14UnaryOpFunctorIdLi1ELi1ELi0EEEJNS0_6TruncfIdEEEEEvT_T0_DpT1_.num_named_barrier, 0
	.set _ZN2at6native12_GLOBAL__N_125multi_tensor_apply_kernelINS1_18TensorListMetadataILi1EEENS1_14UnaryOpFunctorIdLi1ELi1ELi0EEEJNS0_6TruncfIdEEEEEvT_T0_DpT1_.private_seg_size, 0
	.set _ZN2at6native12_GLOBAL__N_125multi_tensor_apply_kernelINS1_18TensorListMetadataILi1EEENS1_14UnaryOpFunctorIdLi1ELi1ELi0EEEJNS0_6TruncfIdEEEEEvT_T0_DpT1_.uses_vcc, 1
	.set _ZN2at6native12_GLOBAL__N_125multi_tensor_apply_kernelINS1_18TensorListMetadataILi1EEENS1_14UnaryOpFunctorIdLi1ELi1ELi0EEEJNS0_6TruncfIdEEEEEvT_T0_DpT1_.uses_flat_scratch, 0
	.set _ZN2at6native12_GLOBAL__N_125multi_tensor_apply_kernelINS1_18TensorListMetadataILi1EEENS1_14UnaryOpFunctorIdLi1ELi1ELi0EEEJNS0_6TruncfIdEEEEEvT_T0_DpT1_.has_dyn_sized_stack, 0
	.set _ZN2at6native12_GLOBAL__N_125multi_tensor_apply_kernelINS1_18TensorListMetadataILi1EEENS1_14UnaryOpFunctorIdLi1ELi1ELi0EEEJNS0_6TruncfIdEEEEEvT_T0_DpT1_.has_recursion, 0
	.set _ZN2at6native12_GLOBAL__N_125multi_tensor_apply_kernelINS1_18TensorListMetadataILi1EEENS1_14UnaryOpFunctorIdLi1ELi1ELi0EEEJNS0_6TruncfIdEEEEEvT_T0_DpT1_.has_indirect_call, 0
	.section	.AMDGPU.csdata,"",@progbits
; Kernel info:
; codeLenInByte = 1020
; TotalNumSgprs: 32
; NumVgprs: 21
; ScratchSize: 0
; MemoryBound: 1
; FloatMode: 240
; IeeeMode: 1
; LDSByteSize: 0 bytes/workgroup (compile time only)
; SGPRBlocks: 3
; VGPRBlocks: 5
; NumSGPRsForWavesPerEU: 32
; NumVGPRsForWavesPerEU: 21
; Occupancy: 10
; WaveLimiterHint : 0
; COMPUTE_PGM_RSRC2:SCRATCH_EN: 0
; COMPUTE_PGM_RSRC2:USER_SGPR: 6
; COMPUTE_PGM_RSRC2:TRAP_HANDLER: 0
; COMPUTE_PGM_RSRC2:TGID_X_EN: 1
; COMPUTE_PGM_RSRC2:TGID_Y_EN: 0
; COMPUTE_PGM_RSRC2:TGID_Z_EN: 0
; COMPUTE_PGM_RSRC2:TIDIG_COMP_CNT: 0
	.section	.text._ZN2at6native12_GLOBAL__N_125multi_tensor_apply_kernelINS1_18TensorListMetadataILi1EEENS1_14UnaryOpFunctorIfLi1ELi1ELi0EEEJNS0_6TruncfIfEEEEEvT_T0_DpT1_,"axG",@progbits,_ZN2at6native12_GLOBAL__N_125multi_tensor_apply_kernelINS1_18TensorListMetadataILi1EEENS1_14UnaryOpFunctorIfLi1ELi1ELi0EEEJNS0_6TruncfIfEEEEEvT_T0_DpT1_,comdat
	.globl	_ZN2at6native12_GLOBAL__N_125multi_tensor_apply_kernelINS1_18TensorListMetadataILi1EEENS1_14UnaryOpFunctorIfLi1ELi1ELi0EEEJNS0_6TruncfIfEEEEEvT_T0_DpT1_ ; -- Begin function _ZN2at6native12_GLOBAL__N_125multi_tensor_apply_kernelINS1_18TensorListMetadataILi1EEENS1_14UnaryOpFunctorIfLi1ELi1ELi0EEEJNS0_6TruncfIfEEEEEvT_T0_DpT1_
	.p2align	8
	.type	_ZN2at6native12_GLOBAL__N_125multi_tensor_apply_kernelINS1_18TensorListMetadataILi1EEENS1_14UnaryOpFunctorIfLi1ELi1ELi0EEEJNS0_6TruncfIfEEEEEvT_T0_DpT1_,@function
_ZN2at6native12_GLOBAL__N_125multi_tensor_apply_kernelINS1_18TensorListMetadataILi1EEENS1_14UnaryOpFunctorIfLi1ELi1ELi0EEEJNS0_6TruncfIfEEEEEvT_T0_DpT1_: ; @_ZN2at6native12_GLOBAL__N_125multi_tensor_apply_kernelINS1_18TensorListMetadataILi1EEENS1_14UnaryOpFunctorIfLi1ELi1ELi0EEEJNS0_6TruncfIfEEEEEvT_T0_DpT1_
; %bb.0:
	v_mov_b32_e32 v1, s6
	global_load_ubyte v1, v1, s[4:5] offset:1760
	s_add_u32 s0, s4, s6
	s_mul_hi_u32 s1, s6, 3
	s_mul_i32 s6, s6, 3
	s_addc_u32 s2, s5, 0
	s_add_u32 s0, s0, s6
	s_addc_u32 s1, s2, s1
	s_load_dword s0, s[0:1], 0x820
	s_mov_b32 s7, 0
	s_waitcnt vmcnt(0)
	v_readfirstlane_b32 s1, v1
	s_lshl_b32 s1, s1, 3
	s_load_dwordx2 s[2:3], s[4:5], s1 offset:0x370
	s_load_dwordx2 s[10:11], s[4:5], s1 offset:0x0
	s_waitcnt lgkmcnt(0)
	s_ashr_i32 s1, s0, 31
	s_lshl_b64 s[12:13], s[0:1], 18
	s_lshl_b64 s[0:1], s[0:1], 16
	s_and_b32 s6, s10, 15
	s_sub_u32 s14, s2, s0
	s_subb_u32 s15, s3, s1
	s_and_b32 s0, s2, 3
	s_mov_b32 s1, s7
	s_or_b64 s[0:1], s[6:7], s[0:1]
	s_cmp_eq_u64 s[0:1], 0
	s_cbranch_scc1 .LBB21_21
; %bb.1:
	v_cmp_lt_i64_e64 s[0:1], s[14:15], 1
	s_and_b64 vcc, exec, s[0:1]
	s_cbranch_vccnz .LBB21_20
; %bb.2:
	v_mov_b32_e32 v1, 0x10000
	s_load_dword s2, s[4:5], 0xd3c
	v_mov_b32_e32 v2, 0
	v_cmp_lt_i64_e32 vcc, s[14:15], v[1:2]
	s_mov_b64 s[20:21], 0
	s_and_b64 s[0:1], vcc, exec
	v_cmp_lt_u64_e32 vcc, s[14:15], v[1:2]
	s_cselect_b32 s17, s15, 0
	s_cselect_b32 s16, s14, 0x10000
	s_waitcnt lgkmcnt(0)
	s_and_b32 s2, s2, 0xffff
	s_and_b64 s[0:1], vcc, exec
	s_cselect_b32 s19, s15, 0
	s_cselect_b32 s18, s14, 0x10000
	s_lshl_b32 s3, s2, 1
	s_lshl_b32 s24, s2, 2
	s_add_u32 s6, s10, s12
	v_lshlrev_b32_e32 v1, 2, v0
	s_addc_u32 s7, s11, s13
	v_mov_b32_e32 v2, s7
	v_add_co_u32_e32 v1, vcc, s6, v1
	s_mul_i32 s0, s2, 3
	v_addc_co_u32_e32 v2, vcc, 0, v2, vcc
	v_add_co_u32_e32 v5, vcc, s0, v0
	v_addc_co_u32_e64 v6, s[0:1], 0, 0, vcc
	v_add_co_u32_e32 v7, vcc, s3, v0
	v_addc_co_u32_e64 v8, s[0:1], 0, 0, vcc
	v_add_co_u32_e32 v9, vcc, s2, v0
	v_lshlrev_b32_e32 v3, 2, v9
	v_addc_co_u32_e64 v10, s[0:1], 0, 0, vcc
	v_mov_b32_e32 v4, s7
	v_add_co_u32_e32 v3, vcc, s6, v3
	s_lshl_b32 s25, s2, 4
	s_mul_i32 s26, s2, 12
	s_lshl_b32 s27, s2, 3
	v_addc_co_u32_e32 v4, vcc, 0, v4, vcc
	s_branch .LBB21_4
.LBB21_3:                               ;   in Loop: Header=BB21_4 Depth=1
	s_or_b64 exec, exec, s[0:1]
	s_add_u32 s20, s20, s24
	v_add_co_u32_e32 v1, vcc, s25, v1
	v_mov_b32_e32 v11, s16
	s_addc_u32 s21, s21, 0
	v_addc_co_u32_e32 v2, vcc, 0, v2, vcc
	v_mov_b32_e32 v12, s17
	v_cmp_lt_i64_e32 vcc, s[20:21], v[11:12]
	v_add_co_u32_e64 v3, s[0:1], s25, v3
	v_addc_co_u32_e64 v4, s[0:1], 0, v4, s[0:1]
	s_cbranch_vccz .LBB21_20
.LBB21_4:                               ; =>This Inner Loop Header: Depth=1
	v_mov_b32_e32 v12, s21
	v_add_co_u32_e32 v11, vcc, s20, v0
	v_addc_co_u32_e32 v12, vcc, 0, v12, vcc
	v_cmp_gt_u64_e32 vcc, s[18:19], v[11:12]
	v_mov_b32_e32 v11, 0
	s_and_saveexec_b64 s[0:1], vcc
	s_cbranch_execz .LBB21_6
; %bb.5:                                ;   in Loop: Header=BB21_4 Depth=1
	global_load_dword v11, v[1:2], off
	s_waitcnt vmcnt(0)
	v_trunc_f32_e32 v11, v11
.LBB21_6:                               ;   in Loop: Header=BB21_4 Depth=1
	s_or_b64 exec, exec, s[0:1]
	v_mov_b32_e32 v13, s21
	v_add_co_u32_e64 v12, s[0:1], s20, v9
	v_addc_co_u32_e64 v13, s[0:1], v10, v13, s[0:1]
	v_cmp_gt_u64_e64 s[0:1], s[18:19], v[12:13]
	v_mov_b32_e32 v12, 0
	v_mov_b32_e32 v13, 0
	s_and_saveexec_b64 s[2:3], s[0:1]
	s_cbranch_execz .LBB21_8
; %bb.7:                                ;   in Loop: Header=BB21_4 Depth=1
	global_load_dword v13, v[3:4], off
	s_waitcnt vmcnt(0)
	v_trunc_f32_e32 v13, v13
.LBB21_8:                               ;   in Loop: Header=BB21_4 Depth=1
	s_or_b64 exec, exec, s[2:3]
	v_mov_b32_e32 v15, s21
	v_add_co_u32_e64 v14, s[2:3], s20, v7
	v_addc_co_u32_e64 v15, s[2:3], v8, v15, s[2:3]
	v_cmp_gt_u64_e64 s[2:3], s[18:19], v[14:15]
	s_and_saveexec_b64 s[8:9], s[2:3]
	s_cbranch_execz .LBB21_10
; %bb.9:                                ;   in Loop: Header=BB21_4 Depth=1
	v_add_co_u32_e64 v14, s[6:7], s27, v1
	v_addc_co_u32_e64 v15, s[6:7], 0, v2, s[6:7]
	global_load_dword v12, v[14:15], off
	s_waitcnt vmcnt(0)
	v_trunc_f32_e32 v12, v12
.LBB21_10:                              ;   in Loop: Header=BB21_4 Depth=1
	s_or_b64 exec, exec, s[8:9]
	v_mov_b32_e32 v15, s21
	v_add_co_u32_e64 v14, s[6:7], s20, v5
	v_addc_co_u32_e64 v15, s[6:7], v6, v15, s[6:7]
	v_cmp_gt_u64_e64 s[6:7], s[18:19], v[14:15]
	v_mov_b32_e32 v14, 0
	s_and_saveexec_b64 s[22:23], s[6:7]
	s_cbranch_execnz .LBB21_15
; %bb.11:                               ;   in Loop: Header=BB21_4 Depth=1
	s_or_b64 exec, exec, s[22:23]
	s_and_saveexec_b64 s[8:9], vcc
	s_cbranch_execnz .LBB21_16
.LBB21_12:                              ;   in Loop: Header=BB21_4 Depth=1
	s_or_b64 exec, exec, s[8:9]
	s_and_saveexec_b64 s[8:9], s[0:1]
	s_cbranch_execnz .LBB21_17
.LBB21_13:                              ;   in Loop: Header=BB21_4 Depth=1
	s_or_b64 exec, exec, s[8:9]
	s_and_saveexec_b64 s[0:1], s[2:3]
	s_cbranch_execnz .LBB21_18
.LBB21_14:                              ;   in Loop: Header=BB21_4 Depth=1
	s_or_b64 exec, exec, s[0:1]
	s_and_saveexec_b64 s[0:1], s[6:7]
	s_cbranch_execz .LBB21_3
	s_branch .LBB21_19
.LBB21_15:                              ;   in Loop: Header=BB21_4 Depth=1
	v_add_co_u32_e64 v14, s[8:9], s26, v1
	v_addc_co_u32_e64 v15, s[8:9], 0, v2, s[8:9]
	global_load_dword v14, v[14:15], off
	s_waitcnt vmcnt(0)
	v_trunc_f32_e32 v14, v14
	s_or_b64 exec, exec, s[22:23]
	s_and_saveexec_b64 s[8:9], vcc
	s_cbranch_execz .LBB21_12
.LBB21_16:                              ;   in Loop: Header=BB21_4 Depth=1
	global_store_dword v[1:2], v11, off
	s_or_b64 exec, exec, s[8:9]
	s_and_saveexec_b64 s[8:9], s[0:1]
	s_cbranch_execz .LBB21_13
.LBB21_17:                              ;   in Loop: Header=BB21_4 Depth=1
	global_store_dword v[3:4], v13, off
	s_or_b64 exec, exec, s[8:9]
	s_and_saveexec_b64 s[0:1], s[2:3]
	s_cbranch_execz .LBB21_14
.LBB21_18:                              ;   in Loop: Header=BB21_4 Depth=1
	v_add_co_u32_e32 v15, vcc, s27, v1
	v_addc_co_u32_e32 v16, vcc, 0, v2, vcc
	global_store_dword v[15:16], v12, off
	s_or_b64 exec, exec, s[0:1]
	s_and_saveexec_b64 s[0:1], s[6:7]
	s_cbranch_execz .LBB21_3
.LBB21_19:                              ;   in Loop: Header=BB21_4 Depth=1
	v_add_co_u32_e32 v11, vcc, s26, v1
	v_addc_co_u32_e32 v12, vcc, 0, v2, vcc
	global_store_dword v[11:12], v14, off
	s_branch .LBB21_3
.LBB21_20:
	s_cbranch_execz .LBB21_22
	s_branch .LBB21_25
.LBB21_21:
.LBB21_22:
	v_mov_b32_e32 v1, 0x10000
	v_mov_b32_e32 v2, 0
	v_cmp_lt_i64_e32 vcc, s[14:15], v[1:2]
	v_mov_b32_e32 v2, 0
	s_and_b64 s[0:1], vcc, exec
	s_cselect_b32 s1, s15, 0
	s_cselect_b32 s0, s14, 0x10000
	v_lshlrev_b32_e32 v1, 2, v0
	v_cmp_gt_i64_e32 vcc, s[0:1], v[1:2]
	s_and_saveexec_b64 s[2:3], vcc
	s_cbranch_execz .LBB21_25
; %bb.23:
	s_load_dword s2, s[4:5], 0xd3c
	v_mov_b32_e32 v1, v2
	v_lshlrev_b32_e32 v2, 4, v0
	s_waitcnt lgkmcnt(0)
	s_and_b32 s4, s2, 0xffff
	s_add_u32 s2, s10, s12
	s_addc_u32 s3, s11, s13
	v_mov_b32_e32 v3, s3
	v_add_co_u32_e32 v2, vcc, s2, v2
	v_addc_co_u32_e32 v3, vcc, 0, v3, vcc
	v_add_co_u32_e32 v2, vcc, 8, v2
	v_addc_co_u32_e32 v3, vcc, 0, v3, vcc
	s_lshl_b32 s5, s4, 4
	s_mov_b64 s[2:3], 0
.LBB21_24:                              ; =>This Inner Loop Header: Depth=1
	global_load_dwordx4 v[4:7], v[2:3], off offset:-8
	v_add_co_u32_e32 v0, vcc, s4, v0
	v_addc_co_u32_e32 v1, vcc, 0, v1, vcc
	v_lshlrev_b64 v[8:9], 2, v[0:1]
	v_cmp_le_i64_e32 vcc, s[0:1], v[8:9]
	s_or_b64 s[2:3], vcc, s[2:3]
	s_waitcnt vmcnt(0)
	v_trunc_f32_e32 v4, v4
	v_trunc_f32_e32 v5, v5
	;; [unrolled: 1-line block ×4, first 2 shown]
	global_store_dwordx4 v[2:3], v[4:7], off offset:-8
	v_add_co_u32_e32 v2, vcc, s5, v2
	v_addc_co_u32_e32 v3, vcc, 0, v3, vcc
	s_andn2_b64 exec, exec, s[2:3]
	s_cbranch_execnz .LBB21_24
.LBB21_25:
	s_endpgm
	.section	.rodata,"a",@progbits
	.p2align	6, 0x0
	.amdhsa_kernel _ZN2at6native12_GLOBAL__N_125multi_tensor_apply_kernelINS1_18TensorListMetadataILi1EEENS1_14UnaryOpFunctorIfLi1ELi1ELi0EEEJNS0_6TruncfIfEEEEEvT_T0_DpT1_
		.amdhsa_group_segment_fixed_size 0
		.amdhsa_private_segment_fixed_size 0
		.amdhsa_kernarg_size 3632
		.amdhsa_user_sgpr_count 6
		.amdhsa_user_sgpr_private_segment_buffer 1
		.amdhsa_user_sgpr_dispatch_ptr 0
		.amdhsa_user_sgpr_queue_ptr 0
		.amdhsa_user_sgpr_kernarg_segment_ptr 1
		.amdhsa_user_sgpr_dispatch_id 0
		.amdhsa_user_sgpr_flat_scratch_init 0
		.amdhsa_user_sgpr_private_segment_size 0
		.amdhsa_uses_dynamic_stack 0
		.amdhsa_system_sgpr_private_segment_wavefront_offset 0
		.amdhsa_system_sgpr_workgroup_id_x 1
		.amdhsa_system_sgpr_workgroup_id_y 0
		.amdhsa_system_sgpr_workgroup_id_z 0
		.amdhsa_system_sgpr_workgroup_info 0
		.amdhsa_system_vgpr_workitem_id 0
		.amdhsa_next_free_vgpr 17
		.amdhsa_next_free_sgpr 28
		.amdhsa_reserve_vcc 1
		.amdhsa_reserve_flat_scratch 0
		.amdhsa_float_round_mode_32 0
		.amdhsa_float_round_mode_16_64 0
		.amdhsa_float_denorm_mode_32 3
		.amdhsa_float_denorm_mode_16_64 3
		.amdhsa_dx10_clamp 1
		.amdhsa_ieee_mode 1
		.amdhsa_fp16_overflow 0
		.amdhsa_exception_fp_ieee_invalid_op 0
		.amdhsa_exception_fp_denorm_src 0
		.amdhsa_exception_fp_ieee_div_zero 0
		.amdhsa_exception_fp_ieee_overflow 0
		.amdhsa_exception_fp_ieee_underflow 0
		.amdhsa_exception_fp_ieee_inexact 0
		.amdhsa_exception_int_div_zero 0
	.end_amdhsa_kernel
	.section	.text._ZN2at6native12_GLOBAL__N_125multi_tensor_apply_kernelINS1_18TensorListMetadataILi1EEENS1_14UnaryOpFunctorIfLi1ELi1ELi0EEEJNS0_6TruncfIfEEEEEvT_T0_DpT1_,"axG",@progbits,_ZN2at6native12_GLOBAL__N_125multi_tensor_apply_kernelINS1_18TensorListMetadataILi1EEENS1_14UnaryOpFunctorIfLi1ELi1ELi0EEEJNS0_6TruncfIfEEEEEvT_T0_DpT1_,comdat
.Lfunc_end21:
	.size	_ZN2at6native12_GLOBAL__N_125multi_tensor_apply_kernelINS1_18TensorListMetadataILi1EEENS1_14UnaryOpFunctorIfLi1ELi1ELi0EEEJNS0_6TruncfIfEEEEEvT_T0_DpT1_, .Lfunc_end21-_ZN2at6native12_GLOBAL__N_125multi_tensor_apply_kernelINS1_18TensorListMetadataILi1EEENS1_14UnaryOpFunctorIfLi1ELi1ELi0EEEJNS0_6TruncfIfEEEEEvT_T0_DpT1_
                                        ; -- End function
	.set _ZN2at6native12_GLOBAL__N_125multi_tensor_apply_kernelINS1_18TensorListMetadataILi1EEENS1_14UnaryOpFunctorIfLi1ELi1ELi0EEEJNS0_6TruncfIfEEEEEvT_T0_DpT1_.num_vgpr, 17
	.set _ZN2at6native12_GLOBAL__N_125multi_tensor_apply_kernelINS1_18TensorListMetadataILi1EEENS1_14UnaryOpFunctorIfLi1ELi1ELi0EEEJNS0_6TruncfIfEEEEEvT_T0_DpT1_.num_agpr, 0
	.set _ZN2at6native12_GLOBAL__N_125multi_tensor_apply_kernelINS1_18TensorListMetadataILi1EEENS1_14UnaryOpFunctorIfLi1ELi1ELi0EEEJNS0_6TruncfIfEEEEEvT_T0_DpT1_.numbered_sgpr, 28
	.set _ZN2at6native12_GLOBAL__N_125multi_tensor_apply_kernelINS1_18TensorListMetadataILi1EEENS1_14UnaryOpFunctorIfLi1ELi1ELi0EEEJNS0_6TruncfIfEEEEEvT_T0_DpT1_.num_named_barrier, 0
	.set _ZN2at6native12_GLOBAL__N_125multi_tensor_apply_kernelINS1_18TensorListMetadataILi1EEENS1_14UnaryOpFunctorIfLi1ELi1ELi0EEEJNS0_6TruncfIfEEEEEvT_T0_DpT1_.private_seg_size, 0
	.set _ZN2at6native12_GLOBAL__N_125multi_tensor_apply_kernelINS1_18TensorListMetadataILi1EEENS1_14UnaryOpFunctorIfLi1ELi1ELi0EEEJNS0_6TruncfIfEEEEEvT_T0_DpT1_.uses_vcc, 1
	.set _ZN2at6native12_GLOBAL__N_125multi_tensor_apply_kernelINS1_18TensorListMetadataILi1EEENS1_14UnaryOpFunctorIfLi1ELi1ELi0EEEJNS0_6TruncfIfEEEEEvT_T0_DpT1_.uses_flat_scratch, 0
	.set _ZN2at6native12_GLOBAL__N_125multi_tensor_apply_kernelINS1_18TensorListMetadataILi1EEENS1_14UnaryOpFunctorIfLi1ELi1ELi0EEEJNS0_6TruncfIfEEEEEvT_T0_DpT1_.has_dyn_sized_stack, 0
	.set _ZN2at6native12_GLOBAL__N_125multi_tensor_apply_kernelINS1_18TensorListMetadataILi1EEENS1_14UnaryOpFunctorIfLi1ELi1ELi0EEEJNS0_6TruncfIfEEEEEvT_T0_DpT1_.has_recursion, 0
	.set _ZN2at6native12_GLOBAL__N_125multi_tensor_apply_kernelINS1_18TensorListMetadataILi1EEENS1_14UnaryOpFunctorIfLi1ELi1ELi0EEEJNS0_6TruncfIfEEEEEvT_T0_DpT1_.has_indirect_call, 0
	.section	.AMDGPU.csdata,"",@progbits
; Kernel info:
; codeLenInByte = 984
; TotalNumSgprs: 32
; NumVgprs: 17
; ScratchSize: 0
; MemoryBound: 0
; FloatMode: 240
; IeeeMode: 1
; LDSByteSize: 0 bytes/workgroup (compile time only)
; SGPRBlocks: 3
; VGPRBlocks: 4
; NumSGPRsForWavesPerEU: 32
; NumVGPRsForWavesPerEU: 17
; Occupancy: 10
; WaveLimiterHint : 0
; COMPUTE_PGM_RSRC2:SCRATCH_EN: 0
; COMPUTE_PGM_RSRC2:USER_SGPR: 6
; COMPUTE_PGM_RSRC2:TRAP_HANDLER: 0
; COMPUTE_PGM_RSRC2:TGID_X_EN: 1
; COMPUTE_PGM_RSRC2:TGID_Y_EN: 0
; COMPUTE_PGM_RSRC2:TGID_Z_EN: 0
; COMPUTE_PGM_RSRC2:TIDIG_COMP_CNT: 0
	.section	.text._ZN2at6native12_GLOBAL__N_125multi_tensor_apply_kernelINS1_18TensorListMetadataILi1EEENS1_14UnaryOpFunctorIN3c104HalfELi1ELi1ELi0EEEJNS0_6TruncfIfEEEEEvT_T0_DpT1_,"axG",@progbits,_ZN2at6native12_GLOBAL__N_125multi_tensor_apply_kernelINS1_18TensorListMetadataILi1EEENS1_14UnaryOpFunctorIN3c104HalfELi1ELi1ELi0EEEJNS0_6TruncfIfEEEEEvT_T0_DpT1_,comdat
	.globl	_ZN2at6native12_GLOBAL__N_125multi_tensor_apply_kernelINS1_18TensorListMetadataILi1EEENS1_14UnaryOpFunctorIN3c104HalfELi1ELi1ELi0EEEJNS0_6TruncfIfEEEEEvT_T0_DpT1_ ; -- Begin function _ZN2at6native12_GLOBAL__N_125multi_tensor_apply_kernelINS1_18TensorListMetadataILi1EEENS1_14UnaryOpFunctorIN3c104HalfELi1ELi1ELi0EEEJNS0_6TruncfIfEEEEEvT_T0_DpT1_
	.p2align	8
	.type	_ZN2at6native12_GLOBAL__N_125multi_tensor_apply_kernelINS1_18TensorListMetadataILi1EEENS1_14UnaryOpFunctorIN3c104HalfELi1ELi1ELi0EEEJNS0_6TruncfIfEEEEEvT_T0_DpT1_,@function
_ZN2at6native12_GLOBAL__N_125multi_tensor_apply_kernelINS1_18TensorListMetadataILi1EEENS1_14UnaryOpFunctorIN3c104HalfELi1ELi1ELi0EEEJNS0_6TruncfIfEEEEEvT_T0_DpT1_: ; @_ZN2at6native12_GLOBAL__N_125multi_tensor_apply_kernelINS1_18TensorListMetadataILi1EEENS1_14UnaryOpFunctorIN3c104HalfELi1ELi1ELi0EEEJNS0_6TruncfIfEEEEEvT_T0_DpT1_
; %bb.0:
	v_mov_b32_e32 v1, s6
	global_load_ubyte v1, v1, s[4:5] offset:1760
	s_add_u32 s0, s4, s6
	s_mul_hi_u32 s1, s6, 3
	s_mul_i32 s6, s6, 3
	s_addc_u32 s2, s5, 0
	s_add_u32 s0, s0, s6
	s_addc_u32 s1, s2, s1
	s_load_dword s0, s[0:1], 0x820
	s_mov_b32 s7, 0
	s_waitcnt vmcnt(0)
	v_readfirstlane_b32 s1, v1
	s_lshl_b32 s1, s1, 3
	s_load_dwordx2 s[2:3], s[4:5], s1 offset:0x370
	s_load_dwordx2 s[10:11], s[4:5], s1 offset:0x0
	s_waitcnt lgkmcnt(0)
	s_ashr_i32 s1, s0, 31
	s_lshl_b64 s[12:13], s[0:1], 17
	s_lshl_b64 s[0:1], s[0:1], 16
	s_and_b32 s6, s10, 7
	s_sub_u32 s14, s2, s0
	s_subb_u32 s15, s3, s1
	s_and_b32 s0, s2, 3
	s_mov_b32 s1, s7
	s_or_b64 s[0:1], s[6:7], s[0:1]
	s_cmp_eq_u64 s[0:1], 0
	s_cbranch_scc1 .LBB22_21
; %bb.1:
	v_cmp_lt_i64_e64 s[0:1], s[14:15], 1
	s_and_b64 vcc, exec, s[0:1]
	s_cbranch_vccnz .LBB22_20
; %bb.2:
	v_mov_b32_e32 v1, 0x10000
	s_load_dword s2, s[4:5], 0xd3c
	v_mov_b32_e32 v2, 0
	v_cmp_lt_i64_e32 vcc, s[14:15], v[1:2]
	s_mov_b64 s[20:21], 0
	s_and_b64 s[0:1], vcc, exec
	v_cmp_lt_u64_e32 vcc, s[14:15], v[1:2]
	s_cselect_b32 s17, s15, 0
	s_cselect_b32 s16, s14, 0x10000
	s_waitcnt lgkmcnt(0)
	s_and_b32 s2, s2, 0xffff
	s_and_b64 s[0:1], vcc, exec
	s_cselect_b32 s19, s15, 0
	s_cselect_b32 s18, s14, 0x10000
	s_lshl_b32 s3, s2, 1
	s_lshl_b32 s24, s2, 2
	s_add_u32 s6, s10, s12
	v_lshlrev_b32_e32 v1, 1, v0
	s_addc_u32 s7, s11, s13
	v_mov_b32_e32 v2, s7
	v_add_co_u32_e32 v1, vcc, s6, v1
	s_mul_i32 s0, s2, 3
	v_addc_co_u32_e32 v2, vcc, 0, v2, vcc
	v_add_co_u32_e32 v5, vcc, s0, v0
	v_addc_co_u32_e64 v6, s[0:1], 0, 0, vcc
	v_add_co_u32_e32 v7, vcc, s3, v0
	v_addc_co_u32_e64 v8, s[0:1], 0, 0, vcc
	v_add_co_u32_e32 v9, vcc, s2, v0
	v_lshlrev_b32_e32 v3, 1, v9
	v_addc_co_u32_e64 v10, s[0:1], 0, 0, vcc
	v_mov_b32_e32 v4, s7
	v_add_co_u32_e32 v3, vcc, s6, v3
	s_lshl_b32 s25, s2, 3
	s_mul_i32 s26, s2, 6
	v_addc_co_u32_e32 v4, vcc, 0, v4, vcc
	s_branch .LBB22_4
.LBB22_3:                               ;   in Loop: Header=BB22_4 Depth=1
	s_or_b64 exec, exec, s[0:1]
	s_add_u32 s20, s20, s24
	v_add_co_u32_e32 v1, vcc, s25, v1
	v_mov_b32_e32 v11, s16
	s_addc_u32 s21, s21, 0
	v_addc_co_u32_e32 v2, vcc, 0, v2, vcc
	v_mov_b32_e32 v12, s17
	v_cmp_lt_i64_e32 vcc, s[20:21], v[11:12]
	v_add_co_u32_e64 v3, s[0:1], s25, v3
	v_addc_co_u32_e64 v4, s[0:1], 0, v4, s[0:1]
	s_cbranch_vccz .LBB22_20
.LBB22_4:                               ; =>This Inner Loop Header: Depth=1
	v_mov_b32_e32 v12, s21
	v_add_co_u32_e32 v11, vcc, s20, v0
	v_addc_co_u32_e32 v12, vcc, 0, v12, vcc
	v_cmp_gt_u64_e32 vcc, s[18:19], v[11:12]
	v_mov_b32_e32 v11, 0
	s_and_saveexec_b64 s[0:1], vcc
	s_cbranch_execz .LBB22_6
; %bb.5:                                ;   in Loop: Header=BB22_4 Depth=1
	global_load_ushort v11, v[1:2], off
	s_waitcnt vmcnt(0)
	v_trunc_f16_e32 v11, v11
.LBB22_6:                               ;   in Loop: Header=BB22_4 Depth=1
	s_or_b64 exec, exec, s[0:1]
	v_mov_b32_e32 v13, s21
	v_add_co_u32_e64 v12, s[0:1], s20, v9
	v_addc_co_u32_e64 v13, s[0:1], v10, v13, s[0:1]
	v_cmp_gt_u64_e64 s[0:1], s[18:19], v[12:13]
	v_mov_b32_e32 v12, 0
	v_mov_b32_e32 v13, 0
	s_and_saveexec_b64 s[2:3], s[0:1]
	s_cbranch_execz .LBB22_8
; %bb.7:                                ;   in Loop: Header=BB22_4 Depth=1
	global_load_ushort v13, v[3:4], off
	s_waitcnt vmcnt(0)
	v_trunc_f16_e32 v13, v13
.LBB22_8:                               ;   in Loop: Header=BB22_4 Depth=1
	s_or_b64 exec, exec, s[2:3]
	v_mov_b32_e32 v15, s21
	v_add_co_u32_e64 v14, s[2:3], s20, v7
	v_addc_co_u32_e64 v15, s[2:3], v8, v15, s[2:3]
	v_cmp_gt_u64_e64 s[2:3], s[18:19], v[14:15]
	s_and_saveexec_b64 s[8:9], s[2:3]
	s_cbranch_execz .LBB22_10
; %bb.9:                                ;   in Loop: Header=BB22_4 Depth=1
	v_add_co_u32_e64 v14, s[6:7], s24, v1
	v_addc_co_u32_e64 v15, s[6:7], 0, v2, s[6:7]
	global_load_ushort v12, v[14:15], off
	s_waitcnt vmcnt(0)
	v_trunc_f16_e32 v12, v12
.LBB22_10:                              ;   in Loop: Header=BB22_4 Depth=1
	s_or_b64 exec, exec, s[8:9]
	v_mov_b32_e32 v15, s21
	v_add_co_u32_e64 v14, s[6:7], s20, v5
	v_addc_co_u32_e64 v15, s[6:7], v6, v15, s[6:7]
	v_cmp_gt_u64_e64 s[6:7], s[18:19], v[14:15]
	v_mov_b32_e32 v14, 0
	s_and_saveexec_b64 s[22:23], s[6:7]
	s_cbranch_execnz .LBB22_15
; %bb.11:                               ;   in Loop: Header=BB22_4 Depth=1
	s_or_b64 exec, exec, s[22:23]
	s_and_saveexec_b64 s[8:9], vcc
	s_cbranch_execnz .LBB22_16
.LBB22_12:                              ;   in Loop: Header=BB22_4 Depth=1
	s_or_b64 exec, exec, s[8:9]
	s_and_saveexec_b64 s[8:9], s[0:1]
	s_cbranch_execnz .LBB22_17
.LBB22_13:                              ;   in Loop: Header=BB22_4 Depth=1
	s_or_b64 exec, exec, s[8:9]
	s_and_saveexec_b64 s[0:1], s[2:3]
	s_cbranch_execnz .LBB22_18
.LBB22_14:                              ;   in Loop: Header=BB22_4 Depth=1
	s_or_b64 exec, exec, s[0:1]
	s_and_saveexec_b64 s[0:1], s[6:7]
	s_cbranch_execz .LBB22_3
	s_branch .LBB22_19
.LBB22_15:                              ;   in Loop: Header=BB22_4 Depth=1
	v_add_co_u32_e64 v14, s[8:9], s26, v1
	v_addc_co_u32_e64 v15, s[8:9], 0, v2, s[8:9]
	global_load_ushort v14, v[14:15], off
	s_waitcnt vmcnt(0)
	v_trunc_f16_e32 v14, v14
	s_or_b64 exec, exec, s[22:23]
	s_and_saveexec_b64 s[8:9], vcc
	s_cbranch_execz .LBB22_12
.LBB22_16:                              ;   in Loop: Header=BB22_4 Depth=1
	global_store_short v[1:2], v11, off
	s_or_b64 exec, exec, s[8:9]
	s_and_saveexec_b64 s[8:9], s[0:1]
	s_cbranch_execz .LBB22_13
.LBB22_17:                              ;   in Loop: Header=BB22_4 Depth=1
	global_store_short v[3:4], v13, off
	s_or_b64 exec, exec, s[8:9]
	s_and_saveexec_b64 s[0:1], s[2:3]
	s_cbranch_execz .LBB22_14
.LBB22_18:                              ;   in Loop: Header=BB22_4 Depth=1
	v_add_co_u32_e32 v15, vcc, s24, v1
	v_addc_co_u32_e32 v16, vcc, 0, v2, vcc
	global_store_short v[15:16], v12, off
	s_or_b64 exec, exec, s[0:1]
	s_and_saveexec_b64 s[0:1], s[6:7]
	s_cbranch_execz .LBB22_3
.LBB22_19:                              ;   in Loop: Header=BB22_4 Depth=1
	v_add_co_u32_e32 v11, vcc, s26, v1
	v_addc_co_u32_e32 v12, vcc, 0, v2, vcc
	global_store_short v[11:12], v14, off
	s_branch .LBB22_3
.LBB22_20:
	s_cbranch_execz .LBB22_22
	s_branch .LBB22_25
.LBB22_21:
.LBB22_22:
	v_mov_b32_e32 v1, 0x10000
	v_mov_b32_e32 v2, 0
	v_cmp_lt_i64_e32 vcc, s[14:15], v[1:2]
	v_mov_b32_e32 v2, 0
	s_and_b64 s[0:1], vcc, exec
	s_cselect_b32 s1, s15, 0
	s_cselect_b32 s0, s14, 0x10000
	v_lshlrev_b32_e32 v1, 2, v0
	v_cmp_gt_i64_e32 vcc, s[0:1], v[1:2]
	s_and_saveexec_b64 s[2:3], vcc
	s_cbranch_execz .LBB22_25
; %bb.23:
	s_load_dword s2, s[4:5], 0xd3c
	v_mov_b32_e32 v1, v2
	v_lshlrev_b32_e32 v2, 3, v0
	s_waitcnt lgkmcnt(0)
	s_and_b32 s4, s2, 0xffff
	s_add_u32 s2, s10, s12
	s_addc_u32 s3, s11, s13
	v_mov_b32_e32 v3, s3
	v_add_co_u32_e32 v2, vcc, s2, v2
	v_addc_co_u32_e32 v3, vcc, 0, v3, vcc
	v_add_co_u32_e32 v2, vcc, 4, v2
	v_addc_co_u32_e32 v3, vcc, 0, v3, vcc
	s_lshl_b32 s5, s4, 3
	s_mov_b64 s[2:3], 0
.LBB22_24:                              ; =>This Inner Loop Header: Depth=1
	global_load_dwordx2 v[4:5], v[2:3], off offset:-4
	v_add_co_u32_e32 v0, vcc, s4, v0
	v_addc_co_u32_e32 v1, vcc, 0, v1, vcc
	v_lshlrev_b64 v[6:7], 2, v[0:1]
	v_cmp_le_i64_e32 vcc, s[0:1], v[6:7]
	s_or_b64 s[2:3], vcc, s[2:3]
	s_waitcnt vmcnt(0)
	v_trunc_f16_e32 v6, v4
	v_trunc_f16_sdwa v4, v4 dst_sel:DWORD dst_unused:UNUSED_PAD src0_sel:WORD_1
	v_trunc_f16_e32 v7, v5
	v_trunc_f16_sdwa v5, v5 dst_sel:DWORD dst_unused:UNUSED_PAD src0_sel:WORD_1
	v_pack_b32_f16 v5, v7, v5
	v_pack_b32_f16 v4, v6, v4
	global_store_dwordx2 v[2:3], v[4:5], off offset:-4
	v_add_co_u32_e32 v2, vcc, s5, v2
	v_addc_co_u32_e32 v3, vcc, 0, v3, vcc
	s_andn2_b64 exec, exec, s[2:3]
	s_cbranch_execnz .LBB22_24
.LBB22_25:
	s_endpgm
	.section	.rodata,"a",@progbits
	.p2align	6, 0x0
	.amdhsa_kernel _ZN2at6native12_GLOBAL__N_125multi_tensor_apply_kernelINS1_18TensorListMetadataILi1EEENS1_14UnaryOpFunctorIN3c104HalfELi1ELi1ELi0EEEJNS0_6TruncfIfEEEEEvT_T0_DpT1_
		.amdhsa_group_segment_fixed_size 0
		.amdhsa_private_segment_fixed_size 0
		.amdhsa_kernarg_size 3632
		.amdhsa_user_sgpr_count 6
		.amdhsa_user_sgpr_private_segment_buffer 1
		.amdhsa_user_sgpr_dispatch_ptr 0
		.amdhsa_user_sgpr_queue_ptr 0
		.amdhsa_user_sgpr_kernarg_segment_ptr 1
		.amdhsa_user_sgpr_dispatch_id 0
		.amdhsa_user_sgpr_flat_scratch_init 0
		.amdhsa_user_sgpr_private_segment_size 0
		.amdhsa_uses_dynamic_stack 0
		.amdhsa_system_sgpr_private_segment_wavefront_offset 0
		.amdhsa_system_sgpr_workgroup_id_x 1
		.amdhsa_system_sgpr_workgroup_id_y 0
		.amdhsa_system_sgpr_workgroup_id_z 0
		.amdhsa_system_sgpr_workgroup_info 0
		.amdhsa_system_vgpr_workitem_id 0
		.amdhsa_next_free_vgpr 17
		.amdhsa_next_free_sgpr 27
		.amdhsa_reserve_vcc 1
		.amdhsa_reserve_flat_scratch 0
		.amdhsa_float_round_mode_32 0
		.amdhsa_float_round_mode_16_64 0
		.amdhsa_float_denorm_mode_32 3
		.amdhsa_float_denorm_mode_16_64 3
		.amdhsa_dx10_clamp 1
		.amdhsa_ieee_mode 1
		.amdhsa_fp16_overflow 0
		.amdhsa_exception_fp_ieee_invalid_op 0
		.amdhsa_exception_fp_denorm_src 0
		.amdhsa_exception_fp_ieee_div_zero 0
		.amdhsa_exception_fp_ieee_overflow 0
		.amdhsa_exception_fp_ieee_underflow 0
		.amdhsa_exception_fp_ieee_inexact 0
		.amdhsa_exception_int_div_zero 0
	.end_amdhsa_kernel
	.section	.text._ZN2at6native12_GLOBAL__N_125multi_tensor_apply_kernelINS1_18TensorListMetadataILi1EEENS1_14UnaryOpFunctorIN3c104HalfELi1ELi1ELi0EEEJNS0_6TruncfIfEEEEEvT_T0_DpT1_,"axG",@progbits,_ZN2at6native12_GLOBAL__N_125multi_tensor_apply_kernelINS1_18TensorListMetadataILi1EEENS1_14UnaryOpFunctorIN3c104HalfELi1ELi1ELi0EEEJNS0_6TruncfIfEEEEEvT_T0_DpT1_,comdat
.Lfunc_end22:
	.size	_ZN2at6native12_GLOBAL__N_125multi_tensor_apply_kernelINS1_18TensorListMetadataILi1EEENS1_14UnaryOpFunctorIN3c104HalfELi1ELi1ELi0EEEJNS0_6TruncfIfEEEEEvT_T0_DpT1_, .Lfunc_end22-_ZN2at6native12_GLOBAL__N_125multi_tensor_apply_kernelINS1_18TensorListMetadataILi1EEENS1_14UnaryOpFunctorIN3c104HalfELi1ELi1ELi0EEEJNS0_6TruncfIfEEEEEvT_T0_DpT1_
                                        ; -- End function
	.set _ZN2at6native12_GLOBAL__N_125multi_tensor_apply_kernelINS1_18TensorListMetadataILi1EEENS1_14UnaryOpFunctorIN3c104HalfELi1ELi1ELi0EEEJNS0_6TruncfIfEEEEEvT_T0_DpT1_.num_vgpr, 17
	.set _ZN2at6native12_GLOBAL__N_125multi_tensor_apply_kernelINS1_18TensorListMetadataILi1EEENS1_14UnaryOpFunctorIN3c104HalfELi1ELi1ELi0EEEJNS0_6TruncfIfEEEEEvT_T0_DpT1_.num_agpr, 0
	.set _ZN2at6native12_GLOBAL__N_125multi_tensor_apply_kernelINS1_18TensorListMetadataILi1EEENS1_14UnaryOpFunctorIN3c104HalfELi1ELi1ELi0EEEJNS0_6TruncfIfEEEEEvT_T0_DpT1_.numbered_sgpr, 27
	.set _ZN2at6native12_GLOBAL__N_125multi_tensor_apply_kernelINS1_18TensorListMetadataILi1EEENS1_14UnaryOpFunctorIN3c104HalfELi1ELi1ELi0EEEJNS0_6TruncfIfEEEEEvT_T0_DpT1_.num_named_barrier, 0
	.set _ZN2at6native12_GLOBAL__N_125multi_tensor_apply_kernelINS1_18TensorListMetadataILi1EEENS1_14UnaryOpFunctorIN3c104HalfELi1ELi1ELi0EEEJNS0_6TruncfIfEEEEEvT_T0_DpT1_.private_seg_size, 0
	.set _ZN2at6native12_GLOBAL__N_125multi_tensor_apply_kernelINS1_18TensorListMetadataILi1EEENS1_14UnaryOpFunctorIN3c104HalfELi1ELi1ELi0EEEJNS0_6TruncfIfEEEEEvT_T0_DpT1_.uses_vcc, 1
	.set _ZN2at6native12_GLOBAL__N_125multi_tensor_apply_kernelINS1_18TensorListMetadataILi1EEENS1_14UnaryOpFunctorIN3c104HalfELi1ELi1ELi0EEEJNS0_6TruncfIfEEEEEvT_T0_DpT1_.uses_flat_scratch, 0
	.set _ZN2at6native12_GLOBAL__N_125multi_tensor_apply_kernelINS1_18TensorListMetadataILi1EEENS1_14UnaryOpFunctorIN3c104HalfELi1ELi1ELi0EEEJNS0_6TruncfIfEEEEEvT_T0_DpT1_.has_dyn_sized_stack, 0
	.set _ZN2at6native12_GLOBAL__N_125multi_tensor_apply_kernelINS1_18TensorListMetadataILi1EEENS1_14UnaryOpFunctorIN3c104HalfELi1ELi1ELi0EEEJNS0_6TruncfIfEEEEEvT_T0_DpT1_.has_recursion, 0
	.set _ZN2at6native12_GLOBAL__N_125multi_tensor_apply_kernelINS1_18TensorListMetadataILi1EEENS1_14UnaryOpFunctorIN3c104HalfELi1ELi1ELi0EEEJNS0_6TruncfIfEEEEEvT_T0_DpT1_.has_indirect_call, 0
	.section	.AMDGPU.csdata,"",@progbits
; Kernel info:
; codeLenInByte = 1004
; TotalNumSgprs: 31
; NumVgprs: 17
; ScratchSize: 0
; MemoryBound: 0
; FloatMode: 240
; IeeeMode: 1
; LDSByteSize: 0 bytes/workgroup (compile time only)
; SGPRBlocks: 3
; VGPRBlocks: 4
; NumSGPRsForWavesPerEU: 31
; NumVGPRsForWavesPerEU: 17
; Occupancy: 10
; WaveLimiterHint : 0
; COMPUTE_PGM_RSRC2:SCRATCH_EN: 0
; COMPUTE_PGM_RSRC2:USER_SGPR: 6
; COMPUTE_PGM_RSRC2:TRAP_HANDLER: 0
; COMPUTE_PGM_RSRC2:TGID_X_EN: 1
; COMPUTE_PGM_RSRC2:TGID_Y_EN: 0
; COMPUTE_PGM_RSRC2:TGID_Z_EN: 0
; COMPUTE_PGM_RSRC2:TIDIG_COMP_CNT: 0
	.section	.text._ZN2at6native12_GLOBAL__N_125multi_tensor_apply_kernelINS1_18TensorListMetadataILi1EEENS1_14UnaryOpFunctorIN3c108BFloat16ELi1ELi1ELi0EEEJNS0_6TruncfIfEEEEEvT_T0_DpT1_,"axG",@progbits,_ZN2at6native12_GLOBAL__N_125multi_tensor_apply_kernelINS1_18TensorListMetadataILi1EEENS1_14UnaryOpFunctorIN3c108BFloat16ELi1ELi1ELi0EEEJNS0_6TruncfIfEEEEEvT_T0_DpT1_,comdat
	.globl	_ZN2at6native12_GLOBAL__N_125multi_tensor_apply_kernelINS1_18TensorListMetadataILi1EEENS1_14UnaryOpFunctorIN3c108BFloat16ELi1ELi1ELi0EEEJNS0_6TruncfIfEEEEEvT_T0_DpT1_ ; -- Begin function _ZN2at6native12_GLOBAL__N_125multi_tensor_apply_kernelINS1_18TensorListMetadataILi1EEENS1_14UnaryOpFunctorIN3c108BFloat16ELi1ELi1ELi0EEEJNS0_6TruncfIfEEEEEvT_T0_DpT1_
	.p2align	8
	.type	_ZN2at6native12_GLOBAL__N_125multi_tensor_apply_kernelINS1_18TensorListMetadataILi1EEENS1_14UnaryOpFunctorIN3c108BFloat16ELi1ELi1ELi0EEEJNS0_6TruncfIfEEEEEvT_T0_DpT1_,@function
_ZN2at6native12_GLOBAL__N_125multi_tensor_apply_kernelINS1_18TensorListMetadataILi1EEENS1_14UnaryOpFunctorIN3c108BFloat16ELi1ELi1ELi0EEEJNS0_6TruncfIfEEEEEvT_T0_DpT1_: ; @_ZN2at6native12_GLOBAL__N_125multi_tensor_apply_kernelINS1_18TensorListMetadataILi1EEENS1_14UnaryOpFunctorIN3c108BFloat16ELi1ELi1ELi0EEEJNS0_6TruncfIfEEEEEvT_T0_DpT1_
; %bb.0:
	v_mov_b32_e32 v1, s6
	global_load_ubyte v1, v1, s[4:5] offset:1760
	s_add_u32 s0, s4, s6
	s_mul_hi_u32 s1, s6, 3
	s_mul_i32 s6, s6, 3
	s_addc_u32 s2, s5, 0
	s_add_u32 s0, s0, s6
	s_addc_u32 s1, s2, s1
	s_load_dword s0, s[0:1], 0x820
	s_mov_b32 s7, 0
	s_waitcnt vmcnt(0)
	v_readfirstlane_b32 s1, v1
	s_lshl_b32 s1, s1, 3
	s_load_dwordx2 s[2:3], s[4:5], s1 offset:0x370
	s_load_dwordx2 s[10:11], s[4:5], s1 offset:0x0
	s_waitcnt lgkmcnt(0)
	s_ashr_i32 s1, s0, 31
	s_lshl_b64 s[12:13], s[0:1], 17
	s_lshl_b64 s[0:1], s[0:1], 16
	s_and_b32 s6, s10, 7
	s_sub_u32 s14, s2, s0
	s_subb_u32 s15, s3, s1
	s_and_b32 s0, s2, 3
	s_mov_b32 s1, s7
	s_or_b64 s[0:1], s[6:7], s[0:1]
	s_cmp_eq_u64 s[0:1], 0
	s_cbranch_scc1 .LBB23_21
; %bb.1:
	v_cmp_lt_i64_e64 s[0:1], s[14:15], 1
	s_and_b64 vcc, exec, s[0:1]
	s_cbranch_vccnz .LBB23_20
; %bb.2:
	v_mov_b32_e32 v1, 0x10000
	s_load_dword s2, s[4:5], 0xd3c
	v_mov_b32_e32 v2, 0
	v_cmp_lt_i64_e32 vcc, s[14:15], v[1:2]
	s_mov_b64 s[20:21], 0
	s_and_b64 s[0:1], vcc, exec
	v_cmp_lt_u64_e32 vcc, s[14:15], v[1:2]
	s_cselect_b32 s17, s15, 0
	s_cselect_b32 s16, s14, 0x10000
	s_waitcnt lgkmcnt(0)
	s_and_b32 s2, s2, 0xffff
	s_and_b64 s[0:1], vcc, exec
	s_cselect_b32 s19, s15, 0
	s_cselect_b32 s18, s14, 0x10000
	s_lshl_b32 s3, s2, 1
	s_lshl_b32 s24, s2, 2
	s_add_u32 s6, s10, s12
	v_lshlrev_b32_e32 v1, 1, v0
	s_addc_u32 s7, s11, s13
	v_mov_b32_e32 v2, s7
	v_add_co_u32_e32 v1, vcc, s6, v1
	s_mul_i32 s0, s2, 3
	v_addc_co_u32_e32 v2, vcc, 0, v2, vcc
	v_add_co_u32_e32 v5, vcc, s0, v0
	v_addc_co_u32_e64 v6, s[0:1], 0, 0, vcc
	v_add_co_u32_e32 v7, vcc, s3, v0
	v_addc_co_u32_e64 v8, s[0:1], 0, 0, vcc
	v_add_co_u32_e32 v9, vcc, s2, v0
	v_lshlrev_b32_e32 v3, 1, v9
	v_addc_co_u32_e64 v10, s[0:1], 0, 0, vcc
	v_mov_b32_e32 v4, s7
	v_add_co_u32_e32 v3, vcc, s6, v3
	s_lshl_b32 s25, s2, 3
	s_mul_i32 s26, s2, 6
	v_addc_co_u32_e32 v4, vcc, 0, v4, vcc
	s_movk_i32 s27, 0x7fff
	v_mov_b32_e32 v11, 0x7fc0
	s_branch .LBB23_4
.LBB23_3:                               ;   in Loop: Header=BB23_4 Depth=1
	s_or_b64 exec, exec, s[0:1]
	s_add_u32 s20, s20, s24
	v_add_co_u32_e32 v1, vcc, s25, v1
	v_mov_b32_e32 v12, s16
	s_addc_u32 s21, s21, 0
	v_addc_co_u32_e32 v2, vcc, 0, v2, vcc
	v_mov_b32_e32 v13, s17
	v_cmp_lt_i64_e32 vcc, s[20:21], v[12:13]
	v_add_co_u32_e64 v3, s[0:1], s25, v3
	v_addc_co_u32_e64 v4, s[0:1], 0, v4, s[0:1]
	s_cbranch_vccz .LBB23_20
.LBB23_4:                               ; =>This Inner Loop Header: Depth=1
	v_mov_b32_e32 v13, s21
	v_add_co_u32_e32 v12, vcc, s20, v0
	v_addc_co_u32_e32 v13, vcc, 0, v13, vcc
	v_cmp_gt_u64_e32 vcc, s[18:19], v[12:13]
	v_mov_b32_e32 v13, 0
	s_and_saveexec_b64 s[0:1], vcc
	s_cbranch_execz .LBB23_6
; %bb.5:                                ;   in Loop: Header=BB23_4 Depth=1
	global_load_ushort v12, v[1:2], off
	s_waitcnt vmcnt(0)
	v_lshlrev_b32_e32 v12, 16, v12
	v_trunc_f32_e32 v13, v12
.LBB23_6:                               ;   in Loop: Header=BB23_4 Depth=1
	s_or_b64 exec, exec, s[0:1]
	v_mov_b32_e32 v12, s21
	v_add_co_u32_e64 v14, s[0:1], s20, v9
	v_addc_co_u32_e64 v15, s[0:1], v10, v12, s[0:1]
	v_cmp_gt_u64_e64 s[0:1], s[18:19], v[14:15]
	v_mov_b32_e32 v12, 0
	v_mov_b32_e32 v14, 0
	s_and_saveexec_b64 s[2:3], s[0:1]
	s_cbranch_execz .LBB23_8
; %bb.7:                                ;   in Loop: Header=BB23_4 Depth=1
	global_load_ushort v14, v[3:4], off
	s_waitcnt vmcnt(0)
	v_lshlrev_b32_e32 v14, 16, v14
	v_trunc_f32_e32 v14, v14
.LBB23_8:                               ;   in Loop: Header=BB23_4 Depth=1
	s_or_b64 exec, exec, s[2:3]
	v_mov_b32_e32 v16, s21
	v_add_co_u32_e64 v15, s[2:3], s20, v7
	v_addc_co_u32_e64 v16, s[2:3], v8, v16, s[2:3]
	v_cmp_gt_u64_e64 s[2:3], s[18:19], v[15:16]
	s_and_saveexec_b64 s[8:9], s[2:3]
	s_cbranch_execz .LBB23_10
; %bb.9:                                ;   in Loop: Header=BB23_4 Depth=1
	v_add_co_u32_e64 v15, s[6:7], s24, v1
	v_addc_co_u32_e64 v16, s[6:7], 0, v2, s[6:7]
	global_load_ushort v12, v[15:16], off
	s_waitcnt vmcnt(0)
	v_lshlrev_b32_e32 v12, 16, v12
	v_trunc_f32_e32 v12, v12
.LBB23_10:                              ;   in Loop: Header=BB23_4 Depth=1
	s_or_b64 exec, exec, s[8:9]
	v_mov_b32_e32 v16, s21
	v_add_co_u32_e64 v15, s[6:7], s20, v5
	v_addc_co_u32_e64 v16, s[6:7], v6, v16, s[6:7]
	v_cmp_gt_u64_e64 s[6:7], s[18:19], v[15:16]
	v_mov_b32_e32 v15, 0
	s_and_saveexec_b64 s[22:23], s[6:7]
	s_cbranch_execnz .LBB23_15
; %bb.11:                               ;   in Loop: Header=BB23_4 Depth=1
	s_or_b64 exec, exec, s[22:23]
	s_and_saveexec_b64 s[8:9], vcc
	s_cbranch_execnz .LBB23_16
.LBB23_12:                              ;   in Loop: Header=BB23_4 Depth=1
	s_or_b64 exec, exec, s[8:9]
	s_and_saveexec_b64 s[8:9], s[0:1]
	s_cbranch_execnz .LBB23_17
.LBB23_13:                              ;   in Loop: Header=BB23_4 Depth=1
	s_or_b64 exec, exec, s[8:9]
	s_and_saveexec_b64 s[0:1], s[2:3]
	s_cbranch_execnz .LBB23_18
.LBB23_14:                              ;   in Loop: Header=BB23_4 Depth=1
	s_or_b64 exec, exec, s[0:1]
	s_and_saveexec_b64 s[0:1], s[6:7]
	s_cbranch_execz .LBB23_3
	s_branch .LBB23_19
.LBB23_15:                              ;   in Loop: Header=BB23_4 Depth=1
	v_add_co_u32_e64 v15, s[8:9], s26, v1
	v_addc_co_u32_e64 v16, s[8:9], 0, v2, s[8:9]
	global_load_ushort v15, v[15:16], off
	s_waitcnt vmcnt(0)
	v_lshlrev_b32_e32 v15, 16, v15
	v_trunc_f32_e32 v15, v15
	s_or_b64 exec, exec, s[22:23]
	s_and_saveexec_b64 s[8:9], vcc
	s_cbranch_execz .LBB23_12
.LBB23_16:                              ;   in Loop: Header=BB23_4 Depth=1
	v_bfe_u32 v16, v13, 16, 1
	v_add3_u32 v16, v13, v16, s27
	v_cmp_o_f32_e32 vcc, v13, v13
	v_cndmask_b32_sdwa v13, v11, v16, vcc dst_sel:DWORD dst_unused:UNUSED_PAD src0_sel:DWORD src1_sel:WORD_1
	global_store_short v[1:2], v13, off
	s_or_b64 exec, exec, s[8:9]
	s_and_saveexec_b64 s[8:9], s[0:1]
	s_cbranch_execz .LBB23_13
.LBB23_17:                              ;   in Loop: Header=BB23_4 Depth=1
	v_bfe_u32 v13, v14, 16, 1
	v_add3_u32 v13, v14, v13, s27
	v_cmp_o_f32_e32 vcc, v14, v14
	v_cndmask_b32_sdwa v13, v11, v13, vcc dst_sel:DWORD dst_unused:UNUSED_PAD src0_sel:DWORD src1_sel:WORD_1
	global_store_short v[3:4], v13, off
	s_or_b64 exec, exec, s[8:9]
	s_and_saveexec_b64 s[0:1], s[2:3]
	s_cbranch_execz .LBB23_14
.LBB23_18:                              ;   in Loop: Header=BB23_4 Depth=1
	v_bfe_u32 v13, v12, 16, 1
	v_add3_u32 v13, v12, v13, s27
	v_cmp_o_f32_e32 vcc, v12, v12
	v_cndmask_b32_sdwa v14, v11, v13, vcc dst_sel:DWORD dst_unused:UNUSED_PAD src0_sel:DWORD src1_sel:WORD_1
	v_add_co_u32_e32 v12, vcc, s24, v1
	v_addc_co_u32_e32 v13, vcc, 0, v2, vcc
	global_store_short v[12:13], v14, off
	s_or_b64 exec, exec, s[0:1]
	s_and_saveexec_b64 s[0:1], s[6:7]
	s_cbranch_execz .LBB23_3
.LBB23_19:                              ;   in Loop: Header=BB23_4 Depth=1
	v_bfe_u32 v12, v15, 16, 1
	v_add3_u32 v12, v15, v12, s27
	v_cmp_o_f32_e32 vcc, v15, v15
	v_cndmask_b32_sdwa v14, v11, v12, vcc dst_sel:DWORD dst_unused:UNUSED_PAD src0_sel:DWORD src1_sel:WORD_1
	v_add_co_u32_e32 v12, vcc, s26, v1
	v_addc_co_u32_e32 v13, vcc, 0, v2, vcc
	global_store_short v[12:13], v14, off
	s_branch .LBB23_3
.LBB23_20:
	s_cbranch_execz .LBB23_22
	s_branch .LBB23_25
.LBB23_21:
.LBB23_22:
	v_mov_b32_e32 v1, 0x10000
	v_mov_b32_e32 v2, 0
	v_cmp_lt_i64_e32 vcc, s[14:15], v[1:2]
	v_mov_b32_e32 v2, 0
	s_and_b64 s[0:1], vcc, exec
	s_cselect_b32 s1, s15, 0
	s_cselect_b32 s0, s14, 0x10000
	v_lshlrev_b32_e32 v1, 2, v0
	v_cmp_gt_i64_e32 vcc, s[0:1], v[1:2]
	s_and_saveexec_b64 s[2:3], vcc
	s_cbranch_execz .LBB23_25
; %bb.23:
	s_load_dword s2, s[4:5], 0xd3c
	v_mov_b32_e32 v1, v2
	v_lshlrev_b32_e32 v2, 3, v0
	s_movk_i32 s6, 0x7fff
	v_mov_b32_e32 v4, 0x7fc00000
	s_waitcnt lgkmcnt(0)
	s_and_b32 s4, s2, 0xffff
	s_add_u32 s2, s10, s12
	s_addc_u32 s3, s11, s13
	v_mov_b32_e32 v3, s3
	v_add_co_u32_e32 v2, vcc, s2, v2
	v_addc_co_u32_e32 v3, vcc, 0, v3, vcc
	s_lshl_b32 s5, s4, 3
	s_mov_b64 s[2:3], 0
	v_mov_b32_e32 v5, 0x7fc0
.LBB23_24:                              ; =>This Inner Loop Header: Depth=1
	global_load_dwordx2 v[6:7], v[2:3], off
	v_add_co_u32_e32 v0, vcc, s4, v0
	v_addc_co_u32_e32 v1, vcc, 0, v1, vcc
	v_lshlrev_b64 v[8:9], 2, v[0:1]
	v_cmp_le_i64_e32 vcc, s[0:1], v[8:9]
	s_or_b64 s[2:3], vcc, s[2:3]
	s_waitcnt vmcnt(0)
	v_and_b32_e32 v8, 0xffff0000, v6
	v_lshlrev_b32_e32 v9, 16, v6
	v_alignbit_b32 v6, v7, v6, 16
	v_and_b32_e32 v7, 0xffff0000, v7
	v_trunc_f32_e32 v7, v7
	v_trunc_f32_e32 v8, v8
	v_bfe_u32 v12, v7, 16, 1
	v_trunc_f32_e32 v9, v9
	v_and_b32_e32 v6, 0xffff0000, v6
	v_bfe_u32 v11, v8, 16, 1
	v_add3_u32 v12, v7, v12, s6
	v_bfe_u32 v10, v9, 16, 1
	v_trunc_f32_e32 v6, v6
	v_add3_u32 v11, v8, v11, s6
	v_and_b32_e32 v12, 0xffff0000, v12
	v_cmp_o_f32_e32 vcc, v7, v7
	v_add3_u32 v10, v9, v10, s6
	v_bfe_u32 v13, v6, 16, 1
	v_and_b32_e32 v11, 0xffff0000, v11
	v_cndmask_b32_e32 v7, v4, v12, vcc
	v_cmp_o_f32_e32 vcc, v8, v8
	v_lshrrev_b32_e32 v10, 16, v10
	v_add3_u32 v13, v6, v13, s6
	v_cndmask_b32_e32 v8, v4, v11, vcc
	v_cmp_o_f32_e32 vcc, v9, v9
	v_lshrrev_b32_e32 v13, 16, v13
	v_cndmask_b32_e32 v9, v5, v10, vcc
	v_cmp_o_f32_e32 vcc, v6, v6
	v_cndmask_b32_e32 v6, v5, v13, vcc
	v_or_b32_e32 v8, v9, v8
	v_or3_b32 v7, 0, v6, v7
	v_or3_b32 v6, v8, 0, 0
	global_store_dwordx2 v[2:3], v[6:7], off
	v_add_co_u32_e32 v2, vcc, s5, v2
	v_addc_co_u32_e32 v3, vcc, 0, v3, vcc
	s_andn2_b64 exec, exec, s[2:3]
	s_cbranch_execnz .LBB23_24
.LBB23_25:
	s_endpgm
	.section	.rodata,"a",@progbits
	.p2align	6, 0x0
	.amdhsa_kernel _ZN2at6native12_GLOBAL__N_125multi_tensor_apply_kernelINS1_18TensorListMetadataILi1EEENS1_14UnaryOpFunctorIN3c108BFloat16ELi1ELi1ELi0EEEJNS0_6TruncfIfEEEEEvT_T0_DpT1_
		.amdhsa_group_segment_fixed_size 0
		.amdhsa_private_segment_fixed_size 0
		.amdhsa_kernarg_size 3632
		.amdhsa_user_sgpr_count 6
		.amdhsa_user_sgpr_private_segment_buffer 1
		.amdhsa_user_sgpr_dispatch_ptr 0
		.amdhsa_user_sgpr_queue_ptr 0
		.amdhsa_user_sgpr_kernarg_segment_ptr 1
		.amdhsa_user_sgpr_dispatch_id 0
		.amdhsa_user_sgpr_flat_scratch_init 0
		.amdhsa_user_sgpr_private_segment_size 0
		.amdhsa_uses_dynamic_stack 0
		.amdhsa_system_sgpr_private_segment_wavefront_offset 0
		.amdhsa_system_sgpr_workgroup_id_x 1
		.amdhsa_system_sgpr_workgroup_id_y 0
		.amdhsa_system_sgpr_workgroup_id_z 0
		.amdhsa_system_sgpr_workgroup_info 0
		.amdhsa_system_vgpr_workitem_id 0
		.amdhsa_next_free_vgpr 17
		.amdhsa_next_free_sgpr 28
		.amdhsa_reserve_vcc 1
		.amdhsa_reserve_flat_scratch 0
		.amdhsa_float_round_mode_32 0
		.amdhsa_float_round_mode_16_64 0
		.amdhsa_float_denorm_mode_32 3
		.amdhsa_float_denorm_mode_16_64 3
		.amdhsa_dx10_clamp 1
		.amdhsa_ieee_mode 1
		.amdhsa_fp16_overflow 0
		.amdhsa_exception_fp_ieee_invalid_op 0
		.amdhsa_exception_fp_denorm_src 0
		.amdhsa_exception_fp_ieee_div_zero 0
		.amdhsa_exception_fp_ieee_overflow 0
		.amdhsa_exception_fp_ieee_underflow 0
		.amdhsa_exception_fp_ieee_inexact 0
		.amdhsa_exception_int_div_zero 0
	.end_amdhsa_kernel
	.section	.text._ZN2at6native12_GLOBAL__N_125multi_tensor_apply_kernelINS1_18TensorListMetadataILi1EEENS1_14UnaryOpFunctorIN3c108BFloat16ELi1ELi1ELi0EEEJNS0_6TruncfIfEEEEEvT_T0_DpT1_,"axG",@progbits,_ZN2at6native12_GLOBAL__N_125multi_tensor_apply_kernelINS1_18TensorListMetadataILi1EEENS1_14UnaryOpFunctorIN3c108BFloat16ELi1ELi1ELi0EEEJNS0_6TruncfIfEEEEEvT_T0_DpT1_,comdat
.Lfunc_end23:
	.size	_ZN2at6native12_GLOBAL__N_125multi_tensor_apply_kernelINS1_18TensorListMetadataILi1EEENS1_14UnaryOpFunctorIN3c108BFloat16ELi1ELi1ELi0EEEJNS0_6TruncfIfEEEEEvT_T0_DpT1_, .Lfunc_end23-_ZN2at6native12_GLOBAL__N_125multi_tensor_apply_kernelINS1_18TensorListMetadataILi1EEENS1_14UnaryOpFunctorIN3c108BFloat16ELi1ELi1ELi0EEEJNS0_6TruncfIfEEEEEvT_T0_DpT1_
                                        ; -- End function
	.set _ZN2at6native12_GLOBAL__N_125multi_tensor_apply_kernelINS1_18TensorListMetadataILi1EEENS1_14UnaryOpFunctorIN3c108BFloat16ELi1ELi1ELi0EEEJNS0_6TruncfIfEEEEEvT_T0_DpT1_.num_vgpr, 17
	.set _ZN2at6native12_GLOBAL__N_125multi_tensor_apply_kernelINS1_18TensorListMetadataILi1EEENS1_14UnaryOpFunctorIN3c108BFloat16ELi1ELi1ELi0EEEJNS0_6TruncfIfEEEEEvT_T0_DpT1_.num_agpr, 0
	.set _ZN2at6native12_GLOBAL__N_125multi_tensor_apply_kernelINS1_18TensorListMetadataILi1EEENS1_14UnaryOpFunctorIN3c108BFloat16ELi1ELi1ELi0EEEJNS0_6TruncfIfEEEEEvT_T0_DpT1_.numbered_sgpr, 28
	.set _ZN2at6native12_GLOBAL__N_125multi_tensor_apply_kernelINS1_18TensorListMetadataILi1EEENS1_14UnaryOpFunctorIN3c108BFloat16ELi1ELi1ELi0EEEJNS0_6TruncfIfEEEEEvT_T0_DpT1_.num_named_barrier, 0
	.set _ZN2at6native12_GLOBAL__N_125multi_tensor_apply_kernelINS1_18TensorListMetadataILi1EEENS1_14UnaryOpFunctorIN3c108BFloat16ELi1ELi1ELi0EEEJNS0_6TruncfIfEEEEEvT_T0_DpT1_.private_seg_size, 0
	.set _ZN2at6native12_GLOBAL__N_125multi_tensor_apply_kernelINS1_18TensorListMetadataILi1EEENS1_14UnaryOpFunctorIN3c108BFloat16ELi1ELi1ELi0EEEJNS0_6TruncfIfEEEEEvT_T0_DpT1_.uses_vcc, 1
	.set _ZN2at6native12_GLOBAL__N_125multi_tensor_apply_kernelINS1_18TensorListMetadataILi1EEENS1_14UnaryOpFunctorIN3c108BFloat16ELi1ELi1ELi0EEEJNS0_6TruncfIfEEEEEvT_T0_DpT1_.uses_flat_scratch, 0
	.set _ZN2at6native12_GLOBAL__N_125multi_tensor_apply_kernelINS1_18TensorListMetadataILi1EEENS1_14UnaryOpFunctorIN3c108BFloat16ELi1ELi1ELi0EEEJNS0_6TruncfIfEEEEEvT_T0_DpT1_.has_dyn_sized_stack, 0
	.set _ZN2at6native12_GLOBAL__N_125multi_tensor_apply_kernelINS1_18TensorListMetadataILi1EEENS1_14UnaryOpFunctorIN3c108BFloat16ELi1ELi1ELi0EEEJNS0_6TruncfIfEEEEEvT_T0_DpT1_.has_recursion, 0
	.set _ZN2at6native12_GLOBAL__N_125multi_tensor_apply_kernelINS1_18TensorListMetadataILi1EEENS1_14UnaryOpFunctorIN3c108BFloat16ELi1ELi1ELi0EEEJNS0_6TruncfIfEEEEEvT_T0_DpT1_.has_indirect_call, 0
	.section	.AMDGPU.csdata,"",@progbits
; Kernel info:
; codeLenInByte = 1308
; TotalNumSgprs: 32
; NumVgprs: 17
; ScratchSize: 0
; MemoryBound: 0
; FloatMode: 240
; IeeeMode: 1
; LDSByteSize: 0 bytes/workgroup (compile time only)
; SGPRBlocks: 3
; VGPRBlocks: 4
; NumSGPRsForWavesPerEU: 32
; NumVGPRsForWavesPerEU: 17
; Occupancy: 10
; WaveLimiterHint : 0
; COMPUTE_PGM_RSRC2:SCRATCH_EN: 0
; COMPUTE_PGM_RSRC2:USER_SGPR: 6
; COMPUTE_PGM_RSRC2:TRAP_HANDLER: 0
; COMPUTE_PGM_RSRC2:TGID_X_EN: 1
; COMPUTE_PGM_RSRC2:TGID_Y_EN: 0
; COMPUTE_PGM_RSRC2:TGID_Z_EN: 0
; COMPUTE_PGM_RSRC2:TIDIG_COMP_CNT: 0
	.section	.text._ZN2at6native12_GLOBAL__N_125multi_tensor_apply_kernelINS1_18TensorListMetadataILi2EEENS1_14UnaryOpFunctorIdLi2ELi1ELi1EEEJNS0_5FloorIdEEEEEvT_T0_DpT1_,"axG",@progbits,_ZN2at6native12_GLOBAL__N_125multi_tensor_apply_kernelINS1_18TensorListMetadataILi2EEENS1_14UnaryOpFunctorIdLi2ELi1ELi1EEEJNS0_5FloorIdEEEEEvT_T0_DpT1_,comdat
	.globl	_ZN2at6native12_GLOBAL__N_125multi_tensor_apply_kernelINS1_18TensorListMetadataILi2EEENS1_14UnaryOpFunctorIdLi2ELi1ELi1EEEJNS0_5FloorIdEEEEEvT_T0_DpT1_ ; -- Begin function _ZN2at6native12_GLOBAL__N_125multi_tensor_apply_kernelINS1_18TensorListMetadataILi2EEENS1_14UnaryOpFunctorIdLi2ELi1ELi1EEEJNS0_5FloorIdEEEEEvT_T0_DpT1_
	.p2align	8
	.type	_ZN2at6native12_GLOBAL__N_125multi_tensor_apply_kernelINS1_18TensorListMetadataILi2EEENS1_14UnaryOpFunctorIdLi2ELi1ELi1EEEJNS0_5FloorIdEEEEEvT_T0_DpT1_,@function
_ZN2at6native12_GLOBAL__N_125multi_tensor_apply_kernelINS1_18TensorListMetadataILi2EEENS1_14UnaryOpFunctorIdLi2ELi1ELi1EEEJNS0_5FloorIdEEEEEvT_T0_DpT1_: ; @_ZN2at6native12_GLOBAL__N_125multi_tensor_apply_kernelINS1_18TensorListMetadataILi2EEENS1_14UnaryOpFunctorIdLi2ELi1ELi1EEEJNS0_5FloorIdEEEEEvT_T0_DpT1_
; %bb.0:
	v_mov_b32_e32 v1, s6
	global_load_ubyte v1, v1, s[4:5] offset:1536
	s_add_u32 s0, s4, s6
	s_mul_hi_u32 s1, s6, 3
	s_mul_i32 s6, s6, 3
	s_addc_u32 s2, s5, 0
	s_add_u32 s0, s0, s6
	s_addc_u32 s1, s2, s1
	s_load_dword s6, s[0:1], 0x740
	s_mov_b32 s11, 0
	s_mov_b32 s13, s11
	s_waitcnt vmcnt(0)
	v_readfirstlane_b32 s0, v1
	s_lshl_b32 s7, s0, 3
	s_load_dwordx2 s[14:15], s[4:5], s7 offset:0x400
	s_load_dwordx2 s[2:3], s[4:5], s7 offset:0x0
	;; [unrolled: 1-line block ×3, first 2 shown]
	s_waitcnt lgkmcnt(0)
	s_ashr_i32 s7, s6, 31
	s_lshl_b64 s[8:9], s[6:7], 19
	s_lshl_b64 s[6:7], s[6:7], 16
	s_add_u32 s10, s2, s8
	s_and_b32 s12, s0, 31
	s_and_b32 s10, s10, 31
	s_sub_u32 s6, s14, s6
	s_subb_u32 s7, s15, s7
	s_and_b32 s14, s14, 3
	s_mov_b32 s15, s11
	s_or_b64 s[12:13], s[12:13], s[14:15]
	s_or_b64 s[10:11], s[12:13], s[10:11]
	s_cmp_eq_u64 s[10:11], 0
	s_mov_b64 s[10:11], -1
	s_cbranch_scc0 .LBB24_5
; %bb.1:
	v_mov_b32_e32 v1, 0x10000
	v_mov_b32_e32 v2, 0
	v_cmp_lt_i64_e32 vcc, s[6:7], v[1:2]
	v_mov_b32_e32 v2, 0
	s_and_b64 s[10:11], vcc, exec
	s_cselect_b32 s11, s7, 0
	s_cselect_b32 s10, s6, 0x10000
	v_lshlrev_b32_e32 v1, 2, v0
	v_cmp_gt_i64_e32 vcc, s[10:11], v[1:2]
	s_and_saveexec_b64 s[12:13], vcc
	s_cbranch_execz .LBB24_4
; %bb.2:
	s_load_dword s14, s[4:5], 0xc5c
	v_mov_b32_e32 v1, v2
	v_lshlrev_b32_e32 v2, 5, v0
	v_mov_b32_e32 v4, s9
	v_add_co_u32_e32 v3, vcc, s8, v2
	s_waitcnt lgkmcnt(0)
	s_and_b32 s16, s14, 0xffff
	v_mov_b32_e32 v2, v1
	v_addc_co_u32_e32 v4, vcc, 0, v4, vcc
	s_lshl_b32 s17, s16, 5
	s_mov_b64 s[14:15], 0
	v_mov_b32_e32 v5, s3
	v_mov_b32_e32 v6, s1
	;; [unrolled: 1-line block ×3, first 2 shown]
.LBB24_3:                               ; =>This Inner Loop Header: Depth=1
	v_add_co_u32_e32 v15, vcc, s2, v3
	v_addc_co_u32_e32 v16, vcc, v5, v4, vcc
	global_load_dwordx4 v[7:10], v[15:16], off
	global_load_dwordx4 v[11:14], v[15:16], off offset:16
	v_add_co_u32_e32 v15, vcc, s0, v3
	v_addc_co_u32_e32 v16, vcc, v6, v4, vcc
	v_add_co_u32_e32 v1, vcc, s16, v1
	v_addc_co_u32_e32 v2, vcc, 0, v2, vcc
	v_add_co_u32_e32 v3, vcc, s17, v3
	v_lshlrev_b64 v[17:18], 2, v[1:2]
	v_addc_co_u32_e32 v4, vcc, 0, v4, vcc
	v_cmp_le_i64_e32 vcc, s[10:11], v[17:18]
	s_or_b64 s[14:15], vcc, s[14:15]
	s_waitcnt vmcnt(1)
	v_floor_f64_e32 v[7:8], v[7:8]
	v_floor_f64_e32 v[9:10], v[9:10]
	s_waitcnt vmcnt(0)
	v_floor_f64_e32 v[11:12], v[11:12]
	v_floor_f64_e32 v[13:14], v[13:14]
	global_store_dwordx4 v[15:16], v[7:10], off
	global_store_dwordx4 v[15:16], v[11:14], off offset:16
	s_andn2_b64 exec, exec, s[14:15]
	s_cbranch_execnz .LBB24_3
.LBB24_4:
	s_or_b64 exec, exec, s[12:13]
	s_mov_b64 s[10:11], 0
.LBB24_5:
	s_andn2_b64 vcc, exec, s[10:11]
	s_cbranch_vccnz .LBB24_25
; %bb.6:
	v_cmp_lt_i64_e64 s[10:11], s[6:7], 1
	s_and_b64 vcc, exec, s[10:11]
	s_cbranch_vccnz .LBB24_25
; %bb.7:
	v_mov_b32_e32 v1, 0x10000
	s_load_dword s12, s[4:5], 0xc5c
	v_mov_b32_e32 v2, 0
	v_cmp_lt_i64_e32 vcc, s[6:7], v[1:2]
	v_mov_b32_e32 v3, 0
	s_and_b64 s[4:5], vcc, exec
	v_cmp_lt_u64_e32 vcc, s[6:7], v[1:2]
	s_cselect_b32 s11, s7, 0
	s_cselect_b32 s10, s6, 0x10000
	s_waitcnt lgkmcnt(0)
	s_and_b32 s14, s12, 0xffff
	v_lshlrev_b32_e32 v2, 3, v0
	s_and_b64 s[4:5], vcc, exec
	v_mov_b32_e32 v1, s3
	v_add_co_u32_e32 v9, vcc, s2, v2
	v_mad_u64_u32 v[3:4], s[4:5], s14, 24, v[2:3]
	v_addc_co_u32_e32 v10, vcc, 0, v1, vcc
	v_mov_b32_e32 v1, s1
	v_add_co_u32_e32 v11, vcc, s0, v2
	v_addc_co_u32_e32 v12, vcc, 0, v1, vcc
	v_mov_b32_e32 v1, s3
	v_add_co_u32_e32 v13, vcc, s2, v3
	;; [unrolled: 3-line block ×3, first 2 shown]
	s_cselect_b32 s13, s7, 0
	s_cselect_b32 s12, s6, 0x10000
	v_addc_co_u32_e32 v16, vcc, v1, v4, vcc
	s_lshl_b32 s4, s14, 4
	v_add_co_u32_e32 v1, vcc, s4, v2
	v_addc_co_u32_e64 v2, s[4:5], 0, 0, vcc
	v_mov_b32_e32 v3, s3
	v_add_co_u32_e32 v17, vcc, s2, v1
	v_addc_co_u32_e32 v18, vcc, v3, v2, vcc
	v_mov_b32_e32 v3, s1
	v_add_co_u32_e32 v19, vcc, s0, v1
	v_addc_co_u32_e32 v20, vcc, v3, v2, vcc
	v_add_co_u32_e32 v21, vcc, s14, v0
	v_lshlrev_b32_e32 v1, 3, v21
	v_addc_co_u32_e64 v22, s[4:5], 0, 0, vcc
	v_mov_b32_e32 v2, s3
	v_add_co_u32_e32 v23, vcc, s2, v1
	v_addc_co_u32_e32 v24, vcc, 0, v2, vcc
	v_mov_b32_e32 v2, s1
	v_add_co_u32_e32 v25, vcc, s0, v1
	s_mul_i32 s7, s14, 3
	v_addc_co_u32_e32 v26, vcc, 0, v2, vcc
	s_lshl_b32 s6, s14, 1
	v_add_co_u32_e32 v27, vcc, s7, v0
	v_addc_co_u32_e64 v28, s[0:1], 0, 0, vcc
	v_add_co_u32_e32 v29, vcc, s6, v0
	s_lshl_b32 s18, s14, 2
	s_lshl_b32 s19, s14, 5
	s_mov_b64 s[14:15], 0
	v_addc_co_u32_e64 v30, s[0:1], 0, 0, vcc
	s_branch .LBB24_9
.LBB24_8:                               ;   in Loop: Header=BB24_9 Depth=1
	s_or_b64 exec, exec, s[0:1]
	v_add_co_u32_e32 v9, vcc, s19, v9
	v_addc_co_u32_e32 v10, vcc, 0, v10, vcc
	v_add_co_u32_e32 v11, vcc, s19, v11
	v_addc_co_u32_e32 v12, vcc, 0, v12, vcc
	;; [unrolled: 2-line block ×6, first 2 shown]
	s_add_u32 s14, s14, s18
	v_add_co_u32_e32 v23, vcc, s19, v23
	v_mov_b32_e32 v1, s10
	s_addc_u32 s15, s15, 0
	v_addc_co_u32_e32 v24, vcc, 0, v24, vcc
	v_mov_b32_e32 v2, s11
	v_cmp_ge_i64_e32 vcc, s[14:15], v[1:2]
	v_add_co_u32_e64 v25, s[0:1], s19, v25
	v_addc_co_u32_e64 v26, s[0:1], 0, v26, s[0:1]
	s_cbranch_vccnz .LBB24_25
.LBB24_9:                               ; =>This Inner Loop Header: Depth=1
	v_mov_b32_e32 v2, s15
	v_add_co_u32_e32 v1, vcc, s14, v0
	v_addc_co_u32_e32 v2, vcc, 0, v2, vcc
	v_cmp_gt_u64_e32 vcc, s[12:13], v[1:2]
	v_mov_b32_e32 v1, 0
	v_mov_b32_e32 v3, 0
	;; [unrolled: 1-line block ×4, first 2 shown]
	s_and_saveexec_b64 s[2:3], vcc
	s_cbranch_execz .LBB24_11
; %bb.10:                               ;   in Loop: Header=BB24_9 Depth=1
	v_mov_b32_e32 v4, s9
	v_add_co_u32_e64 v3, s[0:1], s8, v9
	v_addc_co_u32_e64 v4, s[0:1], v10, v4, s[0:1]
	global_load_dwordx2 v[3:4], v[3:4], off
	s_waitcnt vmcnt(0)
	v_floor_f64_e32 v[3:4], v[3:4]
.LBB24_11:                              ;   in Loop: Header=BB24_9 Depth=1
	s_or_b64 exec, exec, s[2:3]
	v_mov_b32_e32 v6, s15
	v_add_co_u32_e64 v5, s[0:1], s14, v21
	v_addc_co_u32_e64 v6, s[0:1], v22, v6, s[0:1]
	v_cmp_gt_u64_e64 s[0:1], s[12:13], v[5:6]
	s_and_saveexec_b64 s[4:5], s[0:1]
	s_cbranch_execz .LBB24_13
; %bb.12:                               ;   in Loop: Header=BB24_9 Depth=1
	v_mov_b32_e32 v2, s9
	v_add_co_u32_e64 v1, s[2:3], s8, v23
	v_addc_co_u32_e64 v2, s[2:3], v24, v2, s[2:3]
	global_load_dwordx2 v[1:2], v[1:2], off
	s_waitcnt vmcnt(0)
	v_floor_f64_e32 v[1:2], v[1:2]
.LBB24_13:                              ;   in Loop: Header=BB24_9 Depth=1
	s_or_b64 exec, exec, s[4:5]
	v_mov_b32_e32 v6, s15
	v_add_co_u32_e64 v5, s[2:3], s14, v29
	v_addc_co_u32_e64 v6, s[2:3], v30, v6, s[2:3]
	v_cmp_gt_u64_e64 s[2:3], s[12:13], v[5:6]
	v_mov_b32_e32 v5, 0
	v_mov_b32_e32 v7, 0
	;; [unrolled: 1-line block ×4, first 2 shown]
	s_and_saveexec_b64 s[6:7], s[2:3]
	s_cbranch_execz .LBB24_15
; %bb.14:                               ;   in Loop: Header=BB24_9 Depth=1
	v_mov_b32_e32 v8, s9
	v_add_co_u32_e64 v7, s[4:5], s8, v17
	v_addc_co_u32_e64 v8, s[4:5], v18, v8, s[4:5]
	global_load_dwordx2 v[7:8], v[7:8], off
	s_waitcnt vmcnt(0)
	v_floor_f64_e32 v[7:8], v[7:8]
.LBB24_15:                              ;   in Loop: Header=BB24_9 Depth=1
	s_or_b64 exec, exec, s[6:7]
	v_mov_b32_e32 v32, s15
	v_add_co_u32_e64 v31, s[4:5], s14, v27
	v_addc_co_u32_e64 v32, s[4:5], v28, v32, s[4:5]
	v_cmp_gt_u64_e64 s[4:5], s[12:13], v[31:32]
	s_and_saveexec_b64 s[16:17], s[4:5]
	s_cbranch_execnz .LBB24_20
; %bb.16:                               ;   in Loop: Header=BB24_9 Depth=1
	s_or_b64 exec, exec, s[16:17]
	s_and_saveexec_b64 s[6:7], vcc
	s_cbranch_execnz .LBB24_21
.LBB24_17:                              ;   in Loop: Header=BB24_9 Depth=1
	s_or_b64 exec, exec, s[6:7]
	s_and_saveexec_b64 s[6:7], s[0:1]
	s_cbranch_execnz .LBB24_22
.LBB24_18:                              ;   in Loop: Header=BB24_9 Depth=1
	s_or_b64 exec, exec, s[6:7]
	s_and_saveexec_b64 s[0:1], s[2:3]
	s_cbranch_execnz .LBB24_23
.LBB24_19:                              ;   in Loop: Header=BB24_9 Depth=1
	s_or_b64 exec, exec, s[0:1]
	s_and_saveexec_b64 s[0:1], s[4:5]
	s_cbranch_execz .LBB24_8
	s_branch .LBB24_24
.LBB24_20:                              ;   in Loop: Header=BB24_9 Depth=1
	v_mov_b32_e32 v6, s9
	v_add_co_u32_e64 v5, s[6:7], s8, v13
	v_addc_co_u32_e64 v6, s[6:7], v14, v6, s[6:7]
	global_load_dwordx2 v[5:6], v[5:6], off
	s_waitcnt vmcnt(0)
	v_floor_f64_e32 v[5:6], v[5:6]
	s_or_b64 exec, exec, s[16:17]
	s_and_saveexec_b64 s[6:7], vcc
	s_cbranch_execz .LBB24_17
.LBB24_21:                              ;   in Loop: Header=BB24_9 Depth=1
	v_mov_b32_e32 v32, s9
	v_add_co_u32_e32 v31, vcc, s8, v11
	v_addc_co_u32_e32 v32, vcc, v12, v32, vcc
	global_store_dwordx2 v[31:32], v[3:4], off
	s_or_b64 exec, exec, s[6:7]
	s_and_saveexec_b64 s[6:7], s[0:1]
	s_cbranch_execz .LBB24_18
.LBB24_22:                              ;   in Loop: Header=BB24_9 Depth=1
	v_mov_b32_e32 v4, s9
	v_add_co_u32_e32 v3, vcc, s8, v25
	v_addc_co_u32_e32 v4, vcc, v26, v4, vcc
	global_store_dwordx2 v[3:4], v[1:2], off
	s_or_b64 exec, exec, s[6:7]
	s_and_saveexec_b64 s[0:1], s[2:3]
	s_cbranch_execz .LBB24_19
.LBB24_23:                              ;   in Loop: Header=BB24_9 Depth=1
	v_mov_b32_e32 v2, s9
	v_add_co_u32_e32 v1, vcc, s8, v19
	v_addc_co_u32_e32 v2, vcc, v20, v2, vcc
	global_store_dwordx2 v[1:2], v[7:8], off
	s_or_b64 exec, exec, s[0:1]
	s_and_saveexec_b64 s[0:1], s[4:5]
	s_cbranch_execz .LBB24_8
.LBB24_24:                              ;   in Loop: Header=BB24_9 Depth=1
	v_mov_b32_e32 v2, s9
	v_add_co_u32_e32 v1, vcc, s8, v15
	v_addc_co_u32_e32 v2, vcc, v16, v2, vcc
	global_store_dwordx2 v[1:2], v[5:6], off
	s_branch .LBB24_8
.LBB24_25:
	s_endpgm
	.section	.rodata,"a",@progbits
	.p2align	6, 0x0
	.amdhsa_kernel _ZN2at6native12_GLOBAL__N_125multi_tensor_apply_kernelINS1_18TensorListMetadataILi2EEENS1_14UnaryOpFunctorIdLi2ELi1ELi1EEEJNS0_5FloorIdEEEEEvT_T0_DpT1_
		.amdhsa_group_segment_fixed_size 0
		.amdhsa_private_segment_fixed_size 0
		.amdhsa_kernarg_size 3408
		.amdhsa_user_sgpr_count 6
		.amdhsa_user_sgpr_private_segment_buffer 1
		.amdhsa_user_sgpr_dispatch_ptr 0
		.amdhsa_user_sgpr_queue_ptr 0
		.amdhsa_user_sgpr_kernarg_segment_ptr 1
		.amdhsa_user_sgpr_dispatch_id 0
		.amdhsa_user_sgpr_flat_scratch_init 0
		.amdhsa_user_sgpr_private_segment_size 0
		.amdhsa_uses_dynamic_stack 0
		.amdhsa_system_sgpr_private_segment_wavefront_offset 0
		.amdhsa_system_sgpr_workgroup_id_x 1
		.amdhsa_system_sgpr_workgroup_id_y 0
		.amdhsa_system_sgpr_workgroup_id_z 0
		.amdhsa_system_sgpr_workgroup_info 0
		.amdhsa_system_vgpr_workitem_id 0
		.amdhsa_next_free_vgpr 33
		.amdhsa_next_free_sgpr 20
		.amdhsa_reserve_vcc 1
		.amdhsa_reserve_flat_scratch 0
		.amdhsa_float_round_mode_32 0
		.amdhsa_float_round_mode_16_64 0
		.amdhsa_float_denorm_mode_32 3
		.amdhsa_float_denorm_mode_16_64 3
		.amdhsa_dx10_clamp 1
		.amdhsa_ieee_mode 1
		.amdhsa_fp16_overflow 0
		.amdhsa_exception_fp_ieee_invalid_op 0
		.amdhsa_exception_fp_denorm_src 0
		.amdhsa_exception_fp_ieee_div_zero 0
		.amdhsa_exception_fp_ieee_overflow 0
		.amdhsa_exception_fp_ieee_underflow 0
		.amdhsa_exception_fp_ieee_inexact 0
		.amdhsa_exception_int_div_zero 0
	.end_amdhsa_kernel
	.section	.text._ZN2at6native12_GLOBAL__N_125multi_tensor_apply_kernelINS1_18TensorListMetadataILi2EEENS1_14UnaryOpFunctorIdLi2ELi1ELi1EEEJNS0_5FloorIdEEEEEvT_T0_DpT1_,"axG",@progbits,_ZN2at6native12_GLOBAL__N_125multi_tensor_apply_kernelINS1_18TensorListMetadataILi2EEENS1_14UnaryOpFunctorIdLi2ELi1ELi1EEEJNS0_5FloorIdEEEEEvT_T0_DpT1_,comdat
.Lfunc_end24:
	.size	_ZN2at6native12_GLOBAL__N_125multi_tensor_apply_kernelINS1_18TensorListMetadataILi2EEENS1_14UnaryOpFunctorIdLi2ELi1ELi1EEEJNS0_5FloorIdEEEEEvT_T0_DpT1_, .Lfunc_end24-_ZN2at6native12_GLOBAL__N_125multi_tensor_apply_kernelINS1_18TensorListMetadataILi2EEENS1_14UnaryOpFunctorIdLi2ELi1ELi1EEEJNS0_5FloorIdEEEEEvT_T0_DpT1_
                                        ; -- End function
	.set _ZN2at6native12_GLOBAL__N_125multi_tensor_apply_kernelINS1_18TensorListMetadataILi2EEENS1_14UnaryOpFunctorIdLi2ELi1ELi1EEEJNS0_5FloorIdEEEEEvT_T0_DpT1_.num_vgpr, 33
	.set _ZN2at6native12_GLOBAL__N_125multi_tensor_apply_kernelINS1_18TensorListMetadataILi2EEENS1_14UnaryOpFunctorIdLi2ELi1ELi1EEEJNS0_5FloorIdEEEEEvT_T0_DpT1_.num_agpr, 0
	.set _ZN2at6native12_GLOBAL__N_125multi_tensor_apply_kernelINS1_18TensorListMetadataILi2EEENS1_14UnaryOpFunctorIdLi2ELi1ELi1EEEJNS0_5FloorIdEEEEEvT_T0_DpT1_.numbered_sgpr, 20
	.set _ZN2at6native12_GLOBAL__N_125multi_tensor_apply_kernelINS1_18TensorListMetadataILi2EEENS1_14UnaryOpFunctorIdLi2ELi1ELi1EEEJNS0_5FloorIdEEEEEvT_T0_DpT1_.num_named_barrier, 0
	.set _ZN2at6native12_GLOBAL__N_125multi_tensor_apply_kernelINS1_18TensorListMetadataILi2EEENS1_14UnaryOpFunctorIdLi2ELi1ELi1EEEJNS0_5FloorIdEEEEEvT_T0_DpT1_.private_seg_size, 0
	.set _ZN2at6native12_GLOBAL__N_125multi_tensor_apply_kernelINS1_18TensorListMetadataILi2EEENS1_14UnaryOpFunctorIdLi2ELi1ELi1EEEJNS0_5FloorIdEEEEEvT_T0_DpT1_.uses_vcc, 1
	.set _ZN2at6native12_GLOBAL__N_125multi_tensor_apply_kernelINS1_18TensorListMetadataILi2EEENS1_14UnaryOpFunctorIdLi2ELi1ELi1EEEJNS0_5FloorIdEEEEEvT_T0_DpT1_.uses_flat_scratch, 0
	.set _ZN2at6native12_GLOBAL__N_125multi_tensor_apply_kernelINS1_18TensorListMetadataILi2EEENS1_14UnaryOpFunctorIdLi2ELi1ELi1EEEJNS0_5FloorIdEEEEEvT_T0_DpT1_.has_dyn_sized_stack, 0
	.set _ZN2at6native12_GLOBAL__N_125multi_tensor_apply_kernelINS1_18TensorListMetadataILi2EEENS1_14UnaryOpFunctorIdLi2ELi1ELi1EEEJNS0_5FloorIdEEEEEvT_T0_DpT1_.has_recursion, 0
	.set _ZN2at6native12_GLOBAL__N_125multi_tensor_apply_kernelINS1_18TensorListMetadataILi2EEENS1_14UnaryOpFunctorIdLi2ELi1ELi1EEEJNS0_5FloorIdEEEEEvT_T0_DpT1_.has_indirect_call, 0
	.section	.AMDGPU.csdata,"",@progbits
; Kernel info:
; codeLenInByte = 1284
; TotalNumSgprs: 24
; NumVgprs: 33
; ScratchSize: 0
; MemoryBound: 0
; FloatMode: 240
; IeeeMode: 1
; LDSByteSize: 0 bytes/workgroup (compile time only)
; SGPRBlocks: 2
; VGPRBlocks: 8
; NumSGPRsForWavesPerEU: 24
; NumVGPRsForWavesPerEU: 33
; Occupancy: 7
; WaveLimiterHint : 0
; COMPUTE_PGM_RSRC2:SCRATCH_EN: 0
; COMPUTE_PGM_RSRC2:USER_SGPR: 6
; COMPUTE_PGM_RSRC2:TRAP_HANDLER: 0
; COMPUTE_PGM_RSRC2:TGID_X_EN: 1
; COMPUTE_PGM_RSRC2:TGID_Y_EN: 0
; COMPUTE_PGM_RSRC2:TGID_Z_EN: 0
; COMPUTE_PGM_RSRC2:TIDIG_COMP_CNT: 0
	.section	.text._ZN2at6native12_GLOBAL__N_125multi_tensor_apply_kernelINS1_18TensorListMetadataILi2EEENS1_14UnaryOpFunctorIfLi2ELi1ELi1EEEJNS0_5FloorIfEEEEEvT_T0_DpT1_,"axG",@progbits,_ZN2at6native12_GLOBAL__N_125multi_tensor_apply_kernelINS1_18TensorListMetadataILi2EEENS1_14UnaryOpFunctorIfLi2ELi1ELi1EEEJNS0_5FloorIfEEEEEvT_T0_DpT1_,comdat
	.globl	_ZN2at6native12_GLOBAL__N_125multi_tensor_apply_kernelINS1_18TensorListMetadataILi2EEENS1_14UnaryOpFunctorIfLi2ELi1ELi1EEEJNS0_5FloorIfEEEEEvT_T0_DpT1_ ; -- Begin function _ZN2at6native12_GLOBAL__N_125multi_tensor_apply_kernelINS1_18TensorListMetadataILi2EEENS1_14UnaryOpFunctorIfLi2ELi1ELi1EEEJNS0_5FloorIfEEEEEvT_T0_DpT1_
	.p2align	8
	.type	_ZN2at6native12_GLOBAL__N_125multi_tensor_apply_kernelINS1_18TensorListMetadataILi2EEENS1_14UnaryOpFunctorIfLi2ELi1ELi1EEEJNS0_5FloorIfEEEEEvT_T0_DpT1_,@function
_ZN2at6native12_GLOBAL__N_125multi_tensor_apply_kernelINS1_18TensorListMetadataILi2EEENS1_14UnaryOpFunctorIfLi2ELi1ELi1EEEJNS0_5FloorIfEEEEEvT_T0_DpT1_: ; @_ZN2at6native12_GLOBAL__N_125multi_tensor_apply_kernelINS1_18TensorListMetadataILi2EEENS1_14UnaryOpFunctorIfLi2ELi1ELi1EEEJNS0_5FloorIfEEEEEvT_T0_DpT1_
; %bb.0:
	v_mov_b32_e32 v1, s6
	global_load_ubyte v1, v1, s[4:5] offset:1536
	s_add_u32 s0, s4, s6
	s_mul_hi_u32 s1, s6, 3
	s_mul_i32 s6, s6, 3
	s_addc_u32 s2, s5, 0
	s_add_u32 s0, s0, s6
	s_addc_u32 s1, s2, s1
	s_load_dword s6, s[0:1], 0x740
	s_mov_b32 s11, 0
	s_mov_b32 s13, s11
	s_waitcnt vmcnt(0)
	v_readfirstlane_b32 s0, v1
	s_lshl_b32 s7, s0, 3
	s_load_dwordx2 s[14:15], s[4:5], s7 offset:0x400
	s_load_dwordx2 s[2:3], s[4:5], s7 offset:0x0
	;; [unrolled: 1-line block ×3, first 2 shown]
	s_waitcnt lgkmcnt(0)
	s_ashr_i32 s7, s6, 31
	s_lshl_b64 s[8:9], s[6:7], 18
	s_lshl_b64 s[6:7], s[6:7], 16
	s_add_u32 s10, s2, s8
	s_and_b32 s12, s0, 15
	s_and_b32 s10, s10, 15
	s_sub_u32 s6, s14, s6
	s_subb_u32 s7, s15, s7
	s_and_b32 s14, s14, 3
	s_mov_b32 s15, s11
	s_or_b64 s[12:13], s[12:13], s[14:15]
	s_or_b64 s[10:11], s[12:13], s[10:11]
	s_cmp_eq_u64 s[10:11], 0
	s_mov_b64 s[10:11], -1
	s_cbranch_scc0 .LBB25_5
; %bb.1:
	v_mov_b32_e32 v1, 0x10000
	v_mov_b32_e32 v2, 0
	v_cmp_lt_i64_e32 vcc, s[6:7], v[1:2]
	v_mov_b32_e32 v2, 0
	s_and_b64 s[10:11], vcc, exec
	s_cselect_b32 s11, s7, 0
	s_cselect_b32 s10, s6, 0x10000
	v_lshlrev_b32_e32 v1, 2, v0
	v_cmp_gt_i64_e32 vcc, s[10:11], v[1:2]
	s_and_saveexec_b64 s[12:13], vcc
	s_cbranch_execz .LBB25_4
; %bb.2:
	s_load_dword s14, s[4:5], 0xc5c
	v_mov_b32_e32 v1, v2
	v_lshlrev_b32_e32 v2, 4, v0
	v_mov_b32_e32 v4, s9
	v_add_co_u32_e32 v3, vcc, s8, v2
	s_waitcnt lgkmcnt(0)
	s_and_b32 s16, s14, 0xffff
	v_mov_b32_e32 v2, v1
	v_addc_co_u32_e32 v4, vcc, 0, v4, vcc
	s_lshl_b32 s17, s16, 4
	s_mov_b64 s[14:15], 0
	v_mov_b32_e32 v5, s3
	v_mov_b32_e32 v6, s1
	;; [unrolled: 1-line block ×3, first 2 shown]
.LBB25_3:                               ; =>This Inner Loop Header: Depth=1
	v_add_co_u32_e32 v7, vcc, s2, v3
	v_addc_co_u32_e32 v8, vcc, v5, v4, vcc
	global_load_dwordx4 v[7:10], v[7:8], off
	v_add_co_u32_e32 v11, vcc, s0, v3
	v_addc_co_u32_e32 v12, vcc, v6, v4, vcc
	v_add_co_u32_e32 v1, vcc, s16, v1
	v_addc_co_u32_e32 v2, vcc, 0, v2, vcc
	v_add_co_u32_e32 v3, vcc, s17, v3
	v_lshlrev_b64 v[13:14], 2, v[1:2]
	v_addc_co_u32_e32 v4, vcc, 0, v4, vcc
	v_cmp_le_i64_e32 vcc, s[10:11], v[13:14]
	s_or_b64 s[14:15], vcc, s[14:15]
	s_waitcnt vmcnt(0)
	v_floor_f32_e32 v7, v7
	v_floor_f32_e32 v8, v8
	;; [unrolled: 1-line block ×4, first 2 shown]
	global_store_dwordx4 v[11:12], v[7:10], off
	s_andn2_b64 exec, exec, s[14:15]
	s_cbranch_execnz .LBB25_3
.LBB25_4:
	s_or_b64 exec, exec, s[12:13]
	s_mov_b64 s[10:11], 0
.LBB25_5:
	s_andn2_b64 vcc, exec, s[10:11]
	s_cbranch_vccnz .LBB25_25
; %bb.6:
	v_cmp_lt_i64_e64 s[10:11], s[6:7], 1
	s_and_b64 vcc, exec, s[10:11]
	s_cbranch_vccnz .LBB25_25
; %bb.7:
	v_mov_b32_e32 v1, 0x10000
	s_load_dword s12, s[4:5], 0xc5c
	v_mov_b32_e32 v2, 0
	v_cmp_lt_i64_e32 vcc, s[6:7], v[1:2]
	v_mov_b32_e32 v10, 0
	s_and_b64 s[4:5], vcc, exec
	v_cmp_lt_u64_e32 vcc, s[6:7], v[1:2]
	s_cselect_b32 s11, s7, 0
	s_cselect_b32 s10, s6, 0x10000
	s_waitcnt lgkmcnt(0)
	s_and_b32 s14, s12, 0xffff
	v_lshlrev_b32_e32 v9, 2, v0
	s_and_b64 s[4:5], vcc, exec
	v_mov_b32_e32 v2, s3
	v_add_co_u32_e32 v1, vcc, s2, v9
	v_mad_u64_u32 v[7:8], s[4:5], s14, 12, v[9:10]
	v_addc_co_u32_e32 v2, vcc, 0, v2, vcc
	v_mov_b32_e32 v4, s1
	v_add_co_u32_e32 v3, vcc, s0, v9
	v_addc_co_u32_e32 v4, vcc, 0, v4, vcc
	v_mov_b32_e32 v6, s3
	v_add_co_u32_e32 v5, vcc, s2, v7
	;; [unrolled: 3-line block ×3, first 2 shown]
	s_cselect_b32 s13, s7, 0
	s_cselect_b32 s12, s6, 0x10000
	v_addc_co_u32_e32 v8, vcc, v10, v8, vcc
	s_lshl_b32 s4, s14, 3
	v_add_co_u32_e32 v11, vcc, s4, v9
	v_addc_co_u32_e64 v12, s[4:5], 0, 0, vcc
	v_mov_b32_e32 v10, s3
	v_add_co_u32_e32 v9, vcc, s2, v11
	v_addc_co_u32_e32 v10, vcc, v10, v12, vcc
	v_mov_b32_e32 v13, s1
	v_add_co_u32_e32 v11, vcc, s0, v11
	v_addc_co_u32_e32 v12, vcc, v13, v12, vcc
	v_add_co_u32_e32 v13, vcc, s14, v0
	v_lshlrev_b32_e32 v17, 2, v13
	v_addc_co_u32_e64 v14, s[4:5], 0, 0, vcc
	v_mov_b32_e32 v16, s3
	v_add_co_u32_e32 v15, vcc, s2, v17
	v_addc_co_u32_e32 v16, vcc, 0, v16, vcc
	v_mov_b32_e32 v18, s1
	v_add_co_u32_e32 v17, vcc, s0, v17
	s_mul_i32 s7, s14, 3
	v_addc_co_u32_e32 v18, vcc, 0, v18, vcc
	s_lshl_b32 s6, s14, 1
	v_add_co_u32_e32 v19, vcc, s7, v0
	v_addc_co_u32_e64 v20, s[0:1], 0, 0, vcc
	v_add_co_u32_e32 v21, vcc, s6, v0
	s_lshl_b32 s18, s14, 2
	s_lshl_b32 s19, s14, 4
	s_mov_b64 s[14:15], 0
	v_addc_co_u32_e64 v22, s[0:1], 0, 0, vcc
	s_branch .LBB25_9
.LBB25_8:                               ;   in Loop: Header=BB25_9 Depth=1
	s_or_b64 exec, exec, s[0:1]
	v_add_co_u32_e32 v1, vcc, s19, v1
	v_addc_co_u32_e32 v2, vcc, 0, v2, vcc
	v_add_co_u32_e32 v3, vcc, s19, v3
	v_addc_co_u32_e32 v4, vcc, 0, v4, vcc
	;; [unrolled: 2-line block ×6, first 2 shown]
	s_add_u32 s14, s14, s18
	v_add_co_u32_e32 v15, vcc, s19, v15
	v_mov_b32_e32 v24, s11
	s_addc_u32 s15, s15, 0
	v_addc_co_u32_e32 v16, vcc, 0, v16, vcc
	v_mov_b32_e32 v23, s10
	v_cmp_ge_i64_e32 vcc, s[14:15], v[23:24]
	v_add_co_u32_e64 v17, s[0:1], s19, v17
	v_addc_co_u32_e64 v18, s[0:1], 0, v18, s[0:1]
	s_cbranch_vccnz .LBB25_25
.LBB25_9:                               ; =>This Inner Loop Header: Depth=1
	v_mov_b32_e32 v24, s15
	v_add_co_u32_e32 v23, vcc, s14, v0
	v_addc_co_u32_e32 v24, vcc, 0, v24, vcc
	v_cmp_gt_u64_e32 vcc, s[12:13], v[23:24]
	v_mov_b32_e32 v24, 0
	s_and_saveexec_b64 s[2:3], vcc
	s_cbranch_execz .LBB25_11
; %bb.10:                               ;   in Loop: Header=BB25_9 Depth=1
	v_mov_b32_e32 v24, s9
	v_add_co_u32_e64 v23, s[0:1], s8, v1
	v_addc_co_u32_e64 v24, s[0:1], v2, v24, s[0:1]
	global_load_dword v23, v[23:24], off
	s_waitcnt vmcnt(0)
	v_floor_f32_e32 v24, v23
.LBB25_11:                              ;   in Loop: Header=BB25_9 Depth=1
	s_or_b64 exec, exec, s[2:3]
	v_mov_b32_e32 v23, s15
	v_add_co_u32_e64 v25, s[0:1], s14, v13
	v_addc_co_u32_e64 v26, s[0:1], v14, v23, s[0:1]
	v_cmp_gt_u64_e64 s[0:1], s[12:13], v[25:26]
	v_mov_b32_e32 v23, 0
	v_mov_b32_e32 v25, 0
	s_and_saveexec_b64 s[4:5], s[0:1]
	s_cbranch_execz .LBB25_13
; %bb.12:                               ;   in Loop: Header=BB25_9 Depth=1
	v_mov_b32_e32 v26, s9
	v_add_co_u32_e64 v25, s[2:3], s8, v15
	v_addc_co_u32_e64 v26, s[2:3], v16, v26, s[2:3]
	global_load_dword v25, v[25:26], off
	s_waitcnt vmcnt(0)
	v_floor_f32_e32 v25, v25
.LBB25_13:                              ;   in Loop: Header=BB25_9 Depth=1
	s_or_b64 exec, exec, s[4:5]
	v_mov_b32_e32 v27, s15
	v_add_co_u32_e64 v26, s[2:3], s14, v21
	v_addc_co_u32_e64 v27, s[2:3], v22, v27, s[2:3]
	v_cmp_gt_u64_e64 s[2:3], s[12:13], v[26:27]
	s_and_saveexec_b64 s[6:7], s[2:3]
	s_cbranch_execz .LBB25_15
; %bb.14:                               ;   in Loop: Header=BB25_9 Depth=1
	v_mov_b32_e32 v23, s9
	v_add_co_u32_e64 v26, s[4:5], s8, v9
	v_addc_co_u32_e64 v27, s[4:5], v10, v23, s[4:5]
	global_load_dword v23, v[26:27], off
	s_waitcnt vmcnt(0)
	v_floor_f32_e32 v23, v23
.LBB25_15:                              ;   in Loop: Header=BB25_9 Depth=1
	s_or_b64 exec, exec, s[6:7]
	v_mov_b32_e32 v27, s15
	v_add_co_u32_e64 v26, s[4:5], s14, v19
	v_addc_co_u32_e64 v27, s[4:5], v20, v27, s[4:5]
	v_cmp_gt_u64_e64 s[4:5], s[12:13], v[26:27]
	v_mov_b32_e32 v26, 0
	s_and_saveexec_b64 s[16:17], s[4:5]
	s_cbranch_execnz .LBB25_20
; %bb.16:                               ;   in Loop: Header=BB25_9 Depth=1
	s_or_b64 exec, exec, s[16:17]
	s_and_saveexec_b64 s[6:7], vcc
	s_cbranch_execnz .LBB25_21
.LBB25_17:                              ;   in Loop: Header=BB25_9 Depth=1
	s_or_b64 exec, exec, s[6:7]
	s_and_saveexec_b64 s[6:7], s[0:1]
	s_cbranch_execnz .LBB25_22
.LBB25_18:                              ;   in Loop: Header=BB25_9 Depth=1
	s_or_b64 exec, exec, s[6:7]
	s_and_saveexec_b64 s[0:1], s[2:3]
	s_cbranch_execnz .LBB25_23
.LBB25_19:                              ;   in Loop: Header=BB25_9 Depth=1
	s_or_b64 exec, exec, s[0:1]
	s_and_saveexec_b64 s[0:1], s[4:5]
	s_cbranch_execz .LBB25_8
	s_branch .LBB25_24
.LBB25_20:                              ;   in Loop: Header=BB25_9 Depth=1
	v_mov_b32_e32 v27, s9
	v_add_co_u32_e64 v26, s[6:7], s8, v5
	v_addc_co_u32_e64 v27, s[6:7], v6, v27, s[6:7]
	global_load_dword v26, v[26:27], off
	s_waitcnt vmcnt(0)
	v_floor_f32_e32 v26, v26
	s_or_b64 exec, exec, s[16:17]
	s_and_saveexec_b64 s[6:7], vcc
	s_cbranch_execz .LBB25_17
.LBB25_21:                              ;   in Loop: Header=BB25_9 Depth=1
	v_mov_b32_e32 v28, s9
	v_add_co_u32_e32 v27, vcc, s8, v3
	v_addc_co_u32_e32 v28, vcc, v4, v28, vcc
	global_store_dword v[27:28], v24, off
	s_or_b64 exec, exec, s[6:7]
	s_and_saveexec_b64 s[6:7], s[0:1]
	s_cbranch_execz .LBB25_18
.LBB25_22:                              ;   in Loop: Header=BB25_9 Depth=1
	v_mov_b32_e32 v24, s9
	v_add_co_u32_e32 v27, vcc, s8, v17
	v_addc_co_u32_e32 v28, vcc, v18, v24, vcc
	global_store_dword v[27:28], v25, off
	s_or_b64 exec, exec, s[6:7]
	s_and_saveexec_b64 s[0:1], s[2:3]
	s_cbranch_execz .LBB25_19
.LBB25_23:                              ;   in Loop: Header=BB25_9 Depth=1
	v_mov_b32_e32 v25, s9
	v_add_co_u32_e32 v24, vcc, s8, v11
	v_addc_co_u32_e32 v25, vcc, v12, v25, vcc
	global_store_dword v[24:25], v23, off
	s_or_b64 exec, exec, s[0:1]
	s_and_saveexec_b64 s[0:1], s[4:5]
	s_cbranch_execz .LBB25_8
.LBB25_24:                              ;   in Loop: Header=BB25_9 Depth=1
	v_mov_b32_e32 v24, s9
	v_add_co_u32_e32 v23, vcc, s8, v7
	v_addc_co_u32_e32 v24, vcc, v8, v24, vcc
	global_store_dword v[23:24], v26, off
	s_branch .LBB25_8
.LBB25_25:
	s_endpgm
	.section	.rodata,"a",@progbits
	.p2align	6, 0x0
	.amdhsa_kernel _ZN2at6native12_GLOBAL__N_125multi_tensor_apply_kernelINS1_18TensorListMetadataILi2EEENS1_14UnaryOpFunctorIfLi2ELi1ELi1EEEJNS0_5FloorIfEEEEEvT_T0_DpT1_
		.amdhsa_group_segment_fixed_size 0
		.amdhsa_private_segment_fixed_size 0
		.amdhsa_kernarg_size 3408
		.amdhsa_user_sgpr_count 6
		.amdhsa_user_sgpr_private_segment_buffer 1
		.amdhsa_user_sgpr_dispatch_ptr 0
		.amdhsa_user_sgpr_queue_ptr 0
		.amdhsa_user_sgpr_kernarg_segment_ptr 1
		.amdhsa_user_sgpr_dispatch_id 0
		.amdhsa_user_sgpr_flat_scratch_init 0
		.amdhsa_user_sgpr_private_segment_size 0
		.amdhsa_uses_dynamic_stack 0
		.amdhsa_system_sgpr_private_segment_wavefront_offset 0
		.amdhsa_system_sgpr_workgroup_id_x 1
		.amdhsa_system_sgpr_workgroup_id_y 0
		.amdhsa_system_sgpr_workgroup_id_z 0
		.amdhsa_system_sgpr_workgroup_info 0
		.amdhsa_system_vgpr_workitem_id 0
		.amdhsa_next_free_vgpr 29
		.amdhsa_next_free_sgpr 20
		.amdhsa_reserve_vcc 1
		.amdhsa_reserve_flat_scratch 0
		.amdhsa_float_round_mode_32 0
		.amdhsa_float_round_mode_16_64 0
		.amdhsa_float_denorm_mode_32 3
		.amdhsa_float_denorm_mode_16_64 3
		.amdhsa_dx10_clamp 1
		.amdhsa_ieee_mode 1
		.amdhsa_fp16_overflow 0
		.amdhsa_exception_fp_ieee_invalid_op 0
		.amdhsa_exception_fp_denorm_src 0
		.amdhsa_exception_fp_ieee_div_zero 0
		.amdhsa_exception_fp_ieee_overflow 0
		.amdhsa_exception_fp_ieee_underflow 0
		.amdhsa_exception_fp_ieee_inexact 0
		.amdhsa_exception_int_div_zero 0
	.end_amdhsa_kernel
	.section	.text._ZN2at6native12_GLOBAL__N_125multi_tensor_apply_kernelINS1_18TensorListMetadataILi2EEENS1_14UnaryOpFunctorIfLi2ELi1ELi1EEEJNS0_5FloorIfEEEEEvT_T0_DpT1_,"axG",@progbits,_ZN2at6native12_GLOBAL__N_125multi_tensor_apply_kernelINS1_18TensorListMetadataILi2EEENS1_14UnaryOpFunctorIfLi2ELi1ELi1EEEJNS0_5FloorIfEEEEEvT_T0_DpT1_,comdat
.Lfunc_end25:
	.size	_ZN2at6native12_GLOBAL__N_125multi_tensor_apply_kernelINS1_18TensorListMetadataILi2EEENS1_14UnaryOpFunctorIfLi2ELi1ELi1EEEJNS0_5FloorIfEEEEEvT_T0_DpT1_, .Lfunc_end25-_ZN2at6native12_GLOBAL__N_125multi_tensor_apply_kernelINS1_18TensorListMetadataILi2EEENS1_14UnaryOpFunctorIfLi2ELi1ELi1EEEJNS0_5FloorIfEEEEEvT_T0_DpT1_
                                        ; -- End function
	.set _ZN2at6native12_GLOBAL__N_125multi_tensor_apply_kernelINS1_18TensorListMetadataILi2EEENS1_14UnaryOpFunctorIfLi2ELi1ELi1EEEJNS0_5FloorIfEEEEEvT_T0_DpT1_.num_vgpr, 29
	.set _ZN2at6native12_GLOBAL__N_125multi_tensor_apply_kernelINS1_18TensorListMetadataILi2EEENS1_14UnaryOpFunctorIfLi2ELi1ELi1EEEJNS0_5FloorIfEEEEEvT_T0_DpT1_.num_agpr, 0
	.set _ZN2at6native12_GLOBAL__N_125multi_tensor_apply_kernelINS1_18TensorListMetadataILi2EEENS1_14UnaryOpFunctorIfLi2ELi1ELi1EEEJNS0_5FloorIfEEEEEvT_T0_DpT1_.numbered_sgpr, 20
	.set _ZN2at6native12_GLOBAL__N_125multi_tensor_apply_kernelINS1_18TensorListMetadataILi2EEENS1_14UnaryOpFunctorIfLi2ELi1ELi1EEEJNS0_5FloorIfEEEEEvT_T0_DpT1_.num_named_barrier, 0
	.set _ZN2at6native12_GLOBAL__N_125multi_tensor_apply_kernelINS1_18TensorListMetadataILi2EEENS1_14UnaryOpFunctorIfLi2ELi1ELi1EEEJNS0_5FloorIfEEEEEvT_T0_DpT1_.private_seg_size, 0
	.set _ZN2at6native12_GLOBAL__N_125multi_tensor_apply_kernelINS1_18TensorListMetadataILi2EEENS1_14UnaryOpFunctorIfLi2ELi1ELi1EEEJNS0_5FloorIfEEEEEvT_T0_DpT1_.uses_vcc, 1
	.set _ZN2at6native12_GLOBAL__N_125multi_tensor_apply_kernelINS1_18TensorListMetadataILi2EEENS1_14UnaryOpFunctorIfLi2ELi1ELi1EEEJNS0_5FloorIfEEEEEvT_T0_DpT1_.uses_flat_scratch, 0
	.set _ZN2at6native12_GLOBAL__N_125multi_tensor_apply_kernelINS1_18TensorListMetadataILi2EEENS1_14UnaryOpFunctorIfLi2ELi1ELi1EEEJNS0_5FloorIfEEEEEvT_T0_DpT1_.has_dyn_sized_stack, 0
	.set _ZN2at6native12_GLOBAL__N_125multi_tensor_apply_kernelINS1_18TensorListMetadataILi2EEENS1_14UnaryOpFunctorIfLi2ELi1ELi1EEEJNS0_5FloorIfEEEEEvT_T0_DpT1_.has_recursion, 0
	.set _ZN2at6native12_GLOBAL__N_125multi_tensor_apply_kernelINS1_18TensorListMetadataILi2EEENS1_14UnaryOpFunctorIfLi2ELi1ELi1EEEJNS0_5FloorIfEEEEEvT_T0_DpT1_.has_indirect_call, 0
	.section	.AMDGPU.csdata,"",@progbits
; Kernel info:
; codeLenInByte = 1248
; TotalNumSgprs: 24
; NumVgprs: 29
; ScratchSize: 0
; MemoryBound: 0
; FloatMode: 240
; IeeeMode: 1
; LDSByteSize: 0 bytes/workgroup (compile time only)
; SGPRBlocks: 2
; VGPRBlocks: 7
; NumSGPRsForWavesPerEU: 24
; NumVGPRsForWavesPerEU: 29
; Occupancy: 8
; WaveLimiterHint : 0
; COMPUTE_PGM_RSRC2:SCRATCH_EN: 0
; COMPUTE_PGM_RSRC2:USER_SGPR: 6
; COMPUTE_PGM_RSRC2:TRAP_HANDLER: 0
; COMPUTE_PGM_RSRC2:TGID_X_EN: 1
; COMPUTE_PGM_RSRC2:TGID_Y_EN: 0
; COMPUTE_PGM_RSRC2:TGID_Z_EN: 0
; COMPUTE_PGM_RSRC2:TIDIG_COMP_CNT: 0
	.section	.text._ZN2at6native12_GLOBAL__N_125multi_tensor_apply_kernelINS1_18TensorListMetadataILi2EEENS1_14UnaryOpFunctorIN3c104HalfELi2ELi1ELi1EEEJNS0_5FloorIfEEEEEvT_T0_DpT1_,"axG",@progbits,_ZN2at6native12_GLOBAL__N_125multi_tensor_apply_kernelINS1_18TensorListMetadataILi2EEENS1_14UnaryOpFunctorIN3c104HalfELi2ELi1ELi1EEEJNS0_5FloorIfEEEEEvT_T0_DpT1_,comdat
	.globl	_ZN2at6native12_GLOBAL__N_125multi_tensor_apply_kernelINS1_18TensorListMetadataILi2EEENS1_14UnaryOpFunctorIN3c104HalfELi2ELi1ELi1EEEJNS0_5FloorIfEEEEEvT_T0_DpT1_ ; -- Begin function _ZN2at6native12_GLOBAL__N_125multi_tensor_apply_kernelINS1_18TensorListMetadataILi2EEENS1_14UnaryOpFunctorIN3c104HalfELi2ELi1ELi1EEEJNS0_5FloorIfEEEEEvT_T0_DpT1_
	.p2align	8
	.type	_ZN2at6native12_GLOBAL__N_125multi_tensor_apply_kernelINS1_18TensorListMetadataILi2EEENS1_14UnaryOpFunctorIN3c104HalfELi2ELi1ELi1EEEJNS0_5FloorIfEEEEEvT_T0_DpT1_,@function
_ZN2at6native12_GLOBAL__N_125multi_tensor_apply_kernelINS1_18TensorListMetadataILi2EEENS1_14UnaryOpFunctorIN3c104HalfELi2ELi1ELi1EEEJNS0_5FloorIfEEEEEvT_T0_DpT1_: ; @_ZN2at6native12_GLOBAL__N_125multi_tensor_apply_kernelINS1_18TensorListMetadataILi2EEENS1_14UnaryOpFunctorIN3c104HalfELi2ELi1ELi1EEEJNS0_5FloorIfEEEEEvT_T0_DpT1_
; %bb.0:
	v_mov_b32_e32 v1, s6
	global_load_ubyte v1, v1, s[4:5] offset:1536
	s_add_u32 s0, s4, s6
	s_mul_hi_u32 s1, s6, 3
	s_mul_i32 s6, s6, 3
	s_addc_u32 s2, s5, 0
	s_add_u32 s0, s0, s6
	s_addc_u32 s1, s2, s1
	s_load_dword s6, s[0:1], 0x740
	s_mov_b32 s11, 0
	s_mov_b32 s13, s11
	s_waitcnt vmcnt(0)
	v_readfirstlane_b32 s0, v1
	s_lshl_b32 s7, s0, 3
	s_load_dwordx2 s[14:15], s[4:5], s7 offset:0x400
	s_load_dwordx2 s[2:3], s[4:5], s7 offset:0x0
	;; [unrolled: 1-line block ×3, first 2 shown]
	s_waitcnt lgkmcnt(0)
	s_ashr_i32 s7, s6, 31
	s_lshl_b64 s[8:9], s[6:7], 17
	s_lshl_b64 s[6:7], s[6:7], 16
	s_add_u32 s10, s2, s8
	s_and_b32 s12, s0, 7
	s_and_b32 s10, s10, 7
	s_sub_u32 s6, s14, s6
	s_subb_u32 s7, s15, s7
	s_and_b32 s14, s14, 3
	s_mov_b32 s15, s11
	s_or_b64 s[12:13], s[12:13], s[14:15]
	s_or_b64 s[10:11], s[12:13], s[10:11]
	s_cmp_eq_u64 s[10:11], 0
	s_mov_b64 s[10:11], -1
	s_cbranch_scc0 .LBB26_5
; %bb.1:
	v_mov_b32_e32 v1, 0x10000
	v_mov_b32_e32 v2, 0
	v_cmp_lt_i64_e32 vcc, s[6:7], v[1:2]
	v_mov_b32_e32 v2, 0
	s_and_b64 s[10:11], vcc, exec
	s_cselect_b32 s11, s7, 0
	s_cselect_b32 s10, s6, 0x10000
	v_lshlrev_b32_e32 v1, 2, v0
	v_cmp_gt_i64_e32 vcc, s[10:11], v[1:2]
	s_and_saveexec_b64 s[12:13], vcc
	s_cbranch_execz .LBB26_4
; %bb.2:
	s_load_dword s14, s[4:5], 0xc5c
	v_mov_b32_e32 v1, v2
	v_lshlrev_b32_e32 v2, 3, v0
	v_mov_b32_e32 v4, s9
	v_add_co_u32_e32 v3, vcc, s8, v2
	s_waitcnt lgkmcnt(0)
	s_and_b32 s16, s14, 0xffff
	v_mov_b32_e32 v2, v1
	v_addc_co_u32_e32 v4, vcc, 0, v4, vcc
	s_lshl_b32 s17, s16, 3
	s_mov_b64 s[14:15], 0
	v_mov_b32_e32 v5, s3
	v_mov_b32_e32 v6, s1
	;; [unrolled: 1-line block ×3, first 2 shown]
.LBB26_3:                               ; =>This Inner Loop Header: Depth=1
	v_add_co_u32_e32 v7, vcc, s2, v3
	v_addc_co_u32_e32 v8, vcc, v5, v4, vcc
	global_load_dwordx2 v[7:8], v[7:8], off
	v_add_co_u32_e32 v9, vcc, s0, v3
	v_addc_co_u32_e32 v10, vcc, v6, v4, vcc
	v_add_co_u32_e32 v1, vcc, s16, v1
	v_addc_co_u32_e32 v2, vcc, 0, v2, vcc
	v_add_co_u32_e32 v3, vcc, s17, v3
	v_lshlrev_b64 v[11:12], 2, v[1:2]
	v_addc_co_u32_e32 v4, vcc, 0, v4, vcc
	v_cmp_le_i64_e32 vcc, s[10:11], v[11:12]
	s_or_b64 s[14:15], vcc, s[14:15]
	s_waitcnt vmcnt(0)
	v_floor_f16_e32 v11, v7
	v_floor_f16_sdwa v7, v7 dst_sel:DWORD dst_unused:UNUSED_PAD src0_sel:WORD_1
	v_floor_f16_e32 v12, v8
	v_floor_f16_sdwa v8, v8 dst_sel:DWORD dst_unused:UNUSED_PAD src0_sel:WORD_1
	v_pack_b32_f16 v8, v12, v8
	v_pack_b32_f16 v7, v11, v7
	global_store_dwordx2 v[9:10], v[7:8], off
	s_andn2_b64 exec, exec, s[14:15]
	s_cbranch_execnz .LBB26_3
.LBB26_4:
	s_or_b64 exec, exec, s[12:13]
	s_mov_b64 s[10:11], 0
.LBB26_5:
	s_andn2_b64 vcc, exec, s[10:11]
	s_cbranch_vccnz .LBB26_25
; %bb.6:
	v_cmp_lt_i64_e64 s[10:11], s[6:7], 1
	s_and_b64 vcc, exec, s[10:11]
	s_cbranch_vccnz .LBB26_25
; %bb.7:
	v_mov_b32_e32 v1, 0x10000
	s_load_dword s12, s[4:5], 0xc5c
	v_mov_b32_e32 v2, 0
	v_cmp_lt_i64_e32 vcc, s[6:7], v[1:2]
	v_mov_b32_e32 v10, 0
	s_and_b64 s[4:5], vcc, exec
	v_cmp_lt_u64_e32 vcc, s[6:7], v[1:2]
	s_cselect_b32 s11, s7, 0
	s_cselect_b32 s10, s6, 0x10000
	s_waitcnt lgkmcnt(0)
	s_and_b32 s14, s12, 0xffff
	v_lshlrev_b32_e32 v9, 1, v0
	s_and_b64 s[4:5], vcc, exec
	v_mov_b32_e32 v2, s3
	v_add_co_u32_e32 v1, vcc, s2, v9
	v_mad_u64_u32 v[7:8], s[4:5], s14, 6, v[9:10]
	v_addc_co_u32_e32 v2, vcc, 0, v2, vcc
	v_mov_b32_e32 v4, s1
	v_add_co_u32_e32 v3, vcc, s0, v9
	v_addc_co_u32_e32 v4, vcc, 0, v4, vcc
	v_mov_b32_e32 v6, s3
	v_add_co_u32_e32 v5, vcc, s2, v7
	;; [unrolled: 3-line block ×3, first 2 shown]
	s_cselect_b32 s13, s7, 0
	s_cselect_b32 s12, s6, 0x10000
	s_lshl_b32 s18, s14, 2
	v_addc_co_u32_e32 v8, vcc, v10, v8, vcc
	v_add_co_u32_e32 v11, vcc, s18, v9
	v_addc_co_u32_e64 v12, s[4:5], 0, 0, vcc
	v_mov_b32_e32 v10, s3
	v_add_co_u32_e32 v9, vcc, s2, v11
	v_addc_co_u32_e32 v10, vcc, v10, v12, vcc
	v_mov_b32_e32 v13, s1
	v_add_co_u32_e32 v11, vcc, s0, v11
	v_addc_co_u32_e32 v12, vcc, v13, v12, vcc
	v_add_co_u32_e32 v13, vcc, s14, v0
	v_lshlrev_b32_e32 v17, 1, v13
	v_addc_co_u32_e64 v14, s[4:5], 0, 0, vcc
	v_mov_b32_e32 v16, s3
	v_add_co_u32_e32 v15, vcc, s2, v17
	v_addc_co_u32_e32 v16, vcc, 0, v16, vcc
	v_mov_b32_e32 v18, s1
	v_add_co_u32_e32 v17, vcc, s0, v17
	s_mul_i32 s7, s14, 3
	v_addc_co_u32_e32 v18, vcc, 0, v18, vcc
	s_lshl_b32 s6, s14, 1
	v_add_co_u32_e32 v19, vcc, s7, v0
	v_addc_co_u32_e64 v20, s[0:1], 0, 0, vcc
	v_add_co_u32_e32 v21, vcc, s6, v0
	s_lshl_b32 s19, s14, 3
	s_mov_b64 s[14:15], 0
	v_addc_co_u32_e64 v22, s[0:1], 0, 0, vcc
	s_branch .LBB26_9
.LBB26_8:                               ;   in Loop: Header=BB26_9 Depth=1
	s_or_b64 exec, exec, s[0:1]
	v_add_co_u32_e32 v1, vcc, s19, v1
	v_addc_co_u32_e32 v2, vcc, 0, v2, vcc
	v_add_co_u32_e32 v3, vcc, s19, v3
	v_addc_co_u32_e32 v4, vcc, 0, v4, vcc
	;; [unrolled: 2-line block ×6, first 2 shown]
	s_add_u32 s14, s14, s18
	v_add_co_u32_e32 v15, vcc, s19, v15
	v_mov_b32_e32 v24, s11
	s_addc_u32 s15, s15, 0
	v_addc_co_u32_e32 v16, vcc, 0, v16, vcc
	v_mov_b32_e32 v23, s10
	v_cmp_ge_i64_e32 vcc, s[14:15], v[23:24]
	v_add_co_u32_e64 v17, s[0:1], s19, v17
	v_addc_co_u32_e64 v18, s[0:1], 0, v18, s[0:1]
	s_cbranch_vccnz .LBB26_25
.LBB26_9:                               ; =>This Inner Loop Header: Depth=1
	v_mov_b32_e32 v24, s15
	v_add_co_u32_e32 v23, vcc, s14, v0
	v_addc_co_u32_e32 v24, vcc, 0, v24, vcc
	v_cmp_gt_u64_e32 vcc, s[12:13], v[23:24]
	v_mov_b32_e32 v24, 0
	s_and_saveexec_b64 s[2:3], vcc
	s_cbranch_execz .LBB26_11
; %bb.10:                               ;   in Loop: Header=BB26_9 Depth=1
	v_mov_b32_e32 v24, s9
	v_add_co_u32_e64 v23, s[0:1], s8, v1
	v_addc_co_u32_e64 v24, s[0:1], v2, v24, s[0:1]
	global_load_ushort v23, v[23:24], off
	s_waitcnt vmcnt(0)
	v_floor_f16_e32 v24, v23
.LBB26_11:                              ;   in Loop: Header=BB26_9 Depth=1
	s_or_b64 exec, exec, s[2:3]
	v_mov_b32_e32 v23, s15
	v_add_co_u32_e64 v25, s[0:1], s14, v13
	v_addc_co_u32_e64 v26, s[0:1], v14, v23, s[0:1]
	v_cmp_gt_u64_e64 s[0:1], s[12:13], v[25:26]
	v_mov_b32_e32 v23, 0
	v_mov_b32_e32 v25, 0
	s_and_saveexec_b64 s[4:5], s[0:1]
	s_cbranch_execz .LBB26_13
; %bb.12:                               ;   in Loop: Header=BB26_9 Depth=1
	v_mov_b32_e32 v26, s9
	v_add_co_u32_e64 v25, s[2:3], s8, v15
	v_addc_co_u32_e64 v26, s[2:3], v16, v26, s[2:3]
	global_load_ushort v25, v[25:26], off
	s_waitcnt vmcnt(0)
	v_floor_f16_e32 v25, v25
.LBB26_13:                              ;   in Loop: Header=BB26_9 Depth=1
	s_or_b64 exec, exec, s[4:5]
	v_mov_b32_e32 v27, s15
	v_add_co_u32_e64 v26, s[2:3], s14, v21
	v_addc_co_u32_e64 v27, s[2:3], v22, v27, s[2:3]
	v_cmp_gt_u64_e64 s[2:3], s[12:13], v[26:27]
	s_and_saveexec_b64 s[6:7], s[2:3]
	s_cbranch_execz .LBB26_15
; %bb.14:                               ;   in Loop: Header=BB26_9 Depth=1
	v_mov_b32_e32 v23, s9
	v_add_co_u32_e64 v26, s[4:5], s8, v9
	v_addc_co_u32_e64 v27, s[4:5], v10, v23, s[4:5]
	global_load_ushort v23, v[26:27], off
	s_waitcnt vmcnt(0)
	v_floor_f16_e32 v23, v23
.LBB26_15:                              ;   in Loop: Header=BB26_9 Depth=1
	s_or_b64 exec, exec, s[6:7]
	v_mov_b32_e32 v27, s15
	v_add_co_u32_e64 v26, s[4:5], s14, v19
	v_addc_co_u32_e64 v27, s[4:5], v20, v27, s[4:5]
	v_cmp_gt_u64_e64 s[4:5], s[12:13], v[26:27]
	v_mov_b32_e32 v26, 0
	s_and_saveexec_b64 s[16:17], s[4:5]
	s_cbranch_execnz .LBB26_20
; %bb.16:                               ;   in Loop: Header=BB26_9 Depth=1
	s_or_b64 exec, exec, s[16:17]
	s_and_saveexec_b64 s[6:7], vcc
	s_cbranch_execnz .LBB26_21
.LBB26_17:                              ;   in Loop: Header=BB26_9 Depth=1
	s_or_b64 exec, exec, s[6:7]
	s_and_saveexec_b64 s[6:7], s[0:1]
	s_cbranch_execnz .LBB26_22
.LBB26_18:                              ;   in Loop: Header=BB26_9 Depth=1
	s_or_b64 exec, exec, s[6:7]
	s_and_saveexec_b64 s[0:1], s[2:3]
	s_cbranch_execnz .LBB26_23
.LBB26_19:                              ;   in Loop: Header=BB26_9 Depth=1
	s_or_b64 exec, exec, s[0:1]
	s_and_saveexec_b64 s[0:1], s[4:5]
	s_cbranch_execz .LBB26_8
	s_branch .LBB26_24
.LBB26_20:                              ;   in Loop: Header=BB26_9 Depth=1
	v_mov_b32_e32 v27, s9
	v_add_co_u32_e64 v26, s[6:7], s8, v5
	v_addc_co_u32_e64 v27, s[6:7], v6, v27, s[6:7]
	global_load_ushort v26, v[26:27], off
	s_waitcnt vmcnt(0)
	v_floor_f16_e32 v26, v26
	s_or_b64 exec, exec, s[16:17]
	s_and_saveexec_b64 s[6:7], vcc
	s_cbranch_execz .LBB26_17
.LBB26_21:                              ;   in Loop: Header=BB26_9 Depth=1
	v_mov_b32_e32 v28, s9
	v_add_co_u32_e32 v27, vcc, s8, v3
	v_addc_co_u32_e32 v28, vcc, v4, v28, vcc
	global_store_short v[27:28], v24, off
	s_or_b64 exec, exec, s[6:7]
	s_and_saveexec_b64 s[6:7], s[0:1]
	s_cbranch_execz .LBB26_18
.LBB26_22:                              ;   in Loop: Header=BB26_9 Depth=1
	v_mov_b32_e32 v24, s9
	v_add_co_u32_e32 v27, vcc, s8, v17
	v_addc_co_u32_e32 v28, vcc, v18, v24, vcc
	global_store_short v[27:28], v25, off
	s_or_b64 exec, exec, s[6:7]
	s_and_saveexec_b64 s[0:1], s[2:3]
	s_cbranch_execz .LBB26_19
.LBB26_23:                              ;   in Loop: Header=BB26_9 Depth=1
	v_mov_b32_e32 v25, s9
	v_add_co_u32_e32 v24, vcc, s8, v11
	v_addc_co_u32_e32 v25, vcc, v12, v25, vcc
	global_store_short v[24:25], v23, off
	s_or_b64 exec, exec, s[0:1]
	s_and_saveexec_b64 s[0:1], s[4:5]
	s_cbranch_execz .LBB26_8
.LBB26_24:                              ;   in Loop: Header=BB26_9 Depth=1
	v_mov_b32_e32 v24, s9
	v_add_co_u32_e32 v23, vcc, s8, v7
	v_addc_co_u32_e32 v24, vcc, v8, v24, vcc
	global_store_short v[23:24], v26, off
	s_branch .LBB26_8
.LBB26_25:
	s_endpgm
	.section	.rodata,"a",@progbits
	.p2align	6, 0x0
	.amdhsa_kernel _ZN2at6native12_GLOBAL__N_125multi_tensor_apply_kernelINS1_18TensorListMetadataILi2EEENS1_14UnaryOpFunctorIN3c104HalfELi2ELi1ELi1EEEJNS0_5FloorIfEEEEEvT_T0_DpT1_
		.amdhsa_group_segment_fixed_size 0
		.amdhsa_private_segment_fixed_size 0
		.amdhsa_kernarg_size 3408
		.amdhsa_user_sgpr_count 6
		.amdhsa_user_sgpr_private_segment_buffer 1
		.amdhsa_user_sgpr_dispatch_ptr 0
		.amdhsa_user_sgpr_queue_ptr 0
		.amdhsa_user_sgpr_kernarg_segment_ptr 1
		.amdhsa_user_sgpr_dispatch_id 0
		.amdhsa_user_sgpr_flat_scratch_init 0
		.amdhsa_user_sgpr_private_segment_size 0
		.amdhsa_uses_dynamic_stack 0
		.amdhsa_system_sgpr_private_segment_wavefront_offset 0
		.amdhsa_system_sgpr_workgroup_id_x 1
		.amdhsa_system_sgpr_workgroup_id_y 0
		.amdhsa_system_sgpr_workgroup_id_z 0
		.amdhsa_system_sgpr_workgroup_info 0
		.amdhsa_system_vgpr_workitem_id 0
		.amdhsa_next_free_vgpr 29
		.amdhsa_next_free_sgpr 20
		.amdhsa_reserve_vcc 1
		.amdhsa_reserve_flat_scratch 0
		.amdhsa_float_round_mode_32 0
		.amdhsa_float_round_mode_16_64 0
		.amdhsa_float_denorm_mode_32 3
		.amdhsa_float_denorm_mode_16_64 3
		.amdhsa_dx10_clamp 1
		.amdhsa_ieee_mode 1
		.amdhsa_fp16_overflow 0
		.amdhsa_exception_fp_ieee_invalid_op 0
		.amdhsa_exception_fp_denorm_src 0
		.amdhsa_exception_fp_ieee_div_zero 0
		.amdhsa_exception_fp_ieee_overflow 0
		.amdhsa_exception_fp_ieee_underflow 0
		.amdhsa_exception_fp_ieee_inexact 0
		.amdhsa_exception_int_div_zero 0
	.end_amdhsa_kernel
	.section	.text._ZN2at6native12_GLOBAL__N_125multi_tensor_apply_kernelINS1_18TensorListMetadataILi2EEENS1_14UnaryOpFunctorIN3c104HalfELi2ELi1ELi1EEEJNS0_5FloorIfEEEEEvT_T0_DpT1_,"axG",@progbits,_ZN2at6native12_GLOBAL__N_125multi_tensor_apply_kernelINS1_18TensorListMetadataILi2EEENS1_14UnaryOpFunctorIN3c104HalfELi2ELi1ELi1EEEJNS0_5FloorIfEEEEEvT_T0_DpT1_,comdat
.Lfunc_end26:
	.size	_ZN2at6native12_GLOBAL__N_125multi_tensor_apply_kernelINS1_18TensorListMetadataILi2EEENS1_14UnaryOpFunctorIN3c104HalfELi2ELi1ELi1EEEJNS0_5FloorIfEEEEEvT_T0_DpT1_, .Lfunc_end26-_ZN2at6native12_GLOBAL__N_125multi_tensor_apply_kernelINS1_18TensorListMetadataILi2EEENS1_14UnaryOpFunctorIN3c104HalfELi2ELi1ELi1EEEJNS0_5FloorIfEEEEEvT_T0_DpT1_
                                        ; -- End function
	.set _ZN2at6native12_GLOBAL__N_125multi_tensor_apply_kernelINS1_18TensorListMetadataILi2EEENS1_14UnaryOpFunctorIN3c104HalfELi2ELi1ELi1EEEJNS0_5FloorIfEEEEEvT_T0_DpT1_.num_vgpr, 29
	.set _ZN2at6native12_GLOBAL__N_125multi_tensor_apply_kernelINS1_18TensorListMetadataILi2EEENS1_14UnaryOpFunctorIN3c104HalfELi2ELi1ELi1EEEJNS0_5FloorIfEEEEEvT_T0_DpT1_.num_agpr, 0
	.set _ZN2at6native12_GLOBAL__N_125multi_tensor_apply_kernelINS1_18TensorListMetadataILi2EEENS1_14UnaryOpFunctorIN3c104HalfELi2ELi1ELi1EEEJNS0_5FloorIfEEEEEvT_T0_DpT1_.numbered_sgpr, 20
	.set _ZN2at6native12_GLOBAL__N_125multi_tensor_apply_kernelINS1_18TensorListMetadataILi2EEENS1_14UnaryOpFunctorIN3c104HalfELi2ELi1ELi1EEEJNS0_5FloorIfEEEEEvT_T0_DpT1_.num_named_barrier, 0
	.set _ZN2at6native12_GLOBAL__N_125multi_tensor_apply_kernelINS1_18TensorListMetadataILi2EEENS1_14UnaryOpFunctorIN3c104HalfELi2ELi1ELi1EEEJNS0_5FloorIfEEEEEvT_T0_DpT1_.private_seg_size, 0
	.set _ZN2at6native12_GLOBAL__N_125multi_tensor_apply_kernelINS1_18TensorListMetadataILi2EEENS1_14UnaryOpFunctorIN3c104HalfELi2ELi1ELi1EEEJNS0_5FloorIfEEEEEvT_T0_DpT1_.uses_vcc, 1
	.set _ZN2at6native12_GLOBAL__N_125multi_tensor_apply_kernelINS1_18TensorListMetadataILi2EEENS1_14UnaryOpFunctorIN3c104HalfELi2ELi1ELi1EEEJNS0_5FloorIfEEEEEvT_T0_DpT1_.uses_flat_scratch, 0
	.set _ZN2at6native12_GLOBAL__N_125multi_tensor_apply_kernelINS1_18TensorListMetadataILi2EEENS1_14UnaryOpFunctorIN3c104HalfELi2ELi1ELi1EEEJNS0_5FloorIfEEEEEvT_T0_DpT1_.has_dyn_sized_stack, 0
	.set _ZN2at6native12_GLOBAL__N_125multi_tensor_apply_kernelINS1_18TensorListMetadataILi2EEENS1_14UnaryOpFunctorIN3c104HalfELi2ELi1ELi1EEEJNS0_5FloorIfEEEEEvT_T0_DpT1_.has_recursion, 0
	.set _ZN2at6native12_GLOBAL__N_125multi_tensor_apply_kernelINS1_18TensorListMetadataILi2EEENS1_14UnaryOpFunctorIN3c104HalfELi2ELi1ELi1EEEJNS0_5FloorIfEEEEEvT_T0_DpT1_.has_indirect_call, 0
	.section	.AMDGPU.csdata,"",@progbits
; Kernel info:
; codeLenInByte = 1268
; TotalNumSgprs: 24
; NumVgprs: 29
; ScratchSize: 0
; MemoryBound: 0
; FloatMode: 240
; IeeeMode: 1
; LDSByteSize: 0 bytes/workgroup (compile time only)
; SGPRBlocks: 2
; VGPRBlocks: 7
; NumSGPRsForWavesPerEU: 24
; NumVGPRsForWavesPerEU: 29
; Occupancy: 8
; WaveLimiterHint : 0
; COMPUTE_PGM_RSRC2:SCRATCH_EN: 0
; COMPUTE_PGM_RSRC2:USER_SGPR: 6
; COMPUTE_PGM_RSRC2:TRAP_HANDLER: 0
; COMPUTE_PGM_RSRC2:TGID_X_EN: 1
; COMPUTE_PGM_RSRC2:TGID_Y_EN: 0
; COMPUTE_PGM_RSRC2:TGID_Z_EN: 0
; COMPUTE_PGM_RSRC2:TIDIG_COMP_CNT: 0
	.section	.text._ZN2at6native12_GLOBAL__N_125multi_tensor_apply_kernelINS1_18TensorListMetadataILi2EEENS1_14UnaryOpFunctorIN3c108BFloat16ELi2ELi1ELi1EEEJNS0_5FloorIfEEEEEvT_T0_DpT1_,"axG",@progbits,_ZN2at6native12_GLOBAL__N_125multi_tensor_apply_kernelINS1_18TensorListMetadataILi2EEENS1_14UnaryOpFunctorIN3c108BFloat16ELi2ELi1ELi1EEEJNS0_5FloorIfEEEEEvT_T0_DpT1_,comdat
	.globl	_ZN2at6native12_GLOBAL__N_125multi_tensor_apply_kernelINS1_18TensorListMetadataILi2EEENS1_14UnaryOpFunctorIN3c108BFloat16ELi2ELi1ELi1EEEJNS0_5FloorIfEEEEEvT_T0_DpT1_ ; -- Begin function _ZN2at6native12_GLOBAL__N_125multi_tensor_apply_kernelINS1_18TensorListMetadataILi2EEENS1_14UnaryOpFunctorIN3c108BFloat16ELi2ELi1ELi1EEEJNS0_5FloorIfEEEEEvT_T0_DpT1_
	.p2align	8
	.type	_ZN2at6native12_GLOBAL__N_125multi_tensor_apply_kernelINS1_18TensorListMetadataILi2EEENS1_14UnaryOpFunctorIN3c108BFloat16ELi2ELi1ELi1EEEJNS0_5FloorIfEEEEEvT_T0_DpT1_,@function
_ZN2at6native12_GLOBAL__N_125multi_tensor_apply_kernelINS1_18TensorListMetadataILi2EEENS1_14UnaryOpFunctorIN3c108BFloat16ELi2ELi1ELi1EEEJNS0_5FloorIfEEEEEvT_T0_DpT1_: ; @_ZN2at6native12_GLOBAL__N_125multi_tensor_apply_kernelINS1_18TensorListMetadataILi2EEENS1_14UnaryOpFunctorIN3c108BFloat16ELi2ELi1ELi1EEEJNS0_5FloorIfEEEEEvT_T0_DpT1_
; %bb.0:
	v_mov_b32_e32 v1, s6
	global_load_ubyte v1, v1, s[4:5] offset:1536
	s_add_u32 s0, s4, s6
	s_mul_hi_u32 s2, s6, 3
	s_mul_i32 s6, s6, 3
	s_addc_u32 s7, s5, 0
	s_add_u32 s6, s0, s6
	s_addc_u32 s7, s7, s2
	s_load_dword s10, s[6:7], 0x740
	s_mov_b32 s1, 0
	s_mov_b32 s3, s1
	s_waitcnt lgkmcnt(0)
	s_ashr_i32 s11, s10, 31
	s_lshl_b64 s[8:9], s[10:11], 17
	s_lshl_b64 s[10:11], s[10:11], 16
	s_waitcnt vmcnt(0)
	v_readfirstlane_b32 s0, v1
	s_lshl_b32 s0, s0, 3
	s_load_dwordx2 s[16:17], s[4:5], s0 offset:0x400
	s_load_dwordx2 s[14:15], s[4:5], s0 offset:0x0
	;; [unrolled: 1-line block ×3, first 2 shown]
	s_waitcnt lgkmcnt(0)
	s_add_u32 s0, s14, s8
	s_and_b32 s2, s6, 7
	s_and_b32 s0, s0, 7
	s_sub_u32 s12, s16, s10
	s_subb_u32 s13, s17, s11
	s_and_b32 s10, s16, 3
	s_mov_b32 s11, s1
	s_or_b64 s[2:3], s[2:3], s[10:11]
	s_or_b64 s[0:1], s[2:3], s[0:1]
	s_cmp_eq_u64 s[0:1], 0
	s_mov_b64 s[0:1], -1
	s_cbranch_scc0 .LBB27_5
; %bb.1:
	v_mov_b32_e32 v1, 0x10000
	v_mov_b32_e32 v2, 0
	v_cmp_lt_i64_e32 vcc, s[12:13], v[1:2]
	v_mov_b32_e32 v2, 0
	s_and_b64 s[0:1], vcc, exec
	s_cselect_b32 s11, s13, 0
	s_cselect_b32 s10, s12, 0x10000
	v_lshlrev_b32_e32 v1, 2, v0
	v_cmp_gt_i64_e32 vcc, s[10:11], v[1:2]
	s_and_saveexec_b64 s[16:17], vcc
	s_cbranch_execz .LBB27_4
; %bb.2:
	s_load_dword s0, s[4:5], 0xc5c
	v_mov_b32_e32 v1, v2
	v_lshlrev_b32_e32 v2, 3, v0
	v_mov_b32_e32 v4, s9
	v_add_co_u32_e32 v3, vcc, s8, v2
	s_waitcnt lgkmcnt(0)
	s_and_b32 s20, s0, 0xffff
	v_mov_b32_e32 v2, v1
	v_addc_co_u32_e32 v4, vcc, 0, v4, vcc
	s_lshl_b32 s21, s20, 3
	s_mov_b64 s[18:19], 0
	v_mov_b32_e32 v5, s15
	s_movk_i32 s22, 0x7fff
	v_mov_b32_e32 v6, s7
	v_mov_b32_e32 v7, 0x7fc00000
	v_mov_b32_e32 v8, 0x7fc0
	v_mov_b32_e32 v1, v0
.LBB27_3:                               ; =>This Inner Loop Header: Depth=1
	v_add_co_u32_e32 v9, vcc, s14, v3
	v_addc_co_u32_e32 v10, vcc, v5, v4, vcc
	global_load_dwordx2 v[9:10], v[9:10], off
	v_add_co_u32_e32 v11, vcc, s6, v3
	v_addc_co_u32_e32 v12, vcc, v6, v4, vcc
	v_add_co_u32_e32 v1, vcc, s20, v1
	v_addc_co_u32_e32 v2, vcc, 0, v2, vcc
	v_add_co_u32_e32 v3, vcc, s21, v3
	v_lshlrev_b64 v[13:14], 2, v[1:2]
	v_addc_co_u32_e32 v4, vcc, 0, v4, vcc
	v_cmp_le_i64_e32 vcc, s[10:11], v[13:14]
	s_or_b64 s[18:19], vcc, s[18:19]
	s_waitcnt vmcnt(0)
	v_and_b32_e32 v13, 0xffff0000, v9
	v_lshlrev_b32_e32 v14, 16, v9
	v_alignbit_b32 v9, v10, v9, 16
	v_and_b32_e32 v10, 0xffff0000, v10
	v_floor_f32_e32 v14, v14
	v_floor_f32_e32 v13, v13
	v_and_b32_e32 v9, 0xffff0000, v9
	v_floor_f32_e32 v10, v10
	v_bfe_u32 v15, v14, 16, 1
	v_bfe_u32 v16, v13, 16, 1
	v_floor_f32_e32 v9, v9
	v_bfe_u32 v17, v10, 16, 1
	v_add3_u32 v15, v14, v15, s22
	v_add3_u32 v16, v13, v16, s22
	v_bfe_u32 v18, v9, 16, 1
	v_add3_u32 v17, v10, v17, s22
	v_lshrrev_b32_e32 v15, 16, v15
	v_and_b32_e32 v16, 0xffff0000, v16
	v_add3_u32 v18, v9, v18, s22
	v_and_b32_e32 v17, 0xffff0000, v17
	v_cmp_o_f32_e32 vcc, v10, v10
	v_cmp_o_f32_e64 s[0:1], v13, v13
	v_cmp_o_f32_e64 s[2:3], v14, v14
	v_lshrrev_b32_e32 v10, 16, v18
	v_cndmask_b32_e32 v13, v7, v17, vcc
	v_cndmask_b32_e64 v14, v7, v16, s[0:1]
	v_cndmask_b32_e64 v15, v8, v15, s[2:3]
	v_cmp_o_f32_e32 vcc, v9, v9
	v_cndmask_b32_e32 v9, v8, v10, vcc
	v_or_b32_e32 v14, v15, v14
	v_or3_b32 v10, 0, v9, v13
	v_or3_b32 v9, v14, 0, 0
	global_store_dwordx2 v[11:12], v[9:10], off
	s_andn2_b64 exec, exec, s[18:19]
	s_cbranch_execnz .LBB27_3
.LBB27_4:
	s_or_b64 exec, exec, s[16:17]
	s_mov_b64 s[0:1], 0
.LBB27_5:
	s_andn2_b64 vcc, exec, s[0:1]
	s_cbranch_vccnz .LBB27_25
; %bb.6:
	v_cmp_lt_i64_e64 s[0:1], s[12:13], 1
	s_and_b64 vcc, exec, s[0:1]
	s_cbranch_vccnz .LBB27_25
; %bb.7:
	v_mov_b32_e32 v1, 0x10000
	s_load_dword s2, s[4:5], 0xc5c
	v_mov_b32_e32 v2, 0
	v_cmp_lt_i64_e32 vcc, s[12:13], v[1:2]
	v_mov_b32_e32 v10, 0
	s_and_b64 s[0:1], vcc, exec
	v_cmp_lt_u64_e32 vcc, s[12:13], v[1:2]
	s_cselect_b32 s11, s13, 0
	s_cselect_b32 s10, s12, 0x10000
	s_waitcnt lgkmcnt(0)
	s_and_b32 s2, s2, 0xffff
	v_lshlrev_b32_e32 v9, 1, v0
	s_and_b64 s[0:1], vcc, exec
	v_mov_b32_e32 v2, s15
	v_add_co_u32_e32 v1, vcc, s14, v9
	v_mad_u64_u32 v[7:8], s[0:1], s2, 6, v[9:10]
	v_addc_co_u32_e32 v2, vcc, 0, v2, vcc
	v_mov_b32_e32 v4, s7
	v_add_co_u32_e32 v3, vcc, s6, v9
	v_addc_co_u32_e32 v4, vcc, 0, v4, vcc
	v_mov_b32_e32 v6, s15
	v_add_co_u32_e32 v5, vcc, s14, v7
	;; [unrolled: 3-line block ×3, first 2 shown]
	s_cselect_b32 s13, s13, 0
	s_cselect_b32 s12, s12, 0x10000
	s_lshl_b32 s18, s2, 2
	v_addc_co_u32_e32 v8, vcc, v10, v8, vcc
	v_add_co_u32_e32 v11, vcc, s18, v9
	v_addc_co_u32_e64 v12, s[0:1], 0, 0, vcc
	v_mov_b32_e32 v10, s15
	v_add_co_u32_e32 v9, vcc, s14, v11
	v_addc_co_u32_e32 v10, vcc, v10, v12, vcc
	v_mov_b32_e32 v13, s7
	v_add_co_u32_e32 v11, vcc, s6, v11
	v_addc_co_u32_e32 v12, vcc, v13, v12, vcc
	v_add_co_u32_e32 v13, vcc, s2, v0
	v_lshlrev_b32_e32 v17, 1, v13
	v_addc_co_u32_e64 v14, s[0:1], 0, 0, vcc
	v_mov_b32_e32 v16, s15
	v_add_co_u32_e32 v15, vcc, s14, v17
	v_addc_co_u32_e32 v16, vcc, 0, v16, vcc
	v_mov_b32_e32 v18, s7
	v_add_co_u32_e32 v17, vcc, s6, v17
	s_mul_i32 s4, s2, 3
	v_addc_co_u32_e32 v18, vcc, 0, v18, vcc
	s_lshl_b32 s3, s2, 1
	v_add_co_u32_e32 v19, vcc, s4, v0
	v_addc_co_u32_e64 v20, s[0:1], 0, 0, vcc
	v_add_co_u32_e32 v21, vcc, s3, v0
	s_lshl_b32 s19, s2, 3
	s_mov_b64 s[14:15], 0
	s_movk_i32 s20, 0x7fff
	v_addc_co_u32_e64 v22, s[0:1], 0, 0, vcc
	v_mov_b32_e32 v23, 0x7fc0
	s_branch .LBB27_9
.LBB27_8:                               ;   in Loop: Header=BB27_9 Depth=1
	s_or_b64 exec, exec, s[0:1]
	v_add_co_u32_e32 v1, vcc, s19, v1
	v_addc_co_u32_e32 v2, vcc, 0, v2, vcc
	v_add_co_u32_e32 v3, vcc, s19, v3
	v_addc_co_u32_e32 v4, vcc, 0, v4, vcc
	;; [unrolled: 2-line block ×6, first 2 shown]
	s_add_u32 s14, s14, s18
	v_add_co_u32_e32 v15, vcc, s19, v15
	v_mov_b32_e32 v25, s11
	s_addc_u32 s15, s15, 0
	v_addc_co_u32_e32 v16, vcc, 0, v16, vcc
	v_mov_b32_e32 v24, s10
	v_cmp_ge_i64_e32 vcc, s[14:15], v[24:25]
	v_add_co_u32_e64 v17, s[0:1], s19, v17
	v_addc_co_u32_e64 v18, s[0:1], 0, v18, s[0:1]
	s_cbranch_vccnz .LBB27_25
.LBB27_9:                               ; =>This Inner Loop Header: Depth=1
	v_mov_b32_e32 v25, s15
	v_add_co_u32_e32 v24, vcc, s14, v0
	v_addc_co_u32_e32 v25, vcc, 0, v25, vcc
	v_cmp_gt_u64_e32 vcc, s[12:13], v[24:25]
	v_mov_b32_e32 v25, 0
	s_and_saveexec_b64 s[2:3], vcc
	s_cbranch_execz .LBB27_11
; %bb.10:                               ;   in Loop: Header=BB27_9 Depth=1
	v_mov_b32_e32 v25, s9
	v_add_co_u32_e64 v24, s[0:1], s8, v1
	v_addc_co_u32_e64 v25, s[0:1], v2, v25, s[0:1]
	global_load_ushort v24, v[24:25], off
	s_waitcnt vmcnt(0)
	v_lshlrev_b32_e32 v24, 16, v24
	v_floor_f32_e32 v25, v24
.LBB27_11:                              ;   in Loop: Header=BB27_9 Depth=1
	s_or_b64 exec, exec, s[2:3]
	v_mov_b32_e32 v24, s15
	v_add_co_u32_e64 v26, s[0:1], s14, v13
	v_addc_co_u32_e64 v27, s[0:1], v14, v24, s[0:1]
	v_cmp_gt_u64_e64 s[0:1], s[12:13], v[26:27]
	v_mov_b32_e32 v24, 0
	v_mov_b32_e32 v26, 0
	s_and_saveexec_b64 s[4:5], s[0:1]
	s_cbranch_execz .LBB27_13
; %bb.12:                               ;   in Loop: Header=BB27_9 Depth=1
	v_mov_b32_e32 v27, s9
	v_add_co_u32_e64 v26, s[2:3], s8, v15
	v_addc_co_u32_e64 v27, s[2:3], v16, v27, s[2:3]
	global_load_ushort v26, v[26:27], off
	s_waitcnt vmcnt(0)
	v_lshlrev_b32_e32 v26, 16, v26
	v_floor_f32_e32 v26, v26
.LBB27_13:                              ;   in Loop: Header=BB27_9 Depth=1
	s_or_b64 exec, exec, s[4:5]
	v_mov_b32_e32 v28, s15
	v_add_co_u32_e64 v27, s[2:3], s14, v21
	v_addc_co_u32_e64 v28, s[2:3], v22, v28, s[2:3]
	v_cmp_gt_u64_e64 s[2:3], s[12:13], v[27:28]
	s_and_saveexec_b64 s[6:7], s[2:3]
	s_cbranch_execz .LBB27_15
; %bb.14:                               ;   in Loop: Header=BB27_9 Depth=1
	v_mov_b32_e32 v24, s9
	v_add_co_u32_e64 v27, s[4:5], s8, v9
	v_addc_co_u32_e64 v28, s[4:5], v10, v24, s[4:5]
	global_load_ushort v24, v[27:28], off
	s_waitcnt vmcnt(0)
	v_lshlrev_b32_e32 v24, 16, v24
	v_floor_f32_e32 v24, v24
.LBB27_15:                              ;   in Loop: Header=BB27_9 Depth=1
	s_or_b64 exec, exec, s[6:7]
	v_mov_b32_e32 v28, s15
	v_add_co_u32_e64 v27, s[4:5], s14, v19
	v_addc_co_u32_e64 v28, s[4:5], v20, v28, s[4:5]
	v_cmp_gt_u64_e64 s[4:5], s[12:13], v[27:28]
	v_mov_b32_e32 v27, 0
	s_and_saveexec_b64 s[16:17], s[4:5]
	s_cbranch_execnz .LBB27_20
; %bb.16:                               ;   in Loop: Header=BB27_9 Depth=1
	s_or_b64 exec, exec, s[16:17]
	s_and_saveexec_b64 s[6:7], vcc
	s_cbranch_execnz .LBB27_21
.LBB27_17:                              ;   in Loop: Header=BB27_9 Depth=1
	s_or_b64 exec, exec, s[6:7]
	s_and_saveexec_b64 s[6:7], s[0:1]
	s_cbranch_execnz .LBB27_22
.LBB27_18:                              ;   in Loop: Header=BB27_9 Depth=1
	s_or_b64 exec, exec, s[6:7]
	s_and_saveexec_b64 s[0:1], s[2:3]
	s_cbranch_execnz .LBB27_23
.LBB27_19:                              ;   in Loop: Header=BB27_9 Depth=1
	s_or_b64 exec, exec, s[0:1]
	s_and_saveexec_b64 s[0:1], s[4:5]
	s_cbranch_execz .LBB27_8
	s_branch .LBB27_24
.LBB27_20:                              ;   in Loop: Header=BB27_9 Depth=1
	v_mov_b32_e32 v28, s9
	v_add_co_u32_e64 v27, s[6:7], s8, v5
	v_addc_co_u32_e64 v28, s[6:7], v6, v28, s[6:7]
	global_load_ushort v27, v[27:28], off
	s_waitcnt vmcnt(0)
	v_lshlrev_b32_e32 v27, 16, v27
	v_floor_f32_e32 v27, v27
	s_or_b64 exec, exec, s[16:17]
	s_and_saveexec_b64 s[6:7], vcc
	s_cbranch_execz .LBB27_17
.LBB27_21:                              ;   in Loop: Header=BB27_9 Depth=1
	v_bfe_u32 v28, v25, 16, 1
	v_add3_u32 v28, v25, v28, s20
	v_cmp_o_f32_e32 vcc, v25, v25
	v_cndmask_b32_sdwa v25, v23, v28, vcc dst_sel:DWORD dst_unused:UNUSED_PAD src0_sel:DWORD src1_sel:WORD_1
	v_mov_b32_e32 v29, s9
	v_add_co_u32_e32 v28, vcc, s8, v3
	v_addc_co_u32_e32 v29, vcc, v4, v29, vcc
	global_store_short v[28:29], v25, off
	s_or_b64 exec, exec, s[6:7]
	s_and_saveexec_b64 s[6:7], s[0:1]
	s_cbranch_execz .LBB27_18
.LBB27_22:                              ;   in Loop: Header=BB27_9 Depth=1
	v_bfe_u32 v25, v26, 16, 1
	v_add3_u32 v25, v26, v25, s20
	v_cmp_o_f32_e32 vcc, v26, v26
	v_cndmask_b32_sdwa v28, v23, v25, vcc dst_sel:DWORD dst_unused:UNUSED_PAD src0_sel:DWORD src1_sel:WORD_1
	v_mov_b32_e32 v26, s9
	v_add_co_u32_e32 v25, vcc, s8, v17
	v_addc_co_u32_e32 v26, vcc, v18, v26, vcc
	global_store_short v[25:26], v28, off
	s_or_b64 exec, exec, s[6:7]
	s_and_saveexec_b64 s[0:1], s[2:3]
	s_cbranch_execz .LBB27_19
.LBB27_23:                              ;   in Loop: Header=BB27_9 Depth=1
	v_bfe_u32 v25, v24, 16, 1
	v_add3_u32 v25, v24, v25, s20
	v_cmp_o_f32_e32 vcc, v24, v24
	v_cndmask_b32_sdwa v26, v23, v25, vcc dst_sel:DWORD dst_unused:UNUSED_PAD src0_sel:DWORD src1_sel:WORD_1
	v_mov_b32_e32 v25, s9
	v_add_co_u32_e32 v24, vcc, s8, v11
	v_addc_co_u32_e32 v25, vcc, v12, v25, vcc
	global_store_short v[24:25], v26, off
	s_or_b64 exec, exec, s[0:1]
	s_and_saveexec_b64 s[0:1], s[4:5]
	s_cbranch_execz .LBB27_8
.LBB27_24:                              ;   in Loop: Header=BB27_9 Depth=1
	v_bfe_u32 v24, v27, 16, 1
	v_add3_u32 v24, v27, v24, s20
	v_cmp_o_f32_e32 vcc, v27, v27
	v_cndmask_b32_sdwa v26, v23, v24, vcc dst_sel:DWORD dst_unused:UNUSED_PAD src0_sel:DWORD src1_sel:WORD_1
	v_mov_b32_e32 v25, s9
	v_add_co_u32_e32 v24, vcc, s8, v7
	v_addc_co_u32_e32 v25, vcc, v8, v25, vcc
	global_store_short v[24:25], v26, off
	s_branch .LBB27_8
.LBB27_25:
	s_endpgm
	.section	.rodata,"a",@progbits
	.p2align	6, 0x0
	.amdhsa_kernel _ZN2at6native12_GLOBAL__N_125multi_tensor_apply_kernelINS1_18TensorListMetadataILi2EEENS1_14UnaryOpFunctorIN3c108BFloat16ELi2ELi1ELi1EEEJNS0_5FloorIfEEEEEvT_T0_DpT1_
		.amdhsa_group_segment_fixed_size 0
		.amdhsa_private_segment_fixed_size 0
		.amdhsa_kernarg_size 3408
		.amdhsa_user_sgpr_count 6
		.amdhsa_user_sgpr_private_segment_buffer 1
		.amdhsa_user_sgpr_dispatch_ptr 0
		.amdhsa_user_sgpr_queue_ptr 0
		.amdhsa_user_sgpr_kernarg_segment_ptr 1
		.amdhsa_user_sgpr_dispatch_id 0
		.amdhsa_user_sgpr_flat_scratch_init 0
		.amdhsa_user_sgpr_private_segment_size 0
		.amdhsa_uses_dynamic_stack 0
		.amdhsa_system_sgpr_private_segment_wavefront_offset 0
		.amdhsa_system_sgpr_workgroup_id_x 1
		.amdhsa_system_sgpr_workgroup_id_y 0
		.amdhsa_system_sgpr_workgroup_id_z 0
		.amdhsa_system_sgpr_workgroup_info 0
		.amdhsa_system_vgpr_workitem_id 0
		.amdhsa_next_free_vgpr 30
		.amdhsa_next_free_sgpr 23
		.amdhsa_reserve_vcc 1
		.amdhsa_reserve_flat_scratch 0
		.amdhsa_float_round_mode_32 0
		.amdhsa_float_round_mode_16_64 0
		.amdhsa_float_denorm_mode_32 3
		.amdhsa_float_denorm_mode_16_64 3
		.amdhsa_dx10_clamp 1
		.amdhsa_ieee_mode 1
		.amdhsa_fp16_overflow 0
		.amdhsa_exception_fp_ieee_invalid_op 0
		.amdhsa_exception_fp_denorm_src 0
		.amdhsa_exception_fp_ieee_div_zero 0
		.amdhsa_exception_fp_ieee_overflow 0
		.amdhsa_exception_fp_ieee_underflow 0
		.amdhsa_exception_fp_ieee_inexact 0
		.amdhsa_exception_int_div_zero 0
	.end_amdhsa_kernel
	.section	.text._ZN2at6native12_GLOBAL__N_125multi_tensor_apply_kernelINS1_18TensorListMetadataILi2EEENS1_14UnaryOpFunctorIN3c108BFloat16ELi2ELi1ELi1EEEJNS0_5FloorIfEEEEEvT_T0_DpT1_,"axG",@progbits,_ZN2at6native12_GLOBAL__N_125multi_tensor_apply_kernelINS1_18TensorListMetadataILi2EEENS1_14UnaryOpFunctorIN3c108BFloat16ELi2ELi1ELi1EEEJNS0_5FloorIfEEEEEvT_T0_DpT1_,comdat
.Lfunc_end27:
	.size	_ZN2at6native12_GLOBAL__N_125multi_tensor_apply_kernelINS1_18TensorListMetadataILi2EEENS1_14UnaryOpFunctorIN3c108BFloat16ELi2ELi1ELi1EEEJNS0_5FloorIfEEEEEvT_T0_DpT1_, .Lfunc_end27-_ZN2at6native12_GLOBAL__N_125multi_tensor_apply_kernelINS1_18TensorListMetadataILi2EEENS1_14UnaryOpFunctorIN3c108BFloat16ELi2ELi1ELi1EEEJNS0_5FloorIfEEEEEvT_T0_DpT1_
                                        ; -- End function
	.set _ZN2at6native12_GLOBAL__N_125multi_tensor_apply_kernelINS1_18TensorListMetadataILi2EEENS1_14UnaryOpFunctorIN3c108BFloat16ELi2ELi1ELi1EEEJNS0_5FloorIfEEEEEvT_T0_DpT1_.num_vgpr, 30
	.set _ZN2at6native12_GLOBAL__N_125multi_tensor_apply_kernelINS1_18TensorListMetadataILi2EEENS1_14UnaryOpFunctorIN3c108BFloat16ELi2ELi1ELi1EEEJNS0_5FloorIfEEEEEvT_T0_DpT1_.num_agpr, 0
	.set _ZN2at6native12_GLOBAL__N_125multi_tensor_apply_kernelINS1_18TensorListMetadataILi2EEENS1_14UnaryOpFunctorIN3c108BFloat16ELi2ELi1ELi1EEEJNS0_5FloorIfEEEEEvT_T0_DpT1_.numbered_sgpr, 23
	.set _ZN2at6native12_GLOBAL__N_125multi_tensor_apply_kernelINS1_18TensorListMetadataILi2EEENS1_14UnaryOpFunctorIN3c108BFloat16ELi2ELi1ELi1EEEJNS0_5FloorIfEEEEEvT_T0_DpT1_.num_named_barrier, 0
	.set _ZN2at6native12_GLOBAL__N_125multi_tensor_apply_kernelINS1_18TensorListMetadataILi2EEENS1_14UnaryOpFunctorIN3c108BFloat16ELi2ELi1ELi1EEEJNS0_5FloorIfEEEEEvT_T0_DpT1_.private_seg_size, 0
	.set _ZN2at6native12_GLOBAL__N_125multi_tensor_apply_kernelINS1_18TensorListMetadataILi2EEENS1_14UnaryOpFunctorIN3c108BFloat16ELi2ELi1ELi1EEEJNS0_5FloorIfEEEEEvT_T0_DpT1_.uses_vcc, 1
	.set _ZN2at6native12_GLOBAL__N_125multi_tensor_apply_kernelINS1_18TensorListMetadataILi2EEENS1_14UnaryOpFunctorIN3c108BFloat16ELi2ELi1ELi1EEEJNS0_5FloorIfEEEEEvT_T0_DpT1_.uses_flat_scratch, 0
	.set _ZN2at6native12_GLOBAL__N_125multi_tensor_apply_kernelINS1_18TensorListMetadataILi2EEENS1_14UnaryOpFunctorIN3c108BFloat16ELi2ELi1ELi1EEEJNS0_5FloorIfEEEEEvT_T0_DpT1_.has_dyn_sized_stack, 0
	.set _ZN2at6native12_GLOBAL__N_125multi_tensor_apply_kernelINS1_18TensorListMetadataILi2EEENS1_14UnaryOpFunctorIN3c108BFloat16ELi2ELi1ELi1EEEJNS0_5FloorIfEEEEEvT_T0_DpT1_.has_recursion, 0
	.set _ZN2at6native12_GLOBAL__N_125multi_tensor_apply_kernelINS1_18TensorListMetadataILi2EEENS1_14UnaryOpFunctorIN3c108BFloat16ELi2ELi1ELi1EEEJNS0_5FloorIfEEEEEvT_T0_DpT1_.has_indirect_call, 0
	.section	.AMDGPU.csdata,"",@progbits
; Kernel info:
; codeLenInByte = 1600
; TotalNumSgprs: 27
; NumVgprs: 30
; ScratchSize: 0
; MemoryBound: 0
; FloatMode: 240
; IeeeMode: 1
; LDSByteSize: 0 bytes/workgroup (compile time only)
; SGPRBlocks: 3
; VGPRBlocks: 7
; NumSGPRsForWavesPerEU: 27
; NumVGPRsForWavesPerEU: 30
; Occupancy: 8
; WaveLimiterHint : 0
; COMPUTE_PGM_RSRC2:SCRATCH_EN: 0
; COMPUTE_PGM_RSRC2:USER_SGPR: 6
; COMPUTE_PGM_RSRC2:TRAP_HANDLER: 0
; COMPUTE_PGM_RSRC2:TGID_X_EN: 1
; COMPUTE_PGM_RSRC2:TGID_Y_EN: 0
; COMPUTE_PGM_RSRC2:TGID_Z_EN: 0
; COMPUTE_PGM_RSRC2:TIDIG_COMP_CNT: 0
	.section	.text._ZN2at6native12_GLOBAL__N_125multi_tensor_apply_kernelINS1_18TensorListMetadataILi1EEENS1_14UnaryOpFunctorIdLi1ELi1ELi0EEEJNS0_5FloorIdEEEEEvT_T0_DpT1_,"axG",@progbits,_ZN2at6native12_GLOBAL__N_125multi_tensor_apply_kernelINS1_18TensorListMetadataILi1EEENS1_14UnaryOpFunctorIdLi1ELi1ELi0EEEJNS0_5FloorIdEEEEEvT_T0_DpT1_,comdat
	.globl	_ZN2at6native12_GLOBAL__N_125multi_tensor_apply_kernelINS1_18TensorListMetadataILi1EEENS1_14UnaryOpFunctorIdLi1ELi1ELi0EEEJNS0_5FloorIdEEEEEvT_T0_DpT1_ ; -- Begin function _ZN2at6native12_GLOBAL__N_125multi_tensor_apply_kernelINS1_18TensorListMetadataILi1EEENS1_14UnaryOpFunctorIdLi1ELi1ELi0EEEJNS0_5FloorIdEEEEEvT_T0_DpT1_
	.p2align	8
	.type	_ZN2at6native12_GLOBAL__N_125multi_tensor_apply_kernelINS1_18TensorListMetadataILi1EEENS1_14UnaryOpFunctorIdLi1ELi1ELi0EEEJNS0_5FloorIdEEEEEvT_T0_DpT1_,@function
_ZN2at6native12_GLOBAL__N_125multi_tensor_apply_kernelINS1_18TensorListMetadataILi1EEENS1_14UnaryOpFunctorIdLi1ELi1ELi0EEEJNS0_5FloorIdEEEEEvT_T0_DpT1_: ; @_ZN2at6native12_GLOBAL__N_125multi_tensor_apply_kernelINS1_18TensorListMetadataILi1EEENS1_14UnaryOpFunctorIdLi1ELi1ELi0EEEJNS0_5FloorIdEEEEEvT_T0_DpT1_
; %bb.0:
	v_mov_b32_e32 v1, s6
	global_load_ubyte v1, v1, s[4:5] offset:1760
	s_add_u32 s0, s4, s6
	s_mul_hi_u32 s1, s6, 3
	s_mul_i32 s6, s6, 3
	s_addc_u32 s2, s5, 0
	s_add_u32 s0, s0, s6
	s_addc_u32 s1, s2, s1
	s_load_dword s0, s[0:1], 0x820
	s_mov_b32 s7, 0
	s_waitcnt vmcnt(0)
	v_readfirstlane_b32 s1, v1
	s_lshl_b32 s1, s1, 3
	s_load_dwordx2 s[2:3], s[4:5], s1 offset:0x370
	s_load_dwordx2 s[10:11], s[4:5], s1 offset:0x0
	s_waitcnt lgkmcnt(0)
	s_ashr_i32 s1, s0, 31
	s_lshl_b64 s[12:13], s[0:1], 19
	s_lshl_b64 s[0:1], s[0:1], 16
	s_and_b32 s6, s10, 31
	s_sub_u32 s14, s2, s0
	s_subb_u32 s15, s3, s1
	s_and_b32 s0, s2, 3
	s_mov_b32 s1, s7
	s_or_b64 s[0:1], s[6:7], s[0:1]
	s_cmp_eq_u64 s[0:1], 0
	s_cbranch_scc1 .LBB28_21
; %bb.1:
	v_cmp_lt_i64_e64 s[0:1], s[14:15], 1
	s_and_b64 vcc, exec, s[0:1]
	s_cbranch_vccnz .LBB28_20
; %bb.2:
	v_mov_b32_e32 v1, 0x10000
	s_load_dword s2, s[4:5], 0xd3c
	v_mov_b32_e32 v2, 0
	v_cmp_lt_i64_e32 vcc, s[14:15], v[1:2]
	s_mov_b64 s[20:21], 0
	s_and_b64 s[0:1], vcc, exec
	v_cmp_lt_u64_e32 vcc, s[14:15], v[1:2]
	s_cselect_b32 s17, s15, 0
	s_cselect_b32 s16, s14, 0x10000
	s_waitcnt lgkmcnt(0)
	s_and_b32 s2, s2, 0xffff
	s_and_b64 s[0:1], vcc, exec
	s_cselect_b32 s19, s15, 0
	s_cselect_b32 s18, s14, 0x10000
	s_lshl_b32 s3, s2, 1
	s_lshl_b32 s24, s2, 2
	s_add_u32 s6, s10, s12
	v_lshlrev_b32_e32 v1, 3, v0
	s_addc_u32 s7, s11, s13
	v_mov_b32_e32 v2, s7
	v_add_co_u32_e32 v1, vcc, s6, v1
	s_mul_i32 s0, s2, 3
	v_addc_co_u32_e32 v2, vcc, 0, v2, vcc
	v_add_co_u32_e32 v13, vcc, s0, v0
	v_addc_co_u32_e64 v14, s[0:1], 0, 0, vcc
	v_add_co_u32_e32 v15, vcc, s3, v0
	v_addc_co_u32_e64 v16, s[0:1], 0, 0, vcc
	v_add_co_u32_e32 v17, vcc, s2, v0
	v_lshlrev_b32_e32 v3, 3, v17
	v_addc_co_u32_e64 v18, s[0:1], 0, 0, vcc
	v_mov_b32_e32 v4, s7
	v_add_co_u32_e32 v3, vcc, s6, v3
	s_lshl_b32 s25, s2, 5
	s_mul_i32 s26, s2, 24
	s_lshl_b32 s27, s2, 4
	v_addc_co_u32_e32 v4, vcc, 0, v4, vcc
	s_branch .LBB28_4
.LBB28_3:                               ;   in Loop: Header=BB28_4 Depth=1
	s_or_b64 exec, exec, s[0:1]
	s_add_u32 s20, s20, s24
	v_add_co_u32_e32 v1, vcc, s25, v1
	v_mov_b32_e32 v5, s16
	s_addc_u32 s21, s21, 0
	v_addc_co_u32_e32 v2, vcc, 0, v2, vcc
	v_mov_b32_e32 v6, s17
	v_cmp_lt_i64_e32 vcc, s[20:21], v[5:6]
	v_add_co_u32_e64 v3, s[0:1], s25, v3
	v_addc_co_u32_e64 v4, s[0:1], 0, v4, s[0:1]
	s_cbranch_vccz .LBB28_20
.LBB28_4:                               ; =>This Inner Loop Header: Depth=1
	v_mov_b32_e32 v6, s21
	v_add_co_u32_e32 v5, vcc, s20, v0
	v_addc_co_u32_e32 v6, vcc, 0, v6, vcc
	v_cmp_gt_u64_e32 vcc, s[18:19], v[5:6]
	v_mov_b32_e32 v5, 0
	v_mov_b32_e32 v7, 0
	v_mov_b32_e32 v6, 0
	v_mov_b32_e32 v8, 0
	s_and_saveexec_b64 s[0:1], vcc
	s_cbranch_execz .LBB28_6
; %bb.5:                                ;   in Loop: Header=BB28_4 Depth=1
	global_load_dwordx2 v[7:8], v[1:2], off
	s_waitcnt vmcnt(0)
	v_floor_f64_e32 v[7:8], v[7:8]
.LBB28_6:                               ;   in Loop: Header=BB28_4 Depth=1
	s_or_b64 exec, exec, s[0:1]
	v_mov_b32_e32 v10, s21
	v_add_co_u32_e64 v9, s[0:1], s20, v17
	v_addc_co_u32_e64 v10, s[0:1], v18, v10, s[0:1]
	v_cmp_gt_u64_e64 s[0:1], s[18:19], v[9:10]
	s_and_saveexec_b64 s[2:3], s[0:1]
	s_cbranch_execz .LBB28_8
; %bb.7:                                ;   in Loop: Header=BB28_4 Depth=1
	global_load_dwordx2 v[5:6], v[3:4], off
	s_waitcnt vmcnt(0)
	v_floor_f64_e32 v[5:6], v[5:6]
.LBB28_8:                               ;   in Loop: Header=BB28_4 Depth=1
	s_or_b64 exec, exec, s[2:3]
	v_mov_b32_e32 v10, s21
	v_add_co_u32_e64 v9, s[2:3], s20, v15
	v_addc_co_u32_e64 v10, s[2:3], v16, v10, s[2:3]
	v_cmp_gt_u64_e64 s[2:3], s[18:19], v[9:10]
	v_mov_b32_e32 v9, 0
	v_mov_b32_e32 v11, 0
	v_mov_b32_e32 v10, 0
	v_mov_b32_e32 v12, 0
	s_and_saveexec_b64 s[8:9], s[2:3]
	s_cbranch_execz .LBB28_10
; %bb.9:                                ;   in Loop: Header=BB28_4 Depth=1
	v_add_co_u32_e64 v11, s[6:7], s27, v1
	v_addc_co_u32_e64 v12, s[6:7], 0, v2, s[6:7]
	global_load_dwordx2 v[11:12], v[11:12], off
	s_waitcnt vmcnt(0)
	v_floor_f64_e32 v[11:12], v[11:12]
.LBB28_10:                              ;   in Loop: Header=BB28_4 Depth=1
	s_or_b64 exec, exec, s[8:9]
	v_mov_b32_e32 v20, s21
	v_add_co_u32_e64 v19, s[6:7], s20, v13
	v_addc_co_u32_e64 v20, s[6:7], v14, v20, s[6:7]
	v_cmp_gt_u64_e64 s[6:7], s[18:19], v[19:20]
	s_and_saveexec_b64 s[22:23], s[6:7]
	s_cbranch_execnz .LBB28_15
; %bb.11:                               ;   in Loop: Header=BB28_4 Depth=1
	s_or_b64 exec, exec, s[22:23]
	s_and_saveexec_b64 s[8:9], vcc
	s_cbranch_execnz .LBB28_16
.LBB28_12:                              ;   in Loop: Header=BB28_4 Depth=1
	s_or_b64 exec, exec, s[8:9]
	s_and_saveexec_b64 s[8:9], s[0:1]
	s_cbranch_execnz .LBB28_17
.LBB28_13:                              ;   in Loop: Header=BB28_4 Depth=1
	s_or_b64 exec, exec, s[8:9]
	s_and_saveexec_b64 s[0:1], s[2:3]
	s_cbranch_execnz .LBB28_18
.LBB28_14:                              ;   in Loop: Header=BB28_4 Depth=1
	s_or_b64 exec, exec, s[0:1]
	s_and_saveexec_b64 s[0:1], s[6:7]
	s_cbranch_execz .LBB28_3
	s_branch .LBB28_19
.LBB28_15:                              ;   in Loop: Header=BB28_4 Depth=1
	v_add_co_u32_e64 v9, s[8:9], s26, v1
	v_addc_co_u32_e64 v10, s[8:9], 0, v2, s[8:9]
	global_load_dwordx2 v[9:10], v[9:10], off
	s_waitcnt vmcnt(0)
	v_floor_f64_e32 v[9:10], v[9:10]
	s_or_b64 exec, exec, s[22:23]
	s_and_saveexec_b64 s[8:9], vcc
	s_cbranch_execz .LBB28_12
.LBB28_16:                              ;   in Loop: Header=BB28_4 Depth=1
	global_store_dwordx2 v[1:2], v[7:8], off
	s_or_b64 exec, exec, s[8:9]
	s_and_saveexec_b64 s[8:9], s[0:1]
	s_cbranch_execz .LBB28_13
.LBB28_17:                              ;   in Loop: Header=BB28_4 Depth=1
	global_store_dwordx2 v[3:4], v[5:6], off
	s_or_b64 exec, exec, s[8:9]
	s_and_saveexec_b64 s[0:1], s[2:3]
	s_cbranch_execz .LBB28_14
.LBB28_18:                              ;   in Loop: Header=BB28_4 Depth=1
	v_add_co_u32_e32 v5, vcc, s27, v1
	v_addc_co_u32_e32 v6, vcc, 0, v2, vcc
	global_store_dwordx2 v[5:6], v[11:12], off
	s_or_b64 exec, exec, s[0:1]
	s_and_saveexec_b64 s[0:1], s[6:7]
	s_cbranch_execz .LBB28_3
.LBB28_19:                              ;   in Loop: Header=BB28_4 Depth=1
	v_add_co_u32_e32 v5, vcc, s26, v1
	v_addc_co_u32_e32 v6, vcc, 0, v2, vcc
	global_store_dwordx2 v[5:6], v[9:10], off
	s_branch .LBB28_3
.LBB28_20:
	s_cbranch_execz .LBB28_22
	s_branch .LBB28_25
.LBB28_21:
.LBB28_22:
	v_mov_b32_e32 v1, 0x10000
	v_mov_b32_e32 v2, 0
	v_cmp_lt_i64_e32 vcc, s[14:15], v[1:2]
	v_mov_b32_e32 v2, 0
	s_and_b64 s[0:1], vcc, exec
	s_cselect_b32 s1, s15, 0
	s_cselect_b32 s0, s14, 0x10000
	v_lshlrev_b32_e32 v1, 2, v0
	v_cmp_gt_i64_e32 vcc, s[0:1], v[1:2]
	s_and_saveexec_b64 s[2:3], vcc
	s_cbranch_execz .LBB28_25
; %bb.23:
	s_load_dword s2, s[4:5], 0xd3c
	v_mov_b32_e32 v1, v2
	v_lshlrev_b32_e32 v2, 5, v0
	s_waitcnt lgkmcnt(0)
	s_and_b32 s4, s2, 0xffff
	s_add_u32 s2, s10, s12
	s_addc_u32 s3, s11, s13
	v_mov_b32_e32 v3, s3
	v_add_co_u32_e32 v2, vcc, s2, v2
	v_addc_co_u32_e32 v3, vcc, 0, v3, vcc
	v_add_co_u32_e32 v2, vcc, 16, v2
	v_addc_co_u32_e32 v3, vcc, 0, v3, vcc
	s_lshl_b32 s5, s4, 5
	s_mov_b64 s[2:3], 0
.LBB28_24:                              ; =>This Inner Loop Header: Depth=1
	global_load_dwordx4 v[4:7], v[2:3], off offset:-16
	global_load_dwordx4 v[8:11], v[2:3], off
	v_add_co_u32_e32 v0, vcc, s4, v0
	v_addc_co_u32_e32 v1, vcc, 0, v1, vcc
	v_lshlrev_b64 v[12:13], 2, v[0:1]
	v_cmp_le_i64_e32 vcc, s[0:1], v[12:13]
	s_or_b64 s[2:3], vcc, s[2:3]
	s_waitcnt vmcnt(1)
	v_floor_f64_e32 v[4:5], v[4:5]
	v_floor_f64_e32 v[6:7], v[6:7]
	s_waitcnt vmcnt(0)
	v_floor_f64_e32 v[8:9], v[8:9]
	v_floor_f64_e32 v[10:11], v[10:11]
	global_store_dwordx4 v[2:3], v[4:7], off offset:-16
	global_store_dwordx4 v[2:3], v[8:11], off
	v_add_co_u32_e32 v2, vcc, s5, v2
	v_addc_co_u32_e32 v3, vcc, 0, v3, vcc
	s_andn2_b64 exec, exec, s[2:3]
	s_cbranch_execnz .LBB28_24
.LBB28_25:
	s_endpgm
	.section	.rodata,"a",@progbits
	.p2align	6, 0x0
	.amdhsa_kernel _ZN2at6native12_GLOBAL__N_125multi_tensor_apply_kernelINS1_18TensorListMetadataILi1EEENS1_14UnaryOpFunctorIdLi1ELi1ELi0EEEJNS0_5FloorIdEEEEEvT_T0_DpT1_
		.amdhsa_group_segment_fixed_size 0
		.amdhsa_private_segment_fixed_size 0
		.amdhsa_kernarg_size 3632
		.amdhsa_user_sgpr_count 6
		.amdhsa_user_sgpr_private_segment_buffer 1
		.amdhsa_user_sgpr_dispatch_ptr 0
		.amdhsa_user_sgpr_queue_ptr 0
		.amdhsa_user_sgpr_kernarg_segment_ptr 1
		.amdhsa_user_sgpr_dispatch_id 0
		.amdhsa_user_sgpr_flat_scratch_init 0
		.amdhsa_user_sgpr_private_segment_size 0
		.amdhsa_uses_dynamic_stack 0
		.amdhsa_system_sgpr_private_segment_wavefront_offset 0
		.amdhsa_system_sgpr_workgroup_id_x 1
		.amdhsa_system_sgpr_workgroup_id_y 0
		.amdhsa_system_sgpr_workgroup_id_z 0
		.amdhsa_system_sgpr_workgroup_info 0
		.amdhsa_system_vgpr_workitem_id 0
		.amdhsa_next_free_vgpr 21
		.amdhsa_next_free_sgpr 28
		.amdhsa_reserve_vcc 1
		.amdhsa_reserve_flat_scratch 0
		.amdhsa_float_round_mode_32 0
		.amdhsa_float_round_mode_16_64 0
		.amdhsa_float_denorm_mode_32 3
		.amdhsa_float_denorm_mode_16_64 3
		.amdhsa_dx10_clamp 1
		.amdhsa_ieee_mode 1
		.amdhsa_fp16_overflow 0
		.amdhsa_exception_fp_ieee_invalid_op 0
		.amdhsa_exception_fp_denorm_src 0
		.amdhsa_exception_fp_ieee_div_zero 0
		.amdhsa_exception_fp_ieee_overflow 0
		.amdhsa_exception_fp_ieee_underflow 0
		.amdhsa_exception_fp_ieee_inexact 0
		.amdhsa_exception_int_div_zero 0
	.end_amdhsa_kernel
	.section	.text._ZN2at6native12_GLOBAL__N_125multi_tensor_apply_kernelINS1_18TensorListMetadataILi1EEENS1_14UnaryOpFunctorIdLi1ELi1ELi0EEEJNS0_5FloorIdEEEEEvT_T0_DpT1_,"axG",@progbits,_ZN2at6native12_GLOBAL__N_125multi_tensor_apply_kernelINS1_18TensorListMetadataILi1EEENS1_14UnaryOpFunctorIdLi1ELi1ELi0EEEJNS0_5FloorIdEEEEEvT_T0_DpT1_,comdat
.Lfunc_end28:
	.size	_ZN2at6native12_GLOBAL__N_125multi_tensor_apply_kernelINS1_18TensorListMetadataILi1EEENS1_14UnaryOpFunctorIdLi1ELi1ELi0EEEJNS0_5FloorIdEEEEEvT_T0_DpT1_, .Lfunc_end28-_ZN2at6native12_GLOBAL__N_125multi_tensor_apply_kernelINS1_18TensorListMetadataILi1EEENS1_14UnaryOpFunctorIdLi1ELi1ELi0EEEJNS0_5FloorIdEEEEEvT_T0_DpT1_
                                        ; -- End function
	.set _ZN2at6native12_GLOBAL__N_125multi_tensor_apply_kernelINS1_18TensorListMetadataILi1EEENS1_14UnaryOpFunctorIdLi1ELi1ELi0EEEJNS0_5FloorIdEEEEEvT_T0_DpT1_.num_vgpr, 21
	.set _ZN2at6native12_GLOBAL__N_125multi_tensor_apply_kernelINS1_18TensorListMetadataILi1EEENS1_14UnaryOpFunctorIdLi1ELi1ELi0EEEJNS0_5FloorIdEEEEEvT_T0_DpT1_.num_agpr, 0
	.set _ZN2at6native12_GLOBAL__N_125multi_tensor_apply_kernelINS1_18TensorListMetadataILi1EEENS1_14UnaryOpFunctorIdLi1ELi1ELi0EEEJNS0_5FloorIdEEEEEvT_T0_DpT1_.numbered_sgpr, 28
	.set _ZN2at6native12_GLOBAL__N_125multi_tensor_apply_kernelINS1_18TensorListMetadataILi1EEENS1_14UnaryOpFunctorIdLi1ELi1ELi0EEEJNS0_5FloorIdEEEEEvT_T0_DpT1_.num_named_barrier, 0
	.set _ZN2at6native12_GLOBAL__N_125multi_tensor_apply_kernelINS1_18TensorListMetadataILi1EEENS1_14UnaryOpFunctorIdLi1ELi1ELi0EEEJNS0_5FloorIdEEEEEvT_T0_DpT1_.private_seg_size, 0
	.set _ZN2at6native12_GLOBAL__N_125multi_tensor_apply_kernelINS1_18TensorListMetadataILi1EEENS1_14UnaryOpFunctorIdLi1ELi1ELi0EEEJNS0_5FloorIdEEEEEvT_T0_DpT1_.uses_vcc, 1
	.set _ZN2at6native12_GLOBAL__N_125multi_tensor_apply_kernelINS1_18TensorListMetadataILi1EEENS1_14UnaryOpFunctorIdLi1ELi1ELi0EEEJNS0_5FloorIdEEEEEvT_T0_DpT1_.uses_flat_scratch, 0
	.set _ZN2at6native12_GLOBAL__N_125multi_tensor_apply_kernelINS1_18TensorListMetadataILi1EEENS1_14UnaryOpFunctorIdLi1ELi1ELi0EEEJNS0_5FloorIdEEEEEvT_T0_DpT1_.has_dyn_sized_stack, 0
	.set _ZN2at6native12_GLOBAL__N_125multi_tensor_apply_kernelINS1_18TensorListMetadataILi1EEENS1_14UnaryOpFunctorIdLi1ELi1ELi0EEEJNS0_5FloorIdEEEEEvT_T0_DpT1_.has_recursion, 0
	.set _ZN2at6native12_GLOBAL__N_125multi_tensor_apply_kernelINS1_18TensorListMetadataILi1EEENS1_14UnaryOpFunctorIdLi1ELi1ELi0EEEJNS0_5FloorIdEEEEEvT_T0_DpT1_.has_indirect_call, 0
	.section	.AMDGPU.csdata,"",@progbits
; Kernel info:
; codeLenInByte = 1020
; TotalNumSgprs: 32
; NumVgprs: 21
; ScratchSize: 0
; MemoryBound: 1
; FloatMode: 240
; IeeeMode: 1
; LDSByteSize: 0 bytes/workgroup (compile time only)
; SGPRBlocks: 3
; VGPRBlocks: 5
; NumSGPRsForWavesPerEU: 32
; NumVGPRsForWavesPerEU: 21
; Occupancy: 10
; WaveLimiterHint : 0
; COMPUTE_PGM_RSRC2:SCRATCH_EN: 0
; COMPUTE_PGM_RSRC2:USER_SGPR: 6
; COMPUTE_PGM_RSRC2:TRAP_HANDLER: 0
; COMPUTE_PGM_RSRC2:TGID_X_EN: 1
; COMPUTE_PGM_RSRC2:TGID_Y_EN: 0
; COMPUTE_PGM_RSRC2:TGID_Z_EN: 0
; COMPUTE_PGM_RSRC2:TIDIG_COMP_CNT: 0
	.section	.text._ZN2at6native12_GLOBAL__N_125multi_tensor_apply_kernelINS1_18TensorListMetadataILi1EEENS1_14UnaryOpFunctorIfLi1ELi1ELi0EEEJNS0_5FloorIfEEEEEvT_T0_DpT1_,"axG",@progbits,_ZN2at6native12_GLOBAL__N_125multi_tensor_apply_kernelINS1_18TensorListMetadataILi1EEENS1_14UnaryOpFunctorIfLi1ELi1ELi0EEEJNS0_5FloorIfEEEEEvT_T0_DpT1_,comdat
	.globl	_ZN2at6native12_GLOBAL__N_125multi_tensor_apply_kernelINS1_18TensorListMetadataILi1EEENS1_14UnaryOpFunctorIfLi1ELi1ELi0EEEJNS0_5FloorIfEEEEEvT_T0_DpT1_ ; -- Begin function _ZN2at6native12_GLOBAL__N_125multi_tensor_apply_kernelINS1_18TensorListMetadataILi1EEENS1_14UnaryOpFunctorIfLi1ELi1ELi0EEEJNS0_5FloorIfEEEEEvT_T0_DpT1_
	.p2align	8
	.type	_ZN2at6native12_GLOBAL__N_125multi_tensor_apply_kernelINS1_18TensorListMetadataILi1EEENS1_14UnaryOpFunctorIfLi1ELi1ELi0EEEJNS0_5FloorIfEEEEEvT_T0_DpT1_,@function
_ZN2at6native12_GLOBAL__N_125multi_tensor_apply_kernelINS1_18TensorListMetadataILi1EEENS1_14UnaryOpFunctorIfLi1ELi1ELi0EEEJNS0_5FloorIfEEEEEvT_T0_DpT1_: ; @_ZN2at6native12_GLOBAL__N_125multi_tensor_apply_kernelINS1_18TensorListMetadataILi1EEENS1_14UnaryOpFunctorIfLi1ELi1ELi0EEEJNS0_5FloorIfEEEEEvT_T0_DpT1_
; %bb.0:
	v_mov_b32_e32 v1, s6
	global_load_ubyte v1, v1, s[4:5] offset:1760
	s_add_u32 s0, s4, s6
	s_mul_hi_u32 s1, s6, 3
	s_mul_i32 s6, s6, 3
	s_addc_u32 s2, s5, 0
	s_add_u32 s0, s0, s6
	s_addc_u32 s1, s2, s1
	s_load_dword s0, s[0:1], 0x820
	s_mov_b32 s7, 0
	s_waitcnt vmcnt(0)
	v_readfirstlane_b32 s1, v1
	s_lshl_b32 s1, s1, 3
	s_load_dwordx2 s[2:3], s[4:5], s1 offset:0x370
	s_load_dwordx2 s[10:11], s[4:5], s1 offset:0x0
	s_waitcnt lgkmcnt(0)
	s_ashr_i32 s1, s0, 31
	s_lshl_b64 s[12:13], s[0:1], 18
	s_lshl_b64 s[0:1], s[0:1], 16
	s_and_b32 s6, s10, 15
	s_sub_u32 s14, s2, s0
	s_subb_u32 s15, s3, s1
	s_and_b32 s0, s2, 3
	s_mov_b32 s1, s7
	s_or_b64 s[0:1], s[6:7], s[0:1]
	s_cmp_eq_u64 s[0:1], 0
	s_cbranch_scc1 .LBB29_21
; %bb.1:
	v_cmp_lt_i64_e64 s[0:1], s[14:15], 1
	s_and_b64 vcc, exec, s[0:1]
	s_cbranch_vccnz .LBB29_20
; %bb.2:
	v_mov_b32_e32 v1, 0x10000
	s_load_dword s2, s[4:5], 0xd3c
	v_mov_b32_e32 v2, 0
	v_cmp_lt_i64_e32 vcc, s[14:15], v[1:2]
	s_mov_b64 s[20:21], 0
	s_and_b64 s[0:1], vcc, exec
	v_cmp_lt_u64_e32 vcc, s[14:15], v[1:2]
	s_cselect_b32 s17, s15, 0
	s_cselect_b32 s16, s14, 0x10000
	s_waitcnt lgkmcnt(0)
	s_and_b32 s2, s2, 0xffff
	s_and_b64 s[0:1], vcc, exec
	s_cselect_b32 s19, s15, 0
	s_cselect_b32 s18, s14, 0x10000
	s_lshl_b32 s3, s2, 1
	s_lshl_b32 s24, s2, 2
	s_add_u32 s6, s10, s12
	v_lshlrev_b32_e32 v1, 2, v0
	s_addc_u32 s7, s11, s13
	v_mov_b32_e32 v2, s7
	v_add_co_u32_e32 v1, vcc, s6, v1
	s_mul_i32 s0, s2, 3
	v_addc_co_u32_e32 v2, vcc, 0, v2, vcc
	v_add_co_u32_e32 v5, vcc, s0, v0
	v_addc_co_u32_e64 v6, s[0:1], 0, 0, vcc
	v_add_co_u32_e32 v7, vcc, s3, v0
	v_addc_co_u32_e64 v8, s[0:1], 0, 0, vcc
	v_add_co_u32_e32 v9, vcc, s2, v0
	v_lshlrev_b32_e32 v3, 2, v9
	v_addc_co_u32_e64 v10, s[0:1], 0, 0, vcc
	v_mov_b32_e32 v4, s7
	v_add_co_u32_e32 v3, vcc, s6, v3
	s_lshl_b32 s25, s2, 4
	s_mul_i32 s26, s2, 12
	s_lshl_b32 s27, s2, 3
	v_addc_co_u32_e32 v4, vcc, 0, v4, vcc
	s_branch .LBB29_4
.LBB29_3:                               ;   in Loop: Header=BB29_4 Depth=1
	s_or_b64 exec, exec, s[0:1]
	s_add_u32 s20, s20, s24
	v_add_co_u32_e32 v1, vcc, s25, v1
	v_mov_b32_e32 v11, s16
	s_addc_u32 s21, s21, 0
	v_addc_co_u32_e32 v2, vcc, 0, v2, vcc
	v_mov_b32_e32 v12, s17
	v_cmp_lt_i64_e32 vcc, s[20:21], v[11:12]
	v_add_co_u32_e64 v3, s[0:1], s25, v3
	v_addc_co_u32_e64 v4, s[0:1], 0, v4, s[0:1]
	s_cbranch_vccz .LBB29_20
.LBB29_4:                               ; =>This Inner Loop Header: Depth=1
	v_mov_b32_e32 v12, s21
	v_add_co_u32_e32 v11, vcc, s20, v0
	v_addc_co_u32_e32 v12, vcc, 0, v12, vcc
	v_cmp_gt_u64_e32 vcc, s[18:19], v[11:12]
	v_mov_b32_e32 v11, 0
	s_and_saveexec_b64 s[0:1], vcc
	s_cbranch_execz .LBB29_6
; %bb.5:                                ;   in Loop: Header=BB29_4 Depth=1
	global_load_dword v11, v[1:2], off
	s_waitcnt vmcnt(0)
	v_floor_f32_e32 v11, v11
.LBB29_6:                               ;   in Loop: Header=BB29_4 Depth=1
	s_or_b64 exec, exec, s[0:1]
	v_mov_b32_e32 v13, s21
	v_add_co_u32_e64 v12, s[0:1], s20, v9
	v_addc_co_u32_e64 v13, s[0:1], v10, v13, s[0:1]
	v_cmp_gt_u64_e64 s[0:1], s[18:19], v[12:13]
	v_mov_b32_e32 v12, 0
	v_mov_b32_e32 v13, 0
	s_and_saveexec_b64 s[2:3], s[0:1]
	s_cbranch_execz .LBB29_8
; %bb.7:                                ;   in Loop: Header=BB29_4 Depth=1
	global_load_dword v13, v[3:4], off
	s_waitcnt vmcnt(0)
	v_floor_f32_e32 v13, v13
.LBB29_8:                               ;   in Loop: Header=BB29_4 Depth=1
	s_or_b64 exec, exec, s[2:3]
	v_mov_b32_e32 v15, s21
	v_add_co_u32_e64 v14, s[2:3], s20, v7
	v_addc_co_u32_e64 v15, s[2:3], v8, v15, s[2:3]
	v_cmp_gt_u64_e64 s[2:3], s[18:19], v[14:15]
	s_and_saveexec_b64 s[8:9], s[2:3]
	s_cbranch_execz .LBB29_10
; %bb.9:                                ;   in Loop: Header=BB29_4 Depth=1
	v_add_co_u32_e64 v14, s[6:7], s27, v1
	v_addc_co_u32_e64 v15, s[6:7], 0, v2, s[6:7]
	global_load_dword v12, v[14:15], off
	s_waitcnt vmcnt(0)
	v_floor_f32_e32 v12, v12
.LBB29_10:                              ;   in Loop: Header=BB29_4 Depth=1
	s_or_b64 exec, exec, s[8:9]
	v_mov_b32_e32 v15, s21
	v_add_co_u32_e64 v14, s[6:7], s20, v5
	v_addc_co_u32_e64 v15, s[6:7], v6, v15, s[6:7]
	v_cmp_gt_u64_e64 s[6:7], s[18:19], v[14:15]
	v_mov_b32_e32 v14, 0
	s_and_saveexec_b64 s[22:23], s[6:7]
	s_cbranch_execnz .LBB29_15
; %bb.11:                               ;   in Loop: Header=BB29_4 Depth=1
	s_or_b64 exec, exec, s[22:23]
	s_and_saveexec_b64 s[8:9], vcc
	s_cbranch_execnz .LBB29_16
.LBB29_12:                              ;   in Loop: Header=BB29_4 Depth=1
	s_or_b64 exec, exec, s[8:9]
	s_and_saveexec_b64 s[8:9], s[0:1]
	s_cbranch_execnz .LBB29_17
.LBB29_13:                              ;   in Loop: Header=BB29_4 Depth=1
	s_or_b64 exec, exec, s[8:9]
	s_and_saveexec_b64 s[0:1], s[2:3]
	s_cbranch_execnz .LBB29_18
.LBB29_14:                              ;   in Loop: Header=BB29_4 Depth=1
	s_or_b64 exec, exec, s[0:1]
	s_and_saveexec_b64 s[0:1], s[6:7]
	s_cbranch_execz .LBB29_3
	s_branch .LBB29_19
.LBB29_15:                              ;   in Loop: Header=BB29_4 Depth=1
	v_add_co_u32_e64 v14, s[8:9], s26, v1
	v_addc_co_u32_e64 v15, s[8:9], 0, v2, s[8:9]
	global_load_dword v14, v[14:15], off
	s_waitcnt vmcnt(0)
	v_floor_f32_e32 v14, v14
	s_or_b64 exec, exec, s[22:23]
	s_and_saveexec_b64 s[8:9], vcc
	s_cbranch_execz .LBB29_12
.LBB29_16:                              ;   in Loop: Header=BB29_4 Depth=1
	global_store_dword v[1:2], v11, off
	s_or_b64 exec, exec, s[8:9]
	s_and_saveexec_b64 s[8:9], s[0:1]
	s_cbranch_execz .LBB29_13
.LBB29_17:                              ;   in Loop: Header=BB29_4 Depth=1
	global_store_dword v[3:4], v13, off
	s_or_b64 exec, exec, s[8:9]
	s_and_saveexec_b64 s[0:1], s[2:3]
	s_cbranch_execz .LBB29_14
.LBB29_18:                              ;   in Loop: Header=BB29_4 Depth=1
	v_add_co_u32_e32 v15, vcc, s27, v1
	v_addc_co_u32_e32 v16, vcc, 0, v2, vcc
	global_store_dword v[15:16], v12, off
	s_or_b64 exec, exec, s[0:1]
	s_and_saveexec_b64 s[0:1], s[6:7]
	s_cbranch_execz .LBB29_3
.LBB29_19:                              ;   in Loop: Header=BB29_4 Depth=1
	v_add_co_u32_e32 v11, vcc, s26, v1
	v_addc_co_u32_e32 v12, vcc, 0, v2, vcc
	global_store_dword v[11:12], v14, off
	s_branch .LBB29_3
.LBB29_20:
	s_cbranch_execz .LBB29_22
	s_branch .LBB29_25
.LBB29_21:
.LBB29_22:
	v_mov_b32_e32 v1, 0x10000
	v_mov_b32_e32 v2, 0
	v_cmp_lt_i64_e32 vcc, s[14:15], v[1:2]
	v_mov_b32_e32 v2, 0
	s_and_b64 s[0:1], vcc, exec
	s_cselect_b32 s1, s15, 0
	s_cselect_b32 s0, s14, 0x10000
	v_lshlrev_b32_e32 v1, 2, v0
	v_cmp_gt_i64_e32 vcc, s[0:1], v[1:2]
	s_and_saveexec_b64 s[2:3], vcc
	s_cbranch_execz .LBB29_25
; %bb.23:
	s_load_dword s2, s[4:5], 0xd3c
	v_mov_b32_e32 v1, v2
	v_lshlrev_b32_e32 v2, 4, v0
	s_waitcnt lgkmcnt(0)
	s_and_b32 s4, s2, 0xffff
	s_add_u32 s2, s10, s12
	s_addc_u32 s3, s11, s13
	v_mov_b32_e32 v3, s3
	v_add_co_u32_e32 v2, vcc, s2, v2
	v_addc_co_u32_e32 v3, vcc, 0, v3, vcc
	v_add_co_u32_e32 v2, vcc, 8, v2
	v_addc_co_u32_e32 v3, vcc, 0, v3, vcc
	s_lshl_b32 s5, s4, 4
	s_mov_b64 s[2:3], 0
.LBB29_24:                              ; =>This Inner Loop Header: Depth=1
	global_load_dwordx4 v[4:7], v[2:3], off offset:-8
	v_add_co_u32_e32 v0, vcc, s4, v0
	v_addc_co_u32_e32 v1, vcc, 0, v1, vcc
	v_lshlrev_b64 v[8:9], 2, v[0:1]
	v_cmp_le_i64_e32 vcc, s[0:1], v[8:9]
	s_or_b64 s[2:3], vcc, s[2:3]
	s_waitcnt vmcnt(0)
	v_floor_f32_e32 v4, v4
	v_floor_f32_e32 v5, v5
	;; [unrolled: 1-line block ×4, first 2 shown]
	global_store_dwordx4 v[2:3], v[4:7], off offset:-8
	v_add_co_u32_e32 v2, vcc, s5, v2
	v_addc_co_u32_e32 v3, vcc, 0, v3, vcc
	s_andn2_b64 exec, exec, s[2:3]
	s_cbranch_execnz .LBB29_24
.LBB29_25:
	s_endpgm
	.section	.rodata,"a",@progbits
	.p2align	6, 0x0
	.amdhsa_kernel _ZN2at6native12_GLOBAL__N_125multi_tensor_apply_kernelINS1_18TensorListMetadataILi1EEENS1_14UnaryOpFunctorIfLi1ELi1ELi0EEEJNS0_5FloorIfEEEEEvT_T0_DpT1_
		.amdhsa_group_segment_fixed_size 0
		.amdhsa_private_segment_fixed_size 0
		.amdhsa_kernarg_size 3632
		.amdhsa_user_sgpr_count 6
		.amdhsa_user_sgpr_private_segment_buffer 1
		.amdhsa_user_sgpr_dispatch_ptr 0
		.amdhsa_user_sgpr_queue_ptr 0
		.amdhsa_user_sgpr_kernarg_segment_ptr 1
		.amdhsa_user_sgpr_dispatch_id 0
		.amdhsa_user_sgpr_flat_scratch_init 0
		.amdhsa_user_sgpr_private_segment_size 0
		.amdhsa_uses_dynamic_stack 0
		.amdhsa_system_sgpr_private_segment_wavefront_offset 0
		.amdhsa_system_sgpr_workgroup_id_x 1
		.amdhsa_system_sgpr_workgroup_id_y 0
		.amdhsa_system_sgpr_workgroup_id_z 0
		.amdhsa_system_sgpr_workgroup_info 0
		.amdhsa_system_vgpr_workitem_id 0
		.amdhsa_next_free_vgpr 17
		.amdhsa_next_free_sgpr 28
		.amdhsa_reserve_vcc 1
		.amdhsa_reserve_flat_scratch 0
		.amdhsa_float_round_mode_32 0
		.amdhsa_float_round_mode_16_64 0
		.amdhsa_float_denorm_mode_32 3
		.amdhsa_float_denorm_mode_16_64 3
		.amdhsa_dx10_clamp 1
		.amdhsa_ieee_mode 1
		.amdhsa_fp16_overflow 0
		.amdhsa_exception_fp_ieee_invalid_op 0
		.amdhsa_exception_fp_denorm_src 0
		.amdhsa_exception_fp_ieee_div_zero 0
		.amdhsa_exception_fp_ieee_overflow 0
		.amdhsa_exception_fp_ieee_underflow 0
		.amdhsa_exception_fp_ieee_inexact 0
		.amdhsa_exception_int_div_zero 0
	.end_amdhsa_kernel
	.section	.text._ZN2at6native12_GLOBAL__N_125multi_tensor_apply_kernelINS1_18TensorListMetadataILi1EEENS1_14UnaryOpFunctorIfLi1ELi1ELi0EEEJNS0_5FloorIfEEEEEvT_T0_DpT1_,"axG",@progbits,_ZN2at6native12_GLOBAL__N_125multi_tensor_apply_kernelINS1_18TensorListMetadataILi1EEENS1_14UnaryOpFunctorIfLi1ELi1ELi0EEEJNS0_5FloorIfEEEEEvT_T0_DpT1_,comdat
.Lfunc_end29:
	.size	_ZN2at6native12_GLOBAL__N_125multi_tensor_apply_kernelINS1_18TensorListMetadataILi1EEENS1_14UnaryOpFunctorIfLi1ELi1ELi0EEEJNS0_5FloorIfEEEEEvT_T0_DpT1_, .Lfunc_end29-_ZN2at6native12_GLOBAL__N_125multi_tensor_apply_kernelINS1_18TensorListMetadataILi1EEENS1_14UnaryOpFunctorIfLi1ELi1ELi0EEEJNS0_5FloorIfEEEEEvT_T0_DpT1_
                                        ; -- End function
	.set _ZN2at6native12_GLOBAL__N_125multi_tensor_apply_kernelINS1_18TensorListMetadataILi1EEENS1_14UnaryOpFunctorIfLi1ELi1ELi0EEEJNS0_5FloorIfEEEEEvT_T0_DpT1_.num_vgpr, 17
	.set _ZN2at6native12_GLOBAL__N_125multi_tensor_apply_kernelINS1_18TensorListMetadataILi1EEENS1_14UnaryOpFunctorIfLi1ELi1ELi0EEEJNS0_5FloorIfEEEEEvT_T0_DpT1_.num_agpr, 0
	.set _ZN2at6native12_GLOBAL__N_125multi_tensor_apply_kernelINS1_18TensorListMetadataILi1EEENS1_14UnaryOpFunctorIfLi1ELi1ELi0EEEJNS0_5FloorIfEEEEEvT_T0_DpT1_.numbered_sgpr, 28
	.set _ZN2at6native12_GLOBAL__N_125multi_tensor_apply_kernelINS1_18TensorListMetadataILi1EEENS1_14UnaryOpFunctorIfLi1ELi1ELi0EEEJNS0_5FloorIfEEEEEvT_T0_DpT1_.num_named_barrier, 0
	.set _ZN2at6native12_GLOBAL__N_125multi_tensor_apply_kernelINS1_18TensorListMetadataILi1EEENS1_14UnaryOpFunctorIfLi1ELi1ELi0EEEJNS0_5FloorIfEEEEEvT_T0_DpT1_.private_seg_size, 0
	.set _ZN2at6native12_GLOBAL__N_125multi_tensor_apply_kernelINS1_18TensorListMetadataILi1EEENS1_14UnaryOpFunctorIfLi1ELi1ELi0EEEJNS0_5FloorIfEEEEEvT_T0_DpT1_.uses_vcc, 1
	.set _ZN2at6native12_GLOBAL__N_125multi_tensor_apply_kernelINS1_18TensorListMetadataILi1EEENS1_14UnaryOpFunctorIfLi1ELi1ELi0EEEJNS0_5FloorIfEEEEEvT_T0_DpT1_.uses_flat_scratch, 0
	.set _ZN2at6native12_GLOBAL__N_125multi_tensor_apply_kernelINS1_18TensorListMetadataILi1EEENS1_14UnaryOpFunctorIfLi1ELi1ELi0EEEJNS0_5FloorIfEEEEEvT_T0_DpT1_.has_dyn_sized_stack, 0
	.set _ZN2at6native12_GLOBAL__N_125multi_tensor_apply_kernelINS1_18TensorListMetadataILi1EEENS1_14UnaryOpFunctorIfLi1ELi1ELi0EEEJNS0_5FloorIfEEEEEvT_T0_DpT1_.has_recursion, 0
	.set _ZN2at6native12_GLOBAL__N_125multi_tensor_apply_kernelINS1_18TensorListMetadataILi1EEENS1_14UnaryOpFunctorIfLi1ELi1ELi0EEEJNS0_5FloorIfEEEEEvT_T0_DpT1_.has_indirect_call, 0
	.section	.AMDGPU.csdata,"",@progbits
; Kernel info:
; codeLenInByte = 984
; TotalNumSgprs: 32
; NumVgprs: 17
; ScratchSize: 0
; MemoryBound: 0
; FloatMode: 240
; IeeeMode: 1
; LDSByteSize: 0 bytes/workgroup (compile time only)
; SGPRBlocks: 3
; VGPRBlocks: 4
; NumSGPRsForWavesPerEU: 32
; NumVGPRsForWavesPerEU: 17
; Occupancy: 10
; WaveLimiterHint : 0
; COMPUTE_PGM_RSRC2:SCRATCH_EN: 0
; COMPUTE_PGM_RSRC2:USER_SGPR: 6
; COMPUTE_PGM_RSRC2:TRAP_HANDLER: 0
; COMPUTE_PGM_RSRC2:TGID_X_EN: 1
; COMPUTE_PGM_RSRC2:TGID_Y_EN: 0
; COMPUTE_PGM_RSRC2:TGID_Z_EN: 0
; COMPUTE_PGM_RSRC2:TIDIG_COMP_CNT: 0
	.section	.text._ZN2at6native12_GLOBAL__N_125multi_tensor_apply_kernelINS1_18TensorListMetadataILi1EEENS1_14UnaryOpFunctorIN3c104HalfELi1ELi1ELi0EEEJNS0_5FloorIfEEEEEvT_T0_DpT1_,"axG",@progbits,_ZN2at6native12_GLOBAL__N_125multi_tensor_apply_kernelINS1_18TensorListMetadataILi1EEENS1_14UnaryOpFunctorIN3c104HalfELi1ELi1ELi0EEEJNS0_5FloorIfEEEEEvT_T0_DpT1_,comdat
	.globl	_ZN2at6native12_GLOBAL__N_125multi_tensor_apply_kernelINS1_18TensorListMetadataILi1EEENS1_14UnaryOpFunctorIN3c104HalfELi1ELi1ELi0EEEJNS0_5FloorIfEEEEEvT_T0_DpT1_ ; -- Begin function _ZN2at6native12_GLOBAL__N_125multi_tensor_apply_kernelINS1_18TensorListMetadataILi1EEENS1_14UnaryOpFunctorIN3c104HalfELi1ELi1ELi0EEEJNS0_5FloorIfEEEEEvT_T0_DpT1_
	.p2align	8
	.type	_ZN2at6native12_GLOBAL__N_125multi_tensor_apply_kernelINS1_18TensorListMetadataILi1EEENS1_14UnaryOpFunctorIN3c104HalfELi1ELi1ELi0EEEJNS0_5FloorIfEEEEEvT_T0_DpT1_,@function
_ZN2at6native12_GLOBAL__N_125multi_tensor_apply_kernelINS1_18TensorListMetadataILi1EEENS1_14UnaryOpFunctorIN3c104HalfELi1ELi1ELi0EEEJNS0_5FloorIfEEEEEvT_T0_DpT1_: ; @_ZN2at6native12_GLOBAL__N_125multi_tensor_apply_kernelINS1_18TensorListMetadataILi1EEENS1_14UnaryOpFunctorIN3c104HalfELi1ELi1ELi0EEEJNS0_5FloorIfEEEEEvT_T0_DpT1_
; %bb.0:
	v_mov_b32_e32 v1, s6
	global_load_ubyte v1, v1, s[4:5] offset:1760
	s_add_u32 s0, s4, s6
	s_mul_hi_u32 s1, s6, 3
	s_mul_i32 s6, s6, 3
	s_addc_u32 s2, s5, 0
	s_add_u32 s0, s0, s6
	s_addc_u32 s1, s2, s1
	s_load_dword s0, s[0:1], 0x820
	s_mov_b32 s7, 0
	s_waitcnt vmcnt(0)
	v_readfirstlane_b32 s1, v1
	s_lshl_b32 s1, s1, 3
	s_load_dwordx2 s[2:3], s[4:5], s1 offset:0x370
	s_load_dwordx2 s[10:11], s[4:5], s1 offset:0x0
	s_waitcnt lgkmcnt(0)
	s_ashr_i32 s1, s0, 31
	s_lshl_b64 s[12:13], s[0:1], 17
	s_lshl_b64 s[0:1], s[0:1], 16
	s_and_b32 s6, s10, 7
	s_sub_u32 s14, s2, s0
	s_subb_u32 s15, s3, s1
	s_and_b32 s0, s2, 3
	s_mov_b32 s1, s7
	s_or_b64 s[0:1], s[6:7], s[0:1]
	s_cmp_eq_u64 s[0:1], 0
	s_cbranch_scc1 .LBB30_21
; %bb.1:
	v_cmp_lt_i64_e64 s[0:1], s[14:15], 1
	s_and_b64 vcc, exec, s[0:1]
	s_cbranch_vccnz .LBB30_20
; %bb.2:
	v_mov_b32_e32 v1, 0x10000
	s_load_dword s2, s[4:5], 0xd3c
	v_mov_b32_e32 v2, 0
	v_cmp_lt_i64_e32 vcc, s[14:15], v[1:2]
	s_mov_b64 s[20:21], 0
	s_and_b64 s[0:1], vcc, exec
	v_cmp_lt_u64_e32 vcc, s[14:15], v[1:2]
	s_cselect_b32 s17, s15, 0
	s_cselect_b32 s16, s14, 0x10000
	s_waitcnt lgkmcnt(0)
	s_and_b32 s2, s2, 0xffff
	s_and_b64 s[0:1], vcc, exec
	s_cselect_b32 s19, s15, 0
	s_cselect_b32 s18, s14, 0x10000
	s_lshl_b32 s3, s2, 1
	s_lshl_b32 s24, s2, 2
	s_add_u32 s6, s10, s12
	v_lshlrev_b32_e32 v1, 1, v0
	s_addc_u32 s7, s11, s13
	v_mov_b32_e32 v2, s7
	v_add_co_u32_e32 v1, vcc, s6, v1
	s_mul_i32 s0, s2, 3
	v_addc_co_u32_e32 v2, vcc, 0, v2, vcc
	v_add_co_u32_e32 v5, vcc, s0, v0
	v_addc_co_u32_e64 v6, s[0:1], 0, 0, vcc
	v_add_co_u32_e32 v7, vcc, s3, v0
	v_addc_co_u32_e64 v8, s[0:1], 0, 0, vcc
	v_add_co_u32_e32 v9, vcc, s2, v0
	v_lshlrev_b32_e32 v3, 1, v9
	v_addc_co_u32_e64 v10, s[0:1], 0, 0, vcc
	v_mov_b32_e32 v4, s7
	v_add_co_u32_e32 v3, vcc, s6, v3
	s_lshl_b32 s25, s2, 3
	s_mul_i32 s26, s2, 6
	v_addc_co_u32_e32 v4, vcc, 0, v4, vcc
	s_branch .LBB30_4
.LBB30_3:                               ;   in Loop: Header=BB30_4 Depth=1
	s_or_b64 exec, exec, s[0:1]
	s_add_u32 s20, s20, s24
	v_add_co_u32_e32 v1, vcc, s25, v1
	v_mov_b32_e32 v11, s16
	s_addc_u32 s21, s21, 0
	v_addc_co_u32_e32 v2, vcc, 0, v2, vcc
	v_mov_b32_e32 v12, s17
	v_cmp_lt_i64_e32 vcc, s[20:21], v[11:12]
	v_add_co_u32_e64 v3, s[0:1], s25, v3
	v_addc_co_u32_e64 v4, s[0:1], 0, v4, s[0:1]
	s_cbranch_vccz .LBB30_20
.LBB30_4:                               ; =>This Inner Loop Header: Depth=1
	v_mov_b32_e32 v12, s21
	v_add_co_u32_e32 v11, vcc, s20, v0
	v_addc_co_u32_e32 v12, vcc, 0, v12, vcc
	v_cmp_gt_u64_e32 vcc, s[18:19], v[11:12]
	v_mov_b32_e32 v11, 0
	s_and_saveexec_b64 s[0:1], vcc
	s_cbranch_execz .LBB30_6
; %bb.5:                                ;   in Loop: Header=BB30_4 Depth=1
	global_load_ushort v11, v[1:2], off
	s_waitcnt vmcnt(0)
	v_floor_f16_e32 v11, v11
.LBB30_6:                               ;   in Loop: Header=BB30_4 Depth=1
	s_or_b64 exec, exec, s[0:1]
	v_mov_b32_e32 v13, s21
	v_add_co_u32_e64 v12, s[0:1], s20, v9
	v_addc_co_u32_e64 v13, s[0:1], v10, v13, s[0:1]
	v_cmp_gt_u64_e64 s[0:1], s[18:19], v[12:13]
	v_mov_b32_e32 v12, 0
	v_mov_b32_e32 v13, 0
	s_and_saveexec_b64 s[2:3], s[0:1]
	s_cbranch_execz .LBB30_8
; %bb.7:                                ;   in Loop: Header=BB30_4 Depth=1
	global_load_ushort v13, v[3:4], off
	s_waitcnt vmcnt(0)
	v_floor_f16_e32 v13, v13
.LBB30_8:                               ;   in Loop: Header=BB30_4 Depth=1
	s_or_b64 exec, exec, s[2:3]
	v_mov_b32_e32 v15, s21
	v_add_co_u32_e64 v14, s[2:3], s20, v7
	v_addc_co_u32_e64 v15, s[2:3], v8, v15, s[2:3]
	v_cmp_gt_u64_e64 s[2:3], s[18:19], v[14:15]
	s_and_saveexec_b64 s[8:9], s[2:3]
	s_cbranch_execz .LBB30_10
; %bb.9:                                ;   in Loop: Header=BB30_4 Depth=1
	v_add_co_u32_e64 v14, s[6:7], s24, v1
	v_addc_co_u32_e64 v15, s[6:7], 0, v2, s[6:7]
	global_load_ushort v12, v[14:15], off
	s_waitcnt vmcnt(0)
	v_floor_f16_e32 v12, v12
.LBB30_10:                              ;   in Loop: Header=BB30_4 Depth=1
	s_or_b64 exec, exec, s[8:9]
	v_mov_b32_e32 v15, s21
	v_add_co_u32_e64 v14, s[6:7], s20, v5
	v_addc_co_u32_e64 v15, s[6:7], v6, v15, s[6:7]
	v_cmp_gt_u64_e64 s[6:7], s[18:19], v[14:15]
	v_mov_b32_e32 v14, 0
	s_and_saveexec_b64 s[22:23], s[6:7]
	s_cbranch_execnz .LBB30_15
; %bb.11:                               ;   in Loop: Header=BB30_4 Depth=1
	s_or_b64 exec, exec, s[22:23]
	s_and_saveexec_b64 s[8:9], vcc
	s_cbranch_execnz .LBB30_16
.LBB30_12:                              ;   in Loop: Header=BB30_4 Depth=1
	s_or_b64 exec, exec, s[8:9]
	s_and_saveexec_b64 s[8:9], s[0:1]
	s_cbranch_execnz .LBB30_17
.LBB30_13:                              ;   in Loop: Header=BB30_4 Depth=1
	s_or_b64 exec, exec, s[8:9]
	s_and_saveexec_b64 s[0:1], s[2:3]
	s_cbranch_execnz .LBB30_18
.LBB30_14:                              ;   in Loop: Header=BB30_4 Depth=1
	s_or_b64 exec, exec, s[0:1]
	s_and_saveexec_b64 s[0:1], s[6:7]
	s_cbranch_execz .LBB30_3
	s_branch .LBB30_19
.LBB30_15:                              ;   in Loop: Header=BB30_4 Depth=1
	v_add_co_u32_e64 v14, s[8:9], s26, v1
	v_addc_co_u32_e64 v15, s[8:9], 0, v2, s[8:9]
	global_load_ushort v14, v[14:15], off
	s_waitcnt vmcnt(0)
	v_floor_f16_e32 v14, v14
	s_or_b64 exec, exec, s[22:23]
	s_and_saveexec_b64 s[8:9], vcc
	s_cbranch_execz .LBB30_12
.LBB30_16:                              ;   in Loop: Header=BB30_4 Depth=1
	global_store_short v[1:2], v11, off
	s_or_b64 exec, exec, s[8:9]
	s_and_saveexec_b64 s[8:9], s[0:1]
	s_cbranch_execz .LBB30_13
.LBB30_17:                              ;   in Loop: Header=BB30_4 Depth=1
	global_store_short v[3:4], v13, off
	s_or_b64 exec, exec, s[8:9]
	s_and_saveexec_b64 s[0:1], s[2:3]
	s_cbranch_execz .LBB30_14
.LBB30_18:                              ;   in Loop: Header=BB30_4 Depth=1
	v_add_co_u32_e32 v15, vcc, s24, v1
	v_addc_co_u32_e32 v16, vcc, 0, v2, vcc
	global_store_short v[15:16], v12, off
	s_or_b64 exec, exec, s[0:1]
	s_and_saveexec_b64 s[0:1], s[6:7]
	s_cbranch_execz .LBB30_3
.LBB30_19:                              ;   in Loop: Header=BB30_4 Depth=1
	v_add_co_u32_e32 v11, vcc, s26, v1
	v_addc_co_u32_e32 v12, vcc, 0, v2, vcc
	global_store_short v[11:12], v14, off
	s_branch .LBB30_3
.LBB30_20:
	s_cbranch_execz .LBB30_22
	s_branch .LBB30_25
.LBB30_21:
.LBB30_22:
	v_mov_b32_e32 v1, 0x10000
	v_mov_b32_e32 v2, 0
	v_cmp_lt_i64_e32 vcc, s[14:15], v[1:2]
	v_mov_b32_e32 v2, 0
	s_and_b64 s[0:1], vcc, exec
	s_cselect_b32 s1, s15, 0
	s_cselect_b32 s0, s14, 0x10000
	v_lshlrev_b32_e32 v1, 2, v0
	v_cmp_gt_i64_e32 vcc, s[0:1], v[1:2]
	s_and_saveexec_b64 s[2:3], vcc
	s_cbranch_execz .LBB30_25
; %bb.23:
	s_load_dword s2, s[4:5], 0xd3c
	v_mov_b32_e32 v1, v2
	v_lshlrev_b32_e32 v2, 3, v0
	s_waitcnt lgkmcnt(0)
	s_and_b32 s4, s2, 0xffff
	s_add_u32 s2, s10, s12
	s_addc_u32 s3, s11, s13
	v_mov_b32_e32 v3, s3
	v_add_co_u32_e32 v2, vcc, s2, v2
	v_addc_co_u32_e32 v3, vcc, 0, v3, vcc
	v_add_co_u32_e32 v2, vcc, 4, v2
	v_addc_co_u32_e32 v3, vcc, 0, v3, vcc
	s_lshl_b32 s5, s4, 3
	s_mov_b64 s[2:3], 0
.LBB30_24:                              ; =>This Inner Loop Header: Depth=1
	global_load_dwordx2 v[4:5], v[2:3], off offset:-4
	v_add_co_u32_e32 v0, vcc, s4, v0
	v_addc_co_u32_e32 v1, vcc, 0, v1, vcc
	v_lshlrev_b64 v[6:7], 2, v[0:1]
	v_cmp_le_i64_e32 vcc, s[0:1], v[6:7]
	s_or_b64 s[2:3], vcc, s[2:3]
	s_waitcnt vmcnt(0)
	v_floor_f16_e32 v6, v4
	v_floor_f16_sdwa v4, v4 dst_sel:DWORD dst_unused:UNUSED_PAD src0_sel:WORD_1
	v_floor_f16_e32 v7, v5
	v_floor_f16_sdwa v5, v5 dst_sel:DWORD dst_unused:UNUSED_PAD src0_sel:WORD_1
	v_pack_b32_f16 v5, v7, v5
	v_pack_b32_f16 v4, v6, v4
	global_store_dwordx2 v[2:3], v[4:5], off offset:-4
	v_add_co_u32_e32 v2, vcc, s5, v2
	v_addc_co_u32_e32 v3, vcc, 0, v3, vcc
	s_andn2_b64 exec, exec, s[2:3]
	s_cbranch_execnz .LBB30_24
.LBB30_25:
	s_endpgm
	.section	.rodata,"a",@progbits
	.p2align	6, 0x0
	.amdhsa_kernel _ZN2at6native12_GLOBAL__N_125multi_tensor_apply_kernelINS1_18TensorListMetadataILi1EEENS1_14UnaryOpFunctorIN3c104HalfELi1ELi1ELi0EEEJNS0_5FloorIfEEEEEvT_T0_DpT1_
		.amdhsa_group_segment_fixed_size 0
		.amdhsa_private_segment_fixed_size 0
		.amdhsa_kernarg_size 3632
		.amdhsa_user_sgpr_count 6
		.amdhsa_user_sgpr_private_segment_buffer 1
		.amdhsa_user_sgpr_dispatch_ptr 0
		.amdhsa_user_sgpr_queue_ptr 0
		.amdhsa_user_sgpr_kernarg_segment_ptr 1
		.amdhsa_user_sgpr_dispatch_id 0
		.amdhsa_user_sgpr_flat_scratch_init 0
		.amdhsa_user_sgpr_private_segment_size 0
		.amdhsa_uses_dynamic_stack 0
		.amdhsa_system_sgpr_private_segment_wavefront_offset 0
		.amdhsa_system_sgpr_workgroup_id_x 1
		.amdhsa_system_sgpr_workgroup_id_y 0
		.amdhsa_system_sgpr_workgroup_id_z 0
		.amdhsa_system_sgpr_workgroup_info 0
		.amdhsa_system_vgpr_workitem_id 0
		.amdhsa_next_free_vgpr 17
		.amdhsa_next_free_sgpr 27
		.amdhsa_reserve_vcc 1
		.amdhsa_reserve_flat_scratch 0
		.amdhsa_float_round_mode_32 0
		.amdhsa_float_round_mode_16_64 0
		.amdhsa_float_denorm_mode_32 3
		.amdhsa_float_denorm_mode_16_64 3
		.amdhsa_dx10_clamp 1
		.amdhsa_ieee_mode 1
		.amdhsa_fp16_overflow 0
		.amdhsa_exception_fp_ieee_invalid_op 0
		.amdhsa_exception_fp_denorm_src 0
		.amdhsa_exception_fp_ieee_div_zero 0
		.amdhsa_exception_fp_ieee_overflow 0
		.amdhsa_exception_fp_ieee_underflow 0
		.amdhsa_exception_fp_ieee_inexact 0
		.amdhsa_exception_int_div_zero 0
	.end_amdhsa_kernel
	.section	.text._ZN2at6native12_GLOBAL__N_125multi_tensor_apply_kernelINS1_18TensorListMetadataILi1EEENS1_14UnaryOpFunctorIN3c104HalfELi1ELi1ELi0EEEJNS0_5FloorIfEEEEEvT_T0_DpT1_,"axG",@progbits,_ZN2at6native12_GLOBAL__N_125multi_tensor_apply_kernelINS1_18TensorListMetadataILi1EEENS1_14UnaryOpFunctorIN3c104HalfELi1ELi1ELi0EEEJNS0_5FloorIfEEEEEvT_T0_DpT1_,comdat
.Lfunc_end30:
	.size	_ZN2at6native12_GLOBAL__N_125multi_tensor_apply_kernelINS1_18TensorListMetadataILi1EEENS1_14UnaryOpFunctorIN3c104HalfELi1ELi1ELi0EEEJNS0_5FloorIfEEEEEvT_T0_DpT1_, .Lfunc_end30-_ZN2at6native12_GLOBAL__N_125multi_tensor_apply_kernelINS1_18TensorListMetadataILi1EEENS1_14UnaryOpFunctorIN3c104HalfELi1ELi1ELi0EEEJNS0_5FloorIfEEEEEvT_T0_DpT1_
                                        ; -- End function
	.set _ZN2at6native12_GLOBAL__N_125multi_tensor_apply_kernelINS1_18TensorListMetadataILi1EEENS1_14UnaryOpFunctorIN3c104HalfELi1ELi1ELi0EEEJNS0_5FloorIfEEEEEvT_T0_DpT1_.num_vgpr, 17
	.set _ZN2at6native12_GLOBAL__N_125multi_tensor_apply_kernelINS1_18TensorListMetadataILi1EEENS1_14UnaryOpFunctorIN3c104HalfELi1ELi1ELi0EEEJNS0_5FloorIfEEEEEvT_T0_DpT1_.num_agpr, 0
	.set _ZN2at6native12_GLOBAL__N_125multi_tensor_apply_kernelINS1_18TensorListMetadataILi1EEENS1_14UnaryOpFunctorIN3c104HalfELi1ELi1ELi0EEEJNS0_5FloorIfEEEEEvT_T0_DpT1_.numbered_sgpr, 27
	.set _ZN2at6native12_GLOBAL__N_125multi_tensor_apply_kernelINS1_18TensorListMetadataILi1EEENS1_14UnaryOpFunctorIN3c104HalfELi1ELi1ELi0EEEJNS0_5FloorIfEEEEEvT_T0_DpT1_.num_named_barrier, 0
	.set _ZN2at6native12_GLOBAL__N_125multi_tensor_apply_kernelINS1_18TensorListMetadataILi1EEENS1_14UnaryOpFunctorIN3c104HalfELi1ELi1ELi0EEEJNS0_5FloorIfEEEEEvT_T0_DpT1_.private_seg_size, 0
	.set _ZN2at6native12_GLOBAL__N_125multi_tensor_apply_kernelINS1_18TensorListMetadataILi1EEENS1_14UnaryOpFunctorIN3c104HalfELi1ELi1ELi0EEEJNS0_5FloorIfEEEEEvT_T0_DpT1_.uses_vcc, 1
	.set _ZN2at6native12_GLOBAL__N_125multi_tensor_apply_kernelINS1_18TensorListMetadataILi1EEENS1_14UnaryOpFunctorIN3c104HalfELi1ELi1ELi0EEEJNS0_5FloorIfEEEEEvT_T0_DpT1_.uses_flat_scratch, 0
	.set _ZN2at6native12_GLOBAL__N_125multi_tensor_apply_kernelINS1_18TensorListMetadataILi1EEENS1_14UnaryOpFunctorIN3c104HalfELi1ELi1ELi0EEEJNS0_5FloorIfEEEEEvT_T0_DpT1_.has_dyn_sized_stack, 0
	.set _ZN2at6native12_GLOBAL__N_125multi_tensor_apply_kernelINS1_18TensorListMetadataILi1EEENS1_14UnaryOpFunctorIN3c104HalfELi1ELi1ELi0EEEJNS0_5FloorIfEEEEEvT_T0_DpT1_.has_recursion, 0
	.set _ZN2at6native12_GLOBAL__N_125multi_tensor_apply_kernelINS1_18TensorListMetadataILi1EEENS1_14UnaryOpFunctorIN3c104HalfELi1ELi1ELi0EEEJNS0_5FloorIfEEEEEvT_T0_DpT1_.has_indirect_call, 0
	.section	.AMDGPU.csdata,"",@progbits
; Kernel info:
; codeLenInByte = 1004
; TotalNumSgprs: 31
; NumVgprs: 17
; ScratchSize: 0
; MemoryBound: 0
; FloatMode: 240
; IeeeMode: 1
; LDSByteSize: 0 bytes/workgroup (compile time only)
; SGPRBlocks: 3
; VGPRBlocks: 4
; NumSGPRsForWavesPerEU: 31
; NumVGPRsForWavesPerEU: 17
; Occupancy: 10
; WaveLimiterHint : 0
; COMPUTE_PGM_RSRC2:SCRATCH_EN: 0
; COMPUTE_PGM_RSRC2:USER_SGPR: 6
; COMPUTE_PGM_RSRC2:TRAP_HANDLER: 0
; COMPUTE_PGM_RSRC2:TGID_X_EN: 1
; COMPUTE_PGM_RSRC2:TGID_Y_EN: 0
; COMPUTE_PGM_RSRC2:TGID_Z_EN: 0
; COMPUTE_PGM_RSRC2:TIDIG_COMP_CNT: 0
	.section	.text._ZN2at6native12_GLOBAL__N_125multi_tensor_apply_kernelINS1_18TensorListMetadataILi1EEENS1_14UnaryOpFunctorIN3c108BFloat16ELi1ELi1ELi0EEEJNS0_5FloorIfEEEEEvT_T0_DpT1_,"axG",@progbits,_ZN2at6native12_GLOBAL__N_125multi_tensor_apply_kernelINS1_18TensorListMetadataILi1EEENS1_14UnaryOpFunctorIN3c108BFloat16ELi1ELi1ELi0EEEJNS0_5FloorIfEEEEEvT_T0_DpT1_,comdat
	.globl	_ZN2at6native12_GLOBAL__N_125multi_tensor_apply_kernelINS1_18TensorListMetadataILi1EEENS1_14UnaryOpFunctorIN3c108BFloat16ELi1ELi1ELi0EEEJNS0_5FloorIfEEEEEvT_T0_DpT1_ ; -- Begin function _ZN2at6native12_GLOBAL__N_125multi_tensor_apply_kernelINS1_18TensorListMetadataILi1EEENS1_14UnaryOpFunctorIN3c108BFloat16ELi1ELi1ELi0EEEJNS0_5FloorIfEEEEEvT_T0_DpT1_
	.p2align	8
	.type	_ZN2at6native12_GLOBAL__N_125multi_tensor_apply_kernelINS1_18TensorListMetadataILi1EEENS1_14UnaryOpFunctorIN3c108BFloat16ELi1ELi1ELi0EEEJNS0_5FloorIfEEEEEvT_T0_DpT1_,@function
_ZN2at6native12_GLOBAL__N_125multi_tensor_apply_kernelINS1_18TensorListMetadataILi1EEENS1_14UnaryOpFunctorIN3c108BFloat16ELi1ELi1ELi0EEEJNS0_5FloorIfEEEEEvT_T0_DpT1_: ; @_ZN2at6native12_GLOBAL__N_125multi_tensor_apply_kernelINS1_18TensorListMetadataILi1EEENS1_14UnaryOpFunctorIN3c108BFloat16ELi1ELi1ELi0EEEJNS0_5FloorIfEEEEEvT_T0_DpT1_
; %bb.0:
	v_mov_b32_e32 v1, s6
	global_load_ubyte v1, v1, s[4:5] offset:1760
	s_add_u32 s0, s4, s6
	s_mul_hi_u32 s1, s6, 3
	s_mul_i32 s6, s6, 3
	s_addc_u32 s2, s5, 0
	s_add_u32 s0, s0, s6
	s_addc_u32 s1, s2, s1
	s_load_dword s0, s[0:1], 0x820
	s_mov_b32 s7, 0
	s_waitcnt vmcnt(0)
	v_readfirstlane_b32 s1, v1
	s_lshl_b32 s1, s1, 3
	s_load_dwordx2 s[2:3], s[4:5], s1 offset:0x370
	s_load_dwordx2 s[10:11], s[4:5], s1 offset:0x0
	s_waitcnt lgkmcnt(0)
	s_ashr_i32 s1, s0, 31
	s_lshl_b64 s[12:13], s[0:1], 17
	s_lshl_b64 s[0:1], s[0:1], 16
	s_and_b32 s6, s10, 7
	s_sub_u32 s14, s2, s0
	s_subb_u32 s15, s3, s1
	s_and_b32 s0, s2, 3
	s_mov_b32 s1, s7
	s_or_b64 s[0:1], s[6:7], s[0:1]
	s_cmp_eq_u64 s[0:1], 0
	s_cbranch_scc1 .LBB31_21
; %bb.1:
	v_cmp_lt_i64_e64 s[0:1], s[14:15], 1
	s_and_b64 vcc, exec, s[0:1]
	s_cbranch_vccnz .LBB31_20
; %bb.2:
	v_mov_b32_e32 v1, 0x10000
	s_load_dword s2, s[4:5], 0xd3c
	v_mov_b32_e32 v2, 0
	v_cmp_lt_i64_e32 vcc, s[14:15], v[1:2]
	s_mov_b64 s[20:21], 0
	s_and_b64 s[0:1], vcc, exec
	v_cmp_lt_u64_e32 vcc, s[14:15], v[1:2]
	s_cselect_b32 s17, s15, 0
	s_cselect_b32 s16, s14, 0x10000
	s_waitcnt lgkmcnt(0)
	s_and_b32 s2, s2, 0xffff
	s_and_b64 s[0:1], vcc, exec
	s_cselect_b32 s19, s15, 0
	s_cselect_b32 s18, s14, 0x10000
	s_lshl_b32 s3, s2, 1
	s_lshl_b32 s24, s2, 2
	s_add_u32 s6, s10, s12
	v_lshlrev_b32_e32 v1, 1, v0
	s_addc_u32 s7, s11, s13
	v_mov_b32_e32 v2, s7
	v_add_co_u32_e32 v1, vcc, s6, v1
	s_mul_i32 s0, s2, 3
	v_addc_co_u32_e32 v2, vcc, 0, v2, vcc
	v_add_co_u32_e32 v5, vcc, s0, v0
	v_addc_co_u32_e64 v6, s[0:1], 0, 0, vcc
	v_add_co_u32_e32 v7, vcc, s3, v0
	v_addc_co_u32_e64 v8, s[0:1], 0, 0, vcc
	v_add_co_u32_e32 v9, vcc, s2, v0
	v_lshlrev_b32_e32 v3, 1, v9
	v_addc_co_u32_e64 v10, s[0:1], 0, 0, vcc
	v_mov_b32_e32 v4, s7
	v_add_co_u32_e32 v3, vcc, s6, v3
	s_lshl_b32 s25, s2, 3
	s_mul_i32 s26, s2, 6
	v_addc_co_u32_e32 v4, vcc, 0, v4, vcc
	s_movk_i32 s27, 0x7fff
	v_mov_b32_e32 v11, 0x7fc0
	s_branch .LBB31_4
.LBB31_3:                               ;   in Loop: Header=BB31_4 Depth=1
	s_or_b64 exec, exec, s[0:1]
	s_add_u32 s20, s20, s24
	v_add_co_u32_e32 v1, vcc, s25, v1
	v_mov_b32_e32 v12, s16
	s_addc_u32 s21, s21, 0
	v_addc_co_u32_e32 v2, vcc, 0, v2, vcc
	v_mov_b32_e32 v13, s17
	v_cmp_lt_i64_e32 vcc, s[20:21], v[12:13]
	v_add_co_u32_e64 v3, s[0:1], s25, v3
	v_addc_co_u32_e64 v4, s[0:1], 0, v4, s[0:1]
	s_cbranch_vccz .LBB31_20
.LBB31_4:                               ; =>This Inner Loop Header: Depth=1
	v_mov_b32_e32 v13, s21
	v_add_co_u32_e32 v12, vcc, s20, v0
	v_addc_co_u32_e32 v13, vcc, 0, v13, vcc
	v_cmp_gt_u64_e32 vcc, s[18:19], v[12:13]
	v_mov_b32_e32 v13, 0
	s_and_saveexec_b64 s[0:1], vcc
	s_cbranch_execz .LBB31_6
; %bb.5:                                ;   in Loop: Header=BB31_4 Depth=1
	global_load_ushort v12, v[1:2], off
	s_waitcnt vmcnt(0)
	v_lshlrev_b32_e32 v12, 16, v12
	v_floor_f32_e32 v13, v12
.LBB31_6:                               ;   in Loop: Header=BB31_4 Depth=1
	s_or_b64 exec, exec, s[0:1]
	v_mov_b32_e32 v12, s21
	v_add_co_u32_e64 v14, s[0:1], s20, v9
	v_addc_co_u32_e64 v15, s[0:1], v10, v12, s[0:1]
	v_cmp_gt_u64_e64 s[0:1], s[18:19], v[14:15]
	v_mov_b32_e32 v12, 0
	v_mov_b32_e32 v14, 0
	s_and_saveexec_b64 s[2:3], s[0:1]
	s_cbranch_execz .LBB31_8
; %bb.7:                                ;   in Loop: Header=BB31_4 Depth=1
	global_load_ushort v14, v[3:4], off
	s_waitcnt vmcnt(0)
	v_lshlrev_b32_e32 v14, 16, v14
	v_floor_f32_e32 v14, v14
.LBB31_8:                               ;   in Loop: Header=BB31_4 Depth=1
	s_or_b64 exec, exec, s[2:3]
	v_mov_b32_e32 v16, s21
	v_add_co_u32_e64 v15, s[2:3], s20, v7
	v_addc_co_u32_e64 v16, s[2:3], v8, v16, s[2:3]
	v_cmp_gt_u64_e64 s[2:3], s[18:19], v[15:16]
	s_and_saveexec_b64 s[8:9], s[2:3]
	s_cbranch_execz .LBB31_10
; %bb.9:                                ;   in Loop: Header=BB31_4 Depth=1
	v_add_co_u32_e64 v15, s[6:7], s24, v1
	v_addc_co_u32_e64 v16, s[6:7], 0, v2, s[6:7]
	global_load_ushort v12, v[15:16], off
	s_waitcnt vmcnt(0)
	v_lshlrev_b32_e32 v12, 16, v12
	v_floor_f32_e32 v12, v12
.LBB31_10:                              ;   in Loop: Header=BB31_4 Depth=1
	s_or_b64 exec, exec, s[8:9]
	v_mov_b32_e32 v16, s21
	v_add_co_u32_e64 v15, s[6:7], s20, v5
	v_addc_co_u32_e64 v16, s[6:7], v6, v16, s[6:7]
	v_cmp_gt_u64_e64 s[6:7], s[18:19], v[15:16]
	v_mov_b32_e32 v15, 0
	s_and_saveexec_b64 s[22:23], s[6:7]
	s_cbranch_execnz .LBB31_15
; %bb.11:                               ;   in Loop: Header=BB31_4 Depth=1
	s_or_b64 exec, exec, s[22:23]
	s_and_saveexec_b64 s[8:9], vcc
	s_cbranch_execnz .LBB31_16
.LBB31_12:                              ;   in Loop: Header=BB31_4 Depth=1
	s_or_b64 exec, exec, s[8:9]
	s_and_saveexec_b64 s[8:9], s[0:1]
	s_cbranch_execnz .LBB31_17
.LBB31_13:                              ;   in Loop: Header=BB31_4 Depth=1
	s_or_b64 exec, exec, s[8:9]
	s_and_saveexec_b64 s[0:1], s[2:3]
	s_cbranch_execnz .LBB31_18
.LBB31_14:                              ;   in Loop: Header=BB31_4 Depth=1
	s_or_b64 exec, exec, s[0:1]
	s_and_saveexec_b64 s[0:1], s[6:7]
	s_cbranch_execz .LBB31_3
	s_branch .LBB31_19
.LBB31_15:                              ;   in Loop: Header=BB31_4 Depth=1
	v_add_co_u32_e64 v15, s[8:9], s26, v1
	v_addc_co_u32_e64 v16, s[8:9], 0, v2, s[8:9]
	global_load_ushort v15, v[15:16], off
	s_waitcnt vmcnt(0)
	v_lshlrev_b32_e32 v15, 16, v15
	v_floor_f32_e32 v15, v15
	s_or_b64 exec, exec, s[22:23]
	s_and_saveexec_b64 s[8:9], vcc
	s_cbranch_execz .LBB31_12
.LBB31_16:                              ;   in Loop: Header=BB31_4 Depth=1
	v_bfe_u32 v16, v13, 16, 1
	v_add3_u32 v16, v13, v16, s27
	v_cmp_o_f32_e32 vcc, v13, v13
	v_cndmask_b32_sdwa v13, v11, v16, vcc dst_sel:DWORD dst_unused:UNUSED_PAD src0_sel:DWORD src1_sel:WORD_1
	global_store_short v[1:2], v13, off
	s_or_b64 exec, exec, s[8:9]
	s_and_saveexec_b64 s[8:9], s[0:1]
	s_cbranch_execz .LBB31_13
.LBB31_17:                              ;   in Loop: Header=BB31_4 Depth=1
	v_bfe_u32 v13, v14, 16, 1
	v_add3_u32 v13, v14, v13, s27
	v_cmp_o_f32_e32 vcc, v14, v14
	v_cndmask_b32_sdwa v13, v11, v13, vcc dst_sel:DWORD dst_unused:UNUSED_PAD src0_sel:DWORD src1_sel:WORD_1
	global_store_short v[3:4], v13, off
	s_or_b64 exec, exec, s[8:9]
	s_and_saveexec_b64 s[0:1], s[2:3]
	s_cbranch_execz .LBB31_14
.LBB31_18:                              ;   in Loop: Header=BB31_4 Depth=1
	v_bfe_u32 v13, v12, 16, 1
	v_add3_u32 v13, v12, v13, s27
	v_cmp_o_f32_e32 vcc, v12, v12
	v_cndmask_b32_sdwa v14, v11, v13, vcc dst_sel:DWORD dst_unused:UNUSED_PAD src0_sel:DWORD src1_sel:WORD_1
	v_add_co_u32_e32 v12, vcc, s24, v1
	v_addc_co_u32_e32 v13, vcc, 0, v2, vcc
	global_store_short v[12:13], v14, off
	s_or_b64 exec, exec, s[0:1]
	s_and_saveexec_b64 s[0:1], s[6:7]
	s_cbranch_execz .LBB31_3
.LBB31_19:                              ;   in Loop: Header=BB31_4 Depth=1
	v_bfe_u32 v12, v15, 16, 1
	v_add3_u32 v12, v15, v12, s27
	v_cmp_o_f32_e32 vcc, v15, v15
	v_cndmask_b32_sdwa v14, v11, v12, vcc dst_sel:DWORD dst_unused:UNUSED_PAD src0_sel:DWORD src1_sel:WORD_1
	v_add_co_u32_e32 v12, vcc, s26, v1
	v_addc_co_u32_e32 v13, vcc, 0, v2, vcc
	global_store_short v[12:13], v14, off
	s_branch .LBB31_3
.LBB31_20:
	s_cbranch_execz .LBB31_22
	s_branch .LBB31_25
.LBB31_21:
.LBB31_22:
	v_mov_b32_e32 v1, 0x10000
	v_mov_b32_e32 v2, 0
	v_cmp_lt_i64_e32 vcc, s[14:15], v[1:2]
	v_mov_b32_e32 v2, 0
	s_and_b64 s[0:1], vcc, exec
	s_cselect_b32 s1, s15, 0
	s_cselect_b32 s0, s14, 0x10000
	v_lshlrev_b32_e32 v1, 2, v0
	v_cmp_gt_i64_e32 vcc, s[0:1], v[1:2]
	s_and_saveexec_b64 s[2:3], vcc
	s_cbranch_execz .LBB31_25
; %bb.23:
	s_load_dword s2, s[4:5], 0xd3c
	v_mov_b32_e32 v1, v2
	v_lshlrev_b32_e32 v2, 3, v0
	s_movk_i32 s6, 0x7fff
	v_mov_b32_e32 v4, 0x7fc00000
	s_waitcnt lgkmcnt(0)
	s_and_b32 s4, s2, 0xffff
	s_add_u32 s2, s10, s12
	s_addc_u32 s3, s11, s13
	v_mov_b32_e32 v3, s3
	v_add_co_u32_e32 v2, vcc, s2, v2
	v_addc_co_u32_e32 v3, vcc, 0, v3, vcc
	s_lshl_b32 s5, s4, 3
	s_mov_b64 s[2:3], 0
	v_mov_b32_e32 v5, 0x7fc0
.LBB31_24:                              ; =>This Inner Loop Header: Depth=1
	global_load_dwordx2 v[6:7], v[2:3], off
	v_add_co_u32_e32 v0, vcc, s4, v0
	v_addc_co_u32_e32 v1, vcc, 0, v1, vcc
	v_lshlrev_b64 v[8:9], 2, v[0:1]
	v_cmp_le_i64_e32 vcc, s[0:1], v[8:9]
	s_or_b64 s[2:3], vcc, s[2:3]
	s_waitcnt vmcnt(0)
	v_and_b32_e32 v8, 0xffff0000, v6
	v_lshlrev_b32_e32 v9, 16, v6
	v_alignbit_b32 v6, v7, v6, 16
	v_and_b32_e32 v7, 0xffff0000, v7
	v_floor_f32_e32 v7, v7
	v_floor_f32_e32 v8, v8
	v_bfe_u32 v12, v7, 16, 1
	v_floor_f32_e32 v9, v9
	v_and_b32_e32 v6, 0xffff0000, v6
	v_bfe_u32 v11, v8, 16, 1
	v_add3_u32 v12, v7, v12, s6
	v_bfe_u32 v10, v9, 16, 1
	v_floor_f32_e32 v6, v6
	v_add3_u32 v11, v8, v11, s6
	v_and_b32_e32 v12, 0xffff0000, v12
	v_cmp_o_f32_e32 vcc, v7, v7
	v_add3_u32 v10, v9, v10, s6
	v_bfe_u32 v13, v6, 16, 1
	v_and_b32_e32 v11, 0xffff0000, v11
	v_cndmask_b32_e32 v7, v4, v12, vcc
	v_cmp_o_f32_e32 vcc, v8, v8
	v_lshrrev_b32_e32 v10, 16, v10
	v_add3_u32 v13, v6, v13, s6
	v_cndmask_b32_e32 v8, v4, v11, vcc
	v_cmp_o_f32_e32 vcc, v9, v9
	v_lshrrev_b32_e32 v13, 16, v13
	v_cndmask_b32_e32 v9, v5, v10, vcc
	v_cmp_o_f32_e32 vcc, v6, v6
	v_cndmask_b32_e32 v6, v5, v13, vcc
	v_or_b32_e32 v8, v9, v8
	v_or3_b32 v7, 0, v6, v7
	v_or3_b32 v6, v8, 0, 0
	global_store_dwordx2 v[2:3], v[6:7], off
	v_add_co_u32_e32 v2, vcc, s5, v2
	v_addc_co_u32_e32 v3, vcc, 0, v3, vcc
	s_andn2_b64 exec, exec, s[2:3]
	s_cbranch_execnz .LBB31_24
.LBB31_25:
	s_endpgm
	.section	.rodata,"a",@progbits
	.p2align	6, 0x0
	.amdhsa_kernel _ZN2at6native12_GLOBAL__N_125multi_tensor_apply_kernelINS1_18TensorListMetadataILi1EEENS1_14UnaryOpFunctorIN3c108BFloat16ELi1ELi1ELi0EEEJNS0_5FloorIfEEEEEvT_T0_DpT1_
		.amdhsa_group_segment_fixed_size 0
		.amdhsa_private_segment_fixed_size 0
		.amdhsa_kernarg_size 3632
		.amdhsa_user_sgpr_count 6
		.amdhsa_user_sgpr_private_segment_buffer 1
		.amdhsa_user_sgpr_dispatch_ptr 0
		.amdhsa_user_sgpr_queue_ptr 0
		.amdhsa_user_sgpr_kernarg_segment_ptr 1
		.amdhsa_user_sgpr_dispatch_id 0
		.amdhsa_user_sgpr_flat_scratch_init 0
		.amdhsa_user_sgpr_private_segment_size 0
		.amdhsa_uses_dynamic_stack 0
		.amdhsa_system_sgpr_private_segment_wavefront_offset 0
		.amdhsa_system_sgpr_workgroup_id_x 1
		.amdhsa_system_sgpr_workgroup_id_y 0
		.amdhsa_system_sgpr_workgroup_id_z 0
		.amdhsa_system_sgpr_workgroup_info 0
		.amdhsa_system_vgpr_workitem_id 0
		.amdhsa_next_free_vgpr 17
		.amdhsa_next_free_sgpr 28
		.amdhsa_reserve_vcc 1
		.amdhsa_reserve_flat_scratch 0
		.amdhsa_float_round_mode_32 0
		.amdhsa_float_round_mode_16_64 0
		.amdhsa_float_denorm_mode_32 3
		.amdhsa_float_denorm_mode_16_64 3
		.amdhsa_dx10_clamp 1
		.amdhsa_ieee_mode 1
		.amdhsa_fp16_overflow 0
		.amdhsa_exception_fp_ieee_invalid_op 0
		.amdhsa_exception_fp_denorm_src 0
		.amdhsa_exception_fp_ieee_div_zero 0
		.amdhsa_exception_fp_ieee_overflow 0
		.amdhsa_exception_fp_ieee_underflow 0
		.amdhsa_exception_fp_ieee_inexact 0
		.amdhsa_exception_int_div_zero 0
	.end_amdhsa_kernel
	.section	.text._ZN2at6native12_GLOBAL__N_125multi_tensor_apply_kernelINS1_18TensorListMetadataILi1EEENS1_14UnaryOpFunctorIN3c108BFloat16ELi1ELi1ELi0EEEJNS0_5FloorIfEEEEEvT_T0_DpT1_,"axG",@progbits,_ZN2at6native12_GLOBAL__N_125multi_tensor_apply_kernelINS1_18TensorListMetadataILi1EEENS1_14UnaryOpFunctorIN3c108BFloat16ELi1ELi1ELi0EEEJNS0_5FloorIfEEEEEvT_T0_DpT1_,comdat
.Lfunc_end31:
	.size	_ZN2at6native12_GLOBAL__N_125multi_tensor_apply_kernelINS1_18TensorListMetadataILi1EEENS1_14UnaryOpFunctorIN3c108BFloat16ELi1ELi1ELi0EEEJNS0_5FloorIfEEEEEvT_T0_DpT1_, .Lfunc_end31-_ZN2at6native12_GLOBAL__N_125multi_tensor_apply_kernelINS1_18TensorListMetadataILi1EEENS1_14UnaryOpFunctorIN3c108BFloat16ELi1ELi1ELi0EEEJNS0_5FloorIfEEEEEvT_T0_DpT1_
                                        ; -- End function
	.set _ZN2at6native12_GLOBAL__N_125multi_tensor_apply_kernelINS1_18TensorListMetadataILi1EEENS1_14UnaryOpFunctorIN3c108BFloat16ELi1ELi1ELi0EEEJNS0_5FloorIfEEEEEvT_T0_DpT1_.num_vgpr, 17
	.set _ZN2at6native12_GLOBAL__N_125multi_tensor_apply_kernelINS1_18TensorListMetadataILi1EEENS1_14UnaryOpFunctorIN3c108BFloat16ELi1ELi1ELi0EEEJNS0_5FloorIfEEEEEvT_T0_DpT1_.num_agpr, 0
	.set _ZN2at6native12_GLOBAL__N_125multi_tensor_apply_kernelINS1_18TensorListMetadataILi1EEENS1_14UnaryOpFunctorIN3c108BFloat16ELi1ELi1ELi0EEEJNS0_5FloorIfEEEEEvT_T0_DpT1_.numbered_sgpr, 28
	.set _ZN2at6native12_GLOBAL__N_125multi_tensor_apply_kernelINS1_18TensorListMetadataILi1EEENS1_14UnaryOpFunctorIN3c108BFloat16ELi1ELi1ELi0EEEJNS0_5FloorIfEEEEEvT_T0_DpT1_.num_named_barrier, 0
	.set _ZN2at6native12_GLOBAL__N_125multi_tensor_apply_kernelINS1_18TensorListMetadataILi1EEENS1_14UnaryOpFunctorIN3c108BFloat16ELi1ELi1ELi0EEEJNS0_5FloorIfEEEEEvT_T0_DpT1_.private_seg_size, 0
	.set _ZN2at6native12_GLOBAL__N_125multi_tensor_apply_kernelINS1_18TensorListMetadataILi1EEENS1_14UnaryOpFunctorIN3c108BFloat16ELi1ELi1ELi0EEEJNS0_5FloorIfEEEEEvT_T0_DpT1_.uses_vcc, 1
	.set _ZN2at6native12_GLOBAL__N_125multi_tensor_apply_kernelINS1_18TensorListMetadataILi1EEENS1_14UnaryOpFunctorIN3c108BFloat16ELi1ELi1ELi0EEEJNS0_5FloorIfEEEEEvT_T0_DpT1_.uses_flat_scratch, 0
	.set _ZN2at6native12_GLOBAL__N_125multi_tensor_apply_kernelINS1_18TensorListMetadataILi1EEENS1_14UnaryOpFunctorIN3c108BFloat16ELi1ELi1ELi0EEEJNS0_5FloorIfEEEEEvT_T0_DpT1_.has_dyn_sized_stack, 0
	.set _ZN2at6native12_GLOBAL__N_125multi_tensor_apply_kernelINS1_18TensorListMetadataILi1EEENS1_14UnaryOpFunctorIN3c108BFloat16ELi1ELi1ELi0EEEJNS0_5FloorIfEEEEEvT_T0_DpT1_.has_recursion, 0
	.set _ZN2at6native12_GLOBAL__N_125multi_tensor_apply_kernelINS1_18TensorListMetadataILi1EEENS1_14UnaryOpFunctorIN3c108BFloat16ELi1ELi1ELi0EEEJNS0_5FloorIfEEEEEvT_T0_DpT1_.has_indirect_call, 0
	.section	.AMDGPU.csdata,"",@progbits
; Kernel info:
; codeLenInByte = 1308
; TotalNumSgprs: 32
; NumVgprs: 17
; ScratchSize: 0
; MemoryBound: 0
; FloatMode: 240
; IeeeMode: 1
; LDSByteSize: 0 bytes/workgroup (compile time only)
; SGPRBlocks: 3
; VGPRBlocks: 4
; NumSGPRsForWavesPerEU: 32
; NumVGPRsForWavesPerEU: 17
; Occupancy: 10
; WaveLimiterHint : 0
; COMPUTE_PGM_RSRC2:SCRATCH_EN: 0
; COMPUTE_PGM_RSRC2:USER_SGPR: 6
; COMPUTE_PGM_RSRC2:TRAP_HANDLER: 0
; COMPUTE_PGM_RSRC2:TGID_X_EN: 1
; COMPUTE_PGM_RSRC2:TGID_Y_EN: 0
; COMPUTE_PGM_RSRC2:TGID_Z_EN: 0
; COMPUTE_PGM_RSRC2:TIDIG_COMP_CNT: 0
	.section	.text._ZN2at6native12_GLOBAL__N_125multi_tensor_apply_kernelINS1_18TensorListMetadataILi2EEENS1_14UnaryOpFunctorIdLi2ELi1ELi1EEEJNS0_4CeilIdEEEEEvT_T0_DpT1_,"axG",@progbits,_ZN2at6native12_GLOBAL__N_125multi_tensor_apply_kernelINS1_18TensorListMetadataILi2EEENS1_14UnaryOpFunctorIdLi2ELi1ELi1EEEJNS0_4CeilIdEEEEEvT_T0_DpT1_,comdat
	.globl	_ZN2at6native12_GLOBAL__N_125multi_tensor_apply_kernelINS1_18TensorListMetadataILi2EEENS1_14UnaryOpFunctorIdLi2ELi1ELi1EEEJNS0_4CeilIdEEEEEvT_T0_DpT1_ ; -- Begin function _ZN2at6native12_GLOBAL__N_125multi_tensor_apply_kernelINS1_18TensorListMetadataILi2EEENS1_14UnaryOpFunctorIdLi2ELi1ELi1EEEJNS0_4CeilIdEEEEEvT_T0_DpT1_
	.p2align	8
	.type	_ZN2at6native12_GLOBAL__N_125multi_tensor_apply_kernelINS1_18TensorListMetadataILi2EEENS1_14UnaryOpFunctorIdLi2ELi1ELi1EEEJNS0_4CeilIdEEEEEvT_T0_DpT1_,@function
_ZN2at6native12_GLOBAL__N_125multi_tensor_apply_kernelINS1_18TensorListMetadataILi2EEENS1_14UnaryOpFunctorIdLi2ELi1ELi1EEEJNS0_4CeilIdEEEEEvT_T0_DpT1_: ; @_ZN2at6native12_GLOBAL__N_125multi_tensor_apply_kernelINS1_18TensorListMetadataILi2EEENS1_14UnaryOpFunctorIdLi2ELi1ELi1EEEJNS0_4CeilIdEEEEEvT_T0_DpT1_
; %bb.0:
	v_mov_b32_e32 v1, s6
	global_load_ubyte v1, v1, s[4:5] offset:1536
	s_add_u32 s0, s4, s6
	s_mul_hi_u32 s1, s6, 3
	s_mul_i32 s6, s6, 3
	s_addc_u32 s2, s5, 0
	s_add_u32 s0, s0, s6
	s_addc_u32 s1, s2, s1
	s_load_dword s6, s[0:1], 0x740
	s_mov_b32 s11, 0
	s_mov_b32 s13, s11
	s_waitcnt vmcnt(0)
	v_readfirstlane_b32 s0, v1
	s_lshl_b32 s7, s0, 3
	s_load_dwordx2 s[14:15], s[4:5], s7 offset:0x400
	s_load_dwordx2 s[2:3], s[4:5], s7 offset:0x0
	;; [unrolled: 1-line block ×3, first 2 shown]
	s_waitcnt lgkmcnt(0)
	s_ashr_i32 s7, s6, 31
	s_lshl_b64 s[8:9], s[6:7], 19
	s_lshl_b64 s[6:7], s[6:7], 16
	s_add_u32 s10, s2, s8
	s_and_b32 s12, s0, 31
	s_and_b32 s10, s10, 31
	s_sub_u32 s6, s14, s6
	s_subb_u32 s7, s15, s7
	s_and_b32 s14, s14, 3
	s_mov_b32 s15, s11
	s_or_b64 s[12:13], s[12:13], s[14:15]
	s_or_b64 s[10:11], s[12:13], s[10:11]
	s_cmp_eq_u64 s[10:11], 0
	s_mov_b64 s[10:11], -1
	s_cbranch_scc0 .LBB32_5
; %bb.1:
	v_mov_b32_e32 v1, 0x10000
	v_mov_b32_e32 v2, 0
	v_cmp_lt_i64_e32 vcc, s[6:7], v[1:2]
	v_mov_b32_e32 v2, 0
	s_and_b64 s[10:11], vcc, exec
	s_cselect_b32 s11, s7, 0
	s_cselect_b32 s10, s6, 0x10000
	v_lshlrev_b32_e32 v1, 2, v0
	v_cmp_gt_i64_e32 vcc, s[10:11], v[1:2]
	s_and_saveexec_b64 s[12:13], vcc
	s_cbranch_execz .LBB32_4
; %bb.2:
	s_load_dword s14, s[4:5], 0xc5c
	v_mov_b32_e32 v1, v2
	v_lshlrev_b32_e32 v2, 5, v0
	v_mov_b32_e32 v4, s9
	v_add_co_u32_e32 v3, vcc, s8, v2
	s_waitcnt lgkmcnt(0)
	s_and_b32 s16, s14, 0xffff
	v_mov_b32_e32 v2, v1
	v_addc_co_u32_e32 v4, vcc, 0, v4, vcc
	s_lshl_b32 s17, s16, 5
	s_mov_b64 s[14:15], 0
	v_mov_b32_e32 v5, s3
	v_mov_b32_e32 v6, s1
	;; [unrolled: 1-line block ×3, first 2 shown]
.LBB32_3:                               ; =>This Inner Loop Header: Depth=1
	v_add_co_u32_e32 v15, vcc, s2, v3
	v_addc_co_u32_e32 v16, vcc, v5, v4, vcc
	global_load_dwordx4 v[7:10], v[15:16], off
	global_load_dwordx4 v[11:14], v[15:16], off offset:16
	v_add_co_u32_e32 v15, vcc, s0, v3
	v_addc_co_u32_e32 v16, vcc, v6, v4, vcc
	v_add_co_u32_e32 v1, vcc, s16, v1
	v_addc_co_u32_e32 v2, vcc, 0, v2, vcc
	v_add_co_u32_e32 v3, vcc, s17, v3
	v_lshlrev_b64 v[17:18], 2, v[1:2]
	v_addc_co_u32_e32 v4, vcc, 0, v4, vcc
	v_cmp_le_i64_e32 vcc, s[10:11], v[17:18]
	s_or_b64 s[14:15], vcc, s[14:15]
	s_waitcnt vmcnt(1)
	v_ceil_f64_e32 v[7:8], v[7:8]
	v_ceil_f64_e32 v[9:10], v[9:10]
	s_waitcnt vmcnt(0)
	v_ceil_f64_e32 v[11:12], v[11:12]
	v_ceil_f64_e32 v[13:14], v[13:14]
	global_store_dwordx4 v[15:16], v[7:10], off
	global_store_dwordx4 v[15:16], v[11:14], off offset:16
	s_andn2_b64 exec, exec, s[14:15]
	s_cbranch_execnz .LBB32_3
.LBB32_4:
	s_or_b64 exec, exec, s[12:13]
	s_mov_b64 s[10:11], 0
.LBB32_5:
	s_andn2_b64 vcc, exec, s[10:11]
	s_cbranch_vccnz .LBB32_25
; %bb.6:
	v_cmp_lt_i64_e64 s[10:11], s[6:7], 1
	s_and_b64 vcc, exec, s[10:11]
	s_cbranch_vccnz .LBB32_25
; %bb.7:
	v_mov_b32_e32 v1, 0x10000
	s_load_dword s12, s[4:5], 0xc5c
	v_mov_b32_e32 v2, 0
	v_cmp_lt_i64_e32 vcc, s[6:7], v[1:2]
	v_mov_b32_e32 v3, 0
	s_and_b64 s[4:5], vcc, exec
	v_cmp_lt_u64_e32 vcc, s[6:7], v[1:2]
	s_cselect_b32 s11, s7, 0
	s_cselect_b32 s10, s6, 0x10000
	s_waitcnt lgkmcnt(0)
	s_and_b32 s14, s12, 0xffff
	v_lshlrev_b32_e32 v2, 3, v0
	s_and_b64 s[4:5], vcc, exec
	v_mov_b32_e32 v1, s3
	v_add_co_u32_e32 v9, vcc, s2, v2
	v_mad_u64_u32 v[3:4], s[4:5], s14, 24, v[2:3]
	v_addc_co_u32_e32 v10, vcc, 0, v1, vcc
	v_mov_b32_e32 v1, s1
	v_add_co_u32_e32 v11, vcc, s0, v2
	v_addc_co_u32_e32 v12, vcc, 0, v1, vcc
	v_mov_b32_e32 v1, s3
	v_add_co_u32_e32 v13, vcc, s2, v3
	;; [unrolled: 3-line block ×3, first 2 shown]
	s_cselect_b32 s13, s7, 0
	s_cselect_b32 s12, s6, 0x10000
	v_addc_co_u32_e32 v16, vcc, v1, v4, vcc
	s_lshl_b32 s4, s14, 4
	v_add_co_u32_e32 v1, vcc, s4, v2
	v_addc_co_u32_e64 v2, s[4:5], 0, 0, vcc
	v_mov_b32_e32 v3, s3
	v_add_co_u32_e32 v17, vcc, s2, v1
	v_addc_co_u32_e32 v18, vcc, v3, v2, vcc
	v_mov_b32_e32 v3, s1
	v_add_co_u32_e32 v19, vcc, s0, v1
	v_addc_co_u32_e32 v20, vcc, v3, v2, vcc
	v_add_co_u32_e32 v21, vcc, s14, v0
	v_lshlrev_b32_e32 v1, 3, v21
	v_addc_co_u32_e64 v22, s[4:5], 0, 0, vcc
	v_mov_b32_e32 v2, s3
	v_add_co_u32_e32 v23, vcc, s2, v1
	v_addc_co_u32_e32 v24, vcc, 0, v2, vcc
	v_mov_b32_e32 v2, s1
	v_add_co_u32_e32 v25, vcc, s0, v1
	s_mul_i32 s7, s14, 3
	v_addc_co_u32_e32 v26, vcc, 0, v2, vcc
	s_lshl_b32 s6, s14, 1
	v_add_co_u32_e32 v27, vcc, s7, v0
	v_addc_co_u32_e64 v28, s[0:1], 0, 0, vcc
	v_add_co_u32_e32 v29, vcc, s6, v0
	s_lshl_b32 s18, s14, 2
	s_lshl_b32 s19, s14, 5
	s_mov_b64 s[14:15], 0
	v_addc_co_u32_e64 v30, s[0:1], 0, 0, vcc
	s_branch .LBB32_9
.LBB32_8:                               ;   in Loop: Header=BB32_9 Depth=1
	s_or_b64 exec, exec, s[0:1]
	v_add_co_u32_e32 v9, vcc, s19, v9
	v_addc_co_u32_e32 v10, vcc, 0, v10, vcc
	v_add_co_u32_e32 v11, vcc, s19, v11
	v_addc_co_u32_e32 v12, vcc, 0, v12, vcc
	;; [unrolled: 2-line block ×6, first 2 shown]
	s_add_u32 s14, s14, s18
	v_add_co_u32_e32 v23, vcc, s19, v23
	v_mov_b32_e32 v1, s10
	s_addc_u32 s15, s15, 0
	v_addc_co_u32_e32 v24, vcc, 0, v24, vcc
	v_mov_b32_e32 v2, s11
	v_cmp_ge_i64_e32 vcc, s[14:15], v[1:2]
	v_add_co_u32_e64 v25, s[0:1], s19, v25
	v_addc_co_u32_e64 v26, s[0:1], 0, v26, s[0:1]
	s_cbranch_vccnz .LBB32_25
.LBB32_9:                               ; =>This Inner Loop Header: Depth=1
	v_mov_b32_e32 v2, s15
	v_add_co_u32_e32 v1, vcc, s14, v0
	v_addc_co_u32_e32 v2, vcc, 0, v2, vcc
	v_cmp_gt_u64_e32 vcc, s[12:13], v[1:2]
	v_mov_b32_e32 v1, 0
	v_mov_b32_e32 v3, 0
	;; [unrolled: 1-line block ×4, first 2 shown]
	s_and_saveexec_b64 s[2:3], vcc
	s_cbranch_execz .LBB32_11
; %bb.10:                               ;   in Loop: Header=BB32_9 Depth=1
	v_mov_b32_e32 v4, s9
	v_add_co_u32_e64 v3, s[0:1], s8, v9
	v_addc_co_u32_e64 v4, s[0:1], v10, v4, s[0:1]
	global_load_dwordx2 v[3:4], v[3:4], off
	s_waitcnt vmcnt(0)
	v_ceil_f64_e32 v[3:4], v[3:4]
.LBB32_11:                              ;   in Loop: Header=BB32_9 Depth=1
	s_or_b64 exec, exec, s[2:3]
	v_mov_b32_e32 v6, s15
	v_add_co_u32_e64 v5, s[0:1], s14, v21
	v_addc_co_u32_e64 v6, s[0:1], v22, v6, s[0:1]
	v_cmp_gt_u64_e64 s[0:1], s[12:13], v[5:6]
	s_and_saveexec_b64 s[4:5], s[0:1]
	s_cbranch_execz .LBB32_13
; %bb.12:                               ;   in Loop: Header=BB32_9 Depth=1
	v_mov_b32_e32 v2, s9
	v_add_co_u32_e64 v1, s[2:3], s8, v23
	v_addc_co_u32_e64 v2, s[2:3], v24, v2, s[2:3]
	global_load_dwordx2 v[1:2], v[1:2], off
	s_waitcnt vmcnt(0)
	v_ceil_f64_e32 v[1:2], v[1:2]
.LBB32_13:                              ;   in Loop: Header=BB32_9 Depth=1
	s_or_b64 exec, exec, s[4:5]
	v_mov_b32_e32 v6, s15
	v_add_co_u32_e64 v5, s[2:3], s14, v29
	v_addc_co_u32_e64 v6, s[2:3], v30, v6, s[2:3]
	v_cmp_gt_u64_e64 s[2:3], s[12:13], v[5:6]
	v_mov_b32_e32 v5, 0
	v_mov_b32_e32 v7, 0
	;; [unrolled: 1-line block ×4, first 2 shown]
	s_and_saveexec_b64 s[6:7], s[2:3]
	s_cbranch_execz .LBB32_15
; %bb.14:                               ;   in Loop: Header=BB32_9 Depth=1
	v_mov_b32_e32 v8, s9
	v_add_co_u32_e64 v7, s[4:5], s8, v17
	v_addc_co_u32_e64 v8, s[4:5], v18, v8, s[4:5]
	global_load_dwordx2 v[7:8], v[7:8], off
	s_waitcnt vmcnt(0)
	v_ceil_f64_e32 v[7:8], v[7:8]
.LBB32_15:                              ;   in Loop: Header=BB32_9 Depth=1
	s_or_b64 exec, exec, s[6:7]
	v_mov_b32_e32 v32, s15
	v_add_co_u32_e64 v31, s[4:5], s14, v27
	v_addc_co_u32_e64 v32, s[4:5], v28, v32, s[4:5]
	v_cmp_gt_u64_e64 s[4:5], s[12:13], v[31:32]
	s_and_saveexec_b64 s[16:17], s[4:5]
	s_cbranch_execnz .LBB32_20
; %bb.16:                               ;   in Loop: Header=BB32_9 Depth=1
	s_or_b64 exec, exec, s[16:17]
	s_and_saveexec_b64 s[6:7], vcc
	s_cbranch_execnz .LBB32_21
.LBB32_17:                              ;   in Loop: Header=BB32_9 Depth=1
	s_or_b64 exec, exec, s[6:7]
	s_and_saveexec_b64 s[6:7], s[0:1]
	s_cbranch_execnz .LBB32_22
.LBB32_18:                              ;   in Loop: Header=BB32_9 Depth=1
	s_or_b64 exec, exec, s[6:7]
	s_and_saveexec_b64 s[0:1], s[2:3]
	s_cbranch_execnz .LBB32_23
.LBB32_19:                              ;   in Loop: Header=BB32_9 Depth=1
	s_or_b64 exec, exec, s[0:1]
	s_and_saveexec_b64 s[0:1], s[4:5]
	s_cbranch_execz .LBB32_8
	s_branch .LBB32_24
.LBB32_20:                              ;   in Loop: Header=BB32_9 Depth=1
	v_mov_b32_e32 v6, s9
	v_add_co_u32_e64 v5, s[6:7], s8, v13
	v_addc_co_u32_e64 v6, s[6:7], v14, v6, s[6:7]
	global_load_dwordx2 v[5:6], v[5:6], off
	s_waitcnt vmcnt(0)
	v_ceil_f64_e32 v[5:6], v[5:6]
	s_or_b64 exec, exec, s[16:17]
	s_and_saveexec_b64 s[6:7], vcc
	s_cbranch_execz .LBB32_17
.LBB32_21:                              ;   in Loop: Header=BB32_9 Depth=1
	v_mov_b32_e32 v32, s9
	v_add_co_u32_e32 v31, vcc, s8, v11
	v_addc_co_u32_e32 v32, vcc, v12, v32, vcc
	global_store_dwordx2 v[31:32], v[3:4], off
	s_or_b64 exec, exec, s[6:7]
	s_and_saveexec_b64 s[6:7], s[0:1]
	s_cbranch_execz .LBB32_18
.LBB32_22:                              ;   in Loop: Header=BB32_9 Depth=1
	v_mov_b32_e32 v4, s9
	v_add_co_u32_e32 v3, vcc, s8, v25
	v_addc_co_u32_e32 v4, vcc, v26, v4, vcc
	global_store_dwordx2 v[3:4], v[1:2], off
	s_or_b64 exec, exec, s[6:7]
	s_and_saveexec_b64 s[0:1], s[2:3]
	s_cbranch_execz .LBB32_19
.LBB32_23:                              ;   in Loop: Header=BB32_9 Depth=1
	v_mov_b32_e32 v2, s9
	v_add_co_u32_e32 v1, vcc, s8, v19
	v_addc_co_u32_e32 v2, vcc, v20, v2, vcc
	global_store_dwordx2 v[1:2], v[7:8], off
	s_or_b64 exec, exec, s[0:1]
	s_and_saveexec_b64 s[0:1], s[4:5]
	s_cbranch_execz .LBB32_8
.LBB32_24:                              ;   in Loop: Header=BB32_9 Depth=1
	v_mov_b32_e32 v2, s9
	v_add_co_u32_e32 v1, vcc, s8, v15
	v_addc_co_u32_e32 v2, vcc, v16, v2, vcc
	global_store_dwordx2 v[1:2], v[5:6], off
	s_branch .LBB32_8
.LBB32_25:
	s_endpgm
	.section	.rodata,"a",@progbits
	.p2align	6, 0x0
	.amdhsa_kernel _ZN2at6native12_GLOBAL__N_125multi_tensor_apply_kernelINS1_18TensorListMetadataILi2EEENS1_14UnaryOpFunctorIdLi2ELi1ELi1EEEJNS0_4CeilIdEEEEEvT_T0_DpT1_
		.amdhsa_group_segment_fixed_size 0
		.amdhsa_private_segment_fixed_size 0
		.amdhsa_kernarg_size 3408
		.amdhsa_user_sgpr_count 6
		.amdhsa_user_sgpr_private_segment_buffer 1
		.amdhsa_user_sgpr_dispatch_ptr 0
		.amdhsa_user_sgpr_queue_ptr 0
		.amdhsa_user_sgpr_kernarg_segment_ptr 1
		.amdhsa_user_sgpr_dispatch_id 0
		.amdhsa_user_sgpr_flat_scratch_init 0
		.amdhsa_user_sgpr_private_segment_size 0
		.amdhsa_uses_dynamic_stack 0
		.amdhsa_system_sgpr_private_segment_wavefront_offset 0
		.amdhsa_system_sgpr_workgroup_id_x 1
		.amdhsa_system_sgpr_workgroup_id_y 0
		.amdhsa_system_sgpr_workgroup_id_z 0
		.amdhsa_system_sgpr_workgroup_info 0
		.amdhsa_system_vgpr_workitem_id 0
		.amdhsa_next_free_vgpr 33
		.amdhsa_next_free_sgpr 20
		.amdhsa_reserve_vcc 1
		.amdhsa_reserve_flat_scratch 0
		.amdhsa_float_round_mode_32 0
		.amdhsa_float_round_mode_16_64 0
		.amdhsa_float_denorm_mode_32 3
		.amdhsa_float_denorm_mode_16_64 3
		.amdhsa_dx10_clamp 1
		.amdhsa_ieee_mode 1
		.amdhsa_fp16_overflow 0
		.amdhsa_exception_fp_ieee_invalid_op 0
		.amdhsa_exception_fp_denorm_src 0
		.amdhsa_exception_fp_ieee_div_zero 0
		.amdhsa_exception_fp_ieee_overflow 0
		.amdhsa_exception_fp_ieee_underflow 0
		.amdhsa_exception_fp_ieee_inexact 0
		.amdhsa_exception_int_div_zero 0
	.end_amdhsa_kernel
	.section	.text._ZN2at6native12_GLOBAL__N_125multi_tensor_apply_kernelINS1_18TensorListMetadataILi2EEENS1_14UnaryOpFunctorIdLi2ELi1ELi1EEEJNS0_4CeilIdEEEEEvT_T0_DpT1_,"axG",@progbits,_ZN2at6native12_GLOBAL__N_125multi_tensor_apply_kernelINS1_18TensorListMetadataILi2EEENS1_14UnaryOpFunctorIdLi2ELi1ELi1EEEJNS0_4CeilIdEEEEEvT_T0_DpT1_,comdat
.Lfunc_end32:
	.size	_ZN2at6native12_GLOBAL__N_125multi_tensor_apply_kernelINS1_18TensorListMetadataILi2EEENS1_14UnaryOpFunctorIdLi2ELi1ELi1EEEJNS0_4CeilIdEEEEEvT_T0_DpT1_, .Lfunc_end32-_ZN2at6native12_GLOBAL__N_125multi_tensor_apply_kernelINS1_18TensorListMetadataILi2EEENS1_14UnaryOpFunctorIdLi2ELi1ELi1EEEJNS0_4CeilIdEEEEEvT_T0_DpT1_
                                        ; -- End function
	.set _ZN2at6native12_GLOBAL__N_125multi_tensor_apply_kernelINS1_18TensorListMetadataILi2EEENS1_14UnaryOpFunctorIdLi2ELi1ELi1EEEJNS0_4CeilIdEEEEEvT_T0_DpT1_.num_vgpr, 33
	.set _ZN2at6native12_GLOBAL__N_125multi_tensor_apply_kernelINS1_18TensorListMetadataILi2EEENS1_14UnaryOpFunctorIdLi2ELi1ELi1EEEJNS0_4CeilIdEEEEEvT_T0_DpT1_.num_agpr, 0
	.set _ZN2at6native12_GLOBAL__N_125multi_tensor_apply_kernelINS1_18TensorListMetadataILi2EEENS1_14UnaryOpFunctorIdLi2ELi1ELi1EEEJNS0_4CeilIdEEEEEvT_T0_DpT1_.numbered_sgpr, 20
	.set _ZN2at6native12_GLOBAL__N_125multi_tensor_apply_kernelINS1_18TensorListMetadataILi2EEENS1_14UnaryOpFunctorIdLi2ELi1ELi1EEEJNS0_4CeilIdEEEEEvT_T0_DpT1_.num_named_barrier, 0
	.set _ZN2at6native12_GLOBAL__N_125multi_tensor_apply_kernelINS1_18TensorListMetadataILi2EEENS1_14UnaryOpFunctorIdLi2ELi1ELi1EEEJNS0_4CeilIdEEEEEvT_T0_DpT1_.private_seg_size, 0
	.set _ZN2at6native12_GLOBAL__N_125multi_tensor_apply_kernelINS1_18TensorListMetadataILi2EEENS1_14UnaryOpFunctorIdLi2ELi1ELi1EEEJNS0_4CeilIdEEEEEvT_T0_DpT1_.uses_vcc, 1
	.set _ZN2at6native12_GLOBAL__N_125multi_tensor_apply_kernelINS1_18TensorListMetadataILi2EEENS1_14UnaryOpFunctorIdLi2ELi1ELi1EEEJNS0_4CeilIdEEEEEvT_T0_DpT1_.uses_flat_scratch, 0
	.set _ZN2at6native12_GLOBAL__N_125multi_tensor_apply_kernelINS1_18TensorListMetadataILi2EEENS1_14UnaryOpFunctorIdLi2ELi1ELi1EEEJNS0_4CeilIdEEEEEvT_T0_DpT1_.has_dyn_sized_stack, 0
	.set _ZN2at6native12_GLOBAL__N_125multi_tensor_apply_kernelINS1_18TensorListMetadataILi2EEENS1_14UnaryOpFunctorIdLi2ELi1ELi1EEEJNS0_4CeilIdEEEEEvT_T0_DpT1_.has_recursion, 0
	.set _ZN2at6native12_GLOBAL__N_125multi_tensor_apply_kernelINS1_18TensorListMetadataILi2EEENS1_14UnaryOpFunctorIdLi2ELi1ELi1EEEJNS0_4CeilIdEEEEEvT_T0_DpT1_.has_indirect_call, 0
	.section	.AMDGPU.csdata,"",@progbits
; Kernel info:
; codeLenInByte = 1284
; TotalNumSgprs: 24
; NumVgprs: 33
; ScratchSize: 0
; MemoryBound: 0
; FloatMode: 240
; IeeeMode: 1
; LDSByteSize: 0 bytes/workgroup (compile time only)
; SGPRBlocks: 2
; VGPRBlocks: 8
; NumSGPRsForWavesPerEU: 24
; NumVGPRsForWavesPerEU: 33
; Occupancy: 7
; WaveLimiterHint : 0
; COMPUTE_PGM_RSRC2:SCRATCH_EN: 0
; COMPUTE_PGM_RSRC2:USER_SGPR: 6
; COMPUTE_PGM_RSRC2:TRAP_HANDLER: 0
; COMPUTE_PGM_RSRC2:TGID_X_EN: 1
; COMPUTE_PGM_RSRC2:TGID_Y_EN: 0
; COMPUTE_PGM_RSRC2:TGID_Z_EN: 0
; COMPUTE_PGM_RSRC2:TIDIG_COMP_CNT: 0
	.section	.text._ZN2at6native12_GLOBAL__N_125multi_tensor_apply_kernelINS1_18TensorListMetadataILi2EEENS1_14UnaryOpFunctorIfLi2ELi1ELi1EEEJNS0_4CeilIfEEEEEvT_T0_DpT1_,"axG",@progbits,_ZN2at6native12_GLOBAL__N_125multi_tensor_apply_kernelINS1_18TensorListMetadataILi2EEENS1_14UnaryOpFunctorIfLi2ELi1ELi1EEEJNS0_4CeilIfEEEEEvT_T0_DpT1_,comdat
	.globl	_ZN2at6native12_GLOBAL__N_125multi_tensor_apply_kernelINS1_18TensorListMetadataILi2EEENS1_14UnaryOpFunctorIfLi2ELi1ELi1EEEJNS0_4CeilIfEEEEEvT_T0_DpT1_ ; -- Begin function _ZN2at6native12_GLOBAL__N_125multi_tensor_apply_kernelINS1_18TensorListMetadataILi2EEENS1_14UnaryOpFunctorIfLi2ELi1ELi1EEEJNS0_4CeilIfEEEEEvT_T0_DpT1_
	.p2align	8
	.type	_ZN2at6native12_GLOBAL__N_125multi_tensor_apply_kernelINS1_18TensorListMetadataILi2EEENS1_14UnaryOpFunctorIfLi2ELi1ELi1EEEJNS0_4CeilIfEEEEEvT_T0_DpT1_,@function
_ZN2at6native12_GLOBAL__N_125multi_tensor_apply_kernelINS1_18TensorListMetadataILi2EEENS1_14UnaryOpFunctorIfLi2ELi1ELi1EEEJNS0_4CeilIfEEEEEvT_T0_DpT1_: ; @_ZN2at6native12_GLOBAL__N_125multi_tensor_apply_kernelINS1_18TensorListMetadataILi2EEENS1_14UnaryOpFunctorIfLi2ELi1ELi1EEEJNS0_4CeilIfEEEEEvT_T0_DpT1_
; %bb.0:
	v_mov_b32_e32 v1, s6
	global_load_ubyte v1, v1, s[4:5] offset:1536
	s_add_u32 s0, s4, s6
	s_mul_hi_u32 s1, s6, 3
	s_mul_i32 s6, s6, 3
	s_addc_u32 s2, s5, 0
	s_add_u32 s0, s0, s6
	s_addc_u32 s1, s2, s1
	s_load_dword s6, s[0:1], 0x740
	s_mov_b32 s11, 0
	s_mov_b32 s13, s11
	s_waitcnt vmcnt(0)
	v_readfirstlane_b32 s0, v1
	s_lshl_b32 s7, s0, 3
	s_load_dwordx2 s[14:15], s[4:5], s7 offset:0x400
	s_load_dwordx2 s[2:3], s[4:5], s7 offset:0x0
	;; [unrolled: 1-line block ×3, first 2 shown]
	s_waitcnt lgkmcnt(0)
	s_ashr_i32 s7, s6, 31
	s_lshl_b64 s[8:9], s[6:7], 18
	s_lshl_b64 s[6:7], s[6:7], 16
	s_add_u32 s10, s2, s8
	s_and_b32 s12, s0, 15
	s_and_b32 s10, s10, 15
	s_sub_u32 s6, s14, s6
	s_subb_u32 s7, s15, s7
	s_and_b32 s14, s14, 3
	s_mov_b32 s15, s11
	s_or_b64 s[12:13], s[12:13], s[14:15]
	s_or_b64 s[10:11], s[12:13], s[10:11]
	s_cmp_eq_u64 s[10:11], 0
	s_mov_b64 s[10:11], -1
	s_cbranch_scc0 .LBB33_5
; %bb.1:
	v_mov_b32_e32 v1, 0x10000
	v_mov_b32_e32 v2, 0
	v_cmp_lt_i64_e32 vcc, s[6:7], v[1:2]
	v_mov_b32_e32 v2, 0
	s_and_b64 s[10:11], vcc, exec
	s_cselect_b32 s11, s7, 0
	s_cselect_b32 s10, s6, 0x10000
	v_lshlrev_b32_e32 v1, 2, v0
	v_cmp_gt_i64_e32 vcc, s[10:11], v[1:2]
	s_and_saveexec_b64 s[12:13], vcc
	s_cbranch_execz .LBB33_4
; %bb.2:
	s_load_dword s14, s[4:5], 0xc5c
	v_mov_b32_e32 v1, v2
	v_lshlrev_b32_e32 v2, 4, v0
	v_mov_b32_e32 v4, s9
	v_add_co_u32_e32 v3, vcc, s8, v2
	s_waitcnt lgkmcnt(0)
	s_and_b32 s16, s14, 0xffff
	v_mov_b32_e32 v2, v1
	v_addc_co_u32_e32 v4, vcc, 0, v4, vcc
	s_lshl_b32 s17, s16, 4
	s_mov_b64 s[14:15], 0
	v_mov_b32_e32 v5, s3
	v_mov_b32_e32 v6, s1
	v_mov_b32_e32 v1, v0
.LBB33_3:                               ; =>This Inner Loop Header: Depth=1
	v_add_co_u32_e32 v7, vcc, s2, v3
	v_addc_co_u32_e32 v8, vcc, v5, v4, vcc
	global_load_dwordx4 v[7:10], v[7:8], off
	v_add_co_u32_e32 v11, vcc, s0, v3
	v_addc_co_u32_e32 v12, vcc, v6, v4, vcc
	v_add_co_u32_e32 v1, vcc, s16, v1
	v_addc_co_u32_e32 v2, vcc, 0, v2, vcc
	v_add_co_u32_e32 v3, vcc, s17, v3
	v_lshlrev_b64 v[13:14], 2, v[1:2]
	v_addc_co_u32_e32 v4, vcc, 0, v4, vcc
	v_cmp_le_i64_e32 vcc, s[10:11], v[13:14]
	s_or_b64 s[14:15], vcc, s[14:15]
	s_waitcnt vmcnt(0)
	v_ceil_f32_e32 v7, v7
	v_ceil_f32_e32 v8, v8
	;; [unrolled: 1-line block ×4, first 2 shown]
	global_store_dwordx4 v[11:12], v[7:10], off
	s_andn2_b64 exec, exec, s[14:15]
	s_cbranch_execnz .LBB33_3
.LBB33_4:
	s_or_b64 exec, exec, s[12:13]
	s_mov_b64 s[10:11], 0
.LBB33_5:
	s_andn2_b64 vcc, exec, s[10:11]
	s_cbranch_vccnz .LBB33_25
; %bb.6:
	v_cmp_lt_i64_e64 s[10:11], s[6:7], 1
	s_and_b64 vcc, exec, s[10:11]
	s_cbranch_vccnz .LBB33_25
; %bb.7:
	v_mov_b32_e32 v1, 0x10000
	s_load_dword s12, s[4:5], 0xc5c
	v_mov_b32_e32 v2, 0
	v_cmp_lt_i64_e32 vcc, s[6:7], v[1:2]
	v_mov_b32_e32 v10, 0
	s_and_b64 s[4:5], vcc, exec
	v_cmp_lt_u64_e32 vcc, s[6:7], v[1:2]
	s_cselect_b32 s11, s7, 0
	s_cselect_b32 s10, s6, 0x10000
	s_waitcnt lgkmcnt(0)
	s_and_b32 s14, s12, 0xffff
	v_lshlrev_b32_e32 v9, 2, v0
	s_and_b64 s[4:5], vcc, exec
	v_mov_b32_e32 v2, s3
	v_add_co_u32_e32 v1, vcc, s2, v9
	v_mad_u64_u32 v[7:8], s[4:5], s14, 12, v[9:10]
	v_addc_co_u32_e32 v2, vcc, 0, v2, vcc
	v_mov_b32_e32 v4, s1
	v_add_co_u32_e32 v3, vcc, s0, v9
	v_addc_co_u32_e32 v4, vcc, 0, v4, vcc
	v_mov_b32_e32 v6, s3
	v_add_co_u32_e32 v5, vcc, s2, v7
	;; [unrolled: 3-line block ×3, first 2 shown]
	s_cselect_b32 s13, s7, 0
	s_cselect_b32 s12, s6, 0x10000
	v_addc_co_u32_e32 v8, vcc, v10, v8, vcc
	s_lshl_b32 s4, s14, 3
	v_add_co_u32_e32 v11, vcc, s4, v9
	v_addc_co_u32_e64 v12, s[4:5], 0, 0, vcc
	v_mov_b32_e32 v10, s3
	v_add_co_u32_e32 v9, vcc, s2, v11
	v_addc_co_u32_e32 v10, vcc, v10, v12, vcc
	v_mov_b32_e32 v13, s1
	v_add_co_u32_e32 v11, vcc, s0, v11
	v_addc_co_u32_e32 v12, vcc, v13, v12, vcc
	v_add_co_u32_e32 v13, vcc, s14, v0
	v_lshlrev_b32_e32 v17, 2, v13
	v_addc_co_u32_e64 v14, s[4:5], 0, 0, vcc
	v_mov_b32_e32 v16, s3
	v_add_co_u32_e32 v15, vcc, s2, v17
	v_addc_co_u32_e32 v16, vcc, 0, v16, vcc
	v_mov_b32_e32 v18, s1
	v_add_co_u32_e32 v17, vcc, s0, v17
	s_mul_i32 s7, s14, 3
	v_addc_co_u32_e32 v18, vcc, 0, v18, vcc
	s_lshl_b32 s6, s14, 1
	v_add_co_u32_e32 v19, vcc, s7, v0
	v_addc_co_u32_e64 v20, s[0:1], 0, 0, vcc
	v_add_co_u32_e32 v21, vcc, s6, v0
	s_lshl_b32 s18, s14, 2
	s_lshl_b32 s19, s14, 4
	s_mov_b64 s[14:15], 0
	v_addc_co_u32_e64 v22, s[0:1], 0, 0, vcc
	s_branch .LBB33_9
.LBB33_8:                               ;   in Loop: Header=BB33_9 Depth=1
	s_or_b64 exec, exec, s[0:1]
	v_add_co_u32_e32 v1, vcc, s19, v1
	v_addc_co_u32_e32 v2, vcc, 0, v2, vcc
	v_add_co_u32_e32 v3, vcc, s19, v3
	v_addc_co_u32_e32 v4, vcc, 0, v4, vcc
	;; [unrolled: 2-line block ×6, first 2 shown]
	s_add_u32 s14, s14, s18
	v_add_co_u32_e32 v15, vcc, s19, v15
	v_mov_b32_e32 v24, s11
	s_addc_u32 s15, s15, 0
	v_addc_co_u32_e32 v16, vcc, 0, v16, vcc
	v_mov_b32_e32 v23, s10
	v_cmp_ge_i64_e32 vcc, s[14:15], v[23:24]
	v_add_co_u32_e64 v17, s[0:1], s19, v17
	v_addc_co_u32_e64 v18, s[0:1], 0, v18, s[0:1]
	s_cbranch_vccnz .LBB33_25
.LBB33_9:                               ; =>This Inner Loop Header: Depth=1
	v_mov_b32_e32 v24, s15
	v_add_co_u32_e32 v23, vcc, s14, v0
	v_addc_co_u32_e32 v24, vcc, 0, v24, vcc
	v_cmp_gt_u64_e32 vcc, s[12:13], v[23:24]
	v_mov_b32_e32 v24, 0
	s_and_saveexec_b64 s[2:3], vcc
	s_cbranch_execz .LBB33_11
; %bb.10:                               ;   in Loop: Header=BB33_9 Depth=1
	v_mov_b32_e32 v24, s9
	v_add_co_u32_e64 v23, s[0:1], s8, v1
	v_addc_co_u32_e64 v24, s[0:1], v2, v24, s[0:1]
	global_load_dword v23, v[23:24], off
	s_waitcnt vmcnt(0)
	v_ceil_f32_e32 v24, v23
.LBB33_11:                              ;   in Loop: Header=BB33_9 Depth=1
	s_or_b64 exec, exec, s[2:3]
	v_mov_b32_e32 v23, s15
	v_add_co_u32_e64 v25, s[0:1], s14, v13
	v_addc_co_u32_e64 v26, s[0:1], v14, v23, s[0:1]
	v_cmp_gt_u64_e64 s[0:1], s[12:13], v[25:26]
	v_mov_b32_e32 v23, 0
	v_mov_b32_e32 v25, 0
	s_and_saveexec_b64 s[4:5], s[0:1]
	s_cbranch_execz .LBB33_13
; %bb.12:                               ;   in Loop: Header=BB33_9 Depth=1
	v_mov_b32_e32 v26, s9
	v_add_co_u32_e64 v25, s[2:3], s8, v15
	v_addc_co_u32_e64 v26, s[2:3], v16, v26, s[2:3]
	global_load_dword v25, v[25:26], off
	s_waitcnt vmcnt(0)
	v_ceil_f32_e32 v25, v25
.LBB33_13:                              ;   in Loop: Header=BB33_9 Depth=1
	s_or_b64 exec, exec, s[4:5]
	v_mov_b32_e32 v27, s15
	v_add_co_u32_e64 v26, s[2:3], s14, v21
	v_addc_co_u32_e64 v27, s[2:3], v22, v27, s[2:3]
	v_cmp_gt_u64_e64 s[2:3], s[12:13], v[26:27]
	s_and_saveexec_b64 s[6:7], s[2:3]
	s_cbranch_execz .LBB33_15
; %bb.14:                               ;   in Loop: Header=BB33_9 Depth=1
	v_mov_b32_e32 v23, s9
	v_add_co_u32_e64 v26, s[4:5], s8, v9
	v_addc_co_u32_e64 v27, s[4:5], v10, v23, s[4:5]
	global_load_dword v23, v[26:27], off
	s_waitcnt vmcnt(0)
	v_ceil_f32_e32 v23, v23
.LBB33_15:                              ;   in Loop: Header=BB33_9 Depth=1
	s_or_b64 exec, exec, s[6:7]
	v_mov_b32_e32 v27, s15
	v_add_co_u32_e64 v26, s[4:5], s14, v19
	v_addc_co_u32_e64 v27, s[4:5], v20, v27, s[4:5]
	v_cmp_gt_u64_e64 s[4:5], s[12:13], v[26:27]
	v_mov_b32_e32 v26, 0
	s_and_saveexec_b64 s[16:17], s[4:5]
	s_cbranch_execnz .LBB33_20
; %bb.16:                               ;   in Loop: Header=BB33_9 Depth=1
	s_or_b64 exec, exec, s[16:17]
	s_and_saveexec_b64 s[6:7], vcc
	s_cbranch_execnz .LBB33_21
.LBB33_17:                              ;   in Loop: Header=BB33_9 Depth=1
	s_or_b64 exec, exec, s[6:7]
	s_and_saveexec_b64 s[6:7], s[0:1]
	s_cbranch_execnz .LBB33_22
.LBB33_18:                              ;   in Loop: Header=BB33_9 Depth=1
	s_or_b64 exec, exec, s[6:7]
	s_and_saveexec_b64 s[0:1], s[2:3]
	s_cbranch_execnz .LBB33_23
.LBB33_19:                              ;   in Loop: Header=BB33_9 Depth=1
	s_or_b64 exec, exec, s[0:1]
	s_and_saveexec_b64 s[0:1], s[4:5]
	s_cbranch_execz .LBB33_8
	s_branch .LBB33_24
.LBB33_20:                              ;   in Loop: Header=BB33_9 Depth=1
	v_mov_b32_e32 v27, s9
	v_add_co_u32_e64 v26, s[6:7], s8, v5
	v_addc_co_u32_e64 v27, s[6:7], v6, v27, s[6:7]
	global_load_dword v26, v[26:27], off
	s_waitcnt vmcnt(0)
	v_ceil_f32_e32 v26, v26
	s_or_b64 exec, exec, s[16:17]
	s_and_saveexec_b64 s[6:7], vcc
	s_cbranch_execz .LBB33_17
.LBB33_21:                              ;   in Loop: Header=BB33_9 Depth=1
	v_mov_b32_e32 v28, s9
	v_add_co_u32_e32 v27, vcc, s8, v3
	v_addc_co_u32_e32 v28, vcc, v4, v28, vcc
	global_store_dword v[27:28], v24, off
	s_or_b64 exec, exec, s[6:7]
	s_and_saveexec_b64 s[6:7], s[0:1]
	s_cbranch_execz .LBB33_18
.LBB33_22:                              ;   in Loop: Header=BB33_9 Depth=1
	v_mov_b32_e32 v24, s9
	v_add_co_u32_e32 v27, vcc, s8, v17
	v_addc_co_u32_e32 v28, vcc, v18, v24, vcc
	global_store_dword v[27:28], v25, off
	s_or_b64 exec, exec, s[6:7]
	s_and_saveexec_b64 s[0:1], s[2:3]
	s_cbranch_execz .LBB33_19
.LBB33_23:                              ;   in Loop: Header=BB33_9 Depth=1
	v_mov_b32_e32 v25, s9
	v_add_co_u32_e32 v24, vcc, s8, v11
	v_addc_co_u32_e32 v25, vcc, v12, v25, vcc
	global_store_dword v[24:25], v23, off
	s_or_b64 exec, exec, s[0:1]
	s_and_saveexec_b64 s[0:1], s[4:5]
	s_cbranch_execz .LBB33_8
.LBB33_24:                              ;   in Loop: Header=BB33_9 Depth=1
	v_mov_b32_e32 v24, s9
	v_add_co_u32_e32 v23, vcc, s8, v7
	v_addc_co_u32_e32 v24, vcc, v8, v24, vcc
	global_store_dword v[23:24], v26, off
	s_branch .LBB33_8
.LBB33_25:
	s_endpgm
	.section	.rodata,"a",@progbits
	.p2align	6, 0x0
	.amdhsa_kernel _ZN2at6native12_GLOBAL__N_125multi_tensor_apply_kernelINS1_18TensorListMetadataILi2EEENS1_14UnaryOpFunctorIfLi2ELi1ELi1EEEJNS0_4CeilIfEEEEEvT_T0_DpT1_
		.amdhsa_group_segment_fixed_size 0
		.amdhsa_private_segment_fixed_size 0
		.amdhsa_kernarg_size 3408
		.amdhsa_user_sgpr_count 6
		.amdhsa_user_sgpr_private_segment_buffer 1
		.amdhsa_user_sgpr_dispatch_ptr 0
		.amdhsa_user_sgpr_queue_ptr 0
		.amdhsa_user_sgpr_kernarg_segment_ptr 1
		.amdhsa_user_sgpr_dispatch_id 0
		.amdhsa_user_sgpr_flat_scratch_init 0
		.amdhsa_user_sgpr_private_segment_size 0
		.amdhsa_uses_dynamic_stack 0
		.amdhsa_system_sgpr_private_segment_wavefront_offset 0
		.amdhsa_system_sgpr_workgroup_id_x 1
		.amdhsa_system_sgpr_workgroup_id_y 0
		.amdhsa_system_sgpr_workgroup_id_z 0
		.amdhsa_system_sgpr_workgroup_info 0
		.amdhsa_system_vgpr_workitem_id 0
		.amdhsa_next_free_vgpr 29
		.amdhsa_next_free_sgpr 20
		.amdhsa_reserve_vcc 1
		.amdhsa_reserve_flat_scratch 0
		.amdhsa_float_round_mode_32 0
		.amdhsa_float_round_mode_16_64 0
		.amdhsa_float_denorm_mode_32 3
		.amdhsa_float_denorm_mode_16_64 3
		.amdhsa_dx10_clamp 1
		.amdhsa_ieee_mode 1
		.amdhsa_fp16_overflow 0
		.amdhsa_exception_fp_ieee_invalid_op 0
		.amdhsa_exception_fp_denorm_src 0
		.amdhsa_exception_fp_ieee_div_zero 0
		.amdhsa_exception_fp_ieee_overflow 0
		.amdhsa_exception_fp_ieee_underflow 0
		.amdhsa_exception_fp_ieee_inexact 0
		.amdhsa_exception_int_div_zero 0
	.end_amdhsa_kernel
	.section	.text._ZN2at6native12_GLOBAL__N_125multi_tensor_apply_kernelINS1_18TensorListMetadataILi2EEENS1_14UnaryOpFunctorIfLi2ELi1ELi1EEEJNS0_4CeilIfEEEEEvT_T0_DpT1_,"axG",@progbits,_ZN2at6native12_GLOBAL__N_125multi_tensor_apply_kernelINS1_18TensorListMetadataILi2EEENS1_14UnaryOpFunctorIfLi2ELi1ELi1EEEJNS0_4CeilIfEEEEEvT_T0_DpT1_,comdat
.Lfunc_end33:
	.size	_ZN2at6native12_GLOBAL__N_125multi_tensor_apply_kernelINS1_18TensorListMetadataILi2EEENS1_14UnaryOpFunctorIfLi2ELi1ELi1EEEJNS0_4CeilIfEEEEEvT_T0_DpT1_, .Lfunc_end33-_ZN2at6native12_GLOBAL__N_125multi_tensor_apply_kernelINS1_18TensorListMetadataILi2EEENS1_14UnaryOpFunctorIfLi2ELi1ELi1EEEJNS0_4CeilIfEEEEEvT_T0_DpT1_
                                        ; -- End function
	.set _ZN2at6native12_GLOBAL__N_125multi_tensor_apply_kernelINS1_18TensorListMetadataILi2EEENS1_14UnaryOpFunctorIfLi2ELi1ELi1EEEJNS0_4CeilIfEEEEEvT_T0_DpT1_.num_vgpr, 29
	.set _ZN2at6native12_GLOBAL__N_125multi_tensor_apply_kernelINS1_18TensorListMetadataILi2EEENS1_14UnaryOpFunctorIfLi2ELi1ELi1EEEJNS0_4CeilIfEEEEEvT_T0_DpT1_.num_agpr, 0
	.set _ZN2at6native12_GLOBAL__N_125multi_tensor_apply_kernelINS1_18TensorListMetadataILi2EEENS1_14UnaryOpFunctorIfLi2ELi1ELi1EEEJNS0_4CeilIfEEEEEvT_T0_DpT1_.numbered_sgpr, 20
	.set _ZN2at6native12_GLOBAL__N_125multi_tensor_apply_kernelINS1_18TensorListMetadataILi2EEENS1_14UnaryOpFunctorIfLi2ELi1ELi1EEEJNS0_4CeilIfEEEEEvT_T0_DpT1_.num_named_barrier, 0
	.set _ZN2at6native12_GLOBAL__N_125multi_tensor_apply_kernelINS1_18TensorListMetadataILi2EEENS1_14UnaryOpFunctorIfLi2ELi1ELi1EEEJNS0_4CeilIfEEEEEvT_T0_DpT1_.private_seg_size, 0
	.set _ZN2at6native12_GLOBAL__N_125multi_tensor_apply_kernelINS1_18TensorListMetadataILi2EEENS1_14UnaryOpFunctorIfLi2ELi1ELi1EEEJNS0_4CeilIfEEEEEvT_T0_DpT1_.uses_vcc, 1
	.set _ZN2at6native12_GLOBAL__N_125multi_tensor_apply_kernelINS1_18TensorListMetadataILi2EEENS1_14UnaryOpFunctorIfLi2ELi1ELi1EEEJNS0_4CeilIfEEEEEvT_T0_DpT1_.uses_flat_scratch, 0
	.set _ZN2at6native12_GLOBAL__N_125multi_tensor_apply_kernelINS1_18TensorListMetadataILi2EEENS1_14UnaryOpFunctorIfLi2ELi1ELi1EEEJNS0_4CeilIfEEEEEvT_T0_DpT1_.has_dyn_sized_stack, 0
	.set _ZN2at6native12_GLOBAL__N_125multi_tensor_apply_kernelINS1_18TensorListMetadataILi2EEENS1_14UnaryOpFunctorIfLi2ELi1ELi1EEEJNS0_4CeilIfEEEEEvT_T0_DpT1_.has_recursion, 0
	.set _ZN2at6native12_GLOBAL__N_125multi_tensor_apply_kernelINS1_18TensorListMetadataILi2EEENS1_14UnaryOpFunctorIfLi2ELi1ELi1EEEJNS0_4CeilIfEEEEEvT_T0_DpT1_.has_indirect_call, 0
	.section	.AMDGPU.csdata,"",@progbits
; Kernel info:
; codeLenInByte = 1248
; TotalNumSgprs: 24
; NumVgprs: 29
; ScratchSize: 0
; MemoryBound: 0
; FloatMode: 240
; IeeeMode: 1
; LDSByteSize: 0 bytes/workgroup (compile time only)
; SGPRBlocks: 2
; VGPRBlocks: 7
; NumSGPRsForWavesPerEU: 24
; NumVGPRsForWavesPerEU: 29
; Occupancy: 8
; WaveLimiterHint : 0
; COMPUTE_PGM_RSRC2:SCRATCH_EN: 0
; COMPUTE_PGM_RSRC2:USER_SGPR: 6
; COMPUTE_PGM_RSRC2:TRAP_HANDLER: 0
; COMPUTE_PGM_RSRC2:TGID_X_EN: 1
; COMPUTE_PGM_RSRC2:TGID_Y_EN: 0
; COMPUTE_PGM_RSRC2:TGID_Z_EN: 0
; COMPUTE_PGM_RSRC2:TIDIG_COMP_CNT: 0
	.section	.text._ZN2at6native12_GLOBAL__N_125multi_tensor_apply_kernelINS1_18TensorListMetadataILi2EEENS1_14UnaryOpFunctorIN3c104HalfELi2ELi1ELi1EEEJNS0_4CeilIfEEEEEvT_T0_DpT1_,"axG",@progbits,_ZN2at6native12_GLOBAL__N_125multi_tensor_apply_kernelINS1_18TensorListMetadataILi2EEENS1_14UnaryOpFunctorIN3c104HalfELi2ELi1ELi1EEEJNS0_4CeilIfEEEEEvT_T0_DpT1_,comdat
	.globl	_ZN2at6native12_GLOBAL__N_125multi_tensor_apply_kernelINS1_18TensorListMetadataILi2EEENS1_14UnaryOpFunctorIN3c104HalfELi2ELi1ELi1EEEJNS0_4CeilIfEEEEEvT_T0_DpT1_ ; -- Begin function _ZN2at6native12_GLOBAL__N_125multi_tensor_apply_kernelINS1_18TensorListMetadataILi2EEENS1_14UnaryOpFunctorIN3c104HalfELi2ELi1ELi1EEEJNS0_4CeilIfEEEEEvT_T0_DpT1_
	.p2align	8
	.type	_ZN2at6native12_GLOBAL__N_125multi_tensor_apply_kernelINS1_18TensorListMetadataILi2EEENS1_14UnaryOpFunctorIN3c104HalfELi2ELi1ELi1EEEJNS0_4CeilIfEEEEEvT_T0_DpT1_,@function
_ZN2at6native12_GLOBAL__N_125multi_tensor_apply_kernelINS1_18TensorListMetadataILi2EEENS1_14UnaryOpFunctorIN3c104HalfELi2ELi1ELi1EEEJNS0_4CeilIfEEEEEvT_T0_DpT1_: ; @_ZN2at6native12_GLOBAL__N_125multi_tensor_apply_kernelINS1_18TensorListMetadataILi2EEENS1_14UnaryOpFunctorIN3c104HalfELi2ELi1ELi1EEEJNS0_4CeilIfEEEEEvT_T0_DpT1_
; %bb.0:
	v_mov_b32_e32 v1, s6
	global_load_ubyte v1, v1, s[4:5] offset:1536
	s_add_u32 s0, s4, s6
	s_mul_hi_u32 s1, s6, 3
	s_mul_i32 s6, s6, 3
	s_addc_u32 s2, s5, 0
	s_add_u32 s0, s0, s6
	s_addc_u32 s1, s2, s1
	s_load_dword s6, s[0:1], 0x740
	s_mov_b32 s11, 0
	s_mov_b32 s13, s11
	s_waitcnt vmcnt(0)
	v_readfirstlane_b32 s0, v1
	s_lshl_b32 s7, s0, 3
	s_load_dwordx2 s[14:15], s[4:5], s7 offset:0x400
	s_load_dwordx2 s[2:3], s[4:5], s7 offset:0x0
	;; [unrolled: 1-line block ×3, first 2 shown]
	s_waitcnt lgkmcnt(0)
	s_ashr_i32 s7, s6, 31
	s_lshl_b64 s[8:9], s[6:7], 17
	s_lshl_b64 s[6:7], s[6:7], 16
	s_add_u32 s10, s2, s8
	s_and_b32 s12, s0, 7
	s_and_b32 s10, s10, 7
	s_sub_u32 s6, s14, s6
	s_subb_u32 s7, s15, s7
	s_and_b32 s14, s14, 3
	s_mov_b32 s15, s11
	s_or_b64 s[12:13], s[12:13], s[14:15]
	s_or_b64 s[10:11], s[12:13], s[10:11]
	s_cmp_eq_u64 s[10:11], 0
	s_mov_b64 s[10:11], -1
	s_cbranch_scc0 .LBB34_5
; %bb.1:
	v_mov_b32_e32 v1, 0x10000
	v_mov_b32_e32 v2, 0
	v_cmp_lt_i64_e32 vcc, s[6:7], v[1:2]
	v_mov_b32_e32 v2, 0
	s_and_b64 s[10:11], vcc, exec
	s_cselect_b32 s11, s7, 0
	s_cselect_b32 s10, s6, 0x10000
	v_lshlrev_b32_e32 v1, 2, v0
	v_cmp_gt_i64_e32 vcc, s[10:11], v[1:2]
	s_and_saveexec_b64 s[12:13], vcc
	s_cbranch_execz .LBB34_4
; %bb.2:
	s_load_dword s14, s[4:5], 0xc5c
	v_mov_b32_e32 v1, v2
	v_lshlrev_b32_e32 v2, 3, v0
	v_mov_b32_e32 v4, s9
	v_add_co_u32_e32 v3, vcc, s8, v2
	s_waitcnt lgkmcnt(0)
	s_and_b32 s16, s14, 0xffff
	v_mov_b32_e32 v2, v1
	v_addc_co_u32_e32 v4, vcc, 0, v4, vcc
	s_lshl_b32 s17, s16, 3
	s_mov_b64 s[14:15], 0
	v_mov_b32_e32 v5, s3
	v_mov_b32_e32 v6, s1
	;; [unrolled: 1-line block ×3, first 2 shown]
.LBB34_3:                               ; =>This Inner Loop Header: Depth=1
	v_add_co_u32_e32 v7, vcc, s2, v3
	v_addc_co_u32_e32 v8, vcc, v5, v4, vcc
	global_load_dwordx2 v[7:8], v[7:8], off
	v_add_co_u32_e32 v9, vcc, s0, v3
	v_addc_co_u32_e32 v10, vcc, v6, v4, vcc
	v_add_co_u32_e32 v1, vcc, s16, v1
	v_addc_co_u32_e32 v2, vcc, 0, v2, vcc
	v_add_co_u32_e32 v3, vcc, s17, v3
	v_lshlrev_b64 v[11:12], 2, v[1:2]
	v_addc_co_u32_e32 v4, vcc, 0, v4, vcc
	v_cmp_le_i64_e32 vcc, s[10:11], v[11:12]
	s_or_b64 s[14:15], vcc, s[14:15]
	s_waitcnt vmcnt(0)
	v_ceil_f16_e32 v11, v7
	v_ceil_f16_sdwa v7, v7 dst_sel:DWORD dst_unused:UNUSED_PAD src0_sel:WORD_1
	v_ceil_f16_e32 v12, v8
	v_ceil_f16_sdwa v8, v8 dst_sel:DWORD dst_unused:UNUSED_PAD src0_sel:WORD_1
	v_pack_b32_f16 v8, v12, v8
	v_pack_b32_f16 v7, v11, v7
	global_store_dwordx2 v[9:10], v[7:8], off
	s_andn2_b64 exec, exec, s[14:15]
	s_cbranch_execnz .LBB34_3
.LBB34_4:
	s_or_b64 exec, exec, s[12:13]
	s_mov_b64 s[10:11], 0
.LBB34_5:
	s_andn2_b64 vcc, exec, s[10:11]
	s_cbranch_vccnz .LBB34_25
; %bb.6:
	v_cmp_lt_i64_e64 s[10:11], s[6:7], 1
	s_and_b64 vcc, exec, s[10:11]
	s_cbranch_vccnz .LBB34_25
; %bb.7:
	v_mov_b32_e32 v1, 0x10000
	s_load_dword s12, s[4:5], 0xc5c
	v_mov_b32_e32 v2, 0
	v_cmp_lt_i64_e32 vcc, s[6:7], v[1:2]
	v_mov_b32_e32 v10, 0
	s_and_b64 s[4:5], vcc, exec
	v_cmp_lt_u64_e32 vcc, s[6:7], v[1:2]
	s_cselect_b32 s11, s7, 0
	s_cselect_b32 s10, s6, 0x10000
	s_waitcnt lgkmcnt(0)
	s_and_b32 s14, s12, 0xffff
	v_lshlrev_b32_e32 v9, 1, v0
	s_and_b64 s[4:5], vcc, exec
	v_mov_b32_e32 v2, s3
	v_add_co_u32_e32 v1, vcc, s2, v9
	v_mad_u64_u32 v[7:8], s[4:5], s14, 6, v[9:10]
	v_addc_co_u32_e32 v2, vcc, 0, v2, vcc
	v_mov_b32_e32 v4, s1
	v_add_co_u32_e32 v3, vcc, s0, v9
	v_addc_co_u32_e32 v4, vcc, 0, v4, vcc
	v_mov_b32_e32 v6, s3
	v_add_co_u32_e32 v5, vcc, s2, v7
	v_addc_co_u32_e32 v6, vcc, v6, v8, vcc
	v_mov_b32_e32 v10, s1
	v_add_co_u32_e32 v7, vcc, s0, v7
	s_cselect_b32 s13, s7, 0
	s_cselect_b32 s12, s6, 0x10000
	s_lshl_b32 s18, s14, 2
	v_addc_co_u32_e32 v8, vcc, v10, v8, vcc
	v_add_co_u32_e32 v11, vcc, s18, v9
	v_addc_co_u32_e64 v12, s[4:5], 0, 0, vcc
	v_mov_b32_e32 v10, s3
	v_add_co_u32_e32 v9, vcc, s2, v11
	v_addc_co_u32_e32 v10, vcc, v10, v12, vcc
	v_mov_b32_e32 v13, s1
	v_add_co_u32_e32 v11, vcc, s0, v11
	v_addc_co_u32_e32 v12, vcc, v13, v12, vcc
	v_add_co_u32_e32 v13, vcc, s14, v0
	v_lshlrev_b32_e32 v17, 1, v13
	v_addc_co_u32_e64 v14, s[4:5], 0, 0, vcc
	v_mov_b32_e32 v16, s3
	v_add_co_u32_e32 v15, vcc, s2, v17
	v_addc_co_u32_e32 v16, vcc, 0, v16, vcc
	v_mov_b32_e32 v18, s1
	v_add_co_u32_e32 v17, vcc, s0, v17
	s_mul_i32 s7, s14, 3
	v_addc_co_u32_e32 v18, vcc, 0, v18, vcc
	s_lshl_b32 s6, s14, 1
	v_add_co_u32_e32 v19, vcc, s7, v0
	v_addc_co_u32_e64 v20, s[0:1], 0, 0, vcc
	v_add_co_u32_e32 v21, vcc, s6, v0
	s_lshl_b32 s19, s14, 3
	s_mov_b64 s[14:15], 0
	v_addc_co_u32_e64 v22, s[0:1], 0, 0, vcc
	s_branch .LBB34_9
.LBB34_8:                               ;   in Loop: Header=BB34_9 Depth=1
	s_or_b64 exec, exec, s[0:1]
	v_add_co_u32_e32 v1, vcc, s19, v1
	v_addc_co_u32_e32 v2, vcc, 0, v2, vcc
	v_add_co_u32_e32 v3, vcc, s19, v3
	v_addc_co_u32_e32 v4, vcc, 0, v4, vcc
	;; [unrolled: 2-line block ×6, first 2 shown]
	s_add_u32 s14, s14, s18
	v_add_co_u32_e32 v15, vcc, s19, v15
	v_mov_b32_e32 v24, s11
	s_addc_u32 s15, s15, 0
	v_addc_co_u32_e32 v16, vcc, 0, v16, vcc
	v_mov_b32_e32 v23, s10
	v_cmp_ge_i64_e32 vcc, s[14:15], v[23:24]
	v_add_co_u32_e64 v17, s[0:1], s19, v17
	v_addc_co_u32_e64 v18, s[0:1], 0, v18, s[0:1]
	s_cbranch_vccnz .LBB34_25
.LBB34_9:                               ; =>This Inner Loop Header: Depth=1
	v_mov_b32_e32 v24, s15
	v_add_co_u32_e32 v23, vcc, s14, v0
	v_addc_co_u32_e32 v24, vcc, 0, v24, vcc
	v_cmp_gt_u64_e32 vcc, s[12:13], v[23:24]
	v_mov_b32_e32 v24, 0
	s_and_saveexec_b64 s[2:3], vcc
	s_cbranch_execz .LBB34_11
; %bb.10:                               ;   in Loop: Header=BB34_9 Depth=1
	v_mov_b32_e32 v24, s9
	v_add_co_u32_e64 v23, s[0:1], s8, v1
	v_addc_co_u32_e64 v24, s[0:1], v2, v24, s[0:1]
	global_load_ushort v23, v[23:24], off
	s_waitcnt vmcnt(0)
	v_ceil_f16_e32 v24, v23
.LBB34_11:                              ;   in Loop: Header=BB34_9 Depth=1
	s_or_b64 exec, exec, s[2:3]
	v_mov_b32_e32 v23, s15
	v_add_co_u32_e64 v25, s[0:1], s14, v13
	v_addc_co_u32_e64 v26, s[0:1], v14, v23, s[0:1]
	v_cmp_gt_u64_e64 s[0:1], s[12:13], v[25:26]
	v_mov_b32_e32 v23, 0
	v_mov_b32_e32 v25, 0
	s_and_saveexec_b64 s[4:5], s[0:1]
	s_cbranch_execz .LBB34_13
; %bb.12:                               ;   in Loop: Header=BB34_9 Depth=1
	v_mov_b32_e32 v26, s9
	v_add_co_u32_e64 v25, s[2:3], s8, v15
	v_addc_co_u32_e64 v26, s[2:3], v16, v26, s[2:3]
	global_load_ushort v25, v[25:26], off
	s_waitcnt vmcnt(0)
	v_ceil_f16_e32 v25, v25
.LBB34_13:                              ;   in Loop: Header=BB34_9 Depth=1
	s_or_b64 exec, exec, s[4:5]
	v_mov_b32_e32 v27, s15
	v_add_co_u32_e64 v26, s[2:3], s14, v21
	v_addc_co_u32_e64 v27, s[2:3], v22, v27, s[2:3]
	v_cmp_gt_u64_e64 s[2:3], s[12:13], v[26:27]
	s_and_saveexec_b64 s[6:7], s[2:3]
	s_cbranch_execz .LBB34_15
; %bb.14:                               ;   in Loop: Header=BB34_9 Depth=1
	v_mov_b32_e32 v23, s9
	v_add_co_u32_e64 v26, s[4:5], s8, v9
	v_addc_co_u32_e64 v27, s[4:5], v10, v23, s[4:5]
	global_load_ushort v23, v[26:27], off
	s_waitcnt vmcnt(0)
	v_ceil_f16_e32 v23, v23
.LBB34_15:                              ;   in Loop: Header=BB34_9 Depth=1
	s_or_b64 exec, exec, s[6:7]
	v_mov_b32_e32 v27, s15
	v_add_co_u32_e64 v26, s[4:5], s14, v19
	v_addc_co_u32_e64 v27, s[4:5], v20, v27, s[4:5]
	v_cmp_gt_u64_e64 s[4:5], s[12:13], v[26:27]
	v_mov_b32_e32 v26, 0
	s_and_saveexec_b64 s[16:17], s[4:5]
	s_cbranch_execnz .LBB34_20
; %bb.16:                               ;   in Loop: Header=BB34_9 Depth=1
	s_or_b64 exec, exec, s[16:17]
	s_and_saveexec_b64 s[6:7], vcc
	s_cbranch_execnz .LBB34_21
.LBB34_17:                              ;   in Loop: Header=BB34_9 Depth=1
	s_or_b64 exec, exec, s[6:7]
	s_and_saveexec_b64 s[6:7], s[0:1]
	s_cbranch_execnz .LBB34_22
.LBB34_18:                              ;   in Loop: Header=BB34_9 Depth=1
	s_or_b64 exec, exec, s[6:7]
	s_and_saveexec_b64 s[0:1], s[2:3]
	s_cbranch_execnz .LBB34_23
.LBB34_19:                              ;   in Loop: Header=BB34_9 Depth=1
	s_or_b64 exec, exec, s[0:1]
	s_and_saveexec_b64 s[0:1], s[4:5]
	s_cbranch_execz .LBB34_8
	s_branch .LBB34_24
.LBB34_20:                              ;   in Loop: Header=BB34_9 Depth=1
	v_mov_b32_e32 v27, s9
	v_add_co_u32_e64 v26, s[6:7], s8, v5
	v_addc_co_u32_e64 v27, s[6:7], v6, v27, s[6:7]
	global_load_ushort v26, v[26:27], off
	s_waitcnt vmcnt(0)
	v_ceil_f16_e32 v26, v26
	s_or_b64 exec, exec, s[16:17]
	s_and_saveexec_b64 s[6:7], vcc
	s_cbranch_execz .LBB34_17
.LBB34_21:                              ;   in Loop: Header=BB34_9 Depth=1
	v_mov_b32_e32 v28, s9
	v_add_co_u32_e32 v27, vcc, s8, v3
	v_addc_co_u32_e32 v28, vcc, v4, v28, vcc
	global_store_short v[27:28], v24, off
	s_or_b64 exec, exec, s[6:7]
	s_and_saveexec_b64 s[6:7], s[0:1]
	s_cbranch_execz .LBB34_18
.LBB34_22:                              ;   in Loop: Header=BB34_9 Depth=1
	v_mov_b32_e32 v24, s9
	v_add_co_u32_e32 v27, vcc, s8, v17
	v_addc_co_u32_e32 v28, vcc, v18, v24, vcc
	global_store_short v[27:28], v25, off
	s_or_b64 exec, exec, s[6:7]
	s_and_saveexec_b64 s[0:1], s[2:3]
	s_cbranch_execz .LBB34_19
.LBB34_23:                              ;   in Loop: Header=BB34_9 Depth=1
	v_mov_b32_e32 v25, s9
	v_add_co_u32_e32 v24, vcc, s8, v11
	v_addc_co_u32_e32 v25, vcc, v12, v25, vcc
	global_store_short v[24:25], v23, off
	s_or_b64 exec, exec, s[0:1]
	s_and_saveexec_b64 s[0:1], s[4:5]
	s_cbranch_execz .LBB34_8
.LBB34_24:                              ;   in Loop: Header=BB34_9 Depth=1
	v_mov_b32_e32 v24, s9
	v_add_co_u32_e32 v23, vcc, s8, v7
	v_addc_co_u32_e32 v24, vcc, v8, v24, vcc
	global_store_short v[23:24], v26, off
	s_branch .LBB34_8
.LBB34_25:
	s_endpgm
	.section	.rodata,"a",@progbits
	.p2align	6, 0x0
	.amdhsa_kernel _ZN2at6native12_GLOBAL__N_125multi_tensor_apply_kernelINS1_18TensorListMetadataILi2EEENS1_14UnaryOpFunctorIN3c104HalfELi2ELi1ELi1EEEJNS0_4CeilIfEEEEEvT_T0_DpT1_
		.amdhsa_group_segment_fixed_size 0
		.amdhsa_private_segment_fixed_size 0
		.amdhsa_kernarg_size 3408
		.amdhsa_user_sgpr_count 6
		.amdhsa_user_sgpr_private_segment_buffer 1
		.amdhsa_user_sgpr_dispatch_ptr 0
		.amdhsa_user_sgpr_queue_ptr 0
		.amdhsa_user_sgpr_kernarg_segment_ptr 1
		.amdhsa_user_sgpr_dispatch_id 0
		.amdhsa_user_sgpr_flat_scratch_init 0
		.amdhsa_user_sgpr_private_segment_size 0
		.amdhsa_uses_dynamic_stack 0
		.amdhsa_system_sgpr_private_segment_wavefront_offset 0
		.amdhsa_system_sgpr_workgroup_id_x 1
		.amdhsa_system_sgpr_workgroup_id_y 0
		.amdhsa_system_sgpr_workgroup_id_z 0
		.amdhsa_system_sgpr_workgroup_info 0
		.amdhsa_system_vgpr_workitem_id 0
		.amdhsa_next_free_vgpr 29
		.amdhsa_next_free_sgpr 20
		.amdhsa_reserve_vcc 1
		.amdhsa_reserve_flat_scratch 0
		.amdhsa_float_round_mode_32 0
		.amdhsa_float_round_mode_16_64 0
		.amdhsa_float_denorm_mode_32 3
		.amdhsa_float_denorm_mode_16_64 3
		.amdhsa_dx10_clamp 1
		.amdhsa_ieee_mode 1
		.amdhsa_fp16_overflow 0
		.amdhsa_exception_fp_ieee_invalid_op 0
		.amdhsa_exception_fp_denorm_src 0
		.amdhsa_exception_fp_ieee_div_zero 0
		.amdhsa_exception_fp_ieee_overflow 0
		.amdhsa_exception_fp_ieee_underflow 0
		.amdhsa_exception_fp_ieee_inexact 0
		.amdhsa_exception_int_div_zero 0
	.end_amdhsa_kernel
	.section	.text._ZN2at6native12_GLOBAL__N_125multi_tensor_apply_kernelINS1_18TensorListMetadataILi2EEENS1_14UnaryOpFunctorIN3c104HalfELi2ELi1ELi1EEEJNS0_4CeilIfEEEEEvT_T0_DpT1_,"axG",@progbits,_ZN2at6native12_GLOBAL__N_125multi_tensor_apply_kernelINS1_18TensorListMetadataILi2EEENS1_14UnaryOpFunctorIN3c104HalfELi2ELi1ELi1EEEJNS0_4CeilIfEEEEEvT_T0_DpT1_,comdat
.Lfunc_end34:
	.size	_ZN2at6native12_GLOBAL__N_125multi_tensor_apply_kernelINS1_18TensorListMetadataILi2EEENS1_14UnaryOpFunctorIN3c104HalfELi2ELi1ELi1EEEJNS0_4CeilIfEEEEEvT_T0_DpT1_, .Lfunc_end34-_ZN2at6native12_GLOBAL__N_125multi_tensor_apply_kernelINS1_18TensorListMetadataILi2EEENS1_14UnaryOpFunctorIN3c104HalfELi2ELi1ELi1EEEJNS0_4CeilIfEEEEEvT_T0_DpT1_
                                        ; -- End function
	.set _ZN2at6native12_GLOBAL__N_125multi_tensor_apply_kernelINS1_18TensorListMetadataILi2EEENS1_14UnaryOpFunctorIN3c104HalfELi2ELi1ELi1EEEJNS0_4CeilIfEEEEEvT_T0_DpT1_.num_vgpr, 29
	.set _ZN2at6native12_GLOBAL__N_125multi_tensor_apply_kernelINS1_18TensorListMetadataILi2EEENS1_14UnaryOpFunctorIN3c104HalfELi2ELi1ELi1EEEJNS0_4CeilIfEEEEEvT_T0_DpT1_.num_agpr, 0
	.set _ZN2at6native12_GLOBAL__N_125multi_tensor_apply_kernelINS1_18TensorListMetadataILi2EEENS1_14UnaryOpFunctorIN3c104HalfELi2ELi1ELi1EEEJNS0_4CeilIfEEEEEvT_T0_DpT1_.numbered_sgpr, 20
	.set _ZN2at6native12_GLOBAL__N_125multi_tensor_apply_kernelINS1_18TensorListMetadataILi2EEENS1_14UnaryOpFunctorIN3c104HalfELi2ELi1ELi1EEEJNS0_4CeilIfEEEEEvT_T0_DpT1_.num_named_barrier, 0
	.set _ZN2at6native12_GLOBAL__N_125multi_tensor_apply_kernelINS1_18TensorListMetadataILi2EEENS1_14UnaryOpFunctorIN3c104HalfELi2ELi1ELi1EEEJNS0_4CeilIfEEEEEvT_T0_DpT1_.private_seg_size, 0
	.set _ZN2at6native12_GLOBAL__N_125multi_tensor_apply_kernelINS1_18TensorListMetadataILi2EEENS1_14UnaryOpFunctorIN3c104HalfELi2ELi1ELi1EEEJNS0_4CeilIfEEEEEvT_T0_DpT1_.uses_vcc, 1
	.set _ZN2at6native12_GLOBAL__N_125multi_tensor_apply_kernelINS1_18TensorListMetadataILi2EEENS1_14UnaryOpFunctorIN3c104HalfELi2ELi1ELi1EEEJNS0_4CeilIfEEEEEvT_T0_DpT1_.uses_flat_scratch, 0
	.set _ZN2at6native12_GLOBAL__N_125multi_tensor_apply_kernelINS1_18TensorListMetadataILi2EEENS1_14UnaryOpFunctorIN3c104HalfELi2ELi1ELi1EEEJNS0_4CeilIfEEEEEvT_T0_DpT1_.has_dyn_sized_stack, 0
	.set _ZN2at6native12_GLOBAL__N_125multi_tensor_apply_kernelINS1_18TensorListMetadataILi2EEENS1_14UnaryOpFunctorIN3c104HalfELi2ELi1ELi1EEEJNS0_4CeilIfEEEEEvT_T0_DpT1_.has_recursion, 0
	.set _ZN2at6native12_GLOBAL__N_125multi_tensor_apply_kernelINS1_18TensorListMetadataILi2EEENS1_14UnaryOpFunctorIN3c104HalfELi2ELi1ELi1EEEJNS0_4CeilIfEEEEEvT_T0_DpT1_.has_indirect_call, 0
	.section	.AMDGPU.csdata,"",@progbits
; Kernel info:
; codeLenInByte = 1268
; TotalNumSgprs: 24
; NumVgprs: 29
; ScratchSize: 0
; MemoryBound: 0
; FloatMode: 240
; IeeeMode: 1
; LDSByteSize: 0 bytes/workgroup (compile time only)
; SGPRBlocks: 2
; VGPRBlocks: 7
; NumSGPRsForWavesPerEU: 24
; NumVGPRsForWavesPerEU: 29
; Occupancy: 8
; WaveLimiterHint : 0
; COMPUTE_PGM_RSRC2:SCRATCH_EN: 0
; COMPUTE_PGM_RSRC2:USER_SGPR: 6
; COMPUTE_PGM_RSRC2:TRAP_HANDLER: 0
; COMPUTE_PGM_RSRC2:TGID_X_EN: 1
; COMPUTE_PGM_RSRC2:TGID_Y_EN: 0
; COMPUTE_PGM_RSRC2:TGID_Z_EN: 0
; COMPUTE_PGM_RSRC2:TIDIG_COMP_CNT: 0
	.section	.text._ZN2at6native12_GLOBAL__N_125multi_tensor_apply_kernelINS1_18TensorListMetadataILi2EEENS1_14UnaryOpFunctorIN3c108BFloat16ELi2ELi1ELi1EEEJNS0_4CeilIfEEEEEvT_T0_DpT1_,"axG",@progbits,_ZN2at6native12_GLOBAL__N_125multi_tensor_apply_kernelINS1_18TensorListMetadataILi2EEENS1_14UnaryOpFunctorIN3c108BFloat16ELi2ELi1ELi1EEEJNS0_4CeilIfEEEEEvT_T0_DpT1_,comdat
	.globl	_ZN2at6native12_GLOBAL__N_125multi_tensor_apply_kernelINS1_18TensorListMetadataILi2EEENS1_14UnaryOpFunctorIN3c108BFloat16ELi2ELi1ELi1EEEJNS0_4CeilIfEEEEEvT_T0_DpT1_ ; -- Begin function _ZN2at6native12_GLOBAL__N_125multi_tensor_apply_kernelINS1_18TensorListMetadataILi2EEENS1_14UnaryOpFunctorIN3c108BFloat16ELi2ELi1ELi1EEEJNS0_4CeilIfEEEEEvT_T0_DpT1_
	.p2align	8
	.type	_ZN2at6native12_GLOBAL__N_125multi_tensor_apply_kernelINS1_18TensorListMetadataILi2EEENS1_14UnaryOpFunctorIN3c108BFloat16ELi2ELi1ELi1EEEJNS0_4CeilIfEEEEEvT_T0_DpT1_,@function
_ZN2at6native12_GLOBAL__N_125multi_tensor_apply_kernelINS1_18TensorListMetadataILi2EEENS1_14UnaryOpFunctorIN3c108BFloat16ELi2ELi1ELi1EEEJNS0_4CeilIfEEEEEvT_T0_DpT1_: ; @_ZN2at6native12_GLOBAL__N_125multi_tensor_apply_kernelINS1_18TensorListMetadataILi2EEENS1_14UnaryOpFunctorIN3c108BFloat16ELi2ELi1ELi1EEEJNS0_4CeilIfEEEEEvT_T0_DpT1_
; %bb.0:
	v_mov_b32_e32 v1, s6
	global_load_ubyte v1, v1, s[4:5] offset:1536
	s_add_u32 s0, s4, s6
	s_mul_hi_u32 s2, s6, 3
	s_mul_i32 s6, s6, 3
	s_addc_u32 s7, s5, 0
	s_add_u32 s6, s0, s6
	s_addc_u32 s7, s7, s2
	s_load_dword s10, s[6:7], 0x740
	s_mov_b32 s1, 0
	s_mov_b32 s3, s1
	s_waitcnt lgkmcnt(0)
	s_ashr_i32 s11, s10, 31
	s_lshl_b64 s[8:9], s[10:11], 17
	s_lshl_b64 s[10:11], s[10:11], 16
	s_waitcnt vmcnt(0)
	v_readfirstlane_b32 s0, v1
	s_lshl_b32 s0, s0, 3
	s_load_dwordx2 s[16:17], s[4:5], s0 offset:0x400
	s_load_dwordx2 s[14:15], s[4:5], s0 offset:0x0
	;; [unrolled: 1-line block ×3, first 2 shown]
	s_waitcnt lgkmcnt(0)
	s_add_u32 s0, s14, s8
	s_and_b32 s2, s6, 7
	s_and_b32 s0, s0, 7
	s_sub_u32 s12, s16, s10
	s_subb_u32 s13, s17, s11
	s_and_b32 s10, s16, 3
	s_mov_b32 s11, s1
	s_or_b64 s[2:3], s[2:3], s[10:11]
	s_or_b64 s[0:1], s[2:3], s[0:1]
	s_cmp_eq_u64 s[0:1], 0
	s_mov_b64 s[0:1], -1
	s_cbranch_scc0 .LBB35_5
; %bb.1:
	v_mov_b32_e32 v1, 0x10000
	v_mov_b32_e32 v2, 0
	v_cmp_lt_i64_e32 vcc, s[12:13], v[1:2]
	v_mov_b32_e32 v2, 0
	s_and_b64 s[0:1], vcc, exec
	s_cselect_b32 s11, s13, 0
	s_cselect_b32 s10, s12, 0x10000
	v_lshlrev_b32_e32 v1, 2, v0
	v_cmp_gt_i64_e32 vcc, s[10:11], v[1:2]
	s_and_saveexec_b64 s[16:17], vcc
	s_cbranch_execz .LBB35_4
; %bb.2:
	s_load_dword s0, s[4:5], 0xc5c
	v_mov_b32_e32 v1, v2
	v_lshlrev_b32_e32 v2, 3, v0
	v_mov_b32_e32 v4, s9
	v_add_co_u32_e32 v3, vcc, s8, v2
	s_waitcnt lgkmcnt(0)
	s_and_b32 s20, s0, 0xffff
	v_mov_b32_e32 v2, v1
	v_addc_co_u32_e32 v4, vcc, 0, v4, vcc
	s_lshl_b32 s21, s20, 3
	s_mov_b64 s[18:19], 0
	v_mov_b32_e32 v5, s15
	s_movk_i32 s22, 0x7fff
	v_mov_b32_e32 v6, s7
	v_mov_b32_e32 v7, 0x7fc00000
	;; [unrolled: 1-line block ×4, first 2 shown]
.LBB35_3:                               ; =>This Inner Loop Header: Depth=1
	v_add_co_u32_e32 v9, vcc, s14, v3
	v_addc_co_u32_e32 v10, vcc, v5, v4, vcc
	global_load_dwordx2 v[9:10], v[9:10], off
	v_add_co_u32_e32 v11, vcc, s6, v3
	v_addc_co_u32_e32 v12, vcc, v6, v4, vcc
	v_add_co_u32_e32 v1, vcc, s20, v1
	v_addc_co_u32_e32 v2, vcc, 0, v2, vcc
	v_add_co_u32_e32 v3, vcc, s21, v3
	v_lshlrev_b64 v[13:14], 2, v[1:2]
	v_addc_co_u32_e32 v4, vcc, 0, v4, vcc
	v_cmp_le_i64_e32 vcc, s[10:11], v[13:14]
	s_or_b64 s[18:19], vcc, s[18:19]
	s_waitcnt vmcnt(0)
	v_and_b32_e32 v13, 0xffff0000, v9
	v_lshlrev_b32_e32 v14, 16, v9
	v_alignbit_b32 v9, v10, v9, 16
	v_and_b32_e32 v10, 0xffff0000, v10
	v_ceil_f32_e32 v14, v14
	v_ceil_f32_e32 v13, v13
	v_and_b32_e32 v9, 0xffff0000, v9
	v_ceil_f32_e32 v10, v10
	v_bfe_u32 v15, v14, 16, 1
	v_bfe_u32 v16, v13, 16, 1
	v_ceil_f32_e32 v9, v9
	v_bfe_u32 v17, v10, 16, 1
	v_add3_u32 v15, v14, v15, s22
	v_add3_u32 v16, v13, v16, s22
	v_bfe_u32 v18, v9, 16, 1
	v_add3_u32 v17, v10, v17, s22
	v_lshrrev_b32_e32 v15, 16, v15
	v_and_b32_e32 v16, 0xffff0000, v16
	v_add3_u32 v18, v9, v18, s22
	v_and_b32_e32 v17, 0xffff0000, v17
	v_cmp_o_f32_e32 vcc, v10, v10
	v_cmp_o_f32_e64 s[0:1], v13, v13
	v_cmp_o_f32_e64 s[2:3], v14, v14
	v_lshrrev_b32_e32 v10, 16, v18
	v_cndmask_b32_e32 v13, v7, v17, vcc
	v_cndmask_b32_e64 v14, v7, v16, s[0:1]
	v_cndmask_b32_e64 v15, v8, v15, s[2:3]
	v_cmp_o_f32_e32 vcc, v9, v9
	v_cndmask_b32_e32 v9, v8, v10, vcc
	v_or_b32_e32 v14, v15, v14
	v_or3_b32 v10, 0, v9, v13
	v_or3_b32 v9, v14, 0, 0
	global_store_dwordx2 v[11:12], v[9:10], off
	s_andn2_b64 exec, exec, s[18:19]
	s_cbranch_execnz .LBB35_3
.LBB35_4:
	s_or_b64 exec, exec, s[16:17]
	s_mov_b64 s[0:1], 0
.LBB35_5:
	s_andn2_b64 vcc, exec, s[0:1]
	s_cbranch_vccnz .LBB35_25
; %bb.6:
	v_cmp_lt_i64_e64 s[0:1], s[12:13], 1
	s_and_b64 vcc, exec, s[0:1]
	s_cbranch_vccnz .LBB35_25
; %bb.7:
	v_mov_b32_e32 v1, 0x10000
	s_load_dword s2, s[4:5], 0xc5c
	v_mov_b32_e32 v2, 0
	v_cmp_lt_i64_e32 vcc, s[12:13], v[1:2]
	v_mov_b32_e32 v10, 0
	s_and_b64 s[0:1], vcc, exec
	v_cmp_lt_u64_e32 vcc, s[12:13], v[1:2]
	s_cselect_b32 s11, s13, 0
	s_cselect_b32 s10, s12, 0x10000
	s_waitcnt lgkmcnt(0)
	s_and_b32 s2, s2, 0xffff
	v_lshlrev_b32_e32 v9, 1, v0
	s_and_b64 s[0:1], vcc, exec
	v_mov_b32_e32 v2, s15
	v_add_co_u32_e32 v1, vcc, s14, v9
	v_mad_u64_u32 v[7:8], s[0:1], s2, 6, v[9:10]
	v_addc_co_u32_e32 v2, vcc, 0, v2, vcc
	v_mov_b32_e32 v4, s7
	v_add_co_u32_e32 v3, vcc, s6, v9
	v_addc_co_u32_e32 v4, vcc, 0, v4, vcc
	v_mov_b32_e32 v6, s15
	v_add_co_u32_e32 v5, vcc, s14, v7
	;; [unrolled: 3-line block ×3, first 2 shown]
	s_cselect_b32 s13, s13, 0
	s_cselect_b32 s12, s12, 0x10000
	s_lshl_b32 s18, s2, 2
	v_addc_co_u32_e32 v8, vcc, v10, v8, vcc
	v_add_co_u32_e32 v11, vcc, s18, v9
	v_addc_co_u32_e64 v12, s[0:1], 0, 0, vcc
	v_mov_b32_e32 v10, s15
	v_add_co_u32_e32 v9, vcc, s14, v11
	v_addc_co_u32_e32 v10, vcc, v10, v12, vcc
	v_mov_b32_e32 v13, s7
	v_add_co_u32_e32 v11, vcc, s6, v11
	v_addc_co_u32_e32 v12, vcc, v13, v12, vcc
	v_add_co_u32_e32 v13, vcc, s2, v0
	v_lshlrev_b32_e32 v17, 1, v13
	v_addc_co_u32_e64 v14, s[0:1], 0, 0, vcc
	v_mov_b32_e32 v16, s15
	v_add_co_u32_e32 v15, vcc, s14, v17
	v_addc_co_u32_e32 v16, vcc, 0, v16, vcc
	v_mov_b32_e32 v18, s7
	v_add_co_u32_e32 v17, vcc, s6, v17
	s_mul_i32 s4, s2, 3
	v_addc_co_u32_e32 v18, vcc, 0, v18, vcc
	s_lshl_b32 s3, s2, 1
	v_add_co_u32_e32 v19, vcc, s4, v0
	v_addc_co_u32_e64 v20, s[0:1], 0, 0, vcc
	v_add_co_u32_e32 v21, vcc, s3, v0
	s_lshl_b32 s19, s2, 3
	s_mov_b64 s[14:15], 0
	s_movk_i32 s20, 0x7fff
	v_addc_co_u32_e64 v22, s[0:1], 0, 0, vcc
	v_mov_b32_e32 v23, 0x7fc0
	s_branch .LBB35_9
.LBB35_8:                               ;   in Loop: Header=BB35_9 Depth=1
	s_or_b64 exec, exec, s[0:1]
	v_add_co_u32_e32 v1, vcc, s19, v1
	v_addc_co_u32_e32 v2, vcc, 0, v2, vcc
	v_add_co_u32_e32 v3, vcc, s19, v3
	v_addc_co_u32_e32 v4, vcc, 0, v4, vcc
	;; [unrolled: 2-line block ×6, first 2 shown]
	s_add_u32 s14, s14, s18
	v_add_co_u32_e32 v15, vcc, s19, v15
	v_mov_b32_e32 v25, s11
	s_addc_u32 s15, s15, 0
	v_addc_co_u32_e32 v16, vcc, 0, v16, vcc
	v_mov_b32_e32 v24, s10
	v_cmp_ge_i64_e32 vcc, s[14:15], v[24:25]
	v_add_co_u32_e64 v17, s[0:1], s19, v17
	v_addc_co_u32_e64 v18, s[0:1], 0, v18, s[0:1]
	s_cbranch_vccnz .LBB35_25
.LBB35_9:                               ; =>This Inner Loop Header: Depth=1
	v_mov_b32_e32 v25, s15
	v_add_co_u32_e32 v24, vcc, s14, v0
	v_addc_co_u32_e32 v25, vcc, 0, v25, vcc
	v_cmp_gt_u64_e32 vcc, s[12:13], v[24:25]
	v_mov_b32_e32 v25, 0
	s_and_saveexec_b64 s[2:3], vcc
	s_cbranch_execz .LBB35_11
; %bb.10:                               ;   in Loop: Header=BB35_9 Depth=1
	v_mov_b32_e32 v25, s9
	v_add_co_u32_e64 v24, s[0:1], s8, v1
	v_addc_co_u32_e64 v25, s[0:1], v2, v25, s[0:1]
	global_load_ushort v24, v[24:25], off
	s_waitcnt vmcnt(0)
	v_lshlrev_b32_e32 v24, 16, v24
	v_ceil_f32_e32 v25, v24
.LBB35_11:                              ;   in Loop: Header=BB35_9 Depth=1
	s_or_b64 exec, exec, s[2:3]
	v_mov_b32_e32 v24, s15
	v_add_co_u32_e64 v26, s[0:1], s14, v13
	v_addc_co_u32_e64 v27, s[0:1], v14, v24, s[0:1]
	v_cmp_gt_u64_e64 s[0:1], s[12:13], v[26:27]
	v_mov_b32_e32 v24, 0
	v_mov_b32_e32 v26, 0
	s_and_saveexec_b64 s[4:5], s[0:1]
	s_cbranch_execz .LBB35_13
; %bb.12:                               ;   in Loop: Header=BB35_9 Depth=1
	v_mov_b32_e32 v27, s9
	v_add_co_u32_e64 v26, s[2:3], s8, v15
	v_addc_co_u32_e64 v27, s[2:3], v16, v27, s[2:3]
	global_load_ushort v26, v[26:27], off
	s_waitcnt vmcnt(0)
	v_lshlrev_b32_e32 v26, 16, v26
	v_ceil_f32_e32 v26, v26
.LBB35_13:                              ;   in Loop: Header=BB35_9 Depth=1
	s_or_b64 exec, exec, s[4:5]
	v_mov_b32_e32 v28, s15
	v_add_co_u32_e64 v27, s[2:3], s14, v21
	v_addc_co_u32_e64 v28, s[2:3], v22, v28, s[2:3]
	v_cmp_gt_u64_e64 s[2:3], s[12:13], v[27:28]
	s_and_saveexec_b64 s[6:7], s[2:3]
	s_cbranch_execz .LBB35_15
; %bb.14:                               ;   in Loop: Header=BB35_9 Depth=1
	v_mov_b32_e32 v24, s9
	v_add_co_u32_e64 v27, s[4:5], s8, v9
	v_addc_co_u32_e64 v28, s[4:5], v10, v24, s[4:5]
	global_load_ushort v24, v[27:28], off
	s_waitcnt vmcnt(0)
	v_lshlrev_b32_e32 v24, 16, v24
	v_ceil_f32_e32 v24, v24
.LBB35_15:                              ;   in Loop: Header=BB35_9 Depth=1
	s_or_b64 exec, exec, s[6:7]
	v_mov_b32_e32 v28, s15
	v_add_co_u32_e64 v27, s[4:5], s14, v19
	v_addc_co_u32_e64 v28, s[4:5], v20, v28, s[4:5]
	v_cmp_gt_u64_e64 s[4:5], s[12:13], v[27:28]
	v_mov_b32_e32 v27, 0
	s_and_saveexec_b64 s[16:17], s[4:5]
	s_cbranch_execnz .LBB35_20
; %bb.16:                               ;   in Loop: Header=BB35_9 Depth=1
	s_or_b64 exec, exec, s[16:17]
	s_and_saveexec_b64 s[6:7], vcc
	s_cbranch_execnz .LBB35_21
.LBB35_17:                              ;   in Loop: Header=BB35_9 Depth=1
	s_or_b64 exec, exec, s[6:7]
	s_and_saveexec_b64 s[6:7], s[0:1]
	s_cbranch_execnz .LBB35_22
.LBB35_18:                              ;   in Loop: Header=BB35_9 Depth=1
	s_or_b64 exec, exec, s[6:7]
	s_and_saveexec_b64 s[0:1], s[2:3]
	s_cbranch_execnz .LBB35_23
.LBB35_19:                              ;   in Loop: Header=BB35_9 Depth=1
	s_or_b64 exec, exec, s[0:1]
	s_and_saveexec_b64 s[0:1], s[4:5]
	s_cbranch_execz .LBB35_8
	s_branch .LBB35_24
.LBB35_20:                              ;   in Loop: Header=BB35_9 Depth=1
	v_mov_b32_e32 v28, s9
	v_add_co_u32_e64 v27, s[6:7], s8, v5
	v_addc_co_u32_e64 v28, s[6:7], v6, v28, s[6:7]
	global_load_ushort v27, v[27:28], off
	s_waitcnt vmcnt(0)
	v_lshlrev_b32_e32 v27, 16, v27
	v_ceil_f32_e32 v27, v27
	s_or_b64 exec, exec, s[16:17]
	s_and_saveexec_b64 s[6:7], vcc
	s_cbranch_execz .LBB35_17
.LBB35_21:                              ;   in Loop: Header=BB35_9 Depth=1
	v_bfe_u32 v28, v25, 16, 1
	v_add3_u32 v28, v25, v28, s20
	v_cmp_o_f32_e32 vcc, v25, v25
	v_cndmask_b32_sdwa v25, v23, v28, vcc dst_sel:DWORD dst_unused:UNUSED_PAD src0_sel:DWORD src1_sel:WORD_1
	v_mov_b32_e32 v29, s9
	v_add_co_u32_e32 v28, vcc, s8, v3
	v_addc_co_u32_e32 v29, vcc, v4, v29, vcc
	global_store_short v[28:29], v25, off
	s_or_b64 exec, exec, s[6:7]
	s_and_saveexec_b64 s[6:7], s[0:1]
	s_cbranch_execz .LBB35_18
.LBB35_22:                              ;   in Loop: Header=BB35_9 Depth=1
	v_bfe_u32 v25, v26, 16, 1
	v_add3_u32 v25, v26, v25, s20
	v_cmp_o_f32_e32 vcc, v26, v26
	v_cndmask_b32_sdwa v28, v23, v25, vcc dst_sel:DWORD dst_unused:UNUSED_PAD src0_sel:DWORD src1_sel:WORD_1
	v_mov_b32_e32 v26, s9
	v_add_co_u32_e32 v25, vcc, s8, v17
	v_addc_co_u32_e32 v26, vcc, v18, v26, vcc
	global_store_short v[25:26], v28, off
	s_or_b64 exec, exec, s[6:7]
	s_and_saveexec_b64 s[0:1], s[2:3]
	s_cbranch_execz .LBB35_19
.LBB35_23:                              ;   in Loop: Header=BB35_9 Depth=1
	v_bfe_u32 v25, v24, 16, 1
	v_add3_u32 v25, v24, v25, s20
	v_cmp_o_f32_e32 vcc, v24, v24
	v_cndmask_b32_sdwa v26, v23, v25, vcc dst_sel:DWORD dst_unused:UNUSED_PAD src0_sel:DWORD src1_sel:WORD_1
	v_mov_b32_e32 v25, s9
	v_add_co_u32_e32 v24, vcc, s8, v11
	v_addc_co_u32_e32 v25, vcc, v12, v25, vcc
	global_store_short v[24:25], v26, off
	s_or_b64 exec, exec, s[0:1]
	s_and_saveexec_b64 s[0:1], s[4:5]
	s_cbranch_execz .LBB35_8
.LBB35_24:                              ;   in Loop: Header=BB35_9 Depth=1
	v_bfe_u32 v24, v27, 16, 1
	v_add3_u32 v24, v27, v24, s20
	v_cmp_o_f32_e32 vcc, v27, v27
	v_cndmask_b32_sdwa v26, v23, v24, vcc dst_sel:DWORD dst_unused:UNUSED_PAD src0_sel:DWORD src1_sel:WORD_1
	v_mov_b32_e32 v25, s9
	v_add_co_u32_e32 v24, vcc, s8, v7
	v_addc_co_u32_e32 v25, vcc, v8, v25, vcc
	global_store_short v[24:25], v26, off
	s_branch .LBB35_8
.LBB35_25:
	s_endpgm
	.section	.rodata,"a",@progbits
	.p2align	6, 0x0
	.amdhsa_kernel _ZN2at6native12_GLOBAL__N_125multi_tensor_apply_kernelINS1_18TensorListMetadataILi2EEENS1_14UnaryOpFunctorIN3c108BFloat16ELi2ELi1ELi1EEEJNS0_4CeilIfEEEEEvT_T0_DpT1_
		.amdhsa_group_segment_fixed_size 0
		.amdhsa_private_segment_fixed_size 0
		.amdhsa_kernarg_size 3408
		.amdhsa_user_sgpr_count 6
		.amdhsa_user_sgpr_private_segment_buffer 1
		.amdhsa_user_sgpr_dispatch_ptr 0
		.amdhsa_user_sgpr_queue_ptr 0
		.amdhsa_user_sgpr_kernarg_segment_ptr 1
		.amdhsa_user_sgpr_dispatch_id 0
		.amdhsa_user_sgpr_flat_scratch_init 0
		.amdhsa_user_sgpr_private_segment_size 0
		.amdhsa_uses_dynamic_stack 0
		.amdhsa_system_sgpr_private_segment_wavefront_offset 0
		.amdhsa_system_sgpr_workgroup_id_x 1
		.amdhsa_system_sgpr_workgroup_id_y 0
		.amdhsa_system_sgpr_workgroup_id_z 0
		.amdhsa_system_sgpr_workgroup_info 0
		.amdhsa_system_vgpr_workitem_id 0
		.amdhsa_next_free_vgpr 30
		.amdhsa_next_free_sgpr 23
		.amdhsa_reserve_vcc 1
		.amdhsa_reserve_flat_scratch 0
		.amdhsa_float_round_mode_32 0
		.amdhsa_float_round_mode_16_64 0
		.amdhsa_float_denorm_mode_32 3
		.amdhsa_float_denorm_mode_16_64 3
		.amdhsa_dx10_clamp 1
		.amdhsa_ieee_mode 1
		.amdhsa_fp16_overflow 0
		.amdhsa_exception_fp_ieee_invalid_op 0
		.amdhsa_exception_fp_denorm_src 0
		.amdhsa_exception_fp_ieee_div_zero 0
		.amdhsa_exception_fp_ieee_overflow 0
		.amdhsa_exception_fp_ieee_underflow 0
		.amdhsa_exception_fp_ieee_inexact 0
		.amdhsa_exception_int_div_zero 0
	.end_amdhsa_kernel
	.section	.text._ZN2at6native12_GLOBAL__N_125multi_tensor_apply_kernelINS1_18TensorListMetadataILi2EEENS1_14UnaryOpFunctorIN3c108BFloat16ELi2ELi1ELi1EEEJNS0_4CeilIfEEEEEvT_T0_DpT1_,"axG",@progbits,_ZN2at6native12_GLOBAL__N_125multi_tensor_apply_kernelINS1_18TensorListMetadataILi2EEENS1_14UnaryOpFunctorIN3c108BFloat16ELi2ELi1ELi1EEEJNS0_4CeilIfEEEEEvT_T0_DpT1_,comdat
.Lfunc_end35:
	.size	_ZN2at6native12_GLOBAL__N_125multi_tensor_apply_kernelINS1_18TensorListMetadataILi2EEENS1_14UnaryOpFunctorIN3c108BFloat16ELi2ELi1ELi1EEEJNS0_4CeilIfEEEEEvT_T0_DpT1_, .Lfunc_end35-_ZN2at6native12_GLOBAL__N_125multi_tensor_apply_kernelINS1_18TensorListMetadataILi2EEENS1_14UnaryOpFunctorIN3c108BFloat16ELi2ELi1ELi1EEEJNS0_4CeilIfEEEEEvT_T0_DpT1_
                                        ; -- End function
	.set _ZN2at6native12_GLOBAL__N_125multi_tensor_apply_kernelINS1_18TensorListMetadataILi2EEENS1_14UnaryOpFunctorIN3c108BFloat16ELi2ELi1ELi1EEEJNS0_4CeilIfEEEEEvT_T0_DpT1_.num_vgpr, 30
	.set _ZN2at6native12_GLOBAL__N_125multi_tensor_apply_kernelINS1_18TensorListMetadataILi2EEENS1_14UnaryOpFunctorIN3c108BFloat16ELi2ELi1ELi1EEEJNS0_4CeilIfEEEEEvT_T0_DpT1_.num_agpr, 0
	.set _ZN2at6native12_GLOBAL__N_125multi_tensor_apply_kernelINS1_18TensorListMetadataILi2EEENS1_14UnaryOpFunctorIN3c108BFloat16ELi2ELi1ELi1EEEJNS0_4CeilIfEEEEEvT_T0_DpT1_.numbered_sgpr, 23
	.set _ZN2at6native12_GLOBAL__N_125multi_tensor_apply_kernelINS1_18TensorListMetadataILi2EEENS1_14UnaryOpFunctorIN3c108BFloat16ELi2ELi1ELi1EEEJNS0_4CeilIfEEEEEvT_T0_DpT1_.num_named_barrier, 0
	.set _ZN2at6native12_GLOBAL__N_125multi_tensor_apply_kernelINS1_18TensorListMetadataILi2EEENS1_14UnaryOpFunctorIN3c108BFloat16ELi2ELi1ELi1EEEJNS0_4CeilIfEEEEEvT_T0_DpT1_.private_seg_size, 0
	.set _ZN2at6native12_GLOBAL__N_125multi_tensor_apply_kernelINS1_18TensorListMetadataILi2EEENS1_14UnaryOpFunctorIN3c108BFloat16ELi2ELi1ELi1EEEJNS0_4CeilIfEEEEEvT_T0_DpT1_.uses_vcc, 1
	.set _ZN2at6native12_GLOBAL__N_125multi_tensor_apply_kernelINS1_18TensorListMetadataILi2EEENS1_14UnaryOpFunctorIN3c108BFloat16ELi2ELi1ELi1EEEJNS0_4CeilIfEEEEEvT_T0_DpT1_.uses_flat_scratch, 0
	.set _ZN2at6native12_GLOBAL__N_125multi_tensor_apply_kernelINS1_18TensorListMetadataILi2EEENS1_14UnaryOpFunctorIN3c108BFloat16ELi2ELi1ELi1EEEJNS0_4CeilIfEEEEEvT_T0_DpT1_.has_dyn_sized_stack, 0
	.set _ZN2at6native12_GLOBAL__N_125multi_tensor_apply_kernelINS1_18TensorListMetadataILi2EEENS1_14UnaryOpFunctorIN3c108BFloat16ELi2ELi1ELi1EEEJNS0_4CeilIfEEEEEvT_T0_DpT1_.has_recursion, 0
	.set _ZN2at6native12_GLOBAL__N_125multi_tensor_apply_kernelINS1_18TensorListMetadataILi2EEENS1_14UnaryOpFunctorIN3c108BFloat16ELi2ELi1ELi1EEEJNS0_4CeilIfEEEEEvT_T0_DpT1_.has_indirect_call, 0
	.section	.AMDGPU.csdata,"",@progbits
; Kernel info:
; codeLenInByte = 1600
; TotalNumSgprs: 27
; NumVgprs: 30
; ScratchSize: 0
; MemoryBound: 0
; FloatMode: 240
; IeeeMode: 1
; LDSByteSize: 0 bytes/workgroup (compile time only)
; SGPRBlocks: 3
; VGPRBlocks: 7
; NumSGPRsForWavesPerEU: 27
; NumVGPRsForWavesPerEU: 30
; Occupancy: 8
; WaveLimiterHint : 0
; COMPUTE_PGM_RSRC2:SCRATCH_EN: 0
; COMPUTE_PGM_RSRC2:USER_SGPR: 6
; COMPUTE_PGM_RSRC2:TRAP_HANDLER: 0
; COMPUTE_PGM_RSRC2:TGID_X_EN: 1
; COMPUTE_PGM_RSRC2:TGID_Y_EN: 0
; COMPUTE_PGM_RSRC2:TGID_Z_EN: 0
; COMPUTE_PGM_RSRC2:TIDIG_COMP_CNT: 0
	.section	.text._ZN2at6native12_GLOBAL__N_125multi_tensor_apply_kernelINS1_18TensorListMetadataILi1EEENS1_14UnaryOpFunctorIdLi1ELi1ELi0EEEJNS0_4CeilIdEEEEEvT_T0_DpT1_,"axG",@progbits,_ZN2at6native12_GLOBAL__N_125multi_tensor_apply_kernelINS1_18TensorListMetadataILi1EEENS1_14UnaryOpFunctorIdLi1ELi1ELi0EEEJNS0_4CeilIdEEEEEvT_T0_DpT1_,comdat
	.globl	_ZN2at6native12_GLOBAL__N_125multi_tensor_apply_kernelINS1_18TensorListMetadataILi1EEENS1_14UnaryOpFunctorIdLi1ELi1ELi0EEEJNS0_4CeilIdEEEEEvT_T0_DpT1_ ; -- Begin function _ZN2at6native12_GLOBAL__N_125multi_tensor_apply_kernelINS1_18TensorListMetadataILi1EEENS1_14UnaryOpFunctorIdLi1ELi1ELi0EEEJNS0_4CeilIdEEEEEvT_T0_DpT1_
	.p2align	8
	.type	_ZN2at6native12_GLOBAL__N_125multi_tensor_apply_kernelINS1_18TensorListMetadataILi1EEENS1_14UnaryOpFunctorIdLi1ELi1ELi0EEEJNS0_4CeilIdEEEEEvT_T0_DpT1_,@function
_ZN2at6native12_GLOBAL__N_125multi_tensor_apply_kernelINS1_18TensorListMetadataILi1EEENS1_14UnaryOpFunctorIdLi1ELi1ELi0EEEJNS0_4CeilIdEEEEEvT_T0_DpT1_: ; @_ZN2at6native12_GLOBAL__N_125multi_tensor_apply_kernelINS1_18TensorListMetadataILi1EEENS1_14UnaryOpFunctorIdLi1ELi1ELi0EEEJNS0_4CeilIdEEEEEvT_T0_DpT1_
; %bb.0:
	v_mov_b32_e32 v1, s6
	global_load_ubyte v1, v1, s[4:5] offset:1760
	s_add_u32 s0, s4, s6
	s_mul_hi_u32 s1, s6, 3
	s_mul_i32 s6, s6, 3
	s_addc_u32 s2, s5, 0
	s_add_u32 s0, s0, s6
	s_addc_u32 s1, s2, s1
	s_load_dword s0, s[0:1], 0x820
	s_mov_b32 s7, 0
	s_waitcnt vmcnt(0)
	v_readfirstlane_b32 s1, v1
	s_lshl_b32 s1, s1, 3
	s_load_dwordx2 s[2:3], s[4:5], s1 offset:0x370
	s_load_dwordx2 s[10:11], s[4:5], s1 offset:0x0
	s_waitcnt lgkmcnt(0)
	s_ashr_i32 s1, s0, 31
	s_lshl_b64 s[12:13], s[0:1], 19
	s_lshl_b64 s[0:1], s[0:1], 16
	s_and_b32 s6, s10, 31
	s_sub_u32 s14, s2, s0
	s_subb_u32 s15, s3, s1
	s_and_b32 s0, s2, 3
	s_mov_b32 s1, s7
	s_or_b64 s[0:1], s[6:7], s[0:1]
	s_cmp_eq_u64 s[0:1], 0
	s_cbranch_scc1 .LBB36_21
; %bb.1:
	v_cmp_lt_i64_e64 s[0:1], s[14:15], 1
	s_and_b64 vcc, exec, s[0:1]
	s_cbranch_vccnz .LBB36_20
; %bb.2:
	v_mov_b32_e32 v1, 0x10000
	s_load_dword s2, s[4:5], 0xd3c
	v_mov_b32_e32 v2, 0
	v_cmp_lt_i64_e32 vcc, s[14:15], v[1:2]
	s_mov_b64 s[20:21], 0
	s_and_b64 s[0:1], vcc, exec
	v_cmp_lt_u64_e32 vcc, s[14:15], v[1:2]
	s_cselect_b32 s17, s15, 0
	s_cselect_b32 s16, s14, 0x10000
	s_waitcnt lgkmcnt(0)
	s_and_b32 s2, s2, 0xffff
	s_and_b64 s[0:1], vcc, exec
	s_cselect_b32 s19, s15, 0
	s_cselect_b32 s18, s14, 0x10000
	s_lshl_b32 s3, s2, 1
	s_lshl_b32 s24, s2, 2
	s_add_u32 s6, s10, s12
	v_lshlrev_b32_e32 v1, 3, v0
	s_addc_u32 s7, s11, s13
	v_mov_b32_e32 v2, s7
	v_add_co_u32_e32 v1, vcc, s6, v1
	s_mul_i32 s0, s2, 3
	v_addc_co_u32_e32 v2, vcc, 0, v2, vcc
	v_add_co_u32_e32 v13, vcc, s0, v0
	v_addc_co_u32_e64 v14, s[0:1], 0, 0, vcc
	v_add_co_u32_e32 v15, vcc, s3, v0
	v_addc_co_u32_e64 v16, s[0:1], 0, 0, vcc
	v_add_co_u32_e32 v17, vcc, s2, v0
	v_lshlrev_b32_e32 v3, 3, v17
	v_addc_co_u32_e64 v18, s[0:1], 0, 0, vcc
	v_mov_b32_e32 v4, s7
	v_add_co_u32_e32 v3, vcc, s6, v3
	s_lshl_b32 s25, s2, 5
	s_mul_i32 s26, s2, 24
	s_lshl_b32 s27, s2, 4
	v_addc_co_u32_e32 v4, vcc, 0, v4, vcc
	s_branch .LBB36_4
.LBB36_3:                               ;   in Loop: Header=BB36_4 Depth=1
	s_or_b64 exec, exec, s[0:1]
	s_add_u32 s20, s20, s24
	v_add_co_u32_e32 v1, vcc, s25, v1
	v_mov_b32_e32 v5, s16
	s_addc_u32 s21, s21, 0
	v_addc_co_u32_e32 v2, vcc, 0, v2, vcc
	v_mov_b32_e32 v6, s17
	v_cmp_lt_i64_e32 vcc, s[20:21], v[5:6]
	v_add_co_u32_e64 v3, s[0:1], s25, v3
	v_addc_co_u32_e64 v4, s[0:1], 0, v4, s[0:1]
	s_cbranch_vccz .LBB36_20
.LBB36_4:                               ; =>This Inner Loop Header: Depth=1
	v_mov_b32_e32 v6, s21
	v_add_co_u32_e32 v5, vcc, s20, v0
	v_addc_co_u32_e32 v6, vcc, 0, v6, vcc
	v_cmp_gt_u64_e32 vcc, s[18:19], v[5:6]
	v_mov_b32_e32 v5, 0
	v_mov_b32_e32 v7, 0
	;; [unrolled: 1-line block ×4, first 2 shown]
	s_and_saveexec_b64 s[0:1], vcc
	s_cbranch_execz .LBB36_6
; %bb.5:                                ;   in Loop: Header=BB36_4 Depth=1
	global_load_dwordx2 v[7:8], v[1:2], off
	s_waitcnt vmcnt(0)
	v_ceil_f64_e32 v[7:8], v[7:8]
.LBB36_6:                               ;   in Loop: Header=BB36_4 Depth=1
	s_or_b64 exec, exec, s[0:1]
	v_mov_b32_e32 v10, s21
	v_add_co_u32_e64 v9, s[0:1], s20, v17
	v_addc_co_u32_e64 v10, s[0:1], v18, v10, s[0:1]
	v_cmp_gt_u64_e64 s[0:1], s[18:19], v[9:10]
	s_and_saveexec_b64 s[2:3], s[0:1]
	s_cbranch_execz .LBB36_8
; %bb.7:                                ;   in Loop: Header=BB36_4 Depth=1
	global_load_dwordx2 v[5:6], v[3:4], off
	s_waitcnt vmcnt(0)
	v_ceil_f64_e32 v[5:6], v[5:6]
.LBB36_8:                               ;   in Loop: Header=BB36_4 Depth=1
	s_or_b64 exec, exec, s[2:3]
	v_mov_b32_e32 v10, s21
	v_add_co_u32_e64 v9, s[2:3], s20, v15
	v_addc_co_u32_e64 v10, s[2:3], v16, v10, s[2:3]
	v_cmp_gt_u64_e64 s[2:3], s[18:19], v[9:10]
	v_mov_b32_e32 v9, 0
	v_mov_b32_e32 v11, 0
	v_mov_b32_e32 v10, 0
	v_mov_b32_e32 v12, 0
	s_and_saveexec_b64 s[8:9], s[2:3]
	s_cbranch_execz .LBB36_10
; %bb.9:                                ;   in Loop: Header=BB36_4 Depth=1
	v_add_co_u32_e64 v11, s[6:7], s27, v1
	v_addc_co_u32_e64 v12, s[6:7], 0, v2, s[6:7]
	global_load_dwordx2 v[11:12], v[11:12], off
	s_waitcnt vmcnt(0)
	v_ceil_f64_e32 v[11:12], v[11:12]
.LBB36_10:                              ;   in Loop: Header=BB36_4 Depth=1
	s_or_b64 exec, exec, s[8:9]
	v_mov_b32_e32 v20, s21
	v_add_co_u32_e64 v19, s[6:7], s20, v13
	v_addc_co_u32_e64 v20, s[6:7], v14, v20, s[6:7]
	v_cmp_gt_u64_e64 s[6:7], s[18:19], v[19:20]
	s_and_saveexec_b64 s[22:23], s[6:7]
	s_cbranch_execnz .LBB36_15
; %bb.11:                               ;   in Loop: Header=BB36_4 Depth=1
	s_or_b64 exec, exec, s[22:23]
	s_and_saveexec_b64 s[8:9], vcc
	s_cbranch_execnz .LBB36_16
.LBB36_12:                              ;   in Loop: Header=BB36_4 Depth=1
	s_or_b64 exec, exec, s[8:9]
	s_and_saveexec_b64 s[8:9], s[0:1]
	s_cbranch_execnz .LBB36_17
.LBB36_13:                              ;   in Loop: Header=BB36_4 Depth=1
	s_or_b64 exec, exec, s[8:9]
	s_and_saveexec_b64 s[0:1], s[2:3]
	s_cbranch_execnz .LBB36_18
.LBB36_14:                              ;   in Loop: Header=BB36_4 Depth=1
	s_or_b64 exec, exec, s[0:1]
	s_and_saveexec_b64 s[0:1], s[6:7]
	s_cbranch_execz .LBB36_3
	s_branch .LBB36_19
.LBB36_15:                              ;   in Loop: Header=BB36_4 Depth=1
	v_add_co_u32_e64 v9, s[8:9], s26, v1
	v_addc_co_u32_e64 v10, s[8:9], 0, v2, s[8:9]
	global_load_dwordx2 v[9:10], v[9:10], off
	s_waitcnt vmcnt(0)
	v_ceil_f64_e32 v[9:10], v[9:10]
	s_or_b64 exec, exec, s[22:23]
	s_and_saveexec_b64 s[8:9], vcc
	s_cbranch_execz .LBB36_12
.LBB36_16:                              ;   in Loop: Header=BB36_4 Depth=1
	global_store_dwordx2 v[1:2], v[7:8], off
	s_or_b64 exec, exec, s[8:9]
	s_and_saveexec_b64 s[8:9], s[0:1]
	s_cbranch_execz .LBB36_13
.LBB36_17:                              ;   in Loop: Header=BB36_4 Depth=1
	global_store_dwordx2 v[3:4], v[5:6], off
	s_or_b64 exec, exec, s[8:9]
	s_and_saveexec_b64 s[0:1], s[2:3]
	s_cbranch_execz .LBB36_14
.LBB36_18:                              ;   in Loop: Header=BB36_4 Depth=1
	v_add_co_u32_e32 v5, vcc, s27, v1
	v_addc_co_u32_e32 v6, vcc, 0, v2, vcc
	global_store_dwordx2 v[5:6], v[11:12], off
	s_or_b64 exec, exec, s[0:1]
	s_and_saveexec_b64 s[0:1], s[6:7]
	s_cbranch_execz .LBB36_3
.LBB36_19:                              ;   in Loop: Header=BB36_4 Depth=1
	v_add_co_u32_e32 v5, vcc, s26, v1
	v_addc_co_u32_e32 v6, vcc, 0, v2, vcc
	global_store_dwordx2 v[5:6], v[9:10], off
	s_branch .LBB36_3
.LBB36_20:
	s_cbranch_execz .LBB36_22
	s_branch .LBB36_25
.LBB36_21:
.LBB36_22:
	v_mov_b32_e32 v1, 0x10000
	v_mov_b32_e32 v2, 0
	v_cmp_lt_i64_e32 vcc, s[14:15], v[1:2]
	v_mov_b32_e32 v2, 0
	s_and_b64 s[0:1], vcc, exec
	s_cselect_b32 s1, s15, 0
	s_cselect_b32 s0, s14, 0x10000
	v_lshlrev_b32_e32 v1, 2, v0
	v_cmp_gt_i64_e32 vcc, s[0:1], v[1:2]
	s_and_saveexec_b64 s[2:3], vcc
	s_cbranch_execz .LBB36_25
; %bb.23:
	s_load_dword s2, s[4:5], 0xd3c
	v_mov_b32_e32 v1, v2
	v_lshlrev_b32_e32 v2, 5, v0
	s_waitcnt lgkmcnt(0)
	s_and_b32 s4, s2, 0xffff
	s_add_u32 s2, s10, s12
	s_addc_u32 s3, s11, s13
	v_mov_b32_e32 v3, s3
	v_add_co_u32_e32 v2, vcc, s2, v2
	v_addc_co_u32_e32 v3, vcc, 0, v3, vcc
	v_add_co_u32_e32 v2, vcc, 16, v2
	v_addc_co_u32_e32 v3, vcc, 0, v3, vcc
	s_lshl_b32 s5, s4, 5
	s_mov_b64 s[2:3], 0
.LBB36_24:                              ; =>This Inner Loop Header: Depth=1
	global_load_dwordx4 v[4:7], v[2:3], off offset:-16
	global_load_dwordx4 v[8:11], v[2:3], off
	v_add_co_u32_e32 v0, vcc, s4, v0
	v_addc_co_u32_e32 v1, vcc, 0, v1, vcc
	v_lshlrev_b64 v[12:13], 2, v[0:1]
	v_cmp_le_i64_e32 vcc, s[0:1], v[12:13]
	s_or_b64 s[2:3], vcc, s[2:3]
	s_waitcnt vmcnt(1)
	v_ceil_f64_e32 v[4:5], v[4:5]
	v_ceil_f64_e32 v[6:7], v[6:7]
	s_waitcnt vmcnt(0)
	v_ceil_f64_e32 v[8:9], v[8:9]
	v_ceil_f64_e32 v[10:11], v[10:11]
	global_store_dwordx4 v[2:3], v[4:7], off offset:-16
	global_store_dwordx4 v[2:3], v[8:11], off
	v_add_co_u32_e32 v2, vcc, s5, v2
	v_addc_co_u32_e32 v3, vcc, 0, v3, vcc
	s_andn2_b64 exec, exec, s[2:3]
	s_cbranch_execnz .LBB36_24
.LBB36_25:
	s_endpgm
	.section	.rodata,"a",@progbits
	.p2align	6, 0x0
	.amdhsa_kernel _ZN2at6native12_GLOBAL__N_125multi_tensor_apply_kernelINS1_18TensorListMetadataILi1EEENS1_14UnaryOpFunctorIdLi1ELi1ELi0EEEJNS0_4CeilIdEEEEEvT_T0_DpT1_
		.amdhsa_group_segment_fixed_size 0
		.amdhsa_private_segment_fixed_size 0
		.amdhsa_kernarg_size 3632
		.amdhsa_user_sgpr_count 6
		.amdhsa_user_sgpr_private_segment_buffer 1
		.amdhsa_user_sgpr_dispatch_ptr 0
		.amdhsa_user_sgpr_queue_ptr 0
		.amdhsa_user_sgpr_kernarg_segment_ptr 1
		.amdhsa_user_sgpr_dispatch_id 0
		.amdhsa_user_sgpr_flat_scratch_init 0
		.amdhsa_user_sgpr_private_segment_size 0
		.amdhsa_uses_dynamic_stack 0
		.amdhsa_system_sgpr_private_segment_wavefront_offset 0
		.amdhsa_system_sgpr_workgroup_id_x 1
		.amdhsa_system_sgpr_workgroup_id_y 0
		.amdhsa_system_sgpr_workgroup_id_z 0
		.amdhsa_system_sgpr_workgroup_info 0
		.amdhsa_system_vgpr_workitem_id 0
		.amdhsa_next_free_vgpr 21
		.amdhsa_next_free_sgpr 28
		.amdhsa_reserve_vcc 1
		.amdhsa_reserve_flat_scratch 0
		.amdhsa_float_round_mode_32 0
		.amdhsa_float_round_mode_16_64 0
		.amdhsa_float_denorm_mode_32 3
		.amdhsa_float_denorm_mode_16_64 3
		.amdhsa_dx10_clamp 1
		.amdhsa_ieee_mode 1
		.amdhsa_fp16_overflow 0
		.amdhsa_exception_fp_ieee_invalid_op 0
		.amdhsa_exception_fp_denorm_src 0
		.amdhsa_exception_fp_ieee_div_zero 0
		.amdhsa_exception_fp_ieee_overflow 0
		.amdhsa_exception_fp_ieee_underflow 0
		.amdhsa_exception_fp_ieee_inexact 0
		.amdhsa_exception_int_div_zero 0
	.end_amdhsa_kernel
	.section	.text._ZN2at6native12_GLOBAL__N_125multi_tensor_apply_kernelINS1_18TensorListMetadataILi1EEENS1_14UnaryOpFunctorIdLi1ELi1ELi0EEEJNS0_4CeilIdEEEEEvT_T0_DpT1_,"axG",@progbits,_ZN2at6native12_GLOBAL__N_125multi_tensor_apply_kernelINS1_18TensorListMetadataILi1EEENS1_14UnaryOpFunctorIdLi1ELi1ELi0EEEJNS0_4CeilIdEEEEEvT_T0_DpT1_,comdat
.Lfunc_end36:
	.size	_ZN2at6native12_GLOBAL__N_125multi_tensor_apply_kernelINS1_18TensorListMetadataILi1EEENS1_14UnaryOpFunctorIdLi1ELi1ELi0EEEJNS0_4CeilIdEEEEEvT_T0_DpT1_, .Lfunc_end36-_ZN2at6native12_GLOBAL__N_125multi_tensor_apply_kernelINS1_18TensorListMetadataILi1EEENS1_14UnaryOpFunctorIdLi1ELi1ELi0EEEJNS0_4CeilIdEEEEEvT_T0_DpT1_
                                        ; -- End function
	.set _ZN2at6native12_GLOBAL__N_125multi_tensor_apply_kernelINS1_18TensorListMetadataILi1EEENS1_14UnaryOpFunctorIdLi1ELi1ELi0EEEJNS0_4CeilIdEEEEEvT_T0_DpT1_.num_vgpr, 21
	.set _ZN2at6native12_GLOBAL__N_125multi_tensor_apply_kernelINS1_18TensorListMetadataILi1EEENS1_14UnaryOpFunctorIdLi1ELi1ELi0EEEJNS0_4CeilIdEEEEEvT_T0_DpT1_.num_agpr, 0
	.set _ZN2at6native12_GLOBAL__N_125multi_tensor_apply_kernelINS1_18TensorListMetadataILi1EEENS1_14UnaryOpFunctorIdLi1ELi1ELi0EEEJNS0_4CeilIdEEEEEvT_T0_DpT1_.numbered_sgpr, 28
	.set _ZN2at6native12_GLOBAL__N_125multi_tensor_apply_kernelINS1_18TensorListMetadataILi1EEENS1_14UnaryOpFunctorIdLi1ELi1ELi0EEEJNS0_4CeilIdEEEEEvT_T0_DpT1_.num_named_barrier, 0
	.set _ZN2at6native12_GLOBAL__N_125multi_tensor_apply_kernelINS1_18TensorListMetadataILi1EEENS1_14UnaryOpFunctorIdLi1ELi1ELi0EEEJNS0_4CeilIdEEEEEvT_T0_DpT1_.private_seg_size, 0
	.set _ZN2at6native12_GLOBAL__N_125multi_tensor_apply_kernelINS1_18TensorListMetadataILi1EEENS1_14UnaryOpFunctorIdLi1ELi1ELi0EEEJNS0_4CeilIdEEEEEvT_T0_DpT1_.uses_vcc, 1
	.set _ZN2at6native12_GLOBAL__N_125multi_tensor_apply_kernelINS1_18TensorListMetadataILi1EEENS1_14UnaryOpFunctorIdLi1ELi1ELi0EEEJNS0_4CeilIdEEEEEvT_T0_DpT1_.uses_flat_scratch, 0
	.set _ZN2at6native12_GLOBAL__N_125multi_tensor_apply_kernelINS1_18TensorListMetadataILi1EEENS1_14UnaryOpFunctorIdLi1ELi1ELi0EEEJNS0_4CeilIdEEEEEvT_T0_DpT1_.has_dyn_sized_stack, 0
	.set _ZN2at6native12_GLOBAL__N_125multi_tensor_apply_kernelINS1_18TensorListMetadataILi1EEENS1_14UnaryOpFunctorIdLi1ELi1ELi0EEEJNS0_4CeilIdEEEEEvT_T0_DpT1_.has_recursion, 0
	.set _ZN2at6native12_GLOBAL__N_125multi_tensor_apply_kernelINS1_18TensorListMetadataILi1EEENS1_14UnaryOpFunctorIdLi1ELi1ELi0EEEJNS0_4CeilIdEEEEEvT_T0_DpT1_.has_indirect_call, 0
	.section	.AMDGPU.csdata,"",@progbits
; Kernel info:
; codeLenInByte = 1020
; TotalNumSgprs: 32
; NumVgprs: 21
; ScratchSize: 0
; MemoryBound: 1
; FloatMode: 240
; IeeeMode: 1
; LDSByteSize: 0 bytes/workgroup (compile time only)
; SGPRBlocks: 3
; VGPRBlocks: 5
; NumSGPRsForWavesPerEU: 32
; NumVGPRsForWavesPerEU: 21
; Occupancy: 10
; WaveLimiterHint : 0
; COMPUTE_PGM_RSRC2:SCRATCH_EN: 0
; COMPUTE_PGM_RSRC2:USER_SGPR: 6
; COMPUTE_PGM_RSRC2:TRAP_HANDLER: 0
; COMPUTE_PGM_RSRC2:TGID_X_EN: 1
; COMPUTE_PGM_RSRC2:TGID_Y_EN: 0
; COMPUTE_PGM_RSRC2:TGID_Z_EN: 0
; COMPUTE_PGM_RSRC2:TIDIG_COMP_CNT: 0
	.section	.text._ZN2at6native12_GLOBAL__N_125multi_tensor_apply_kernelINS1_18TensorListMetadataILi1EEENS1_14UnaryOpFunctorIfLi1ELi1ELi0EEEJNS0_4CeilIfEEEEEvT_T0_DpT1_,"axG",@progbits,_ZN2at6native12_GLOBAL__N_125multi_tensor_apply_kernelINS1_18TensorListMetadataILi1EEENS1_14UnaryOpFunctorIfLi1ELi1ELi0EEEJNS0_4CeilIfEEEEEvT_T0_DpT1_,comdat
	.globl	_ZN2at6native12_GLOBAL__N_125multi_tensor_apply_kernelINS1_18TensorListMetadataILi1EEENS1_14UnaryOpFunctorIfLi1ELi1ELi0EEEJNS0_4CeilIfEEEEEvT_T0_DpT1_ ; -- Begin function _ZN2at6native12_GLOBAL__N_125multi_tensor_apply_kernelINS1_18TensorListMetadataILi1EEENS1_14UnaryOpFunctorIfLi1ELi1ELi0EEEJNS0_4CeilIfEEEEEvT_T0_DpT1_
	.p2align	8
	.type	_ZN2at6native12_GLOBAL__N_125multi_tensor_apply_kernelINS1_18TensorListMetadataILi1EEENS1_14UnaryOpFunctorIfLi1ELi1ELi0EEEJNS0_4CeilIfEEEEEvT_T0_DpT1_,@function
_ZN2at6native12_GLOBAL__N_125multi_tensor_apply_kernelINS1_18TensorListMetadataILi1EEENS1_14UnaryOpFunctorIfLi1ELi1ELi0EEEJNS0_4CeilIfEEEEEvT_T0_DpT1_: ; @_ZN2at6native12_GLOBAL__N_125multi_tensor_apply_kernelINS1_18TensorListMetadataILi1EEENS1_14UnaryOpFunctorIfLi1ELi1ELi0EEEJNS0_4CeilIfEEEEEvT_T0_DpT1_
; %bb.0:
	v_mov_b32_e32 v1, s6
	global_load_ubyte v1, v1, s[4:5] offset:1760
	s_add_u32 s0, s4, s6
	s_mul_hi_u32 s1, s6, 3
	s_mul_i32 s6, s6, 3
	s_addc_u32 s2, s5, 0
	s_add_u32 s0, s0, s6
	s_addc_u32 s1, s2, s1
	s_load_dword s0, s[0:1], 0x820
	s_mov_b32 s7, 0
	s_waitcnt vmcnt(0)
	v_readfirstlane_b32 s1, v1
	s_lshl_b32 s1, s1, 3
	s_load_dwordx2 s[2:3], s[4:5], s1 offset:0x370
	s_load_dwordx2 s[10:11], s[4:5], s1 offset:0x0
	s_waitcnt lgkmcnt(0)
	s_ashr_i32 s1, s0, 31
	s_lshl_b64 s[12:13], s[0:1], 18
	s_lshl_b64 s[0:1], s[0:1], 16
	s_and_b32 s6, s10, 15
	s_sub_u32 s14, s2, s0
	s_subb_u32 s15, s3, s1
	s_and_b32 s0, s2, 3
	s_mov_b32 s1, s7
	s_or_b64 s[0:1], s[6:7], s[0:1]
	s_cmp_eq_u64 s[0:1], 0
	s_cbranch_scc1 .LBB37_21
; %bb.1:
	v_cmp_lt_i64_e64 s[0:1], s[14:15], 1
	s_and_b64 vcc, exec, s[0:1]
	s_cbranch_vccnz .LBB37_20
; %bb.2:
	v_mov_b32_e32 v1, 0x10000
	s_load_dword s2, s[4:5], 0xd3c
	v_mov_b32_e32 v2, 0
	v_cmp_lt_i64_e32 vcc, s[14:15], v[1:2]
	s_mov_b64 s[20:21], 0
	s_and_b64 s[0:1], vcc, exec
	v_cmp_lt_u64_e32 vcc, s[14:15], v[1:2]
	s_cselect_b32 s17, s15, 0
	s_cselect_b32 s16, s14, 0x10000
	s_waitcnt lgkmcnt(0)
	s_and_b32 s2, s2, 0xffff
	s_and_b64 s[0:1], vcc, exec
	s_cselect_b32 s19, s15, 0
	s_cselect_b32 s18, s14, 0x10000
	s_lshl_b32 s3, s2, 1
	s_lshl_b32 s24, s2, 2
	s_add_u32 s6, s10, s12
	v_lshlrev_b32_e32 v1, 2, v0
	s_addc_u32 s7, s11, s13
	v_mov_b32_e32 v2, s7
	v_add_co_u32_e32 v1, vcc, s6, v1
	s_mul_i32 s0, s2, 3
	v_addc_co_u32_e32 v2, vcc, 0, v2, vcc
	v_add_co_u32_e32 v5, vcc, s0, v0
	v_addc_co_u32_e64 v6, s[0:1], 0, 0, vcc
	v_add_co_u32_e32 v7, vcc, s3, v0
	v_addc_co_u32_e64 v8, s[0:1], 0, 0, vcc
	v_add_co_u32_e32 v9, vcc, s2, v0
	v_lshlrev_b32_e32 v3, 2, v9
	v_addc_co_u32_e64 v10, s[0:1], 0, 0, vcc
	v_mov_b32_e32 v4, s7
	v_add_co_u32_e32 v3, vcc, s6, v3
	s_lshl_b32 s25, s2, 4
	s_mul_i32 s26, s2, 12
	s_lshl_b32 s27, s2, 3
	v_addc_co_u32_e32 v4, vcc, 0, v4, vcc
	s_branch .LBB37_4
.LBB37_3:                               ;   in Loop: Header=BB37_4 Depth=1
	s_or_b64 exec, exec, s[0:1]
	s_add_u32 s20, s20, s24
	v_add_co_u32_e32 v1, vcc, s25, v1
	v_mov_b32_e32 v11, s16
	s_addc_u32 s21, s21, 0
	v_addc_co_u32_e32 v2, vcc, 0, v2, vcc
	v_mov_b32_e32 v12, s17
	v_cmp_lt_i64_e32 vcc, s[20:21], v[11:12]
	v_add_co_u32_e64 v3, s[0:1], s25, v3
	v_addc_co_u32_e64 v4, s[0:1], 0, v4, s[0:1]
	s_cbranch_vccz .LBB37_20
.LBB37_4:                               ; =>This Inner Loop Header: Depth=1
	v_mov_b32_e32 v12, s21
	v_add_co_u32_e32 v11, vcc, s20, v0
	v_addc_co_u32_e32 v12, vcc, 0, v12, vcc
	v_cmp_gt_u64_e32 vcc, s[18:19], v[11:12]
	v_mov_b32_e32 v11, 0
	s_and_saveexec_b64 s[0:1], vcc
	s_cbranch_execz .LBB37_6
; %bb.5:                                ;   in Loop: Header=BB37_4 Depth=1
	global_load_dword v11, v[1:2], off
	s_waitcnt vmcnt(0)
	v_ceil_f32_e32 v11, v11
.LBB37_6:                               ;   in Loop: Header=BB37_4 Depth=1
	s_or_b64 exec, exec, s[0:1]
	v_mov_b32_e32 v13, s21
	v_add_co_u32_e64 v12, s[0:1], s20, v9
	v_addc_co_u32_e64 v13, s[0:1], v10, v13, s[0:1]
	v_cmp_gt_u64_e64 s[0:1], s[18:19], v[12:13]
	v_mov_b32_e32 v12, 0
	v_mov_b32_e32 v13, 0
	s_and_saveexec_b64 s[2:3], s[0:1]
	s_cbranch_execz .LBB37_8
; %bb.7:                                ;   in Loop: Header=BB37_4 Depth=1
	global_load_dword v13, v[3:4], off
	s_waitcnt vmcnt(0)
	v_ceil_f32_e32 v13, v13
.LBB37_8:                               ;   in Loop: Header=BB37_4 Depth=1
	s_or_b64 exec, exec, s[2:3]
	v_mov_b32_e32 v15, s21
	v_add_co_u32_e64 v14, s[2:3], s20, v7
	v_addc_co_u32_e64 v15, s[2:3], v8, v15, s[2:3]
	v_cmp_gt_u64_e64 s[2:3], s[18:19], v[14:15]
	s_and_saveexec_b64 s[8:9], s[2:3]
	s_cbranch_execz .LBB37_10
; %bb.9:                                ;   in Loop: Header=BB37_4 Depth=1
	v_add_co_u32_e64 v14, s[6:7], s27, v1
	v_addc_co_u32_e64 v15, s[6:7], 0, v2, s[6:7]
	global_load_dword v12, v[14:15], off
	s_waitcnt vmcnt(0)
	v_ceil_f32_e32 v12, v12
.LBB37_10:                              ;   in Loop: Header=BB37_4 Depth=1
	s_or_b64 exec, exec, s[8:9]
	v_mov_b32_e32 v15, s21
	v_add_co_u32_e64 v14, s[6:7], s20, v5
	v_addc_co_u32_e64 v15, s[6:7], v6, v15, s[6:7]
	v_cmp_gt_u64_e64 s[6:7], s[18:19], v[14:15]
	v_mov_b32_e32 v14, 0
	s_and_saveexec_b64 s[22:23], s[6:7]
	s_cbranch_execnz .LBB37_15
; %bb.11:                               ;   in Loop: Header=BB37_4 Depth=1
	s_or_b64 exec, exec, s[22:23]
	s_and_saveexec_b64 s[8:9], vcc
	s_cbranch_execnz .LBB37_16
.LBB37_12:                              ;   in Loop: Header=BB37_4 Depth=1
	s_or_b64 exec, exec, s[8:9]
	s_and_saveexec_b64 s[8:9], s[0:1]
	s_cbranch_execnz .LBB37_17
.LBB37_13:                              ;   in Loop: Header=BB37_4 Depth=1
	s_or_b64 exec, exec, s[8:9]
	s_and_saveexec_b64 s[0:1], s[2:3]
	s_cbranch_execnz .LBB37_18
.LBB37_14:                              ;   in Loop: Header=BB37_4 Depth=1
	s_or_b64 exec, exec, s[0:1]
	s_and_saveexec_b64 s[0:1], s[6:7]
	s_cbranch_execz .LBB37_3
	s_branch .LBB37_19
.LBB37_15:                              ;   in Loop: Header=BB37_4 Depth=1
	v_add_co_u32_e64 v14, s[8:9], s26, v1
	v_addc_co_u32_e64 v15, s[8:9], 0, v2, s[8:9]
	global_load_dword v14, v[14:15], off
	s_waitcnt vmcnt(0)
	v_ceil_f32_e32 v14, v14
	s_or_b64 exec, exec, s[22:23]
	s_and_saveexec_b64 s[8:9], vcc
	s_cbranch_execz .LBB37_12
.LBB37_16:                              ;   in Loop: Header=BB37_4 Depth=1
	global_store_dword v[1:2], v11, off
	s_or_b64 exec, exec, s[8:9]
	s_and_saveexec_b64 s[8:9], s[0:1]
	s_cbranch_execz .LBB37_13
.LBB37_17:                              ;   in Loop: Header=BB37_4 Depth=1
	global_store_dword v[3:4], v13, off
	s_or_b64 exec, exec, s[8:9]
	s_and_saveexec_b64 s[0:1], s[2:3]
	s_cbranch_execz .LBB37_14
.LBB37_18:                              ;   in Loop: Header=BB37_4 Depth=1
	v_add_co_u32_e32 v15, vcc, s27, v1
	v_addc_co_u32_e32 v16, vcc, 0, v2, vcc
	global_store_dword v[15:16], v12, off
	s_or_b64 exec, exec, s[0:1]
	s_and_saveexec_b64 s[0:1], s[6:7]
	s_cbranch_execz .LBB37_3
.LBB37_19:                              ;   in Loop: Header=BB37_4 Depth=1
	v_add_co_u32_e32 v11, vcc, s26, v1
	v_addc_co_u32_e32 v12, vcc, 0, v2, vcc
	global_store_dword v[11:12], v14, off
	s_branch .LBB37_3
.LBB37_20:
	s_cbranch_execz .LBB37_22
	s_branch .LBB37_25
.LBB37_21:
.LBB37_22:
	v_mov_b32_e32 v1, 0x10000
	v_mov_b32_e32 v2, 0
	v_cmp_lt_i64_e32 vcc, s[14:15], v[1:2]
	v_mov_b32_e32 v2, 0
	s_and_b64 s[0:1], vcc, exec
	s_cselect_b32 s1, s15, 0
	s_cselect_b32 s0, s14, 0x10000
	v_lshlrev_b32_e32 v1, 2, v0
	v_cmp_gt_i64_e32 vcc, s[0:1], v[1:2]
	s_and_saveexec_b64 s[2:3], vcc
	s_cbranch_execz .LBB37_25
; %bb.23:
	s_load_dword s2, s[4:5], 0xd3c
	v_mov_b32_e32 v1, v2
	v_lshlrev_b32_e32 v2, 4, v0
	s_waitcnt lgkmcnt(0)
	s_and_b32 s4, s2, 0xffff
	s_add_u32 s2, s10, s12
	s_addc_u32 s3, s11, s13
	v_mov_b32_e32 v3, s3
	v_add_co_u32_e32 v2, vcc, s2, v2
	v_addc_co_u32_e32 v3, vcc, 0, v3, vcc
	v_add_co_u32_e32 v2, vcc, 8, v2
	v_addc_co_u32_e32 v3, vcc, 0, v3, vcc
	s_lshl_b32 s5, s4, 4
	s_mov_b64 s[2:3], 0
.LBB37_24:                              ; =>This Inner Loop Header: Depth=1
	global_load_dwordx4 v[4:7], v[2:3], off offset:-8
	v_add_co_u32_e32 v0, vcc, s4, v0
	v_addc_co_u32_e32 v1, vcc, 0, v1, vcc
	v_lshlrev_b64 v[8:9], 2, v[0:1]
	v_cmp_le_i64_e32 vcc, s[0:1], v[8:9]
	s_or_b64 s[2:3], vcc, s[2:3]
	s_waitcnt vmcnt(0)
	v_ceil_f32_e32 v4, v4
	v_ceil_f32_e32 v5, v5
	v_ceil_f32_e32 v6, v6
	v_ceil_f32_e32 v7, v7
	global_store_dwordx4 v[2:3], v[4:7], off offset:-8
	v_add_co_u32_e32 v2, vcc, s5, v2
	v_addc_co_u32_e32 v3, vcc, 0, v3, vcc
	s_andn2_b64 exec, exec, s[2:3]
	s_cbranch_execnz .LBB37_24
.LBB37_25:
	s_endpgm
	.section	.rodata,"a",@progbits
	.p2align	6, 0x0
	.amdhsa_kernel _ZN2at6native12_GLOBAL__N_125multi_tensor_apply_kernelINS1_18TensorListMetadataILi1EEENS1_14UnaryOpFunctorIfLi1ELi1ELi0EEEJNS0_4CeilIfEEEEEvT_T0_DpT1_
		.amdhsa_group_segment_fixed_size 0
		.amdhsa_private_segment_fixed_size 0
		.amdhsa_kernarg_size 3632
		.amdhsa_user_sgpr_count 6
		.amdhsa_user_sgpr_private_segment_buffer 1
		.amdhsa_user_sgpr_dispatch_ptr 0
		.amdhsa_user_sgpr_queue_ptr 0
		.amdhsa_user_sgpr_kernarg_segment_ptr 1
		.amdhsa_user_sgpr_dispatch_id 0
		.amdhsa_user_sgpr_flat_scratch_init 0
		.amdhsa_user_sgpr_private_segment_size 0
		.amdhsa_uses_dynamic_stack 0
		.amdhsa_system_sgpr_private_segment_wavefront_offset 0
		.amdhsa_system_sgpr_workgroup_id_x 1
		.amdhsa_system_sgpr_workgroup_id_y 0
		.amdhsa_system_sgpr_workgroup_id_z 0
		.amdhsa_system_sgpr_workgroup_info 0
		.amdhsa_system_vgpr_workitem_id 0
		.amdhsa_next_free_vgpr 17
		.amdhsa_next_free_sgpr 28
		.amdhsa_reserve_vcc 1
		.amdhsa_reserve_flat_scratch 0
		.amdhsa_float_round_mode_32 0
		.amdhsa_float_round_mode_16_64 0
		.amdhsa_float_denorm_mode_32 3
		.amdhsa_float_denorm_mode_16_64 3
		.amdhsa_dx10_clamp 1
		.amdhsa_ieee_mode 1
		.amdhsa_fp16_overflow 0
		.amdhsa_exception_fp_ieee_invalid_op 0
		.amdhsa_exception_fp_denorm_src 0
		.amdhsa_exception_fp_ieee_div_zero 0
		.amdhsa_exception_fp_ieee_overflow 0
		.amdhsa_exception_fp_ieee_underflow 0
		.amdhsa_exception_fp_ieee_inexact 0
		.amdhsa_exception_int_div_zero 0
	.end_amdhsa_kernel
	.section	.text._ZN2at6native12_GLOBAL__N_125multi_tensor_apply_kernelINS1_18TensorListMetadataILi1EEENS1_14UnaryOpFunctorIfLi1ELi1ELi0EEEJNS0_4CeilIfEEEEEvT_T0_DpT1_,"axG",@progbits,_ZN2at6native12_GLOBAL__N_125multi_tensor_apply_kernelINS1_18TensorListMetadataILi1EEENS1_14UnaryOpFunctorIfLi1ELi1ELi0EEEJNS0_4CeilIfEEEEEvT_T0_DpT1_,comdat
.Lfunc_end37:
	.size	_ZN2at6native12_GLOBAL__N_125multi_tensor_apply_kernelINS1_18TensorListMetadataILi1EEENS1_14UnaryOpFunctorIfLi1ELi1ELi0EEEJNS0_4CeilIfEEEEEvT_T0_DpT1_, .Lfunc_end37-_ZN2at6native12_GLOBAL__N_125multi_tensor_apply_kernelINS1_18TensorListMetadataILi1EEENS1_14UnaryOpFunctorIfLi1ELi1ELi0EEEJNS0_4CeilIfEEEEEvT_T0_DpT1_
                                        ; -- End function
	.set _ZN2at6native12_GLOBAL__N_125multi_tensor_apply_kernelINS1_18TensorListMetadataILi1EEENS1_14UnaryOpFunctorIfLi1ELi1ELi0EEEJNS0_4CeilIfEEEEEvT_T0_DpT1_.num_vgpr, 17
	.set _ZN2at6native12_GLOBAL__N_125multi_tensor_apply_kernelINS1_18TensorListMetadataILi1EEENS1_14UnaryOpFunctorIfLi1ELi1ELi0EEEJNS0_4CeilIfEEEEEvT_T0_DpT1_.num_agpr, 0
	.set _ZN2at6native12_GLOBAL__N_125multi_tensor_apply_kernelINS1_18TensorListMetadataILi1EEENS1_14UnaryOpFunctorIfLi1ELi1ELi0EEEJNS0_4CeilIfEEEEEvT_T0_DpT1_.numbered_sgpr, 28
	.set _ZN2at6native12_GLOBAL__N_125multi_tensor_apply_kernelINS1_18TensorListMetadataILi1EEENS1_14UnaryOpFunctorIfLi1ELi1ELi0EEEJNS0_4CeilIfEEEEEvT_T0_DpT1_.num_named_barrier, 0
	.set _ZN2at6native12_GLOBAL__N_125multi_tensor_apply_kernelINS1_18TensorListMetadataILi1EEENS1_14UnaryOpFunctorIfLi1ELi1ELi0EEEJNS0_4CeilIfEEEEEvT_T0_DpT1_.private_seg_size, 0
	.set _ZN2at6native12_GLOBAL__N_125multi_tensor_apply_kernelINS1_18TensorListMetadataILi1EEENS1_14UnaryOpFunctorIfLi1ELi1ELi0EEEJNS0_4CeilIfEEEEEvT_T0_DpT1_.uses_vcc, 1
	.set _ZN2at6native12_GLOBAL__N_125multi_tensor_apply_kernelINS1_18TensorListMetadataILi1EEENS1_14UnaryOpFunctorIfLi1ELi1ELi0EEEJNS0_4CeilIfEEEEEvT_T0_DpT1_.uses_flat_scratch, 0
	.set _ZN2at6native12_GLOBAL__N_125multi_tensor_apply_kernelINS1_18TensorListMetadataILi1EEENS1_14UnaryOpFunctorIfLi1ELi1ELi0EEEJNS0_4CeilIfEEEEEvT_T0_DpT1_.has_dyn_sized_stack, 0
	.set _ZN2at6native12_GLOBAL__N_125multi_tensor_apply_kernelINS1_18TensorListMetadataILi1EEENS1_14UnaryOpFunctorIfLi1ELi1ELi0EEEJNS0_4CeilIfEEEEEvT_T0_DpT1_.has_recursion, 0
	.set _ZN2at6native12_GLOBAL__N_125multi_tensor_apply_kernelINS1_18TensorListMetadataILi1EEENS1_14UnaryOpFunctorIfLi1ELi1ELi0EEEJNS0_4CeilIfEEEEEvT_T0_DpT1_.has_indirect_call, 0
	.section	.AMDGPU.csdata,"",@progbits
; Kernel info:
; codeLenInByte = 984
; TotalNumSgprs: 32
; NumVgprs: 17
; ScratchSize: 0
; MemoryBound: 0
; FloatMode: 240
; IeeeMode: 1
; LDSByteSize: 0 bytes/workgroup (compile time only)
; SGPRBlocks: 3
; VGPRBlocks: 4
; NumSGPRsForWavesPerEU: 32
; NumVGPRsForWavesPerEU: 17
; Occupancy: 10
; WaveLimiterHint : 0
; COMPUTE_PGM_RSRC2:SCRATCH_EN: 0
; COMPUTE_PGM_RSRC2:USER_SGPR: 6
; COMPUTE_PGM_RSRC2:TRAP_HANDLER: 0
; COMPUTE_PGM_RSRC2:TGID_X_EN: 1
; COMPUTE_PGM_RSRC2:TGID_Y_EN: 0
; COMPUTE_PGM_RSRC2:TGID_Z_EN: 0
; COMPUTE_PGM_RSRC2:TIDIG_COMP_CNT: 0
	.section	.text._ZN2at6native12_GLOBAL__N_125multi_tensor_apply_kernelINS1_18TensorListMetadataILi1EEENS1_14UnaryOpFunctorIN3c104HalfELi1ELi1ELi0EEEJNS0_4CeilIfEEEEEvT_T0_DpT1_,"axG",@progbits,_ZN2at6native12_GLOBAL__N_125multi_tensor_apply_kernelINS1_18TensorListMetadataILi1EEENS1_14UnaryOpFunctorIN3c104HalfELi1ELi1ELi0EEEJNS0_4CeilIfEEEEEvT_T0_DpT1_,comdat
	.globl	_ZN2at6native12_GLOBAL__N_125multi_tensor_apply_kernelINS1_18TensorListMetadataILi1EEENS1_14UnaryOpFunctorIN3c104HalfELi1ELi1ELi0EEEJNS0_4CeilIfEEEEEvT_T0_DpT1_ ; -- Begin function _ZN2at6native12_GLOBAL__N_125multi_tensor_apply_kernelINS1_18TensorListMetadataILi1EEENS1_14UnaryOpFunctorIN3c104HalfELi1ELi1ELi0EEEJNS0_4CeilIfEEEEEvT_T0_DpT1_
	.p2align	8
	.type	_ZN2at6native12_GLOBAL__N_125multi_tensor_apply_kernelINS1_18TensorListMetadataILi1EEENS1_14UnaryOpFunctorIN3c104HalfELi1ELi1ELi0EEEJNS0_4CeilIfEEEEEvT_T0_DpT1_,@function
_ZN2at6native12_GLOBAL__N_125multi_tensor_apply_kernelINS1_18TensorListMetadataILi1EEENS1_14UnaryOpFunctorIN3c104HalfELi1ELi1ELi0EEEJNS0_4CeilIfEEEEEvT_T0_DpT1_: ; @_ZN2at6native12_GLOBAL__N_125multi_tensor_apply_kernelINS1_18TensorListMetadataILi1EEENS1_14UnaryOpFunctorIN3c104HalfELi1ELi1ELi0EEEJNS0_4CeilIfEEEEEvT_T0_DpT1_
; %bb.0:
	v_mov_b32_e32 v1, s6
	global_load_ubyte v1, v1, s[4:5] offset:1760
	s_add_u32 s0, s4, s6
	s_mul_hi_u32 s1, s6, 3
	s_mul_i32 s6, s6, 3
	s_addc_u32 s2, s5, 0
	s_add_u32 s0, s0, s6
	s_addc_u32 s1, s2, s1
	s_load_dword s0, s[0:1], 0x820
	s_mov_b32 s7, 0
	s_waitcnt vmcnt(0)
	v_readfirstlane_b32 s1, v1
	s_lshl_b32 s1, s1, 3
	s_load_dwordx2 s[2:3], s[4:5], s1 offset:0x370
	s_load_dwordx2 s[10:11], s[4:5], s1 offset:0x0
	s_waitcnt lgkmcnt(0)
	s_ashr_i32 s1, s0, 31
	s_lshl_b64 s[12:13], s[0:1], 17
	s_lshl_b64 s[0:1], s[0:1], 16
	s_and_b32 s6, s10, 7
	s_sub_u32 s14, s2, s0
	s_subb_u32 s15, s3, s1
	s_and_b32 s0, s2, 3
	s_mov_b32 s1, s7
	s_or_b64 s[0:1], s[6:7], s[0:1]
	s_cmp_eq_u64 s[0:1], 0
	s_cbranch_scc1 .LBB38_21
; %bb.1:
	v_cmp_lt_i64_e64 s[0:1], s[14:15], 1
	s_and_b64 vcc, exec, s[0:1]
	s_cbranch_vccnz .LBB38_20
; %bb.2:
	v_mov_b32_e32 v1, 0x10000
	s_load_dword s2, s[4:5], 0xd3c
	v_mov_b32_e32 v2, 0
	v_cmp_lt_i64_e32 vcc, s[14:15], v[1:2]
	s_mov_b64 s[20:21], 0
	s_and_b64 s[0:1], vcc, exec
	v_cmp_lt_u64_e32 vcc, s[14:15], v[1:2]
	s_cselect_b32 s17, s15, 0
	s_cselect_b32 s16, s14, 0x10000
	s_waitcnt lgkmcnt(0)
	s_and_b32 s2, s2, 0xffff
	s_and_b64 s[0:1], vcc, exec
	s_cselect_b32 s19, s15, 0
	s_cselect_b32 s18, s14, 0x10000
	s_lshl_b32 s3, s2, 1
	s_lshl_b32 s24, s2, 2
	s_add_u32 s6, s10, s12
	v_lshlrev_b32_e32 v1, 1, v0
	s_addc_u32 s7, s11, s13
	v_mov_b32_e32 v2, s7
	v_add_co_u32_e32 v1, vcc, s6, v1
	s_mul_i32 s0, s2, 3
	v_addc_co_u32_e32 v2, vcc, 0, v2, vcc
	v_add_co_u32_e32 v5, vcc, s0, v0
	v_addc_co_u32_e64 v6, s[0:1], 0, 0, vcc
	v_add_co_u32_e32 v7, vcc, s3, v0
	v_addc_co_u32_e64 v8, s[0:1], 0, 0, vcc
	v_add_co_u32_e32 v9, vcc, s2, v0
	v_lshlrev_b32_e32 v3, 1, v9
	v_addc_co_u32_e64 v10, s[0:1], 0, 0, vcc
	v_mov_b32_e32 v4, s7
	v_add_co_u32_e32 v3, vcc, s6, v3
	s_lshl_b32 s25, s2, 3
	s_mul_i32 s26, s2, 6
	v_addc_co_u32_e32 v4, vcc, 0, v4, vcc
	s_branch .LBB38_4
.LBB38_3:                               ;   in Loop: Header=BB38_4 Depth=1
	s_or_b64 exec, exec, s[0:1]
	s_add_u32 s20, s20, s24
	v_add_co_u32_e32 v1, vcc, s25, v1
	v_mov_b32_e32 v11, s16
	s_addc_u32 s21, s21, 0
	v_addc_co_u32_e32 v2, vcc, 0, v2, vcc
	v_mov_b32_e32 v12, s17
	v_cmp_lt_i64_e32 vcc, s[20:21], v[11:12]
	v_add_co_u32_e64 v3, s[0:1], s25, v3
	v_addc_co_u32_e64 v4, s[0:1], 0, v4, s[0:1]
	s_cbranch_vccz .LBB38_20
.LBB38_4:                               ; =>This Inner Loop Header: Depth=1
	v_mov_b32_e32 v12, s21
	v_add_co_u32_e32 v11, vcc, s20, v0
	v_addc_co_u32_e32 v12, vcc, 0, v12, vcc
	v_cmp_gt_u64_e32 vcc, s[18:19], v[11:12]
	v_mov_b32_e32 v11, 0
	s_and_saveexec_b64 s[0:1], vcc
	s_cbranch_execz .LBB38_6
; %bb.5:                                ;   in Loop: Header=BB38_4 Depth=1
	global_load_ushort v11, v[1:2], off
	s_waitcnt vmcnt(0)
	v_ceil_f16_e32 v11, v11
.LBB38_6:                               ;   in Loop: Header=BB38_4 Depth=1
	s_or_b64 exec, exec, s[0:1]
	v_mov_b32_e32 v13, s21
	v_add_co_u32_e64 v12, s[0:1], s20, v9
	v_addc_co_u32_e64 v13, s[0:1], v10, v13, s[0:1]
	v_cmp_gt_u64_e64 s[0:1], s[18:19], v[12:13]
	v_mov_b32_e32 v12, 0
	v_mov_b32_e32 v13, 0
	s_and_saveexec_b64 s[2:3], s[0:1]
	s_cbranch_execz .LBB38_8
; %bb.7:                                ;   in Loop: Header=BB38_4 Depth=1
	global_load_ushort v13, v[3:4], off
	s_waitcnt vmcnt(0)
	v_ceil_f16_e32 v13, v13
.LBB38_8:                               ;   in Loop: Header=BB38_4 Depth=1
	s_or_b64 exec, exec, s[2:3]
	v_mov_b32_e32 v15, s21
	v_add_co_u32_e64 v14, s[2:3], s20, v7
	v_addc_co_u32_e64 v15, s[2:3], v8, v15, s[2:3]
	v_cmp_gt_u64_e64 s[2:3], s[18:19], v[14:15]
	s_and_saveexec_b64 s[8:9], s[2:3]
	s_cbranch_execz .LBB38_10
; %bb.9:                                ;   in Loop: Header=BB38_4 Depth=1
	v_add_co_u32_e64 v14, s[6:7], s24, v1
	v_addc_co_u32_e64 v15, s[6:7], 0, v2, s[6:7]
	global_load_ushort v12, v[14:15], off
	s_waitcnt vmcnt(0)
	v_ceil_f16_e32 v12, v12
.LBB38_10:                              ;   in Loop: Header=BB38_4 Depth=1
	s_or_b64 exec, exec, s[8:9]
	v_mov_b32_e32 v15, s21
	v_add_co_u32_e64 v14, s[6:7], s20, v5
	v_addc_co_u32_e64 v15, s[6:7], v6, v15, s[6:7]
	v_cmp_gt_u64_e64 s[6:7], s[18:19], v[14:15]
	v_mov_b32_e32 v14, 0
	s_and_saveexec_b64 s[22:23], s[6:7]
	s_cbranch_execnz .LBB38_15
; %bb.11:                               ;   in Loop: Header=BB38_4 Depth=1
	s_or_b64 exec, exec, s[22:23]
	s_and_saveexec_b64 s[8:9], vcc
	s_cbranch_execnz .LBB38_16
.LBB38_12:                              ;   in Loop: Header=BB38_4 Depth=1
	s_or_b64 exec, exec, s[8:9]
	s_and_saveexec_b64 s[8:9], s[0:1]
	s_cbranch_execnz .LBB38_17
.LBB38_13:                              ;   in Loop: Header=BB38_4 Depth=1
	s_or_b64 exec, exec, s[8:9]
	s_and_saveexec_b64 s[0:1], s[2:3]
	s_cbranch_execnz .LBB38_18
.LBB38_14:                              ;   in Loop: Header=BB38_4 Depth=1
	s_or_b64 exec, exec, s[0:1]
	s_and_saveexec_b64 s[0:1], s[6:7]
	s_cbranch_execz .LBB38_3
	s_branch .LBB38_19
.LBB38_15:                              ;   in Loop: Header=BB38_4 Depth=1
	v_add_co_u32_e64 v14, s[8:9], s26, v1
	v_addc_co_u32_e64 v15, s[8:9], 0, v2, s[8:9]
	global_load_ushort v14, v[14:15], off
	s_waitcnt vmcnt(0)
	v_ceil_f16_e32 v14, v14
	s_or_b64 exec, exec, s[22:23]
	s_and_saveexec_b64 s[8:9], vcc
	s_cbranch_execz .LBB38_12
.LBB38_16:                              ;   in Loop: Header=BB38_4 Depth=1
	global_store_short v[1:2], v11, off
	s_or_b64 exec, exec, s[8:9]
	s_and_saveexec_b64 s[8:9], s[0:1]
	s_cbranch_execz .LBB38_13
.LBB38_17:                              ;   in Loop: Header=BB38_4 Depth=1
	global_store_short v[3:4], v13, off
	s_or_b64 exec, exec, s[8:9]
	s_and_saveexec_b64 s[0:1], s[2:3]
	s_cbranch_execz .LBB38_14
.LBB38_18:                              ;   in Loop: Header=BB38_4 Depth=1
	v_add_co_u32_e32 v15, vcc, s24, v1
	v_addc_co_u32_e32 v16, vcc, 0, v2, vcc
	global_store_short v[15:16], v12, off
	s_or_b64 exec, exec, s[0:1]
	s_and_saveexec_b64 s[0:1], s[6:7]
	s_cbranch_execz .LBB38_3
.LBB38_19:                              ;   in Loop: Header=BB38_4 Depth=1
	v_add_co_u32_e32 v11, vcc, s26, v1
	v_addc_co_u32_e32 v12, vcc, 0, v2, vcc
	global_store_short v[11:12], v14, off
	s_branch .LBB38_3
.LBB38_20:
	s_cbranch_execz .LBB38_22
	s_branch .LBB38_25
.LBB38_21:
.LBB38_22:
	v_mov_b32_e32 v1, 0x10000
	v_mov_b32_e32 v2, 0
	v_cmp_lt_i64_e32 vcc, s[14:15], v[1:2]
	v_mov_b32_e32 v2, 0
	s_and_b64 s[0:1], vcc, exec
	s_cselect_b32 s1, s15, 0
	s_cselect_b32 s0, s14, 0x10000
	v_lshlrev_b32_e32 v1, 2, v0
	v_cmp_gt_i64_e32 vcc, s[0:1], v[1:2]
	s_and_saveexec_b64 s[2:3], vcc
	s_cbranch_execz .LBB38_25
; %bb.23:
	s_load_dword s2, s[4:5], 0xd3c
	v_mov_b32_e32 v1, v2
	v_lshlrev_b32_e32 v2, 3, v0
	s_waitcnt lgkmcnt(0)
	s_and_b32 s4, s2, 0xffff
	s_add_u32 s2, s10, s12
	s_addc_u32 s3, s11, s13
	v_mov_b32_e32 v3, s3
	v_add_co_u32_e32 v2, vcc, s2, v2
	v_addc_co_u32_e32 v3, vcc, 0, v3, vcc
	v_add_co_u32_e32 v2, vcc, 4, v2
	v_addc_co_u32_e32 v3, vcc, 0, v3, vcc
	s_lshl_b32 s5, s4, 3
	s_mov_b64 s[2:3], 0
.LBB38_24:                              ; =>This Inner Loop Header: Depth=1
	global_load_dwordx2 v[4:5], v[2:3], off offset:-4
	v_add_co_u32_e32 v0, vcc, s4, v0
	v_addc_co_u32_e32 v1, vcc, 0, v1, vcc
	v_lshlrev_b64 v[6:7], 2, v[0:1]
	v_cmp_le_i64_e32 vcc, s[0:1], v[6:7]
	s_or_b64 s[2:3], vcc, s[2:3]
	s_waitcnt vmcnt(0)
	v_ceil_f16_e32 v6, v4
	v_ceil_f16_sdwa v4, v4 dst_sel:DWORD dst_unused:UNUSED_PAD src0_sel:WORD_1
	v_ceil_f16_e32 v7, v5
	v_ceil_f16_sdwa v5, v5 dst_sel:DWORD dst_unused:UNUSED_PAD src0_sel:WORD_1
	v_pack_b32_f16 v5, v7, v5
	v_pack_b32_f16 v4, v6, v4
	global_store_dwordx2 v[2:3], v[4:5], off offset:-4
	v_add_co_u32_e32 v2, vcc, s5, v2
	v_addc_co_u32_e32 v3, vcc, 0, v3, vcc
	s_andn2_b64 exec, exec, s[2:3]
	s_cbranch_execnz .LBB38_24
.LBB38_25:
	s_endpgm
	.section	.rodata,"a",@progbits
	.p2align	6, 0x0
	.amdhsa_kernel _ZN2at6native12_GLOBAL__N_125multi_tensor_apply_kernelINS1_18TensorListMetadataILi1EEENS1_14UnaryOpFunctorIN3c104HalfELi1ELi1ELi0EEEJNS0_4CeilIfEEEEEvT_T0_DpT1_
		.amdhsa_group_segment_fixed_size 0
		.amdhsa_private_segment_fixed_size 0
		.amdhsa_kernarg_size 3632
		.amdhsa_user_sgpr_count 6
		.amdhsa_user_sgpr_private_segment_buffer 1
		.amdhsa_user_sgpr_dispatch_ptr 0
		.amdhsa_user_sgpr_queue_ptr 0
		.amdhsa_user_sgpr_kernarg_segment_ptr 1
		.amdhsa_user_sgpr_dispatch_id 0
		.amdhsa_user_sgpr_flat_scratch_init 0
		.amdhsa_user_sgpr_private_segment_size 0
		.amdhsa_uses_dynamic_stack 0
		.amdhsa_system_sgpr_private_segment_wavefront_offset 0
		.amdhsa_system_sgpr_workgroup_id_x 1
		.amdhsa_system_sgpr_workgroup_id_y 0
		.amdhsa_system_sgpr_workgroup_id_z 0
		.amdhsa_system_sgpr_workgroup_info 0
		.amdhsa_system_vgpr_workitem_id 0
		.amdhsa_next_free_vgpr 17
		.amdhsa_next_free_sgpr 27
		.amdhsa_reserve_vcc 1
		.amdhsa_reserve_flat_scratch 0
		.amdhsa_float_round_mode_32 0
		.amdhsa_float_round_mode_16_64 0
		.amdhsa_float_denorm_mode_32 3
		.amdhsa_float_denorm_mode_16_64 3
		.amdhsa_dx10_clamp 1
		.amdhsa_ieee_mode 1
		.amdhsa_fp16_overflow 0
		.amdhsa_exception_fp_ieee_invalid_op 0
		.amdhsa_exception_fp_denorm_src 0
		.amdhsa_exception_fp_ieee_div_zero 0
		.amdhsa_exception_fp_ieee_overflow 0
		.amdhsa_exception_fp_ieee_underflow 0
		.amdhsa_exception_fp_ieee_inexact 0
		.amdhsa_exception_int_div_zero 0
	.end_amdhsa_kernel
	.section	.text._ZN2at6native12_GLOBAL__N_125multi_tensor_apply_kernelINS1_18TensorListMetadataILi1EEENS1_14UnaryOpFunctorIN3c104HalfELi1ELi1ELi0EEEJNS0_4CeilIfEEEEEvT_T0_DpT1_,"axG",@progbits,_ZN2at6native12_GLOBAL__N_125multi_tensor_apply_kernelINS1_18TensorListMetadataILi1EEENS1_14UnaryOpFunctorIN3c104HalfELi1ELi1ELi0EEEJNS0_4CeilIfEEEEEvT_T0_DpT1_,comdat
.Lfunc_end38:
	.size	_ZN2at6native12_GLOBAL__N_125multi_tensor_apply_kernelINS1_18TensorListMetadataILi1EEENS1_14UnaryOpFunctorIN3c104HalfELi1ELi1ELi0EEEJNS0_4CeilIfEEEEEvT_T0_DpT1_, .Lfunc_end38-_ZN2at6native12_GLOBAL__N_125multi_tensor_apply_kernelINS1_18TensorListMetadataILi1EEENS1_14UnaryOpFunctorIN3c104HalfELi1ELi1ELi0EEEJNS0_4CeilIfEEEEEvT_T0_DpT1_
                                        ; -- End function
	.set _ZN2at6native12_GLOBAL__N_125multi_tensor_apply_kernelINS1_18TensorListMetadataILi1EEENS1_14UnaryOpFunctorIN3c104HalfELi1ELi1ELi0EEEJNS0_4CeilIfEEEEEvT_T0_DpT1_.num_vgpr, 17
	.set _ZN2at6native12_GLOBAL__N_125multi_tensor_apply_kernelINS1_18TensorListMetadataILi1EEENS1_14UnaryOpFunctorIN3c104HalfELi1ELi1ELi0EEEJNS0_4CeilIfEEEEEvT_T0_DpT1_.num_agpr, 0
	.set _ZN2at6native12_GLOBAL__N_125multi_tensor_apply_kernelINS1_18TensorListMetadataILi1EEENS1_14UnaryOpFunctorIN3c104HalfELi1ELi1ELi0EEEJNS0_4CeilIfEEEEEvT_T0_DpT1_.numbered_sgpr, 27
	.set _ZN2at6native12_GLOBAL__N_125multi_tensor_apply_kernelINS1_18TensorListMetadataILi1EEENS1_14UnaryOpFunctorIN3c104HalfELi1ELi1ELi0EEEJNS0_4CeilIfEEEEEvT_T0_DpT1_.num_named_barrier, 0
	.set _ZN2at6native12_GLOBAL__N_125multi_tensor_apply_kernelINS1_18TensorListMetadataILi1EEENS1_14UnaryOpFunctorIN3c104HalfELi1ELi1ELi0EEEJNS0_4CeilIfEEEEEvT_T0_DpT1_.private_seg_size, 0
	.set _ZN2at6native12_GLOBAL__N_125multi_tensor_apply_kernelINS1_18TensorListMetadataILi1EEENS1_14UnaryOpFunctorIN3c104HalfELi1ELi1ELi0EEEJNS0_4CeilIfEEEEEvT_T0_DpT1_.uses_vcc, 1
	.set _ZN2at6native12_GLOBAL__N_125multi_tensor_apply_kernelINS1_18TensorListMetadataILi1EEENS1_14UnaryOpFunctorIN3c104HalfELi1ELi1ELi0EEEJNS0_4CeilIfEEEEEvT_T0_DpT1_.uses_flat_scratch, 0
	.set _ZN2at6native12_GLOBAL__N_125multi_tensor_apply_kernelINS1_18TensorListMetadataILi1EEENS1_14UnaryOpFunctorIN3c104HalfELi1ELi1ELi0EEEJNS0_4CeilIfEEEEEvT_T0_DpT1_.has_dyn_sized_stack, 0
	.set _ZN2at6native12_GLOBAL__N_125multi_tensor_apply_kernelINS1_18TensorListMetadataILi1EEENS1_14UnaryOpFunctorIN3c104HalfELi1ELi1ELi0EEEJNS0_4CeilIfEEEEEvT_T0_DpT1_.has_recursion, 0
	.set _ZN2at6native12_GLOBAL__N_125multi_tensor_apply_kernelINS1_18TensorListMetadataILi1EEENS1_14UnaryOpFunctorIN3c104HalfELi1ELi1ELi0EEEJNS0_4CeilIfEEEEEvT_T0_DpT1_.has_indirect_call, 0
	.section	.AMDGPU.csdata,"",@progbits
; Kernel info:
; codeLenInByte = 1004
; TotalNumSgprs: 31
; NumVgprs: 17
; ScratchSize: 0
; MemoryBound: 0
; FloatMode: 240
; IeeeMode: 1
; LDSByteSize: 0 bytes/workgroup (compile time only)
; SGPRBlocks: 3
; VGPRBlocks: 4
; NumSGPRsForWavesPerEU: 31
; NumVGPRsForWavesPerEU: 17
; Occupancy: 10
; WaveLimiterHint : 0
; COMPUTE_PGM_RSRC2:SCRATCH_EN: 0
; COMPUTE_PGM_RSRC2:USER_SGPR: 6
; COMPUTE_PGM_RSRC2:TRAP_HANDLER: 0
; COMPUTE_PGM_RSRC2:TGID_X_EN: 1
; COMPUTE_PGM_RSRC2:TGID_Y_EN: 0
; COMPUTE_PGM_RSRC2:TGID_Z_EN: 0
; COMPUTE_PGM_RSRC2:TIDIG_COMP_CNT: 0
	.section	.text._ZN2at6native12_GLOBAL__N_125multi_tensor_apply_kernelINS1_18TensorListMetadataILi1EEENS1_14UnaryOpFunctorIN3c108BFloat16ELi1ELi1ELi0EEEJNS0_4CeilIfEEEEEvT_T0_DpT1_,"axG",@progbits,_ZN2at6native12_GLOBAL__N_125multi_tensor_apply_kernelINS1_18TensorListMetadataILi1EEENS1_14UnaryOpFunctorIN3c108BFloat16ELi1ELi1ELi0EEEJNS0_4CeilIfEEEEEvT_T0_DpT1_,comdat
	.globl	_ZN2at6native12_GLOBAL__N_125multi_tensor_apply_kernelINS1_18TensorListMetadataILi1EEENS1_14UnaryOpFunctorIN3c108BFloat16ELi1ELi1ELi0EEEJNS0_4CeilIfEEEEEvT_T0_DpT1_ ; -- Begin function _ZN2at6native12_GLOBAL__N_125multi_tensor_apply_kernelINS1_18TensorListMetadataILi1EEENS1_14UnaryOpFunctorIN3c108BFloat16ELi1ELi1ELi0EEEJNS0_4CeilIfEEEEEvT_T0_DpT1_
	.p2align	8
	.type	_ZN2at6native12_GLOBAL__N_125multi_tensor_apply_kernelINS1_18TensorListMetadataILi1EEENS1_14UnaryOpFunctorIN3c108BFloat16ELi1ELi1ELi0EEEJNS0_4CeilIfEEEEEvT_T0_DpT1_,@function
_ZN2at6native12_GLOBAL__N_125multi_tensor_apply_kernelINS1_18TensorListMetadataILi1EEENS1_14UnaryOpFunctorIN3c108BFloat16ELi1ELi1ELi0EEEJNS0_4CeilIfEEEEEvT_T0_DpT1_: ; @_ZN2at6native12_GLOBAL__N_125multi_tensor_apply_kernelINS1_18TensorListMetadataILi1EEENS1_14UnaryOpFunctorIN3c108BFloat16ELi1ELi1ELi0EEEJNS0_4CeilIfEEEEEvT_T0_DpT1_
; %bb.0:
	v_mov_b32_e32 v1, s6
	global_load_ubyte v1, v1, s[4:5] offset:1760
	s_add_u32 s0, s4, s6
	s_mul_hi_u32 s1, s6, 3
	s_mul_i32 s6, s6, 3
	s_addc_u32 s2, s5, 0
	s_add_u32 s0, s0, s6
	s_addc_u32 s1, s2, s1
	s_load_dword s0, s[0:1], 0x820
	s_mov_b32 s7, 0
	s_waitcnt vmcnt(0)
	v_readfirstlane_b32 s1, v1
	s_lshl_b32 s1, s1, 3
	s_load_dwordx2 s[2:3], s[4:5], s1 offset:0x370
	s_load_dwordx2 s[10:11], s[4:5], s1 offset:0x0
	s_waitcnt lgkmcnt(0)
	s_ashr_i32 s1, s0, 31
	s_lshl_b64 s[12:13], s[0:1], 17
	s_lshl_b64 s[0:1], s[0:1], 16
	s_and_b32 s6, s10, 7
	s_sub_u32 s14, s2, s0
	s_subb_u32 s15, s3, s1
	s_and_b32 s0, s2, 3
	s_mov_b32 s1, s7
	s_or_b64 s[0:1], s[6:7], s[0:1]
	s_cmp_eq_u64 s[0:1], 0
	s_cbranch_scc1 .LBB39_21
; %bb.1:
	v_cmp_lt_i64_e64 s[0:1], s[14:15], 1
	s_and_b64 vcc, exec, s[0:1]
	s_cbranch_vccnz .LBB39_20
; %bb.2:
	v_mov_b32_e32 v1, 0x10000
	s_load_dword s2, s[4:5], 0xd3c
	v_mov_b32_e32 v2, 0
	v_cmp_lt_i64_e32 vcc, s[14:15], v[1:2]
	s_mov_b64 s[20:21], 0
	s_and_b64 s[0:1], vcc, exec
	v_cmp_lt_u64_e32 vcc, s[14:15], v[1:2]
	s_cselect_b32 s17, s15, 0
	s_cselect_b32 s16, s14, 0x10000
	s_waitcnt lgkmcnt(0)
	s_and_b32 s2, s2, 0xffff
	s_and_b64 s[0:1], vcc, exec
	s_cselect_b32 s19, s15, 0
	s_cselect_b32 s18, s14, 0x10000
	s_lshl_b32 s3, s2, 1
	s_lshl_b32 s24, s2, 2
	s_add_u32 s6, s10, s12
	v_lshlrev_b32_e32 v1, 1, v0
	s_addc_u32 s7, s11, s13
	v_mov_b32_e32 v2, s7
	v_add_co_u32_e32 v1, vcc, s6, v1
	s_mul_i32 s0, s2, 3
	v_addc_co_u32_e32 v2, vcc, 0, v2, vcc
	v_add_co_u32_e32 v5, vcc, s0, v0
	v_addc_co_u32_e64 v6, s[0:1], 0, 0, vcc
	v_add_co_u32_e32 v7, vcc, s3, v0
	v_addc_co_u32_e64 v8, s[0:1], 0, 0, vcc
	v_add_co_u32_e32 v9, vcc, s2, v0
	v_lshlrev_b32_e32 v3, 1, v9
	v_addc_co_u32_e64 v10, s[0:1], 0, 0, vcc
	v_mov_b32_e32 v4, s7
	v_add_co_u32_e32 v3, vcc, s6, v3
	s_lshl_b32 s25, s2, 3
	s_mul_i32 s26, s2, 6
	v_addc_co_u32_e32 v4, vcc, 0, v4, vcc
	s_movk_i32 s27, 0x7fff
	v_mov_b32_e32 v11, 0x7fc0
	s_branch .LBB39_4
.LBB39_3:                               ;   in Loop: Header=BB39_4 Depth=1
	s_or_b64 exec, exec, s[0:1]
	s_add_u32 s20, s20, s24
	v_add_co_u32_e32 v1, vcc, s25, v1
	v_mov_b32_e32 v12, s16
	s_addc_u32 s21, s21, 0
	v_addc_co_u32_e32 v2, vcc, 0, v2, vcc
	v_mov_b32_e32 v13, s17
	v_cmp_lt_i64_e32 vcc, s[20:21], v[12:13]
	v_add_co_u32_e64 v3, s[0:1], s25, v3
	v_addc_co_u32_e64 v4, s[0:1], 0, v4, s[0:1]
	s_cbranch_vccz .LBB39_20
.LBB39_4:                               ; =>This Inner Loop Header: Depth=1
	v_mov_b32_e32 v13, s21
	v_add_co_u32_e32 v12, vcc, s20, v0
	v_addc_co_u32_e32 v13, vcc, 0, v13, vcc
	v_cmp_gt_u64_e32 vcc, s[18:19], v[12:13]
	v_mov_b32_e32 v13, 0
	s_and_saveexec_b64 s[0:1], vcc
	s_cbranch_execz .LBB39_6
; %bb.5:                                ;   in Loop: Header=BB39_4 Depth=1
	global_load_ushort v12, v[1:2], off
	s_waitcnt vmcnt(0)
	v_lshlrev_b32_e32 v12, 16, v12
	v_ceil_f32_e32 v13, v12
.LBB39_6:                               ;   in Loop: Header=BB39_4 Depth=1
	s_or_b64 exec, exec, s[0:1]
	v_mov_b32_e32 v12, s21
	v_add_co_u32_e64 v14, s[0:1], s20, v9
	v_addc_co_u32_e64 v15, s[0:1], v10, v12, s[0:1]
	v_cmp_gt_u64_e64 s[0:1], s[18:19], v[14:15]
	v_mov_b32_e32 v12, 0
	v_mov_b32_e32 v14, 0
	s_and_saveexec_b64 s[2:3], s[0:1]
	s_cbranch_execz .LBB39_8
; %bb.7:                                ;   in Loop: Header=BB39_4 Depth=1
	global_load_ushort v14, v[3:4], off
	s_waitcnt vmcnt(0)
	v_lshlrev_b32_e32 v14, 16, v14
	v_ceil_f32_e32 v14, v14
.LBB39_8:                               ;   in Loop: Header=BB39_4 Depth=1
	s_or_b64 exec, exec, s[2:3]
	v_mov_b32_e32 v16, s21
	v_add_co_u32_e64 v15, s[2:3], s20, v7
	v_addc_co_u32_e64 v16, s[2:3], v8, v16, s[2:3]
	v_cmp_gt_u64_e64 s[2:3], s[18:19], v[15:16]
	s_and_saveexec_b64 s[8:9], s[2:3]
	s_cbranch_execz .LBB39_10
; %bb.9:                                ;   in Loop: Header=BB39_4 Depth=1
	v_add_co_u32_e64 v15, s[6:7], s24, v1
	v_addc_co_u32_e64 v16, s[6:7], 0, v2, s[6:7]
	global_load_ushort v12, v[15:16], off
	s_waitcnt vmcnt(0)
	v_lshlrev_b32_e32 v12, 16, v12
	v_ceil_f32_e32 v12, v12
.LBB39_10:                              ;   in Loop: Header=BB39_4 Depth=1
	s_or_b64 exec, exec, s[8:9]
	v_mov_b32_e32 v16, s21
	v_add_co_u32_e64 v15, s[6:7], s20, v5
	v_addc_co_u32_e64 v16, s[6:7], v6, v16, s[6:7]
	v_cmp_gt_u64_e64 s[6:7], s[18:19], v[15:16]
	v_mov_b32_e32 v15, 0
	s_and_saveexec_b64 s[22:23], s[6:7]
	s_cbranch_execnz .LBB39_15
; %bb.11:                               ;   in Loop: Header=BB39_4 Depth=1
	s_or_b64 exec, exec, s[22:23]
	s_and_saveexec_b64 s[8:9], vcc
	s_cbranch_execnz .LBB39_16
.LBB39_12:                              ;   in Loop: Header=BB39_4 Depth=1
	s_or_b64 exec, exec, s[8:9]
	s_and_saveexec_b64 s[8:9], s[0:1]
	s_cbranch_execnz .LBB39_17
.LBB39_13:                              ;   in Loop: Header=BB39_4 Depth=1
	s_or_b64 exec, exec, s[8:9]
	s_and_saveexec_b64 s[0:1], s[2:3]
	s_cbranch_execnz .LBB39_18
.LBB39_14:                              ;   in Loop: Header=BB39_4 Depth=1
	s_or_b64 exec, exec, s[0:1]
	s_and_saveexec_b64 s[0:1], s[6:7]
	s_cbranch_execz .LBB39_3
	s_branch .LBB39_19
.LBB39_15:                              ;   in Loop: Header=BB39_4 Depth=1
	v_add_co_u32_e64 v15, s[8:9], s26, v1
	v_addc_co_u32_e64 v16, s[8:9], 0, v2, s[8:9]
	global_load_ushort v15, v[15:16], off
	s_waitcnt vmcnt(0)
	v_lshlrev_b32_e32 v15, 16, v15
	v_ceil_f32_e32 v15, v15
	s_or_b64 exec, exec, s[22:23]
	s_and_saveexec_b64 s[8:9], vcc
	s_cbranch_execz .LBB39_12
.LBB39_16:                              ;   in Loop: Header=BB39_4 Depth=1
	v_bfe_u32 v16, v13, 16, 1
	v_add3_u32 v16, v13, v16, s27
	v_cmp_o_f32_e32 vcc, v13, v13
	v_cndmask_b32_sdwa v13, v11, v16, vcc dst_sel:DWORD dst_unused:UNUSED_PAD src0_sel:DWORD src1_sel:WORD_1
	global_store_short v[1:2], v13, off
	s_or_b64 exec, exec, s[8:9]
	s_and_saveexec_b64 s[8:9], s[0:1]
	s_cbranch_execz .LBB39_13
.LBB39_17:                              ;   in Loop: Header=BB39_4 Depth=1
	v_bfe_u32 v13, v14, 16, 1
	v_add3_u32 v13, v14, v13, s27
	v_cmp_o_f32_e32 vcc, v14, v14
	v_cndmask_b32_sdwa v13, v11, v13, vcc dst_sel:DWORD dst_unused:UNUSED_PAD src0_sel:DWORD src1_sel:WORD_1
	global_store_short v[3:4], v13, off
	s_or_b64 exec, exec, s[8:9]
	s_and_saveexec_b64 s[0:1], s[2:3]
	s_cbranch_execz .LBB39_14
.LBB39_18:                              ;   in Loop: Header=BB39_4 Depth=1
	v_bfe_u32 v13, v12, 16, 1
	v_add3_u32 v13, v12, v13, s27
	v_cmp_o_f32_e32 vcc, v12, v12
	v_cndmask_b32_sdwa v14, v11, v13, vcc dst_sel:DWORD dst_unused:UNUSED_PAD src0_sel:DWORD src1_sel:WORD_1
	v_add_co_u32_e32 v12, vcc, s24, v1
	v_addc_co_u32_e32 v13, vcc, 0, v2, vcc
	global_store_short v[12:13], v14, off
	s_or_b64 exec, exec, s[0:1]
	s_and_saveexec_b64 s[0:1], s[6:7]
	s_cbranch_execz .LBB39_3
.LBB39_19:                              ;   in Loop: Header=BB39_4 Depth=1
	v_bfe_u32 v12, v15, 16, 1
	v_add3_u32 v12, v15, v12, s27
	v_cmp_o_f32_e32 vcc, v15, v15
	v_cndmask_b32_sdwa v14, v11, v12, vcc dst_sel:DWORD dst_unused:UNUSED_PAD src0_sel:DWORD src1_sel:WORD_1
	v_add_co_u32_e32 v12, vcc, s26, v1
	v_addc_co_u32_e32 v13, vcc, 0, v2, vcc
	global_store_short v[12:13], v14, off
	s_branch .LBB39_3
.LBB39_20:
	s_cbranch_execz .LBB39_22
	s_branch .LBB39_25
.LBB39_21:
.LBB39_22:
	v_mov_b32_e32 v1, 0x10000
	v_mov_b32_e32 v2, 0
	v_cmp_lt_i64_e32 vcc, s[14:15], v[1:2]
	v_mov_b32_e32 v2, 0
	s_and_b64 s[0:1], vcc, exec
	s_cselect_b32 s1, s15, 0
	s_cselect_b32 s0, s14, 0x10000
	v_lshlrev_b32_e32 v1, 2, v0
	v_cmp_gt_i64_e32 vcc, s[0:1], v[1:2]
	s_and_saveexec_b64 s[2:3], vcc
	s_cbranch_execz .LBB39_25
; %bb.23:
	s_load_dword s2, s[4:5], 0xd3c
	v_mov_b32_e32 v1, v2
	v_lshlrev_b32_e32 v2, 3, v0
	s_movk_i32 s6, 0x7fff
	v_mov_b32_e32 v4, 0x7fc00000
	s_waitcnt lgkmcnt(0)
	s_and_b32 s4, s2, 0xffff
	s_add_u32 s2, s10, s12
	s_addc_u32 s3, s11, s13
	v_mov_b32_e32 v3, s3
	v_add_co_u32_e32 v2, vcc, s2, v2
	v_addc_co_u32_e32 v3, vcc, 0, v3, vcc
	s_lshl_b32 s5, s4, 3
	s_mov_b64 s[2:3], 0
	v_mov_b32_e32 v5, 0x7fc0
.LBB39_24:                              ; =>This Inner Loop Header: Depth=1
	global_load_dwordx2 v[6:7], v[2:3], off
	v_add_co_u32_e32 v0, vcc, s4, v0
	v_addc_co_u32_e32 v1, vcc, 0, v1, vcc
	v_lshlrev_b64 v[8:9], 2, v[0:1]
	v_cmp_le_i64_e32 vcc, s[0:1], v[8:9]
	s_or_b64 s[2:3], vcc, s[2:3]
	s_waitcnt vmcnt(0)
	v_and_b32_e32 v8, 0xffff0000, v6
	v_lshlrev_b32_e32 v9, 16, v6
	v_alignbit_b32 v6, v7, v6, 16
	v_and_b32_e32 v7, 0xffff0000, v7
	v_ceil_f32_e32 v7, v7
	v_ceil_f32_e32 v8, v8
	v_bfe_u32 v12, v7, 16, 1
	v_ceil_f32_e32 v9, v9
	v_and_b32_e32 v6, 0xffff0000, v6
	v_bfe_u32 v11, v8, 16, 1
	v_add3_u32 v12, v7, v12, s6
	v_bfe_u32 v10, v9, 16, 1
	v_ceil_f32_e32 v6, v6
	v_add3_u32 v11, v8, v11, s6
	v_and_b32_e32 v12, 0xffff0000, v12
	v_cmp_o_f32_e32 vcc, v7, v7
	v_add3_u32 v10, v9, v10, s6
	v_bfe_u32 v13, v6, 16, 1
	v_and_b32_e32 v11, 0xffff0000, v11
	v_cndmask_b32_e32 v7, v4, v12, vcc
	v_cmp_o_f32_e32 vcc, v8, v8
	v_lshrrev_b32_e32 v10, 16, v10
	v_add3_u32 v13, v6, v13, s6
	v_cndmask_b32_e32 v8, v4, v11, vcc
	v_cmp_o_f32_e32 vcc, v9, v9
	v_lshrrev_b32_e32 v13, 16, v13
	v_cndmask_b32_e32 v9, v5, v10, vcc
	v_cmp_o_f32_e32 vcc, v6, v6
	v_cndmask_b32_e32 v6, v5, v13, vcc
	v_or_b32_e32 v8, v9, v8
	v_or3_b32 v7, 0, v6, v7
	v_or3_b32 v6, v8, 0, 0
	global_store_dwordx2 v[2:3], v[6:7], off
	v_add_co_u32_e32 v2, vcc, s5, v2
	v_addc_co_u32_e32 v3, vcc, 0, v3, vcc
	s_andn2_b64 exec, exec, s[2:3]
	s_cbranch_execnz .LBB39_24
.LBB39_25:
	s_endpgm
	.section	.rodata,"a",@progbits
	.p2align	6, 0x0
	.amdhsa_kernel _ZN2at6native12_GLOBAL__N_125multi_tensor_apply_kernelINS1_18TensorListMetadataILi1EEENS1_14UnaryOpFunctorIN3c108BFloat16ELi1ELi1ELi0EEEJNS0_4CeilIfEEEEEvT_T0_DpT1_
		.amdhsa_group_segment_fixed_size 0
		.amdhsa_private_segment_fixed_size 0
		.amdhsa_kernarg_size 3632
		.amdhsa_user_sgpr_count 6
		.amdhsa_user_sgpr_private_segment_buffer 1
		.amdhsa_user_sgpr_dispatch_ptr 0
		.amdhsa_user_sgpr_queue_ptr 0
		.amdhsa_user_sgpr_kernarg_segment_ptr 1
		.amdhsa_user_sgpr_dispatch_id 0
		.amdhsa_user_sgpr_flat_scratch_init 0
		.amdhsa_user_sgpr_private_segment_size 0
		.amdhsa_uses_dynamic_stack 0
		.amdhsa_system_sgpr_private_segment_wavefront_offset 0
		.amdhsa_system_sgpr_workgroup_id_x 1
		.amdhsa_system_sgpr_workgroup_id_y 0
		.amdhsa_system_sgpr_workgroup_id_z 0
		.amdhsa_system_sgpr_workgroup_info 0
		.amdhsa_system_vgpr_workitem_id 0
		.amdhsa_next_free_vgpr 17
		.amdhsa_next_free_sgpr 28
		.amdhsa_reserve_vcc 1
		.amdhsa_reserve_flat_scratch 0
		.amdhsa_float_round_mode_32 0
		.amdhsa_float_round_mode_16_64 0
		.amdhsa_float_denorm_mode_32 3
		.amdhsa_float_denorm_mode_16_64 3
		.amdhsa_dx10_clamp 1
		.amdhsa_ieee_mode 1
		.amdhsa_fp16_overflow 0
		.amdhsa_exception_fp_ieee_invalid_op 0
		.amdhsa_exception_fp_denorm_src 0
		.amdhsa_exception_fp_ieee_div_zero 0
		.amdhsa_exception_fp_ieee_overflow 0
		.amdhsa_exception_fp_ieee_underflow 0
		.amdhsa_exception_fp_ieee_inexact 0
		.amdhsa_exception_int_div_zero 0
	.end_amdhsa_kernel
	.section	.text._ZN2at6native12_GLOBAL__N_125multi_tensor_apply_kernelINS1_18TensorListMetadataILi1EEENS1_14UnaryOpFunctorIN3c108BFloat16ELi1ELi1ELi0EEEJNS0_4CeilIfEEEEEvT_T0_DpT1_,"axG",@progbits,_ZN2at6native12_GLOBAL__N_125multi_tensor_apply_kernelINS1_18TensorListMetadataILi1EEENS1_14UnaryOpFunctorIN3c108BFloat16ELi1ELi1ELi0EEEJNS0_4CeilIfEEEEEvT_T0_DpT1_,comdat
.Lfunc_end39:
	.size	_ZN2at6native12_GLOBAL__N_125multi_tensor_apply_kernelINS1_18TensorListMetadataILi1EEENS1_14UnaryOpFunctorIN3c108BFloat16ELi1ELi1ELi0EEEJNS0_4CeilIfEEEEEvT_T0_DpT1_, .Lfunc_end39-_ZN2at6native12_GLOBAL__N_125multi_tensor_apply_kernelINS1_18TensorListMetadataILi1EEENS1_14UnaryOpFunctorIN3c108BFloat16ELi1ELi1ELi0EEEJNS0_4CeilIfEEEEEvT_T0_DpT1_
                                        ; -- End function
	.set _ZN2at6native12_GLOBAL__N_125multi_tensor_apply_kernelINS1_18TensorListMetadataILi1EEENS1_14UnaryOpFunctorIN3c108BFloat16ELi1ELi1ELi0EEEJNS0_4CeilIfEEEEEvT_T0_DpT1_.num_vgpr, 17
	.set _ZN2at6native12_GLOBAL__N_125multi_tensor_apply_kernelINS1_18TensorListMetadataILi1EEENS1_14UnaryOpFunctorIN3c108BFloat16ELi1ELi1ELi0EEEJNS0_4CeilIfEEEEEvT_T0_DpT1_.num_agpr, 0
	.set _ZN2at6native12_GLOBAL__N_125multi_tensor_apply_kernelINS1_18TensorListMetadataILi1EEENS1_14UnaryOpFunctorIN3c108BFloat16ELi1ELi1ELi0EEEJNS0_4CeilIfEEEEEvT_T0_DpT1_.numbered_sgpr, 28
	.set _ZN2at6native12_GLOBAL__N_125multi_tensor_apply_kernelINS1_18TensorListMetadataILi1EEENS1_14UnaryOpFunctorIN3c108BFloat16ELi1ELi1ELi0EEEJNS0_4CeilIfEEEEEvT_T0_DpT1_.num_named_barrier, 0
	.set _ZN2at6native12_GLOBAL__N_125multi_tensor_apply_kernelINS1_18TensorListMetadataILi1EEENS1_14UnaryOpFunctorIN3c108BFloat16ELi1ELi1ELi0EEEJNS0_4CeilIfEEEEEvT_T0_DpT1_.private_seg_size, 0
	.set _ZN2at6native12_GLOBAL__N_125multi_tensor_apply_kernelINS1_18TensorListMetadataILi1EEENS1_14UnaryOpFunctorIN3c108BFloat16ELi1ELi1ELi0EEEJNS0_4CeilIfEEEEEvT_T0_DpT1_.uses_vcc, 1
	.set _ZN2at6native12_GLOBAL__N_125multi_tensor_apply_kernelINS1_18TensorListMetadataILi1EEENS1_14UnaryOpFunctorIN3c108BFloat16ELi1ELi1ELi0EEEJNS0_4CeilIfEEEEEvT_T0_DpT1_.uses_flat_scratch, 0
	.set _ZN2at6native12_GLOBAL__N_125multi_tensor_apply_kernelINS1_18TensorListMetadataILi1EEENS1_14UnaryOpFunctorIN3c108BFloat16ELi1ELi1ELi0EEEJNS0_4CeilIfEEEEEvT_T0_DpT1_.has_dyn_sized_stack, 0
	.set _ZN2at6native12_GLOBAL__N_125multi_tensor_apply_kernelINS1_18TensorListMetadataILi1EEENS1_14UnaryOpFunctorIN3c108BFloat16ELi1ELi1ELi0EEEJNS0_4CeilIfEEEEEvT_T0_DpT1_.has_recursion, 0
	.set _ZN2at6native12_GLOBAL__N_125multi_tensor_apply_kernelINS1_18TensorListMetadataILi1EEENS1_14UnaryOpFunctorIN3c108BFloat16ELi1ELi1ELi0EEEJNS0_4CeilIfEEEEEvT_T0_DpT1_.has_indirect_call, 0
	.section	.AMDGPU.csdata,"",@progbits
; Kernel info:
; codeLenInByte = 1308
; TotalNumSgprs: 32
; NumVgprs: 17
; ScratchSize: 0
; MemoryBound: 0
; FloatMode: 240
; IeeeMode: 1
; LDSByteSize: 0 bytes/workgroup (compile time only)
; SGPRBlocks: 3
; VGPRBlocks: 4
; NumSGPRsForWavesPerEU: 32
; NumVGPRsForWavesPerEU: 17
; Occupancy: 10
; WaveLimiterHint : 0
; COMPUTE_PGM_RSRC2:SCRATCH_EN: 0
; COMPUTE_PGM_RSRC2:USER_SGPR: 6
; COMPUTE_PGM_RSRC2:TRAP_HANDLER: 0
; COMPUTE_PGM_RSRC2:TGID_X_EN: 1
; COMPUTE_PGM_RSRC2:TGID_Y_EN: 0
; COMPUTE_PGM_RSRC2:TGID_Z_EN: 0
; COMPUTE_PGM_RSRC2:TIDIG_COMP_CNT: 0
	.section	.text._ZN2at6native12_GLOBAL__N_125multi_tensor_apply_kernelINS1_18TensorListMetadataILi2EEENS1_14UnaryOpFunctorIdLi2ELi1ELi1EEEJNS0_4AcosIdEEEEEvT_T0_DpT1_,"axG",@progbits,_ZN2at6native12_GLOBAL__N_125multi_tensor_apply_kernelINS1_18TensorListMetadataILi2EEENS1_14UnaryOpFunctorIdLi2ELi1ELi1EEEJNS0_4AcosIdEEEEEvT_T0_DpT1_,comdat
	.globl	_ZN2at6native12_GLOBAL__N_125multi_tensor_apply_kernelINS1_18TensorListMetadataILi2EEENS1_14UnaryOpFunctorIdLi2ELi1ELi1EEEJNS0_4AcosIdEEEEEvT_T0_DpT1_ ; -- Begin function _ZN2at6native12_GLOBAL__N_125multi_tensor_apply_kernelINS1_18TensorListMetadataILi2EEENS1_14UnaryOpFunctorIdLi2ELi1ELi1EEEJNS0_4AcosIdEEEEEvT_T0_DpT1_
	.p2align	8
	.type	_ZN2at6native12_GLOBAL__N_125multi_tensor_apply_kernelINS1_18TensorListMetadataILi2EEENS1_14UnaryOpFunctorIdLi2ELi1ELi1EEEJNS0_4AcosIdEEEEEvT_T0_DpT1_,@function
_ZN2at6native12_GLOBAL__N_125multi_tensor_apply_kernelINS1_18TensorListMetadataILi2EEENS1_14UnaryOpFunctorIdLi2ELi1ELi1EEEJNS0_4AcosIdEEEEEvT_T0_DpT1_: ; @_ZN2at6native12_GLOBAL__N_125multi_tensor_apply_kernelINS1_18TensorListMetadataILi2EEENS1_14UnaryOpFunctorIdLi2ELi1ELi1EEEJNS0_4AcosIdEEEEEvT_T0_DpT1_
; %bb.0:
	v_mov_b32_e32 v1, s6
	global_load_ubyte v1, v1, s[4:5] offset:1536
	s_add_u32 s0, s4, s6
	s_mul_hi_u32 s1, s6, 3
	s_mul_i32 s6, s6, 3
	s_addc_u32 s2, s5, 0
	s_add_u32 s0, s0, s6
	s_addc_u32 s1, s2, s1
	s_load_dword s6, s[0:1], 0x740
	s_mov_b32 s9, 0
	s_mov_b32 s11, s9
	s_waitcnt vmcnt(0)
	v_readfirstlane_b32 s0, v1
	s_lshl_b32 s7, s0, 3
	s_load_dwordx2 s[14:15], s[4:5], s7 offset:0x400
	s_load_dwordx2 s[2:3], s[4:5], s7 offset:0x0
	;; [unrolled: 1-line block ×3, first 2 shown]
	s_waitcnt lgkmcnt(0)
	s_ashr_i32 s7, s6, 31
	s_lshl_b64 s[12:13], s[6:7], 19
	s_lshl_b64 s[6:7], s[6:7], 16
	s_add_u32 s8, s2, s12
	s_and_b32 s10, s0, 31
	s_and_b32 s8, s8, 31
	s_sub_u32 s6, s14, s6
	s_subb_u32 s7, s15, s7
	s_and_b32 s14, s14, 3
	s_mov_b32 s15, s9
	s_or_b64 s[10:11], s[10:11], s[14:15]
	s_or_b64 s[8:9], s[10:11], s[8:9]
	s_cmp_eq_u64 s[8:9], 0
	s_mov_b64 s[8:9], -1
	s_cbranch_scc0 .LBB40_13
; %bb.1:
	v_mov_b32_e32 v1, 0x10000
	v_mov_b32_e32 v2, 0
	v_cmp_lt_i64_e32 vcc, s[6:7], v[1:2]
	v_mov_b32_e32 v2, 0
	s_and_b64 s[8:9], vcc, exec
	s_cselect_b32 s9, s7, 0
	s_cselect_b32 s8, s6, 0x10000
	v_lshlrev_b32_e32 v1, 2, v0
	v_cmp_gt_i64_e32 vcc, s[8:9], v[1:2]
	s_and_saveexec_b64 s[10:11], vcc
	s_cbranch_execz .LBB40_12
; %bb.2:
	s_load_dword s14, s[4:5], 0xc5c
	v_mov_b32_e32 v1, v2
	v_lshlrev_b32_e32 v2, 5, v0
	v_mov_b32_e32 v3, s13
	v_add_co_u32_e32 v21, vcc, s12, v2
	s_waitcnt lgkmcnt(0)
	s_and_b32 s33, s14, 0xffff
	s_mov_b32 s16, 0x9fea6a70
	s_mov_b32 s18, 0x37024d6a
	;; [unrolled: 1-line block ×12, first 2 shown]
	v_mov_b32_e32 v18, v1
	v_addc_co_u32_e32 v22, vcc, 0, v3, vcc
	s_lshl_b32 s46, s33, 5
	s_mov_b64 s[14:15], 0
	v_mov_b32_e32 v23, s3
	v_mov_b32_e32 v13, 0x78a05eaf
	;; [unrolled: 1-line block ×3, first 2 shown]
	s_mov_b32 s17, 0x3fa05985
	s_mov_b32 s19, 0x3f940521
	;; [unrolled: 1-line block ×11, first 2 shown]
	v_mov_b32_e32 v15, 0xeeb562d6
	v_mov_b32_e32 v16, 0x3ffaf154
	s_mov_b32 s41, 0x3fedd9ad
	s_mov_b32 s43, 0x3ffdd9ad
	v_mov_b32_e32 v24, 0x54442d18
	v_mov_b32_e32 v25, 0x400921fb
	;; [unrolled: 1-line block ×3, first 2 shown]
	s_branch .LBB40_4
.LBB40_3:                               ;   in Loop: Header=BB40_4 Depth=1
	s_or_b64 exec, exec, s[44:45]
	v_mov_b32_e32 v2, s1
	v_add_co_u32_e32 v1, vcc, s0, v21
	v_addc_co_u32_e32 v2, vcc, v2, v22, vcc
	v_add_co_u32_e32 v17, vcc, s33, v17
	v_addc_co_u32_e32 v18, vcc, 0, v18, vcc
	v_lshlrev_b64 v[3:4], 2, v[17:18]
	global_store_dwordx4 v[1:2], v[5:8], off
	v_cmp_le_i64_e32 vcc, s[8:9], v[3:4]
	global_store_dwordx4 v[1:2], v[9:12], off offset:16
	s_or_b64 s[14:15], vcc, s[14:15]
	v_add_co_u32_e32 v21, vcc, s46, v21
	v_addc_co_u32_e32 v22, vcc, 0, v22, vcc
	s_andn2_b64 exec, exec, s[14:15]
	s_cbranch_execz .LBB40_12
.LBB40_4:                               ; =>This Inner Loop Header: Depth=1
	v_add_co_u32_e32 v1, vcc, s2, v21
	v_addc_co_u32_e32 v2, vcc, v23, v22, vcc
	global_load_dwordx4 v[7:10], v[1:2], off
	s_waitcnt vmcnt(0)
	v_fma_f64 v[19:20], |v[7:8]|, -0.5, 0.5
	v_mul_f64 v[3:4], v[7:8], v[7:8]
	v_cmp_ge_f64_e64 vcc, |v[7:8]|, 0.5
	v_cndmask_b32_e32 v6, v4, v20, vcc
	v_cndmask_b32_e32 v5, v3, v19, vcc
	v_fma_f64 v[3:4], v[5:6], s[16:17], v[13:14]
	v_fma_f64 v[3:4], v[5:6], v[3:4], s[18:19]
	;; [unrolled: 1-line block ×4, first 2 shown]
	global_load_dwordx4 v[1:4], v[1:2], off offset:16
	v_fma_f64 v[11:12], v[5:6], v[11:12], s[24:25]
	v_fma_f64 v[11:12], v[5:6], v[11:12], s[26:27]
	;; [unrolled: 1-line block ×7, first 2 shown]
	v_mul_f64 v[11:12], v[5:6], v[11:12]
	v_fma_f64 v[5:6], v[7:8], v[11:12], v[7:8]
	v_fma_f64 v[5:6], s[40:41], v[15:16], -v[5:6]
	s_and_saveexec_b64 s[44:45], vcc
	s_cbranch_execz .LBB40_6
; %bb.5:                                ;   in Loop: Header=BB40_4 Depth=1
	v_rsq_f64_e32 v[5:6], v[19:20]
	v_cmp_eq_f64_e32 vcc, 0, v[19:20]
	s_mov_b32 s42, s40
	v_mul_f64 v[26:27], v[19:20], v[5:6]
	v_mul_f64 v[5:6], v[5:6], 0.5
	v_fma_f64 v[28:29], -v[5:6], v[26:27], 0.5
	v_fma_f64 v[26:27], v[26:27], v[28:29], v[26:27]
	v_fma_f64 v[5:6], v[5:6], v[28:29], v[5:6]
	v_fma_f64 v[28:29], -v[26:27], v[26:27], v[19:20]
	v_fma_f64 v[5:6], v[28:29], v[5:6], v[26:27]
	v_cndmask_b32_e32 v6, v6, v20, vcc
	v_cndmask_b32_e32 v5, v5, v19, vcc
	v_mul_f64 v[26:27], v[5:6], v[5:6]
	v_add_f64 v[30:31], v[19:20], -v[26:27]
	v_fma_f64 v[28:29], v[5:6], v[5:6], -v[26:27]
	v_add_f64 v[19:20], v[19:20], -v[30:31]
	v_add_f64 v[19:20], v[19:20], -v[26:27]
	v_add_f64 v[26:27], v[5:6], v[5:6]
	v_add_f64 v[19:20], v[19:20], -v[28:29]
	v_rcp_f64_e32 v[28:29], v[26:27]
	v_add_f64 v[19:20], v[30:31], v[19:20]
	v_fma_f64 v[30:31], -v[26:27], v[28:29], 1.0
	v_fma_f64 v[28:29], v[30:31], v[28:29], v[28:29]
	v_fma_f64 v[30:31], -v[26:27], v[28:29], 1.0
	v_fma_f64 v[28:29], v[30:31], v[28:29], v[28:29]
	v_mul_f64 v[30:31], v[19:20], v[28:29]
	v_fma_f64 v[19:20], -v[26:27], v[30:31], v[19:20]
	v_fma_f64 v[19:20], v[19:20], v[28:29], v[30:31]
	v_cndmask_b32_e64 v20, v20, 0, vcc
	v_cndmask_b32_e64 v19, v19, 0, vcc
	v_add_f64 v[26:27], v[5:6], v[19:20]
	v_cmp_gt_f64_e32 vcc, 0, v[7:8]
	v_add_f64 v[5:6], v[26:27], -v[5:6]
	v_add_f64 v[5:6], v[19:20], -v[5:6]
	v_fma_f64 v[19:20], v[26:27], v[11:12], v[26:27]
	v_fma_f64 v[5:6], v[26:27], v[11:12], v[5:6]
	v_mul_f64 v[19:20], v[19:20], -2.0
	v_add_f64 v[5:6], v[26:27], v[5:6]
	v_fma_f64 v[19:20], s[42:43], v[15:16], v[19:20]
	v_add_f64 v[5:6], v[5:6], v[5:6]
	v_cndmask_b32_e32 v6, v6, v20, vcc
	v_cndmask_b32_e32 v5, v5, v19, vcc
	v_cmp_neq_f64_e32 vcc, -1.0, v[7:8]
	v_cndmask_b32_e32 v5, v24, v5, vcc
	v_cndmask_b32_e32 v6, v25, v6, vcc
	v_cmp_neq_f64_e32 vcc, 1.0, v[7:8]
	v_cndmask_b32_e32 v6, 0, v6, vcc
	v_cndmask_b32_e32 v5, 0, v5, vcc
.LBB40_6:                               ;   in Loop: Header=BB40_4 Depth=1
	s_or_b64 exec, exec, s[44:45]
	v_fma_f64 v[19:20], |v[9:10]|, -0.5, 0.5
	v_mul_f64 v[7:8], v[9:10], v[9:10]
	v_cmp_ge_f64_e64 vcc, |v[9:10]|, 0.5
	v_cndmask_b32_e32 v8, v8, v20, vcc
	v_cndmask_b32_e32 v7, v7, v19, vcc
	v_fma_f64 v[11:12], v[7:8], s[16:17], v[13:14]
	v_fma_f64 v[11:12], v[7:8], v[11:12], s[18:19]
	;; [unrolled: 1-line block ×11, first 2 shown]
	v_mul_f64 v[11:12], v[7:8], v[11:12]
	v_fma_f64 v[7:8], v[9:10], v[11:12], v[9:10]
	v_fma_f64 v[7:8], s[40:41], v[15:16], -v[7:8]
	s_and_saveexec_b64 s[44:45], vcc
	s_cbranch_execz .LBB40_8
; %bb.7:                                ;   in Loop: Header=BB40_4 Depth=1
	v_rsq_f64_e32 v[7:8], v[19:20]
	v_cmp_eq_f64_e32 vcc, 0, v[19:20]
	s_mov_b32 s42, s40
	v_mul_f64 v[26:27], v[19:20], v[7:8]
	v_mul_f64 v[7:8], v[7:8], 0.5
	v_fma_f64 v[28:29], -v[7:8], v[26:27], 0.5
	v_fma_f64 v[26:27], v[26:27], v[28:29], v[26:27]
	v_fma_f64 v[7:8], v[7:8], v[28:29], v[7:8]
	v_fma_f64 v[28:29], -v[26:27], v[26:27], v[19:20]
	v_fma_f64 v[7:8], v[28:29], v[7:8], v[26:27]
	v_cndmask_b32_e32 v8, v8, v20, vcc
	v_cndmask_b32_e32 v7, v7, v19, vcc
	v_mul_f64 v[26:27], v[7:8], v[7:8]
	v_add_f64 v[30:31], v[19:20], -v[26:27]
	v_fma_f64 v[28:29], v[7:8], v[7:8], -v[26:27]
	v_add_f64 v[19:20], v[19:20], -v[30:31]
	v_add_f64 v[19:20], v[19:20], -v[26:27]
	v_add_f64 v[26:27], v[7:8], v[7:8]
	v_add_f64 v[19:20], v[19:20], -v[28:29]
	v_rcp_f64_e32 v[28:29], v[26:27]
	v_add_f64 v[19:20], v[30:31], v[19:20]
	v_fma_f64 v[30:31], -v[26:27], v[28:29], 1.0
	v_fma_f64 v[28:29], v[30:31], v[28:29], v[28:29]
	v_fma_f64 v[30:31], -v[26:27], v[28:29], 1.0
	v_fma_f64 v[28:29], v[30:31], v[28:29], v[28:29]
	v_mul_f64 v[30:31], v[19:20], v[28:29]
	v_fma_f64 v[19:20], -v[26:27], v[30:31], v[19:20]
	v_fma_f64 v[19:20], v[19:20], v[28:29], v[30:31]
	v_cndmask_b32_e64 v20, v20, 0, vcc
	v_cndmask_b32_e64 v19, v19, 0, vcc
	v_add_f64 v[26:27], v[7:8], v[19:20]
	v_cmp_gt_f64_e32 vcc, 0, v[9:10]
	v_add_f64 v[7:8], v[26:27], -v[7:8]
	v_add_f64 v[7:8], v[19:20], -v[7:8]
	v_fma_f64 v[19:20], v[26:27], v[11:12], v[26:27]
	v_fma_f64 v[7:8], v[26:27], v[11:12], v[7:8]
	v_mul_f64 v[19:20], v[19:20], -2.0
	v_add_f64 v[7:8], v[26:27], v[7:8]
	v_fma_f64 v[19:20], s[42:43], v[15:16], v[19:20]
	v_add_f64 v[7:8], v[7:8], v[7:8]
	v_cndmask_b32_e32 v8, v8, v20, vcc
	v_cndmask_b32_e32 v7, v7, v19, vcc
	v_cmp_neq_f64_e32 vcc, -1.0, v[9:10]
	v_cndmask_b32_e32 v7, v24, v7, vcc
	v_cndmask_b32_e32 v8, v25, v8, vcc
	v_cmp_neq_f64_e32 vcc, 1.0, v[9:10]
	v_cndmask_b32_e32 v8, 0, v8, vcc
	v_cndmask_b32_e32 v7, 0, v7, vcc
.LBB40_8:                               ;   in Loop: Header=BB40_4 Depth=1
	s_or_b64 exec, exec, s[44:45]
	s_waitcnt vmcnt(0)
	v_fma_f64 v[19:20], |v[1:2]|, -0.5, 0.5
	v_mul_f64 v[9:10], v[1:2], v[1:2]
	v_cmp_ge_f64_e64 vcc, |v[1:2]|, 0.5
	v_cndmask_b32_e32 v10, v10, v20, vcc
	v_cndmask_b32_e32 v9, v9, v19, vcc
	v_fma_f64 v[11:12], v[9:10], s[16:17], v[13:14]
	v_fma_f64 v[11:12], v[9:10], v[11:12], s[18:19]
	;; [unrolled: 1-line block ×11, first 2 shown]
	v_mul_f64 v[11:12], v[9:10], v[11:12]
	v_fma_f64 v[9:10], v[1:2], v[11:12], v[1:2]
	v_fma_f64 v[9:10], s[40:41], v[15:16], -v[9:10]
	s_and_saveexec_b64 s[44:45], vcc
	s_cbranch_execz .LBB40_10
; %bb.9:                                ;   in Loop: Header=BB40_4 Depth=1
	v_rsq_f64_e32 v[9:10], v[19:20]
	v_cmp_eq_f64_e32 vcc, 0, v[19:20]
	s_mov_b32 s42, s40
	v_mul_f64 v[26:27], v[19:20], v[9:10]
	v_mul_f64 v[9:10], v[9:10], 0.5
	v_fma_f64 v[28:29], -v[9:10], v[26:27], 0.5
	v_fma_f64 v[26:27], v[26:27], v[28:29], v[26:27]
	v_fma_f64 v[9:10], v[9:10], v[28:29], v[9:10]
	v_fma_f64 v[28:29], -v[26:27], v[26:27], v[19:20]
	v_fma_f64 v[9:10], v[28:29], v[9:10], v[26:27]
	v_cndmask_b32_e32 v10, v10, v20, vcc
	v_cndmask_b32_e32 v9, v9, v19, vcc
	v_mul_f64 v[26:27], v[9:10], v[9:10]
	v_add_f64 v[30:31], v[19:20], -v[26:27]
	v_fma_f64 v[28:29], v[9:10], v[9:10], -v[26:27]
	v_add_f64 v[19:20], v[19:20], -v[30:31]
	v_add_f64 v[19:20], v[19:20], -v[26:27]
	v_add_f64 v[26:27], v[9:10], v[9:10]
	v_add_f64 v[19:20], v[19:20], -v[28:29]
	v_rcp_f64_e32 v[28:29], v[26:27]
	v_add_f64 v[19:20], v[30:31], v[19:20]
	v_fma_f64 v[30:31], -v[26:27], v[28:29], 1.0
	v_fma_f64 v[28:29], v[30:31], v[28:29], v[28:29]
	v_fma_f64 v[30:31], -v[26:27], v[28:29], 1.0
	v_fma_f64 v[28:29], v[30:31], v[28:29], v[28:29]
	v_mul_f64 v[30:31], v[19:20], v[28:29]
	v_fma_f64 v[19:20], -v[26:27], v[30:31], v[19:20]
	v_fma_f64 v[19:20], v[19:20], v[28:29], v[30:31]
	v_cndmask_b32_e64 v20, v20, 0, vcc
	v_cndmask_b32_e64 v19, v19, 0, vcc
	v_add_f64 v[26:27], v[9:10], v[19:20]
	v_cmp_gt_f64_e32 vcc, 0, v[1:2]
	v_add_f64 v[9:10], v[26:27], -v[9:10]
	v_add_f64 v[9:10], v[19:20], -v[9:10]
	v_fma_f64 v[19:20], v[26:27], v[11:12], v[26:27]
	v_fma_f64 v[9:10], v[26:27], v[11:12], v[9:10]
	v_mul_f64 v[19:20], v[19:20], -2.0
	v_add_f64 v[9:10], v[26:27], v[9:10]
	v_fma_f64 v[19:20], s[42:43], v[15:16], v[19:20]
	v_add_f64 v[9:10], v[9:10], v[9:10]
	v_cndmask_b32_e32 v10, v10, v20, vcc
	v_cndmask_b32_e32 v9, v9, v19, vcc
	v_cmp_neq_f64_e32 vcc, -1.0, v[1:2]
	v_cndmask_b32_e32 v9, v24, v9, vcc
	v_cndmask_b32_e32 v10, v25, v10, vcc
	v_cmp_neq_f64_e32 vcc, 1.0, v[1:2]
	v_cndmask_b32_e32 v10, 0, v10, vcc
	v_cndmask_b32_e32 v9, 0, v9, vcc
.LBB40_10:                              ;   in Loop: Header=BB40_4 Depth=1
	s_or_b64 exec, exec, s[44:45]
	v_fma_f64 v[19:20], |v[3:4]|, -0.5, 0.5
	v_mul_f64 v[1:2], v[3:4], v[3:4]
	v_cmp_ge_f64_e64 vcc, |v[3:4]|, 0.5
	v_cndmask_b32_e32 v2, v2, v20, vcc
	v_cndmask_b32_e32 v1, v1, v19, vcc
	v_fma_f64 v[11:12], v[1:2], s[16:17], v[13:14]
	v_fma_f64 v[11:12], v[1:2], v[11:12], s[18:19]
	;; [unrolled: 1-line block ×11, first 2 shown]
	v_mul_f64 v[1:2], v[1:2], v[11:12]
	v_fma_f64 v[11:12], v[3:4], v[1:2], v[3:4]
	v_fma_f64 v[11:12], s[40:41], v[15:16], -v[11:12]
	s_and_saveexec_b64 s[44:45], vcc
	s_cbranch_execz .LBB40_3
; %bb.11:                               ;   in Loop: Header=BB40_4 Depth=1
	v_rsq_f64_e32 v[11:12], v[19:20]
	v_cmp_eq_f64_e32 vcc, 0, v[19:20]
	s_mov_b32 s42, s40
	v_mul_f64 v[26:27], v[19:20], v[11:12]
	v_mul_f64 v[11:12], v[11:12], 0.5
	v_fma_f64 v[28:29], -v[11:12], v[26:27], 0.5
	v_fma_f64 v[26:27], v[26:27], v[28:29], v[26:27]
	v_fma_f64 v[11:12], v[11:12], v[28:29], v[11:12]
	v_fma_f64 v[28:29], -v[26:27], v[26:27], v[19:20]
	v_fma_f64 v[11:12], v[28:29], v[11:12], v[26:27]
	v_cndmask_b32_e32 v12, v12, v20, vcc
	v_cndmask_b32_e32 v11, v11, v19, vcc
	v_mul_f64 v[26:27], v[11:12], v[11:12]
	v_add_f64 v[30:31], v[19:20], -v[26:27]
	v_fma_f64 v[28:29], v[11:12], v[11:12], -v[26:27]
	v_add_f64 v[19:20], v[19:20], -v[30:31]
	v_add_f64 v[19:20], v[19:20], -v[26:27]
	v_add_f64 v[26:27], v[11:12], v[11:12]
	v_add_f64 v[19:20], v[19:20], -v[28:29]
	v_rcp_f64_e32 v[28:29], v[26:27]
	v_add_f64 v[19:20], v[30:31], v[19:20]
	v_fma_f64 v[30:31], -v[26:27], v[28:29], 1.0
	v_fma_f64 v[28:29], v[30:31], v[28:29], v[28:29]
	v_fma_f64 v[30:31], -v[26:27], v[28:29], 1.0
	v_fma_f64 v[28:29], v[30:31], v[28:29], v[28:29]
	v_mul_f64 v[30:31], v[19:20], v[28:29]
	v_fma_f64 v[19:20], -v[26:27], v[30:31], v[19:20]
	v_fma_f64 v[19:20], v[19:20], v[28:29], v[30:31]
	v_cndmask_b32_e64 v20, v20, 0, vcc
	v_cndmask_b32_e64 v19, v19, 0, vcc
	v_add_f64 v[26:27], v[11:12], v[19:20]
	v_cmp_gt_f64_e32 vcc, 0, v[3:4]
	v_add_f64 v[11:12], v[26:27], -v[11:12]
	v_add_f64 v[11:12], v[19:20], -v[11:12]
	v_fma_f64 v[19:20], v[26:27], v[1:2], v[26:27]
	v_fma_f64 v[1:2], v[26:27], v[1:2], v[11:12]
	v_mul_f64 v[19:20], v[19:20], -2.0
	v_add_f64 v[1:2], v[26:27], v[1:2]
	v_fma_f64 v[19:20], s[42:43], v[15:16], v[19:20]
	v_add_f64 v[1:2], v[1:2], v[1:2]
	v_cndmask_b32_e32 v2, v2, v20, vcc
	v_cndmask_b32_e32 v1, v1, v19, vcc
	v_cmp_neq_f64_e32 vcc, -1.0, v[3:4]
	v_cndmask_b32_e32 v1, v24, v1, vcc
	v_cndmask_b32_e32 v2, v25, v2, vcc
	v_cmp_neq_f64_e32 vcc, 1.0, v[3:4]
	v_cndmask_b32_e32 v12, 0, v2, vcc
	v_cndmask_b32_e32 v11, 0, v1, vcc
	s_branch .LBB40_3
.LBB40_12:
	s_or_b64 exec, exec, s[10:11]
	s_mov_b64 s[8:9], 0
.LBB40_13:
	s_andn2_b64 vcc, exec, s[8:9]
	s_cbranch_vccnz .LBB40_41
; %bb.14:
	v_cmp_lt_i64_e64 s[8:9], s[6:7], 1
	s_and_b64 vcc, exec, s[8:9]
	s_cbranch_vccnz .LBB40_41
; %bb.15:
	v_mov_b32_e32 v1, 0x10000
	s_load_dword s8, s[4:5], 0xc5c
	v_mov_b32_e32 v2, 0
	v_cmp_lt_i64_e32 vcc, s[6:7], v[1:2]
	v_mov_b32_e32 v3, 0
	s_and_b64 s[4:5], vcc, exec
	v_cmp_lt_u64_e32 vcc, s[6:7], v[1:2]
	s_cselect_b32 s15, s7, 0
	s_cselect_b32 s14, s6, 0x10000
	s_waitcnt lgkmcnt(0)
	s_and_b32 s8, s8, 0xffff
	v_lshlrev_b32_e32 v2, 3, v0
	s_and_b64 s[4:5], vcc, exec
	v_mov_b32_e32 v1, s3
	v_add_co_u32_e32 v19, vcc, s2, v2
	v_mad_u64_u32 v[3:4], s[4:5], s8, 24, v[2:3]
	v_addc_co_u32_e32 v20, vcc, 0, v1, vcc
	v_mov_b32_e32 v1, s1
	v_add_co_u32_e32 v21, vcc, s0, v2
	v_addc_co_u32_e32 v22, vcc, 0, v1, vcc
	v_mov_b32_e32 v1, s3
	v_add_co_u32_e32 v23, vcc, s2, v3
	;; [unrolled: 3-line block ×3, first 2 shown]
	s_cselect_b32 s17, s7, 0
	s_cselect_b32 s16, s6, 0x10000
	v_addc_co_u32_e32 v26, vcc, v1, v4, vcc
	s_lshl_b32 s4, s8, 4
	v_add_co_u32_e32 v1, vcc, s4, v2
	v_addc_co_u32_e64 v2, s[4:5], 0, 0, vcc
	v_mov_b32_e32 v3, s3
	v_add_co_u32_e32 v27, vcc, s2, v1
	v_addc_co_u32_e32 v28, vcc, v3, v2, vcc
	v_mov_b32_e32 v3, s1
	v_add_co_u32_e32 v29, vcc, s0, v1
	v_addc_co_u32_e32 v30, vcc, v3, v2, vcc
	v_add_co_u32_e32 v31, vcc, s8, v0
	v_lshlrev_b32_e32 v1, 3, v31
	v_addc_co_u32_e64 v32, s[4:5], 0, 0, vcc
	v_mov_b32_e32 v2, s3
	v_add_co_u32_e32 v33, vcc, s2, v1
	v_addc_co_u32_e32 v34, vcc, 0, v2, vcc
	v_mov_b32_e32 v2, s1
	v_add_co_u32_e32 v35, vcc, s0, v1
	s_mul_i32 s7, s8, 3
	v_addc_co_u32_e32 v36, vcc, 0, v2, vcc
	s_lshl_b32 s6, s8, 1
	v_add_co_u32_e32 v37, vcc, s7, v0
	s_mov_b32 s20, 0x9fea6a70
	s_mov_b32 s22, 0x37024d6a
	;; [unrolled: 1-line block ×12, first 2 shown]
	v_addc_co_u32_e64 v38, s[0:1], 0, 0, vcc
	v_add_co_u32_e32 v39, vcc, s6, v0
	s_lshl_b32 s33, s8, 2
	s_lshl_b32 s50, s8, 5
	s_mov_b64 s[18:19], 0
	s_mov_b32 s21, 0x3fa05985
	s_mov_b32 s23, 0x3f940521
	;; [unrolled: 1-line block ×13, first 2 shown]
	v_mov_b32_e32 v1, 0x78a05eaf
	v_mov_b32_e32 v2, 0xbf90a5a3
	;; [unrolled: 1-line block ×4, first 2 shown]
	v_addc_co_u32_e64 v40, s[0:1], 0, 0, vcc
	v_mov_b32_e32 v41, 0x54442d18
	v_mov_b32_e32 v42, 0x400921fb
	s_branch .LBB40_17
.LBB40_16:                              ;   in Loop: Header=BB40_17 Depth=1
	s_or_b64 exec, exec, s[0:1]
	v_add_co_u32_e32 v19, vcc, s50, v19
	v_addc_co_u32_e32 v20, vcc, 0, v20, vcc
	v_add_co_u32_e32 v21, vcc, s50, v21
	v_addc_co_u32_e32 v22, vcc, 0, v22, vcc
	;; [unrolled: 2-line block ×6, first 2 shown]
	s_add_u32 s18, s18, s33
	v_add_co_u32_e32 v33, vcc, s50, v33
	v_mov_b32_e32 v5, s14
	s_addc_u32 s19, s19, 0
	v_addc_co_u32_e32 v34, vcc, 0, v34, vcc
	v_mov_b32_e32 v6, s15
	v_cmp_ge_i64_e32 vcc, s[18:19], v[5:6]
	v_add_co_u32_e64 v35, s[0:1], s50, v35
	v_addc_co_u32_e64 v36, s[0:1], 0, v36, s[0:1]
	s_cbranch_vccnz .LBB40_41
.LBB40_17:                              ; =>This Inner Loop Header: Depth=1
	v_mov_b32_e32 v6, s19
	v_add_co_u32_e32 v5, vcc, s18, v0
	v_addc_co_u32_e32 v6, vcc, 0, v6, vcc
	v_cmp_gt_u64_e32 vcc, s[16:17], v[5:6]
	v_mov_b32_e32 v11, 0
	v_mov_b32_e32 v13, 0
	;; [unrolled: 1-line block ×4, first 2 shown]
	s_and_saveexec_b64 s[2:3], vcc
	s_cbranch_execz .LBB40_19
; %bb.18:                               ;   in Loop: Header=BB40_17 Depth=1
	v_mov_b32_e32 v6, s13
	v_add_co_u32_e64 v5, s[0:1], s12, v19
	v_addc_co_u32_e64 v6, s[0:1], v20, v6, s[0:1]
	global_load_dwordx2 v[13:14], v[5:6], off
.LBB40_19:                              ;   in Loop: Header=BB40_17 Depth=1
	s_or_b64 exec, exec, s[2:3]
	v_mov_b32_e32 v6, s19
	v_add_co_u32_e64 v5, s[0:1], s18, v31
	v_addc_co_u32_e64 v6, s[0:1], v32, v6, s[0:1]
	v_cmp_gt_u64_e64 s[0:1], s[16:17], v[5:6]
	s_and_saveexec_b64 s[4:5], s[0:1]
	s_cbranch_execz .LBB40_21
; %bb.20:                               ;   in Loop: Header=BB40_17 Depth=1
	v_mov_b32_e32 v6, s13
	v_add_co_u32_e64 v5, s[2:3], s12, v33
	v_addc_co_u32_e64 v6, s[2:3], v34, v6, s[2:3]
	global_load_dwordx2 v[11:12], v[5:6], off
.LBB40_21:                              ;   in Loop: Header=BB40_17 Depth=1
	s_or_b64 exec, exec, s[4:5]
	v_mov_b32_e32 v6, s19
	v_add_co_u32_e64 v5, s[2:3], s18, v39
	v_addc_co_u32_e64 v6, s[2:3], v40, v6, s[2:3]
	v_cmp_gt_u64_e64 s[2:3], s[16:17], v[5:6]
	v_mov_b32_e32 v5, 0
	v_mov_b32_e32 v7, 0
	;; [unrolled: 1-line block ×4, first 2 shown]
	s_and_saveexec_b64 s[6:7], s[2:3]
	s_cbranch_execz .LBB40_23
; %bb.22:                               ;   in Loop: Header=BB40_17 Depth=1
	v_mov_b32_e32 v8, s13
	v_add_co_u32_e64 v7, s[4:5], s12, v27
	v_addc_co_u32_e64 v8, s[4:5], v28, v8, s[4:5]
	global_load_dwordx2 v[7:8], v[7:8], off
.LBB40_23:                              ;   in Loop: Header=BB40_17 Depth=1
	s_or_b64 exec, exec, s[6:7]
	v_mov_b32_e32 v10, s19
	v_add_co_u32_e64 v9, s[4:5], s18, v37
	v_addc_co_u32_e64 v10, s[4:5], v38, v10, s[4:5]
	v_cmp_gt_u64_e64 s[4:5], s[16:17], v[9:10]
	s_and_saveexec_b64 s[8:9], s[4:5]
	s_cbranch_execz .LBB40_25
; %bb.24:                               ;   in Loop: Header=BB40_17 Depth=1
	v_mov_b32_e32 v6, s13
	v_add_co_u32_e64 v5, s[6:7], s12, v23
	v_addc_co_u32_e64 v6, s[6:7], v24, v6, s[6:7]
	global_load_dwordx2 v[5:6], v[5:6], off
.LBB40_25:                              ;   in Loop: Header=BB40_17 Depth=1
	s_or_b64 exec, exec, s[8:9]
	s_waitcnt vmcnt(0)
	v_fma_f64 v[17:18], |v[13:14]|, -0.5, 0.5
	v_mul_f64 v[9:10], v[13:14], v[13:14]
	v_cmp_ge_f64_e64 s[6:7], |v[13:14]|, 0.5
	v_cndmask_b32_e64 v10, v10, v18, s[6:7]
	v_cndmask_b32_e64 v9, v9, v17, s[6:7]
	v_fma_f64 v[15:16], v[9:10], s[20:21], v[1:2]
	v_fma_f64 v[15:16], v[9:10], v[15:16], s[22:23]
	;; [unrolled: 1-line block ×11, first 2 shown]
	v_mul_f64 v[15:16], v[9:10], v[15:16]
	v_fma_f64 v[9:10], v[13:14], v[15:16], v[13:14]
	v_fma_f64 v[9:10], s[44:45], v[3:4], -v[9:10]
	s_and_saveexec_b64 s[48:49], s[6:7]
	s_cbranch_execz .LBB40_27
; %bb.26:                               ;   in Loop: Header=BB40_17 Depth=1
	v_rsq_f64_e32 v[9:10], v[17:18]
	v_cmp_eq_f64_e64 s[6:7], 0, v[17:18]
	s_mov_b32 s46, s44
	v_cmp_neq_f64_e64 s[8:9], -1.0, v[13:14]
	v_cmp_neq_f64_e64 s[10:11], 1.0, v[13:14]
	v_mul_f64 v[43:44], v[17:18], v[9:10]
	v_mul_f64 v[9:10], v[9:10], 0.5
	v_fma_f64 v[45:46], -v[9:10], v[43:44], 0.5
	v_fma_f64 v[43:44], v[43:44], v[45:46], v[43:44]
	v_fma_f64 v[9:10], v[9:10], v[45:46], v[9:10]
	v_fma_f64 v[45:46], -v[43:44], v[43:44], v[17:18]
	v_fma_f64 v[9:10], v[45:46], v[9:10], v[43:44]
	v_cndmask_b32_e64 v10, v10, v18, s[6:7]
	v_cndmask_b32_e64 v9, v9, v17, s[6:7]
	v_add_f64 v[43:44], v[9:10], v[9:10]
	v_mul_f64 v[45:46], v[9:10], v[9:10]
	v_rcp_f64_e32 v[47:48], v[43:44]
	v_add_f64 v[49:50], v[17:18], -v[45:46]
	v_fma_f64 v[53:54], v[9:10], v[9:10], -v[45:46]
	v_add_f64 v[17:18], v[17:18], -v[49:50]
	v_fma_f64 v[51:52], -v[43:44], v[47:48], 1.0
	v_add_f64 v[17:18], v[17:18], -v[45:46]
	v_fma_f64 v[45:46], v[51:52], v[47:48], v[47:48]
	v_add_f64 v[17:18], v[17:18], -v[53:54]
	v_fma_f64 v[47:48], -v[43:44], v[45:46], 1.0
	v_add_f64 v[17:18], v[49:50], v[17:18]
	v_fma_f64 v[45:46], v[47:48], v[45:46], v[45:46]
	v_mul_f64 v[47:48], v[17:18], v[45:46]
	v_fma_f64 v[17:18], -v[43:44], v[47:48], v[17:18]
	v_fma_f64 v[17:18], v[17:18], v[45:46], v[47:48]
	v_cndmask_b32_e64 v18, v18, 0, s[6:7]
	v_cndmask_b32_e64 v17, v17, 0, s[6:7]
	v_add_f64 v[43:44], v[9:10], v[17:18]
	v_cmp_gt_f64_e64 s[6:7], 0, v[13:14]
	v_add_f64 v[9:10], v[43:44], -v[9:10]
	v_add_f64 v[9:10], v[17:18], -v[9:10]
	v_fma_f64 v[17:18], v[43:44], v[15:16], v[43:44]
	v_fma_f64 v[9:10], v[43:44], v[15:16], v[9:10]
	v_mul_f64 v[15:16], v[17:18], -2.0
	v_add_f64 v[9:10], v[43:44], v[9:10]
	v_fma_f64 v[15:16], s[46:47], v[3:4], v[15:16]
	v_add_f64 v[9:10], v[9:10], v[9:10]
	v_cndmask_b32_e64 v10, v10, v16, s[6:7]
	v_cndmask_b32_e64 v9, v9, v15, s[6:7]
	;; [unrolled: 1-line block ×6, first 2 shown]
.LBB40_27:                              ;   in Loop: Header=BB40_17 Depth=1
	s_or_b64 exec, exec, s[48:49]
	v_fma_f64 v[17:18], |v[11:12]|, -0.5, 0.5
	v_mul_f64 v[13:14], v[11:12], v[11:12]
	v_cmp_ge_f64_e64 s[6:7], |v[11:12]|, 0.5
	v_cndmask_b32_e64 v14, v14, v18, s[6:7]
	v_cndmask_b32_e64 v13, v13, v17, s[6:7]
	v_fma_f64 v[15:16], v[13:14], s[20:21], v[1:2]
	v_fma_f64 v[15:16], v[13:14], v[15:16], s[22:23]
	;; [unrolled: 1-line block ×11, first 2 shown]
	v_mul_f64 v[15:16], v[13:14], v[15:16]
	v_fma_f64 v[13:14], v[11:12], v[15:16], v[11:12]
	v_fma_f64 v[13:14], s[44:45], v[3:4], -v[13:14]
	s_and_saveexec_b64 s[8:9], s[6:7]
	s_cbranch_execz .LBB40_29
; %bb.28:                               ;   in Loop: Header=BB40_17 Depth=1
	v_rsq_f64_e32 v[13:14], v[17:18]
	v_cmp_eq_f64_e64 s[6:7], 0, v[17:18]
	s_mov_b32 s46, s44
	v_mul_f64 v[43:44], v[17:18], v[13:14]
	v_mul_f64 v[13:14], v[13:14], 0.5
	v_fma_f64 v[45:46], -v[13:14], v[43:44], 0.5
	v_fma_f64 v[43:44], v[43:44], v[45:46], v[43:44]
	v_fma_f64 v[13:14], v[13:14], v[45:46], v[13:14]
	v_fma_f64 v[45:46], -v[43:44], v[43:44], v[17:18]
	v_fma_f64 v[13:14], v[45:46], v[13:14], v[43:44]
	v_cndmask_b32_e64 v14, v14, v18, s[6:7]
	v_cndmask_b32_e64 v13, v13, v17, s[6:7]
	v_add_f64 v[43:44], v[13:14], v[13:14]
	v_mul_f64 v[45:46], v[13:14], v[13:14]
	v_rcp_f64_e32 v[47:48], v[43:44]
	v_add_f64 v[49:50], v[17:18], -v[45:46]
	v_fma_f64 v[53:54], v[13:14], v[13:14], -v[45:46]
	v_add_f64 v[17:18], v[17:18], -v[49:50]
	v_fma_f64 v[51:52], -v[43:44], v[47:48], 1.0
	v_add_f64 v[17:18], v[17:18], -v[45:46]
	v_fma_f64 v[45:46], v[51:52], v[47:48], v[47:48]
	v_add_f64 v[17:18], v[17:18], -v[53:54]
	v_fma_f64 v[47:48], -v[43:44], v[45:46], 1.0
	v_add_f64 v[17:18], v[49:50], v[17:18]
	v_fma_f64 v[45:46], v[47:48], v[45:46], v[45:46]
	v_mul_f64 v[47:48], v[17:18], v[45:46]
	v_fma_f64 v[17:18], -v[43:44], v[47:48], v[17:18]
	v_fma_f64 v[17:18], v[17:18], v[45:46], v[47:48]
	v_cndmask_b32_e64 v18, v18, 0, s[6:7]
	v_cndmask_b32_e64 v17, v17, 0, s[6:7]
	v_add_f64 v[43:44], v[13:14], v[17:18]
	v_cmp_gt_f64_e64 s[6:7], 0, v[11:12]
	v_add_f64 v[13:14], v[43:44], -v[13:14]
	v_add_f64 v[13:14], v[17:18], -v[13:14]
	v_fma_f64 v[17:18], v[43:44], v[15:16], v[43:44]
	v_fma_f64 v[13:14], v[43:44], v[15:16], v[13:14]
	v_mul_f64 v[15:16], v[17:18], -2.0
	v_add_f64 v[13:14], v[43:44], v[13:14]
	v_fma_f64 v[15:16], s[46:47], v[3:4], v[15:16]
	v_add_f64 v[13:14], v[13:14], v[13:14]
	v_cndmask_b32_e64 v14, v14, v16, s[6:7]
	v_cndmask_b32_e64 v13, v13, v15, s[6:7]
	v_cmp_neq_f64_e64 s[6:7], -1.0, v[11:12]
	v_cndmask_b32_e64 v13, v41, v13, s[6:7]
	v_cndmask_b32_e64 v14, v42, v14, s[6:7]
	v_cmp_neq_f64_e64 s[6:7], 1.0, v[11:12]
	v_cndmask_b32_e64 v14, 0, v14, s[6:7]
	v_cndmask_b32_e64 v13, 0, v13, s[6:7]
.LBB40_29:                              ;   in Loop: Header=BB40_17 Depth=1
	s_or_b64 exec, exec, s[8:9]
	v_fma_f64 v[17:18], |v[7:8]|, -0.5, 0.5
	v_mul_f64 v[11:12], v[7:8], v[7:8]
	v_cmp_ge_f64_e64 s[6:7], |v[7:8]|, 0.5
	v_cndmask_b32_e64 v12, v12, v18, s[6:7]
	v_cndmask_b32_e64 v11, v11, v17, s[6:7]
	v_fma_f64 v[15:16], v[11:12], s[20:21], v[1:2]
	v_fma_f64 v[15:16], v[11:12], v[15:16], s[22:23]
	;; [unrolled: 1-line block ×11, first 2 shown]
	v_mul_f64 v[15:16], v[11:12], v[15:16]
	v_fma_f64 v[11:12], v[7:8], v[15:16], v[7:8]
	v_fma_f64 v[11:12], s[44:45], v[3:4], -v[11:12]
	s_and_saveexec_b64 s[8:9], s[6:7]
	s_cbranch_execz .LBB40_31
; %bb.30:                               ;   in Loop: Header=BB40_17 Depth=1
	v_rsq_f64_e32 v[11:12], v[17:18]
	v_cmp_eq_f64_e64 s[6:7], 0, v[17:18]
	s_mov_b32 s46, s44
	v_mul_f64 v[43:44], v[17:18], v[11:12]
	v_mul_f64 v[11:12], v[11:12], 0.5
	v_fma_f64 v[45:46], -v[11:12], v[43:44], 0.5
	v_fma_f64 v[43:44], v[43:44], v[45:46], v[43:44]
	v_fma_f64 v[11:12], v[11:12], v[45:46], v[11:12]
	v_fma_f64 v[45:46], -v[43:44], v[43:44], v[17:18]
	v_fma_f64 v[11:12], v[45:46], v[11:12], v[43:44]
	v_cndmask_b32_e64 v12, v12, v18, s[6:7]
	v_cndmask_b32_e64 v11, v11, v17, s[6:7]
	v_add_f64 v[43:44], v[11:12], v[11:12]
	v_mul_f64 v[45:46], v[11:12], v[11:12]
	v_rcp_f64_e32 v[47:48], v[43:44]
	v_add_f64 v[49:50], v[17:18], -v[45:46]
	v_fma_f64 v[53:54], v[11:12], v[11:12], -v[45:46]
	v_add_f64 v[17:18], v[17:18], -v[49:50]
	v_fma_f64 v[51:52], -v[43:44], v[47:48], 1.0
	v_add_f64 v[17:18], v[17:18], -v[45:46]
	v_fma_f64 v[45:46], v[51:52], v[47:48], v[47:48]
	v_add_f64 v[17:18], v[17:18], -v[53:54]
	v_fma_f64 v[47:48], -v[43:44], v[45:46], 1.0
	v_add_f64 v[17:18], v[49:50], v[17:18]
	v_fma_f64 v[45:46], v[47:48], v[45:46], v[45:46]
	v_mul_f64 v[47:48], v[17:18], v[45:46]
	v_fma_f64 v[17:18], -v[43:44], v[47:48], v[17:18]
	v_fma_f64 v[17:18], v[17:18], v[45:46], v[47:48]
	v_cndmask_b32_e64 v18, v18, 0, s[6:7]
	v_cndmask_b32_e64 v17, v17, 0, s[6:7]
	v_add_f64 v[43:44], v[11:12], v[17:18]
	v_cmp_gt_f64_e64 s[6:7], 0, v[7:8]
	v_add_f64 v[11:12], v[43:44], -v[11:12]
	v_add_f64 v[11:12], v[17:18], -v[11:12]
	v_fma_f64 v[17:18], v[43:44], v[15:16], v[43:44]
	v_fma_f64 v[11:12], v[43:44], v[15:16], v[11:12]
	v_mul_f64 v[15:16], v[17:18], -2.0
	v_add_f64 v[11:12], v[43:44], v[11:12]
	v_fma_f64 v[15:16], s[46:47], v[3:4], v[15:16]
	v_add_f64 v[11:12], v[11:12], v[11:12]
	v_cndmask_b32_e64 v12, v12, v16, s[6:7]
	v_cndmask_b32_e64 v11, v11, v15, s[6:7]
	v_cmp_neq_f64_e64 s[6:7], -1.0, v[7:8]
	v_cndmask_b32_e64 v11, v41, v11, s[6:7]
	v_cndmask_b32_e64 v12, v42, v12, s[6:7]
	v_cmp_neq_f64_e64 s[6:7], 1.0, v[7:8]
	v_cndmask_b32_e64 v12, 0, v12, s[6:7]
	v_cndmask_b32_e64 v11, 0, v11, s[6:7]
.LBB40_31:                              ;   in Loop: Header=BB40_17 Depth=1
	s_or_b64 exec, exec, s[8:9]
	v_fma_f64 v[17:18], |v[5:6]|, -0.5, 0.5
	v_mul_f64 v[7:8], v[5:6], v[5:6]
	v_cmp_ge_f64_e64 s[6:7], |v[5:6]|, 0.5
	v_cndmask_b32_e64 v8, v8, v18, s[6:7]
	v_cndmask_b32_e64 v7, v7, v17, s[6:7]
	v_fma_f64 v[15:16], v[7:8], s[20:21], v[1:2]
	v_fma_f64 v[15:16], v[7:8], v[15:16], s[22:23]
	;; [unrolled: 1-line block ×11, first 2 shown]
	v_mul_f64 v[15:16], v[7:8], v[15:16]
	v_fma_f64 v[7:8], v[5:6], v[15:16], v[5:6]
	v_fma_f64 v[7:8], s[44:45], v[3:4], -v[7:8]
	s_and_saveexec_b64 s[8:9], s[6:7]
	s_cbranch_execnz .LBB40_36
; %bb.32:                               ;   in Loop: Header=BB40_17 Depth=1
	s_or_b64 exec, exec, s[8:9]
	s_and_saveexec_b64 s[6:7], vcc
	s_xor_b64 s[6:7], exec, s[6:7]
	s_cbranch_execnz .LBB40_37
.LBB40_33:                              ;   in Loop: Header=BB40_17 Depth=1
	s_or_b64 exec, exec, s[6:7]
	s_and_saveexec_b64 s[6:7], s[0:1]
	s_cbranch_execnz .LBB40_38
.LBB40_34:                              ;   in Loop: Header=BB40_17 Depth=1
	s_or_b64 exec, exec, s[6:7]
	s_and_saveexec_b64 s[0:1], s[2:3]
	s_cbranch_execnz .LBB40_39
.LBB40_35:                              ;   in Loop: Header=BB40_17 Depth=1
	s_or_b64 exec, exec, s[0:1]
	s_and_saveexec_b64 s[0:1], s[4:5]
	s_cbranch_execz .LBB40_16
	s_branch .LBB40_40
.LBB40_36:                              ;   in Loop: Header=BB40_17 Depth=1
	v_rsq_f64_e32 v[7:8], v[17:18]
	v_cmp_eq_f64_e64 s[6:7], 0, v[17:18]
	s_mov_b32 s46, s44
	v_mul_f64 v[43:44], v[17:18], v[7:8]
	v_mul_f64 v[7:8], v[7:8], 0.5
	v_fma_f64 v[45:46], -v[7:8], v[43:44], 0.5
	v_fma_f64 v[43:44], v[43:44], v[45:46], v[43:44]
	v_fma_f64 v[7:8], v[7:8], v[45:46], v[7:8]
	v_fma_f64 v[45:46], -v[43:44], v[43:44], v[17:18]
	v_fma_f64 v[7:8], v[45:46], v[7:8], v[43:44]
	v_cndmask_b32_e64 v8, v8, v18, s[6:7]
	v_cndmask_b32_e64 v7, v7, v17, s[6:7]
	v_add_f64 v[43:44], v[7:8], v[7:8]
	v_mul_f64 v[45:46], v[7:8], v[7:8]
	v_rcp_f64_e32 v[47:48], v[43:44]
	v_add_f64 v[49:50], v[17:18], -v[45:46]
	v_fma_f64 v[53:54], v[7:8], v[7:8], -v[45:46]
	v_add_f64 v[17:18], v[17:18], -v[49:50]
	v_fma_f64 v[51:52], -v[43:44], v[47:48], 1.0
	v_add_f64 v[17:18], v[17:18], -v[45:46]
	v_fma_f64 v[45:46], v[51:52], v[47:48], v[47:48]
	v_add_f64 v[17:18], v[17:18], -v[53:54]
	v_fma_f64 v[47:48], -v[43:44], v[45:46], 1.0
	v_add_f64 v[17:18], v[49:50], v[17:18]
	v_fma_f64 v[45:46], v[47:48], v[45:46], v[45:46]
	v_mul_f64 v[47:48], v[17:18], v[45:46]
	v_fma_f64 v[17:18], -v[43:44], v[47:48], v[17:18]
	v_fma_f64 v[17:18], v[17:18], v[45:46], v[47:48]
	v_cndmask_b32_e64 v18, v18, 0, s[6:7]
	v_cndmask_b32_e64 v17, v17, 0, s[6:7]
	v_add_f64 v[43:44], v[7:8], v[17:18]
	v_cmp_gt_f64_e64 s[6:7], 0, v[5:6]
	v_add_f64 v[7:8], v[43:44], -v[7:8]
	v_add_f64 v[7:8], v[17:18], -v[7:8]
	v_fma_f64 v[17:18], v[43:44], v[15:16], v[43:44]
	v_fma_f64 v[7:8], v[43:44], v[15:16], v[7:8]
	v_mul_f64 v[15:16], v[17:18], -2.0
	v_add_f64 v[7:8], v[43:44], v[7:8]
	v_fma_f64 v[15:16], s[46:47], v[3:4], v[15:16]
	v_add_f64 v[7:8], v[7:8], v[7:8]
	v_cndmask_b32_e64 v8, v8, v16, s[6:7]
	v_cndmask_b32_e64 v7, v7, v15, s[6:7]
	v_cmp_neq_f64_e64 s[6:7], -1.0, v[5:6]
	v_cndmask_b32_e64 v7, v41, v7, s[6:7]
	v_cndmask_b32_e64 v8, v42, v8, s[6:7]
	v_cmp_neq_f64_e64 s[6:7], 1.0, v[5:6]
	v_cndmask_b32_e64 v8, 0, v8, s[6:7]
	v_cndmask_b32_e64 v7, 0, v7, s[6:7]
	s_or_b64 exec, exec, s[8:9]
	s_and_saveexec_b64 s[6:7], vcc
	s_xor_b64 s[6:7], exec, s[6:7]
	s_cbranch_execz .LBB40_33
.LBB40_37:                              ;   in Loop: Header=BB40_17 Depth=1
	v_mov_b32_e32 v6, s13
	v_add_co_u32_e32 v5, vcc, s12, v21
	v_addc_co_u32_e32 v6, vcc, v22, v6, vcc
	global_store_dwordx2 v[5:6], v[9:10], off
	s_or_b64 exec, exec, s[6:7]
	s_and_saveexec_b64 s[6:7], s[0:1]
	s_cbranch_execz .LBB40_34
.LBB40_38:                              ;   in Loop: Header=BB40_17 Depth=1
	v_mov_b32_e32 v6, s13
	v_add_co_u32_e32 v5, vcc, s12, v35
	v_addc_co_u32_e32 v6, vcc, v36, v6, vcc
	global_store_dwordx2 v[5:6], v[13:14], off
	s_or_b64 exec, exec, s[6:7]
	s_and_saveexec_b64 s[0:1], s[2:3]
	s_cbranch_execz .LBB40_35
.LBB40_39:                              ;   in Loop: Header=BB40_17 Depth=1
	v_mov_b32_e32 v6, s13
	v_add_co_u32_e32 v5, vcc, s12, v29
	v_addc_co_u32_e32 v6, vcc, v30, v6, vcc
	global_store_dwordx2 v[5:6], v[11:12], off
	s_or_b64 exec, exec, s[0:1]
	s_and_saveexec_b64 s[0:1], s[4:5]
	s_cbranch_execz .LBB40_16
.LBB40_40:                              ;   in Loop: Header=BB40_17 Depth=1
	v_mov_b32_e32 v6, s13
	v_add_co_u32_e32 v5, vcc, s12, v25
	v_addc_co_u32_e32 v6, vcc, v26, v6, vcc
	global_store_dwordx2 v[5:6], v[7:8], off
	s_branch .LBB40_16
.LBB40_41:
	s_endpgm
	.section	.rodata,"a",@progbits
	.p2align	6, 0x0
	.amdhsa_kernel _ZN2at6native12_GLOBAL__N_125multi_tensor_apply_kernelINS1_18TensorListMetadataILi2EEENS1_14UnaryOpFunctorIdLi2ELi1ELi1EEEJNS0_4AcosIdEEEEEvT_T0_DpT1_
		.amdhsa_group_segment_fixed_size 0
		.amdhsa_private_segment_fixed_size 0
		.amdhsa_kernarg_size 3408
		.amdhsa_user_sgpr_count 6
		.amdhsa_user_sgpr_private_segment_buffer 1
		.amdhsa_user_sgpr_dispatch_ptr 0
		.amdhsa_user_sgpr_queue_ptr 0
		.amdhsa_user_sgpr_kernarg_segment_ptr 1
		.amdhsa_user_sgpr_dispatch_id 0
		.amdhsa_user_sgpr_flat_scratch_init 0
		.amdhsa_user_sgpr_private_segment_size 0
		.amdhsa_uses_dynamic_stack 0
		.amdhsa_system_sgpr_private_segment_wavefront_offset 0
		.amdhsa_system_sgpr_workgroup_id_x 1
		.amdhsa_system_sgpr_workgroup_id_y 0
		.amdhsa_system_sgpr_workgroup_id_z 0
		.amdhsa_system_sgpr_workgroup_info 0
		.amdhsa_system_vgpr_workitem_id 0
		.amdhsa_next_free_vgpr 55
		.amdhsa_next_free_sgpr 51
		.amdhsa_reserve_vcc 1
		.amdhsa_reserve_flat_scratch 0
		.amdhsa_float_round_mode_32 0
		.amdhsa_float_round_mode_16_64 0
		.amdhsa_float_denorm_mode_32 3
		.amdhsa_float_denorm_mode_16_64 3
		.amdhsa_dx10_clamp 1
		.amdhsa_ieee_mode 1
		.amdhsa_fp16_overflow 0
		.amdhsa_exception_fp_ieee_invalid_op 0
		.amdhsa_exception_fp_denorm_src 0
		.amdhsa_exception_fp_ieee_div_zero 0
		.amdhsa_exception_fp_ieee_overflow 0
		.amdhsa_exception_fp_ieee_underflow 0
		.amdhsa_exception_fp_ieee_inexact 0
		.amdhsa_exception_int_div_zero 0
	.end_amdhsa_kernel
	.section	.text._ZN2at6native12_GLOBAL__N_125multi_tensor_apply_kernelINS1_18TensorListMetadataILi2EEENS1_14UnaryOpFunctorIdLi2ELi1ELi1EEEJNS0_4AcosIdEEEEEvT_T0_DpT1_,"axG",@progbits,_ZN2at6native12_GLOBAL__N_125multi_tensor_apply_kernelINS1_18TensorListMetadataILi2EEENS1_14UnaryOpFunctorIdLi2ELi1ELi1EEEJNS0_4AcosIdEEEEEvT_T0_DpT1_,comdat
.Lfunc_end40:
	.size	_ZN2at6native12_GLOBAL__N_125multi_tensor_apply_kernelINS1_18TensorListMetadataILi2EEENS1_14UnaryOpFunctorIdLi2ELi1ELi1EEEJNS0_4AcosIdEEEEEvT_T0_DpT1_, .Lfunc_end40-_ZN2at6native12_GLOBAL__N_125multi_tensor_apply_kernelINS1_18TensorListMetadataILi2EEENS1_14UnaryOpFunctorIdLi2ELi1ELi1EEEJNS0_4AcosIdEEEEEvT_T0_DpT1_
                                        ; -- End function
	.set _ZN2at6native12_GLOBAL__N_125multi_tensor_apply_kernelINS1_18TensorListMetadataILi2EEENS1_14UnaryOpFunctorIdLi2ELi1ELi1EEEJNS0_4AcosIdEEEEEvT_T0_DpT1_.num_vgpr, 55
	.set _ZN2at6native12_GLOBAL__N_125multi_tensor_apply_kernelINS1_18TensorListMetadataILi2EEENS1_14UnaryOpFunctorIdLi2ELi1ELi1EEEJNS0_4AcosIdEEEEEvT_T0_DpT1_.num_agpr, 0
	.set _ZN2at6native12_GLOBAL__N_125multi_tensor_apply_kernelINS1_18TensorListMetadataILi2EEENS1_14UnaryOpFunctorIdLi2ELi1ELi1EEEJNS0_4AcosIdEEEEEvT_T0_DpT1_.numbered_sgpr, 51
	.set _ZN2at6native12_GLOBAL__N_125multi_tensor_apply_kernelINS1_18TensorListMetadataILi2EEENS1_14UnaryOpFunctorIdLi2ELi1ELi1EEEJNS0_4AcosIdEEEEEvT_T0_DpT1_.num_named_barrier, 0
	.set _ZN2at6native12_GLOBAL__N_125multi_tensor_apply_kernelINS1_18TensorListMetadataILi2EEENS1_14UnaryOpFunctorIdLi2ELi1ELi1EEEJNS0_4AcosIdEEEEEvT_T0_DpT1_.private_seg_size, 0
	.set _ZN2at6native12_GLOBAL__N_125multi_tensor_apply_kernelINS1_18TensorListMetadataILi2EEENS1_14UnaryOpFunctorIdLi2ELi1ELi1EEEJNS0_4AcosIdEEEEEvT_T0_DpT1_.uses_vcc, 1
	.set _ZN2at6native12_GLOBAL__N_125multi_tensor_apply_kernelINS1_18TensorListMetadataILi2EEENS1_14UnaryOpFunctorIdLi2ELi1ELi1EEEJNS0_4AcosIdEEEEEvT_T0_DpT1_.uses_flat_scratch, 0
	.set _ZN2at6native12_GLOBAL__N_125multi_tensor_apply_kernelINS1_18TensorListMetadataILi2EEENS1_14UnaryOpFunctorIdLi2ELi1ELi1EEEJNS0_4AcosIdEEEEEvT_T0_DpT1_.has_dyn_sized_stack, 0
	.set _ZN2at6native12_GLOBAL__N_125multi_tensor_apply_kernelINS1_18TensorListMetadataILi2EEENS1_14UnaryOpFunctorIdLi2ELi1ELi1EEEJNS0_4AcosIdEEEEEvT_T0_DpT1_.has_recursion, 0
	.set _ZN2at6native12_GLOBAL__N_125multi_tensor_apply_kernelINS1_18TensorListMetadataILi2EEENS1_14UnaryOpFunctorIdLi2ELi1ELi1EEEJNS0_4AcosIdEEEEEvT_T0_DpT1_.has_indirect_call, 0
	.section	.AMDGPU.csdata,"",@progbits
; Kernel info:
; codeLenInByte = 5816
; TotalNumSgprs: 55
; NumVgprs: 55
; ScratchSize: 0
; MemoryBound: 0
; FloatMode: 240
; IeeeMode: 1
; LDSByteSize: 0 bytes/workgroup (compile time only)
; SGPRBlocks: 6
; VGPRBlocks: 13
; NumSGPRsForWavesPerEU: 55
; NumVGPRsForWavesPerEU: 55
; Occupancy: 4
; WaveLimiterHint : 0
; COMPUTE_PGM_RSRC2:SCRATCH_EN: 0
; COMPUTE_PGM_RSRC2:USER_SGPR: 6
; COMPUTE_PGM_RSRC2:TRAP_HANDLER: 0
; COMPUTE_PGM_RSRC2:TGID_X_EN: 1
; COMPUTE_PGM_RSRC2:TGID_Y_EN: 0
; COMPUTE_PGM_RSRC2:TGID_Z_EN: 0
; COMPUTE_PGM_RSRC2:TIDIG_COMP_CNT: 0
	.section	.text._ZN2at6native12_GLOBAL__N_125multi_tensor_apply_kernelINS1_18TensorListMetadataILi2EEENS1_14UnaryOpFunctorIfLi2ELi1ELi1EEEJNS0_4AcosIfEEEEEvT_T0_DpT1_,"axG",@progbits,_ZN2at6native12_GLOBAL__N_125multi_tensor_apply_kernelINS1_18TensorListMetadataILi2EEENS1_14UnaryOpFunctorIfLi2ELi1ELi1EEEJNS0_4AcosIfEEEEEvT_T0_DpT1_,comdat
	.globl	_ZN2at6native12_GLOBAL__N_125multi_tensor_apply_kernelINS1_18TensorListMetadataILi2EEENS1_14UnaryOpFunctorIfLi2ELi1ELi1EEEJNS0_4AcosIfEEEEEvT_T0_DpT1_ ; -- Begin function _ZN2at6native12_GLOBAL__N_125multi_tensor_apply_kernelINS1_18TensorListMetadataILi2EEENS1_14UnaryOpFunctorIfLi2ELi1ELi1EEEJNS0_4AcosIfEEEEEvT_T0_DpT1_
	.p2align	8
	.type	_ZN2at6native12_GLOBAL__N_125multi_tensor_apply_kernelINS1_18TensorListMetadataILi2EEENS1_14UnaryOpFunctorIfLi2ELi1ELi1EEEJNS0_4AcosIfEEEEEvT_T0_DpT1_,@function
_ZN2at6native12_GLOBAL__N_125multi_tensor_apply_kernelINS1_18TensorListMetadataILi2EEENS1_14UnaryOpFunctorIfLi2ELi1ELi1EEEJNS0_4AcosIfEEEEEvT_T0_DpT1_: ; @_ZN2at6native12_GLOBAL__N_125multi_tensor_apply_kernelINS1_18TensorListMetadataILi2EEENS1_14UnaryOpFunctorIfLi2ELi1ELi1EEEJNS0_4AcosIfEEEEEvT_T0_DpT1_
; %bb.0:
	v_mov_b32_e32 v1, s6
	global_load_ubyte v1, v1, s[4:5] offset:1536
	s_add_u32 s0, s4, s6
	s_mul_hi_u32 s2, s6, 3
	s_mul_i32 s6, s6, 3
	s_addc_u32 s7, s5, 0
	s_add_u32 s6, s0, s6
	s_addc_u32 s7, s7, s2
	s_load_dword s6, s[6:7], 0x740
	s_mov_b32 s1, 0
	s_mov_b32 s3, s1
	s_waitcnt lgkmcnt(0)
	s_ashr_i32 s7, s6, 31
	s_lshl_b64 s[16:17], s[6:7], 18
	s_lshl_b64 s[6:7], s[6:7], 16
	s_waitcnt vmcnt(0)
	v_readfirstlane_b32 s0, v1
	s_lshl_b32 s0, s0, 3
	s_load_dwordx2 s[8:9], s[4:5], s0 offset:0x400
	s_load_dwordx2 s[20:21], s[4:5], s0 offset:0x0
	;; [unrolled: 1-line block ×3, first 2 shown]
	s_waitcnt lgkmcnt(0)
	s_add_u32 s0, s20, s16
	s_and_b32 s2, s18, 15
	s_and_b32 s0, s0, 15
	s_sub_u32 s22, s8, s6
	s_subb_u32 s23, s9, s7
	s_and_b32 s6, s8, 3
	s_mov_b32 s7, s1
	s_or_b64 s[2:3], s[2:3], s[6:7]
	s_or_b64 s[0:1], s[2:3], s[0:1]
	s_cmp_eq_u64 s[0:1], 0
	s_mov_b64 s[0:1], -1
	s_cbranch_scc0 .LBB41_5
; %bb.1:
	v_mov_b32_e32 v1, 0x10000
	v_mov_b32_e32 v2, 0
	v_cmp_lt_i64_e32 vcc, s[22:23], v[1:2]
	v_mov_b32_e32 v2, 0
	s_and_b64 s[0:1], vcc, exec
	s_cselect_b32 s25, s23, 0
	s_cselect_b32 s24, s22, 0x10000
	v_lshlrev_b32_e32 v1, 2, v0
	v_cmp_gt_i64_e32 vcc, s[24:25], v[1:2]
	s_and_saveexec_b64 s[26:27], vcc
	s_cbranch_execz .LBB41_4
; %bb.2:
	s_load_dword s0, s[4:5], 0xc5c
	v_mov_b32_e32 v1, v2
	v_lshlrev_b32_e32 v2, 4, v0
	v_mov_b32_e32 v4, s17
	v_add_co_u32_e32 v3, vcc, s16, v2
	s_waitcnt lgkmcnt(0)
	s_and_b32 s30, s0, 0xffff
	v_mov_b32_e32 v2, v1
	v_addc_co_u32_e32 v4, vcc, 0, v4, vcc
	s_lshl_b32 s31, s30, 4
	s_mov_b64 s[28:29], 0
	v_mov_b32_e32 v5, s21
	v_mov_b32_e32 v6, 0x3d034c3c
	;; [unrolled: 1-line block ×7, first 2 shown]
.LBB41_3:                               ; =>This Inner Loop Header: Depth=1
	v_add_co_u32_e32 v11, vcc, s20, v3
	v_addc_co_u32_e32 v12, vcc, v5, v4, vcc
	global_load_dwordx4 v[11:14], v[11:12], off
	v_add_co_u32_e32 v1, vcc, s30, v1
	v_addc_co_u32_e32 v2, vcc, 0, v2, vcc
	v_add_co_u32_e32 v15, vcc, s18, v3
	v_addc_co_u32_e32 v16, vcc, v10, v4, vcc
	v_add_co_u32_e32 v3, vcc, s31, v3
	v_lshlrev_b64 v[17:18], 2, v[1:2]
	v_addc_co_u32_e32 v4, vcc, 0, v4, vcc
	v_cmp_le_i64_e32 vcc, s[24:25], v[17:18]
	v_mov_b32_e32 v19, 0x3c5fc5da
	s_or_b64 s[28:29], vcc, s[28:29]
	v_mov_b32_e32 v20, 0x3c5fc5da
	v_mov_b32_e32 v21, 0x3c5fc5da
	;; [unrolled: 1-line block ×3, first 2 shown]
	s_waitcnt vmcnt(0)
	v_fma_f32 v17, |v11|, -0.5, 0.5
	v_mul_f32_e32 v18, v11, v11
	v_fma_f32 v23, |v12|, -0.5, 0.5
	v_mul_f32_e32 v24, v12, v12
	;; [unrolled: 2-line block ×3, first 2 shown]
	v_fma_f32 v27, |v14|, -0.5, 0.5
	v_cmp_gt_f32_e64 vcc, |v12|, 0.5
	v_mul_f32_e32 v28, v14, v14
	v_cmp_gt_f32_e64 s[0:1], |v14|, 0.5
	v_cmp_gt_f32_e64 s[2:3], |v13|, 0.5
	;; [unrolled: 1-line block ×3, first 2 shown]
	v_cndmask_b32_e64 v17, v18, v17, s[6:7]
	v_cndmask_b32_e32 v18, v24, v23, vcc
	v_cndmask_b32_e64 v23, v26, v25, s[2:3]
	v_cndmask_b32_e64 v24, v28, v27, s[0:1]
	v_fmac_f32_e32 v19, 0x3d1c21a7, v17
	v_fmac_f32_e32 v20, 0x3d1c21a7, v18
	;; [unrolled: 1-line block ×4, first 2 shown]
	v_fma_f32 v19, v17, v19, v6
	v_fma_f32 v20, v18, v20, v6
	v_fma_f32 v21, v23, v21, v6
	v_fma_f32 v22, v24, v22, v6
	v_sqrt_f32_e32 v25, v17
	v_sqrt_f32_e32 v26, v18
	;; [unrolled: 1-line block ×4, first 2 shown]
	v_fma_f32 v19, v17, v19, v7
	v_fma_f32 v20, v18, v20, v7
	;; [unrolled: 1-line block ×12, first 2 shown]
	v_mul_f32_e32 v17, v17, v19
	v_mul_f32_e32 v18, v18, v20
	;; [unrolled: 1-line block ×4, first 2 shown]
	v_fmac_f32_e32 v25, v25, v17
	v_fmac_f32_e32 v26, v26, v18
	;; [unrolled: 1-line block ×4, first 2 shown]
	v_add_f32_e32 v21, v25, v25
	v_add_f32_e32 v22, v26, v26
	;; [unrolled: 1-line block ×4, first 2 shown]
	v_fma_f32 v17, v11, v17, v11
	v_fma_f32 v18, v12, v18, v12
	;; [unrolled: 1-line block ×3, first 2 shown]
	v_sub_f32_e32 v25, 0x40490fdb, v21
	v_sub_f32_e32 v26, 0x40490fdb, v24
	v_cmp_gt_f32_e64 s[8:9], 0, v14
	v_fmac_f32_e32 v14, v14, v20
	v_sub_f32_e32 v20, 0x40490fdb, v22
	v_sub_f32_e32 v27, 0x40490fdb, v23
	v_cmp_gt_f32_e64 s[10:11], 0, v13
	v_cmp_gt_f32_e64 s[12:13], 0, v12
	;; [unrolled: 1-line block ×3, first 2 shown]
	v_sub_f32_e32 v17, 0x3fc90fdb, v17
	v_sub_f32_e32 v18, 0x3fc90fdb, v18
	;; [unrolled: 1-line block ×3, first 2 shown]
	v_cndmask_b32_e64 v11, v21, v25, s[14:15]
	v_cndmask_b32_e64 v12, v22, v20, s[12:13]
	;; [unrolled: 1-line block ×4, first 2 shown]
	v_sub_f32_e32 v14, 0x3fc90fdb, v14
	v_cndmask_b32_e64 v11, v17, v11, s[6:7]
	v_cndmask_b32_e32 v12, v18, v12, vcc
	v_cndmask_b32_e64 v13, v19, v13, s[2:3]
	v_cndmask_b32_e64 v14, v14, v20, s[0:1]
	global_store_dwordx4 v[15:16], v[11:14], off
	s_andn2_b64 exec, exec, s[28:29]
	s_cbranch_execnz .LBB41_3
.LBB41_4:
	s_or_b64 exec, exec, s[26:27]
	s_mov_b64 s[0:1], 0
.LBB41_5:
	s_andn2_b64 vcc, exec, s[0:1]
	s_cbranch_vccnz .LBB41_25
; %bb.6:
	v_cmp_lt_i64_e64 s[0:1], s[22:23], 1
	s_and_b64 vcc, exec, s[0:1]
	s_cbranch_vccnz .LBB41_25
; %bb.7:
	v_mov_b32_e32 v1, 0x10000
	s_load_dword s2, s[4:5], 0xc5c
	v_mov_b32_e32 v2, 0
	v_cmp_lt_i64_e32 vcc, s[22:23], v[1:2]
	v_mov_b32_e32 v10, 0
	s_and_b64 s[0:1], vcc, exec
	v_cmp_lt_u64_e32 vcc, s[22:23], v[1:2]
	s_cselect_b32 s9, s23, 0
	s_cselect_b32 s8, s22, 0x10000
	s_waitcnt lgkmcnt(0)
	s_and_b32 s2, s2, 0xffff
	v_lshlrev_b32_e32 v9, 2, v0
	s_and_b64 s[0:1], vcc, exec
	v_mov_b32_e32 v2, s21
	v_add_co_u32_e32 v1, vcc, s20, v9
	v_mad_u64_u32 v[7:8], s[0:1], s2, 12, v[9:10]
	v_addc_co_u32_e32 v2, vcc, 0, v2, vcc
	v_mov_b32_e32 v4, s19
	v_add_co_u32_e32 v3, vcc, s18, v9
	v_addc_co_u32_e32 v4, vcc, 0, v4, vcc
	v_mov_b32_e32 v6, s21
	v_add_co_u32_e32 v5, vcc, s20, v7
	;; [unrolled: 3-line block ×3, first 2 shown]
	s_cselect_b32 s11, s23, 0
	s_cselect_b32 s10, s22, 0x10000
	v_addc_co_u32_e32 v8, vcc, v10, v8, vcc
	s_lshl_b32 s0, s2, 3
	v_add_co_u32_e32 v11, vcc, s0, v9
	v_addc_co_u32_e64 v12, s[0:1], 0, 0, vcc
	v_mov_b32_e32 v10, s21
	v_add_co_u32_e32 v9, vcc, s20, v11
	v_addc_co_u32_e32 v10, vcc, v10, v12, vcc
	v_mov_b32_e32 v13, s19
	v_add_co_u32_e32 v11, vcc, s18, v11
	v_addc_co_u32_e32 v12, vcc, v13, v12, vcc
	v_add_co_u32_e32 v13, vcc, s2, v0
	v_lshlrev_b32_e32 v17, 2, v13
	v_addc_co_u32_e64 v14, s[0:1], 0, 0, vcc
	v_mov_b32_e32 v16, s21
	v_add_co_u32_e32 v15, vcc, s20, v17
	v_addc_co_u32_e32 v16, vcc, 0, v16, vcc
	v_mov_b32_e32 v18, s19
	v_add_co_u32_e32 v17, vcc, s18, v17
	s_mul_i32 s4, s2, 3
	v_addc_co_u32_e32 v18, vcc, 0, v18, vcc
	s_lshl_b32 s3, s2, 1
	v_add_co_u32_e32 v19, vcc, s4, v0
	v_addc_co_u32_e64 v20, s[0:1], 0, 0, vcc
	v_add_co_u32_e32 v21, vcc, s3, v0
	s_lshl_b32 s22, s2, 2
	s_lshl_b32 s23, s2, 4
	s_mov_b64 s[12:13], 0
	v_addc_co_u32_e64 v22, s[0:1], 0, 0, vcc
	v_mov_b32_e32 v23, 0x3d034c3c
	v_mov_b32_e32 v24, 0x3d3641b1
	;; [unrolled: 1-line block ×4, first 2 shown]
	s_branch .LBB41_9
.LBB41_8:                               ;   in Loop: Header=BB41_9 Depth=1
	s_or_b64 exec, exec, s[2:3]
	v_add_co_u32_e32 v1, vcc, s23, v1
	v_addc_co_u32_e32 v2, vcc, 0, v2, vcc
	v_add_co_u32_e32 v3, vcc, s23, v3
	v_addc_co_u32_e32 v4, vcc, 0, v4, vcc
	v_add_co_u32_e32 v5, vcc, s23, v5
	v_addc_co_u32_e32 v6, vcc, 0, v6, vcc
	v_add_co_u32_e32 v7, vcc, s23, v7
	v_addc_co_u32_e32 v8, vcc, 0, v8, vcc
	v_add_co_u32_e32 v9, vcc, s23, v9
	v_addc_co_u32_e32 v10, vcc, 0, v10, vcc
	v_add_co_u32_e32 v11, vcc, s23, v11
	v_addc_co_u32_e32 v12, vcc, 0, v12, vcc
	s_add_u32 s12, s12, s22
	v_add_co_u32_e32 v15, vcc, s23, v15
	s_waitcnt vmcnt(0)
	v_mov_b32_e32 v28, s9
	s_addc_u32 s13, s13, 0
	v_addc_co_u32_e32 v16, vcc, 0, v16, vcc
	v_mov_b32_e32 v27, s8
	v_cmp_ge_i64_e32 vcc, s[12:13], v[27:28]
	v_add_co_u32_e64 v17, s[0:1], s23, v17
	v_addc_co_u32_e64 v18, s[0:1], 0, v18, s[0:1]
	s_cbranch_vccnz .LBB41_25
.LBB41_9:                               ; =>This Inner Loop Header: Depth=1
	v_mov_b32_e32 v28, s13
	v_add_co_u32_e32 v27, vcc, s12, v0
	v_addc_co_u32_e32 v28, vcc, 0, v28, vcc
	v_cmp_gt_u64_e64 s[4:5], s[10:11], v[27:28]
	v_mov_b32_e32 v30, 0
	s_and_saveexec_b64 s[0:1], s[4:5]
	s_cbranch_execz .LBB41_11
; %bb.10:                               ;   in Loop: Header=BB41_9 Depth=1
	v_mov_b32_e32 v28, s17
	v_add_co_u32_e32 v27, vcc, s16, v1
	v_addc_co_u32_e32 v28, vcc, v2, v28, vcc
	global_load_dword v30, v[27:28], off
.LBB41_11:                              ;   in Loop: Header=BB41_9 Depth=1
	s_or_b64 exec, exec, s[0:1]
	v_mov_b32_e32 v28, s13
	v_add_co_u32_e32 v27, vcc, s12, v13
	v_addc_co_u32_e32 v28, vcc, v14, v28, vcc
	v_cmp_gt_u64_e64 s[2:3], s[10:11], v[27:28]
	v_mov_b32_e32 v27, 0
	v_mov_b32_e32 v29, 0
	s_and_saveexec_b64 s[0:1], s[2:3]
	s_cbranch_execz .LBB41_13
; %bb.12:                               ;   in Loop: Header=BB41_9 Depth=1
	v_mov_b32_e32 v29, s17
	v_add_co_u32_e32 v28, vcc, s16, v15
	v_addc_co_u32_e32 v29, vcc, v16, v29, vcc
	global_load_dword v29, v[28:29], off
.LBB41_13:                              ;   in Loop: Header=BB41_9 Depth=1
	s_or_b64 exec, exec, s[0:1]
	v_mov_b32_e32 v28, s13
	v_add_co_u32_e32 v31, vcc, s12, v21
	v_addc_co_u32_e32 v32, vcc, v22, v28, vcc
	v_cmp_gt_u64_e64 s[0:1], s[10:11], v[31:32]
	s_and_saveexec_b64 s[6:7], s[0:1]
	s_cbranch_execz .LBB41_15
; %bb.14:                               ;   in Loop: Header=BB41_9 Depth=1
	v_mov_b32_e32 v28, s17
	v_add_co_u32_e32 v27, vcc, s16, v9
	v_addc_co_u32_e32 v28, vcc, v10, v28, vcc
	global_load_dword v27, v[27:28], off
.LBB41_15:                              ;   in Loop: Header=BB41_9 Depth=1
	s_or_b64 exec, exec, s[6:7]
	v_mov_b32_e32 v28, s13
	v_add_co_u32_e32 v31, vcc, s12, v19
	v_addc_co_u32_e32 v32, vcc, v20, v28, vcc
	v_cmp_gt_u64_e32 vcc, s[10:11], v[31:32]
	v_mov_b32_e32 v28, 0
	s_and_saveexec_b64 s[14:15], vcc
	s_cbranch_execnz .LBB41_20
; %bb.16:                               ;   in Loop: Header=BB41_9 Depth=1
	s_or_b64 exec, exec, s[14:15]
	s_and_saveexec_b64 s[14:15], s[4:5]
	s_cbranch_execnz .LBB41_21
.LBB41_17:                              ;   in Loop: Header=BB41_9 Depth=1
	s_or_b64 exec, exec, s[14:15]
	s_and_saveexec_b64 s[6:7], s[2:3]
	s_cbranch_execnz .LBB41_22
.LBB41_18:                              ;   in Loop: Header=BB41_9 Depth=1
	s_or_b64 exec, exec, s[6:7]
	s_and_saveexec_b64 s[4:5], s[0:1]
	s_cbranch_execnz .LBB41_23
.LBB41_19:                              ;   in Loop: Header=BB41_9 Depth=1
	s_or_b64 exec, exec, s[4:5]
	s_and_saveexec_b64 s[2:3], vcc
	s_cbranch_execz .LBB41_8
	s_branch .LBB41_24
.LBB41_20:                              ;   in Loop: Header=BB41_9 Depth=1
	v_mov_b32_e32 v28, s17
	v_add_co_u32_e64 v31, s[6:7], s16, v5
	v_addc_co_u32_e64 v32, s[6:7], v6, v28, s[6:7]
	global_load_dword v28, v[31:32], off
	s_or_b64 exec, exec, s[14:15]
	s_and_saveexec_b64 s[14:15], s[4:5]
	s_cbranch_execz .LBB41_17
.LBB41_21:                              ;   in Loop: Header=BB41_9 Depth=1
	s_waitcnt vmcnt(0)
	v_fma_f32 v31, |v30|, -0.5, 0.5
	v_mul_f32_e32 v32, v30, v30
	v_cmp_gt_f32_e64 s[4:5], |v30|, 0.5
	v_cndmask_b32_e64 v31, v32, v31, s[4:5]
	v_mov_b32_e32 v33, 0x3c5fc5da
	v_fmac_f32_e32 v33, 0x3d1c21a7, v31
	v_fma_f32 v33, v31, v33, v23
	v_sqrt_f32_e32 v32, v31
	v_fma_f32 v33, v31, v33, v24
	v_fma_f32 v33, v31, v33, v25
	v_fma_f32 v33, v31, v33, v26
	v_mul_f32_e32 v31, v31, v33
	v_fmac_f32_e32 v32, v32, v31
	v_add_f32_e32 v32, v32, v32
	v_sub_f32_e32 v33, 0x40490fdb, v32
	v_cmp_gt_f32_e64 s[6:7], 0, v30
	v_fmac_f32_e32 v30, v30, v31
	v_cndmask_b32_e64 v32, v32, v33, s[6:7]
	v_sub_f32_e32 v30, 0x3fc90fdb, v30
	v_cndmask_b32_e64 v32, v30, v32, s[4:5]
	v_mov_b32_e32 v31, s17
	v_add_co_u32_e64 v30, s[4:5], s16, v3
	v_addc_co_u32_e64 v31, s[4:5], v4, v31, s[4:5]
	global_store_dword v[30:31], v32, off
	s_or_b64 exec, exec, s[14:15]
	s_and_saveexec_b64 s[6:7], s[2:3]
	s_cbranch_execz .LBB41_18
.LBB41_22:                              ;   in Loop: Header=BB41_9 Depth=1
	s_waitcnt vmcnt(0)
	v_fma_f32 v30, |v29|, -0.5, 0.5
	v_mul_f32_e32 v31, v29, v29
	v_cmp_gt_f32_e64 s[2:3], |v29|, 0.5
	v_cndmask_b32_e64 v30, v31, v30, s[2:3]
	v_mov_b32_e32 v31, 0x3c5fc5da
	v_fmac_f32_e32 v31, 0x3d1c21a7, v30
	v_fma_f32 v31, v30, v31, v23
	v_fma_f32 v31, v30, v31, v24
	v_sqrt_f32_e32 v32, v30
	v_fma_f32 v31, v30, v31, v25
	v_fma_f32 v31, v30, v31, v26
	v_mul_f32_e32 v30, v30, v31
	v_fmac_f32_e32 v32, v32, v30
	v_add_f32_e32 v31, v32, v32
	v_sub_f32_e32 v32, 0x40490fdb, v31
	v_cmp_gt_f32_e64 s[4:5], 0, v29
	v_fmac_f32_e32 v29, v29, v30
	v_cndmask_b32_e64 v31, v31, v32, s[4:5]
	v_sub_f32_e32 v29, 0x3fc90fdb, v29
	v_cndmask_b32_e64 v31, v29, v31, s[2:3]
	v_mov_b32_e32 v30, s17
	v_add_co_u32_e64 v29, s[2:3], s16, v17
	v_addc_co_u32_e64 v30, s[2:3], v18, v30, s[2:3]
	global_store_dword v[29:30], v31, off
	s_or_b64 exec, exec, s[6:7]
	s_and_saveexec_b64 s[4:5], s[0:1]
	s_cbranch_execz .LBB41_19
.LBB41_23:                              ;   in Loop: Header=BB41_9 Depth=1
	s_waitcnt vmcnt(0)
	v_fma_f32 v29, |v27|, -0.5, 0.5
	v_mul_f32_e32 v30, v27, v27
	v_cmp_gt_f32_e64 s[0:1], |v27|, 0.5
	v_cndmask_b32_e64 v29, v30, v29, s[0:1]
	v_mov_b32_e32 v30, 0x3c5fc5da
	v_fmac_f32_e32 v30, 0x3d1c21a7, v29
	v_fma_f32 v30, v29, v30, v23
	v_fma_f32 v30, v29, v30, v24
	v_sqrt_f32_e32 v31, v29
	v_fma_f32 v30, v29, v30, v25
	v_fma_f32 v30, v29, v30, v26
	v_mul_f32_e32 v29, v29, v30
	v_fmac_f32_e32 v31, v31, v29
	v_add_f32_e32 v30, v31, v31
	v_sub_f32_e32 v31, 0x40490fdb, v30
	v_cmp_gt_f32_e64 s[2:3], 0, v27
	v_fmac_f32_e32 v27, v27, v29
	v_cndmask_b32_e64 v30, v30, v31, s[2:3]
	v_sub_f32_e32 v27, 0x3fc90fdb, v27
	v_cndmask_b32_e64 v27, v27, v30, s[0:1]
	v_mov_b32_e32 v30, s17
	v_add_co_u32_e64 v29, s[0:1], s16, v11
	v_addc_co_u32_e64 v30, s[0:1], v12, v30, s[0:1]
	global_store_dword v[29:30], v27, off
	s_or_b64 exec, exec, s[4:5]
	s_and_saveexec_b64 s[2:3], vcc
	s_cbranch_execz .LBB41_8
.LBB41_24:                              ;   in Loop: Header=BB41_9 Depth=1
	s_waitcnt vmcnt(0)
	v_fma_f32 v27, |v28|, -0.5, 0.5
	v_mul_f32_e32 v29, v28, v28
	v_cmp_gt_f32_e64 vcc, |v28|, 0.5
	v_cndmask_b32_e32 v27, v29, v27, vcc
	v_mov_b32_e32 v29, 0x3c5fc5da
	v_fmac_f32_e32 v29, 0x3d1c21a7, v27
	v_fma_f32 v29, v27, v29, v23
	v_fma_f32 v29, v27, v29, v24
	v_sqrt_f32_e32 v30, v27
	v_fma_f32 v29, v27, v29, v25
	v_fma_f32 v29, v27, v29, v26
	v_mul_f32_e32 v27, v27, v29
	v_fmac_f32_e32 v30, v30, v27
	v_add_f32_e32 v29, v30, v30
	v_sub_f32_e32 v30, 0x40490fdb, v29
	v_cmp_gt_f32_e64 s[0:1], 0, v28
	v_fmac_f32_e32 v28, v28, v27
	v_cndmask_b32_e64 v29, v29, v30, s[0:1]
	v_sub_f32_e32 v27, 0x3fc90fdb, v28
	v_cndmask_b32_e32 v29, v27, v29, vcc
	v_mov_b32_e32 v28, s17
	v_add_co_u32_e32 v27, vcc, s16, v7
	v_addc_co_u32_e32 v28, vcc, v8, v28, vcc
	global_store_dword v[27:28], v29, off
	s_branch .LBB41_8
.LBB41_25:
	s_endpgm
	.section	.rodata,"a",@progbits
	.p2align	6, 0x0
	.amdhsa_kernel _ZN2at6native12_GLOBAL__N_125multi_tensor_apply_kernelINS1_18TensorListMetadataILi2EEENS1_14UnaryOpFunctorIfLi2ELi1ELi1EEEJNS0_4AcosIfEEEEEvT_T0_DpT1_
		.amdhsa_group_segment_fixed_size 0
		.amdhsa_private_segment_fixed_size 0
		.amdhsa_kernarg_size 3408
		.amdhsa_user_sgpr_count 6
		.amdhsa_user_sgpr_private_segment_buffer 1
		.amdhsa_user_sgpr_dispatch_ptr 0
		.amdhsa_user_sgpr_queue_ptr 0
		.amdhsa_user_sgpr_kernarg_segment_ptr 1
		.amdhsa_user_sgpr_dispatch_id 0
		.amdhsa_user_sgpr_flat_scratch_init 0
		.amdhsa_user_sgpr_private_segment_size 0
		.amdhsa_uses_dynamic_stack 0
		.amdhsa_system_sgpr_private_segment_wavefront_offset 0
		.amdhsa_system_sgpr_workgroup_id_x 1
		.amdhsa_system_sgpr_workgroup_id_y 0
		.amdhsa_system_sgpr_workgroup_id_z 0
		.amdhsa_system_sgpr_workgroup_info 0
		.amdhsa_system_vgpr_workitem_id 0
		.amdhsa_next_free_vgpr 34
		.amdhsa_next_free_sgpr 32
		.amdhsa_reserve_vcc 1
		.amdhsa_reserve_flat_scratch 0
		.amdhsa_float_round_mode_32 0
		.amdhsa_float_round_mode_16_64 0
		.amdhsa_float_denorm_mode_32 3
		.amdhsa_float_denorm_mode_16_64 3
		.amdhsa_dx10_clamp 1
		.amdhsa_ieee_mode 1
		.amdhsa_fp16_overflow 0
		.amdhsa_exception_fp_ieee_invalid_op 0
		.amdhsa_exception_fp_denorm_src 0
		.amdhsa_exception_fp_ieee_div_zero 0
		.amdhsa_exception_fp_ieee_overflow 0
		.amdhsa_exception_fp_ieee_underflow 0
		.amdhsa_exception_fp_ieee_inexact 0
		.amdhsa_exception_int_div_zero 0
	.end_amdhsa_kernel
	.section	.text._ZN2at6native12_GLOBAL__N_125multi_tensor_apply_kernelINS1_18TensorListMetadataILi2EEENS1_14UnaryOpFunctorIfLi2ELi1ELi1EEEJNS0_4AcosIfEEEEEvT_T0_DpT1_,"axG",@progbits,_ZN2at6native12_GLOBAL__N_125multi_tensor_apply_kernelINS1_18TensorListMetadataILi2EEENS1_14UnaryOpFunctorIfLi2ELi1ELi1EEEJNS0_4AcosIfEEEEEvT_T0_DpT1_,comdat
.Lfunc_end41:
	.size	_ZN2at6native12_GLOBAL__N_125multi_tensor_apply_kernelINS1_18TensorListMetadataILi2EEENS1_14UnaryOpFunctorIfLi2ELi1ELi1EEEJNS0_4AcosIfEEEEEvT_T0_DpT1_, .Lfunc_end41-_ZN2at6native12_GLOBAL__N_125multi_tensor_apply_kernelINS1_18TensorListMetadataILi2EEENS1_14UnaryOpFunctorIfLi2ELi1ELi1EEEJNS0_4AcosIfEEEEEvT_T0_DpT1_
                                        ; -- End function
	.set _ZN2at6native12_GLOBAL__N_125multi_tensor_apply_kernelINS1_18TensorListMetadataILi2EEENS1_14UnaryOpFunctorIfLi2ELi1ELi1EEEJNS0_4AcosIfEEEEEvT_T0_DpT1_.num_vgpr, 34
	.set _ZN2at6native12_GLOBAL__N_125multi_tensor_apply_kernelINS1_18TensorListMetadataILi2EEENS1_14UnaryOpFunctorIfLi2ELi1ELi1EEEJNS0_4AcosIfEEEEEvT_T0_DpT1_.num_agpr, 0
	.set _ZN2at6native12_GLOBAL__N_125multi_tensor_apply_kernelINS1_18TensorListMetadataILi2EEENS1_14UnaryOpFunctorIfLi2ELi1ELi1EEEJNS0_4AcosIfEEEEEvT_T0_DpT1_.numbered_sgpr, 32
	.set _ZN2at6native12_GLOBAL__N_125multi_tensor_apply_kernelINS1_18TensorListMetadataILi2EEENS1_14UnaryOpFunctorIfLi2ELi1ELi1EEEJNS0_4AcosIfEEEEEvT_T0_DpT1_.num_named_barrier, 0
	.set _ZN2at6native12_GLOBAL__N_125multi_tensor_apply_kernelINS1_18TensorListMetadataILi2EEENS1_14UnaryOpFunctorIfLi2ELi1ELi1EEEJNS0_4AcosIfEEEEEvT_T0_DpT1_.private_seg_size, 0
	.set _ZN2at6native12_GLOBAL__N_125multi_tensor_apply_kernelINS1_18TensorListMetadataILi2EEENS1_14UnaryOpFunctorIfLi2ELi1ELi1EEEJNS0_4AcosIfEEEEEvT_T0_DpT1_.uses_vcc, 1
	.set _ZN2at6native12_GLOBAL__N_125multi_tensor_apply_kernelINS1_18TensorListMetadataILi2EEENS1_14UnaryOpFunctorIfLi2ELi1ELi1EEEJNS0_4AcosIfEEEEEvT_T0_DpT1_.uses_flat_scratch, 0
	.set _ZN2at6native12_GLOBAL__N_125multi_tensor_apply_kernelINS1_18TensorListMetadataILi2EEENS1_14UnaryOpFunctorIfLi2ELi1ELi1EEEJNS0_4AcosIfEEEEEvT_T0_DpT1_.has_dyn_sized_stack, 0
	.set _ZN2at6native12_GLOBAL__N_125multi_tensor_apply_kernelINS1_18TensorListMetadataILi2EEENS1_14UnaryOpFunctorIfLi2ELi1ELi1EEEJNS0_4AcosIfEEEEEvT_T0_DpT1_.has_recursion, 0
	.set _ZN2at6native12_GLOBAL__N_125multi_tensor_apply_kernelINS1_18TensorListMetadataILi2EEENS1_14UnaryOpFunctorIfLi2ELi1ELi1EEEJNS0_4AcosIfEEEEEvT_T0_DpT1_.has_indirect_call, 0
	.section	.AMDGPU.csdata,"",@progbits
; Kernel info:
; codeLenInByte = 2348
; TotalNumSgprs: 36
; NumVgprs: 34
; ScratchSize: 0
; MemoryBound: 0
; FloatMode: 240
; IeeeMode: 1
; LDSByteSize: 0 bytes/workgroup (compile time only)
; SGPRBlocks: 4
; VGPRBlocks: 8
; NumSGPRsForWavesPerEU: 36
; NumVGPRsForWavesPerEU: 34
; Occupancy: 7
; WaveLimiterHint : 0
; COMPUTE_PGM_RSRC2:SCRATCH_EN: 0
; COMPUTE_PGM_RSRC2:USER_SGPR: 6
; COMPUTE_PGM_RSRC2:TRAP_HANDLER: 0
; COMPUTE_PGM_RSRC2:TGID_X_EN: 1
; COMPUTE_PGM_RSRC2:TGID_Y_EN: 0
; COMPUTE_PGM_RSRC2:TGID_Z_EN: 0
; COMPUTE_PGM_RSRC2:TIDIG_COMP_CNT: 0
	.section	.text._ZN2at6native12_GLOBAL__N_125multi_tensor_apply_kernelINS1_18TensorListMetadataILi2EEENS1_14UnaryOpFunctorIN3c107complexIdEELi2ELi1ELi1EEEJNS0_4AcosIS8_EEEEEvT_T0_DpT1_,"axG",@progbits,_ZN2at6native12_GLOBAL__N_125multi_tensor_apply_kernelINS1_18TensorListMetadataILi2EEENS1_14UnaryOpFunctorIN3c107complexIdEELi2ELi1ELi1EEEJNS0_4AcosIS8_EEEEEvT_T0_DpT1_,comdat
	.globl	_ZN2at6native12_GLOBAL__N_125multi_tensor_apply_kernelINS1_18TensorListMetadataILi2EEENS1_14UnaryOpFunctorIN3c107complexIdEELi2ELi1ELi1EEEJNS0_4AcosIS8_EEEEEvT_T0_DpT1_ ; -- Begin function _ZN2at6native12_GLOBAL__N_125multi_tensor_apply_kernelINS1_18TensorListMetadataILi2EEENS1_14UnaryOpFunctorIN3c107complexIdEELi2ELi1ELi1EEEJNS0_4AcosIS8_EEEEEvT_T0_DpT1_
	.p2align	8
	.type	_ZN2at6native12_GLOBAL__N_125multi_tensor_apply_kernelINS1_18TensorListMetadataILi2EEENS1_14UnaryOpFunctorIN3c107complexIdEELi2ELi1ELi1EEEJNS0_4AcosIS8_EEEEEvT_T0_DpT1_,@function
_ZN2at6native12_GLOBAL__N_125multi_tensor_apply_kernelINS1_18TensorListMetadataILi2EEENS1_14UnaryOpFunctorIN3c107complexIdEELi2ELi1ELi1EEEJNS0_4AcosIS8_EEEEEvT_T0_DpT1_: ; @_ZN2at6native12_GLOBAL__N_125multi_tensor_apply_kernelINS1_18TensorListMetadataILi2EEENS1_14UnaryOpFunctorIN3c107complexIdEELi2ELi1ELi1EEEJNS0_4AcosIS8_EEEEEvT_T0_DpT1_
; %bb.0:
	v_mov_b32_e32 v1, s8
	global_load_ubyte v1, v1, s[4:5] offset:1536
	s_add_u32 flat_scratch_lo, s6, s9
	s_addc_u32 flat_scratch_hi, s7, 0
	s_add_u32 s0, s0, s9
	s_addc_u32 s1, s1, 0
	s_add_u32 s6, s4, s8
	s_mul_hi_u32 s11, s8, 3
	s_mul_i32 s8, s8, 3
	s_addc_u32 s12, s5, 0
	s_add_u32 s10, s6, s8
	s_addc_u32 s11, s12, s11
	s_load_dword s10, s[10:11], 0x740
	s_mov_b32 s7, 0
	s_mov_b32 s9, s7
                                        ; implicit-def: $vgpr83 : SGPR spill to VGPR lane
	s_waitcnt lgkmcnt(0)
	s_ashr_i32 s11, s10, 31
	s_lshl_b64 s[18:19], s[10:11], 20
	s_waitcnt vmcnt(0)
	v_readfirstlane_b32 s6, v1
	s_lshl_b32 s6, s6, 3
	s_load_dwordx2 s[12:13], s[4:5], s6 offset:0x0
	s_load_dwordx2 s[14:15], s[4:5], s6 offset:0x400
	;; [unrolled: 1-line block ×3, first 2 shown]
	s_waitcnt lgkmcnt(0)
	s_add_u32 s33, s12, s18
	s_addc_u32 s88, s13, s19
	s_and_b32 s6, s33, 63
	s_add_u32 s89, s16, s18
	s_addc_u32 s90, s17, s19
	s_lshl_b64 s[10:11], s[10:11], 16
	s_and_b32 s8, s89, 63
	s_sub_u32 s12, s14, s10
	s_subb_u32 s13, s15, s11
	s_and_b32 s10, s14, 3
	s_mov_b32 s11, s7
	s_or_b64 s[8:9], s[8:9], s[10:11]
	s_or_b64 s[6:7], s[8:9], s[6:7]
	s_cmp_eq_u64 s[6:7], 0
	s_mov_b64 s[6:7], -1
	s_cbranch_scc0 .LBB42_413
; %bb.1:
	v_mov_b32_e32 v1, 0x10000
	v_mov_b32_e32 v2, 0
	v_cmp_lt_i64_e32 vcc, s[12:13], v[1:2]
	v_mov_b32_e32 v2, 0
	s_and_b64 s[6:7], vcc, exec
	s_cselect_b32 s15, s13, 0
	s_cselect_b32 s14, s12, 0x10000
	v_lshlrev_b32_e32 v1, 2, v0
	v_cmp_gt_i64_e32 vcc, s[14:15], v[1:2]
	s_mov_b64 s[6:7], exec
	v_writelane_b32 v83, s6, 0
	v_writelane_b32 v83, s7, 1
	s_and_b64 s[6:7], s[6:7], vcc
	s_mov_b64 exec, s[6:7]
	s_cbranch_execz .LBB42_412
; %bb.2:
	s_mov_b64 s[18:19], src_private_base
	v_mov_b32_e32 v1, v2
	s_add_u32 s20, s4, 0xc50
	s_mov_b32 s18, 8
	v_mov_b32_e32 v24, s19
	s_mov_b32 s68, 0x55555555
	s_mov_b32 s30, 0xbf559e2b
	;; [unrolled: 1-line block ×22, first 2 shown]
	v_mov_b32_e32 v34, v1
	s_mov_b32 s64, 0
	s_mov_b32 s66, 0
	;; [unrolled: 1-line block ×3, first 2 shown]
	s_addc_u32 s21, s5, 0
	s_mov_b32 s22, 0
	s_mov_b32 s23, s19
	;; [unrolled: 1-line block ×4, first 2 shown]
	v_mov_b32_e32 v53, s88
	v_mov_b32_e32 v21, 0x33145c07
	;; [unrolled: 1-line block ×6, first 2 shown]
	s_mov_b32 s69, 0x3fe55555
	s_mov_b32 s31, 0x3fc3ab76
	s_mov_b32 s35, 0x3fc7474d
	s_mov_b32 s37, 0x3fcc71c0
	s_mov_b32 s39, 0x3fd24924
	s_mov_b32 s41, 0x3fd99999
	s_mov_b32 s43, 0x3fe62e42
	s_mov_b32 s45, 0x3c7abc9e
	s_mov_b32 s81, 0x3eeba404
	s_mov_b32 s83, 0xbfa59976
	s_mov_b32 s85, 0x3fa82d5d
	s_mov_b32 s93, 0xbfaae5ce
	s_mov_b32 s95, 0x3fae1bb4
	s_mov_b32 s97, 0xbfb110e4
	s_mov_b32 s99, 0x3fb3b136
	s_mov_b32 s47, 0xbfb745d1
	s_mov_b32 s49, 0x3fbc71c7
	s_mov_b32 s51, 0xbfc24924
	s_mov_b32 s53, 0x3fc99999
	s_mov_b32 s55, 0xbfd55555
	s_mov_b32 s71, 0x3ff921fb
	s_mov_b32 s61, 0x4005bf0a
	v_mov_b32_e32 v56, 0x7ff00000
	v_mov_b32_e32 v57, 0x3ff00000
	;; [unrolled: 1-line block ×20, first 2 shown]
	s_brev_b32 s91, -2
	s_movk_i32 s86, 0x204
	s_movk_i32 s87, 0xffcc
	s_mov_b64 s[62:63], 0
	s_mov_b32 s65, 0x43300000
	s_mov_b32 s67, 0x7ff00000
	;; [unrolled: 1-line block ×3, first 2 shown]
	v_writelane_b32 v83, s6, 2
	s_mov_b32 s57, 0x400921fb
	v_writelane_b32 v83, s7, 3
	s_branch .LBB42_5
.LBB42_3:                               ;   in Loop: Header=BB42_5 Depth=1
	s_or_b64 exec, exec, s[8:9]
.LBB42_4:                               ;   in Loop: Header=BB42_5 Depth=1
	s_or_b64 exec, exec, s[6:7]
	v_mov_b32_e32 v2, s90
	v_add_co_u32_e32 v1, vcc, s89, v35
	v_addc_co_u32_e32 v2, vcc, v2, v36, vcc
	s_waitcnt lgkmcnt(0)
	global_store_dwordx4 v[1:2], v[5:8], off
	global_store_dwordx4 v[1:2], v[13:16], off offset:16
	global_store_dwordx4 v[1:2], v[17:20], off offset:32
	global_store_dwordx4 v[1:2], v[9:12], off offset:48
	s_load_dword s6, s[20:21], 0xc
	s_waitcnt lgkmcnt(0)
	s_and_b32 s6, s6, 0xffff
	v_add_co_u32_e32 v33, vcc, s6, v33
	v_addc_co_u32_e32 v34, vcc, 0, v34, vcc
	v_lshlrev_b64 v[1:2], 2, v[33:34]
	v_cmp_le_i64_e32 vcc, s[14:15], v[1:2]
	s_or_b64 s[62:63], vcc, s[62:63]
	s_andn2_b64 exec, exec, s[62:63]
	s_cbranch_execz .LBB42_412
.LBB42_5:                               ; =>This Inner Loop Header: Depth=1
	v_lshlrev_b64 v[35:36], 6, v[33:34]
	v_add_co_u32_e32 v5, vcc, s33, v35
	v_addc_co_u32_e32 v6, vcc, v53, v36, vcc
	global_load_dwordx4 v[13:16], v[5:6], off
	global_load_dwordx4 v[17:20], v[5:6], off offset:16
	global_load_dwordx4 v[1:4], v[5:6], off offset:48
	;; [unrolled: 1-line block ×3, first 2 shown]
                                        ; implicit-def: $vgpr7_vgpr8
	s_waitcnt vmcnt(3)
	v_cmp_o_f64_e32 vcc, v[13:14], v[15:16]
	flat_store_dwordx2 v[23:24], v[21:22]
	s_waitcnt vmcnt(0)
	s_and_saveexec_b64 s[6:7], vcc
	s_xor_b64 s[16:17], exec, s[6:7]
	s_cbranch_execz .LBB42_93
; %bb.6:                                ;   in Loop: Header=BB42_5 Depth=1
	v_max_f64 v[39:40], |v[15:16]|, |v[15:16]|
	v_max_f64 v[41:42], |v[13:14]|, |v[13:14]|
	v_cmp_gt_i64_e64 s[6:7], 0, v[15:16]
                                        ; implicit-def: $vgpr7_vgpr8
	v_max_f64 v[37:38], v[41:42], v[39:40]
	v_cmp_nlt_f64_e32 vcc, s[64:65], v[37:38]
	s_and_saveexec_b64 s[8:9], vcc
	s_xor_b64 s[26:27], exec, s[8:9]
	s_cbranch_execz .LBB42_82
; %bb.7:                                ;   in Loop: Header=BB42_5 Depth=1
	v_cmp_neq_f64_e32 vcc, 1.0, v[13:14]
	v_cmp_neq_f64_e64 s[8:9], 0, v[15:16]
	v_xor_b32_e32 v8, 0x80000000, v16
	v_mov_b32_e32 v7, v15
	s_or_b64 s[8:9], vcc, s[8:9]
	s_and_saveexec_b64 s[10:11], s[8:9]
	s_xor_b64 s[58:59], exec, s[10:11]
	s_cbranch_execz .LBB42_79
; %bb.8:                                ;   in Loop: Header=BB42_5 Depth=1
	v_mov_b32_e32 v5, s22
	v_mov_b32_e32 v6, s23
	flat_store_dword v[5:6], v54
	s_waitcnt vmcnt(0)
	flat_load_dword v5, v[5:6] glc
	s_waitcnt vmcnt(0)
	s_mov_b32 s10, 0x1409212f
	s_mov_b32 s11, 0x3e43988e
	v_cmp_nlt_f64_e64 s[8:9], |v[13:14]|, s[10:11]
	v_cmp_nlt_f64_e64 s[10:11], |v[15:16]|, s[10:11]
	s_or_b64 s[8:9], s[8:9], s[10:11]
	s_waitcnt lgkmcnt(0)
	v_add_f32_e32 v7, 1.0, v5
	v_mov_b32_e32 v5, s24
	v_mov_b32_e32 v6, s25
	flat_store_dword v[5:6], v7
	s_waitcnt vmcnt(0)
	flat_load_dword v5, v[5:6] glc
	s_waitcnt vmcnt(0)
	v_mov_b32_e32 v7, v15
	s_and_saveexec_b64 s[10:11], s[8:9]
	s_xor_b64 s[72:73], exec, s[10:11]
	s_cbranch_execz .LBB42_76
; %bb.9:                                ;   in Loop: Header=BB42_5 Depth=1
	v_add_f64 v[37:38], |v[13:14]|, 1.0
	s_waitcnt lgkmcnt(0)
	v_add_f64 v[5:6], |v[13:14]|, -1.0
	v_max_f64 v[7:8], v[39:40], v[37:38]
	v_max_f64 v[39:40], v[39:40], |v[5:6]|
	v_frexp_exp_i32_f64_e32 v67, v[7:8]
	v_frexp_exp_i32_f64_e32 v68, v[39:40]
	v_sub_u32_e32 v41, 0, v67
	v_sub_u32_e32 v43, 0, v68
	v_ldexp_f64 v[7:8], v[37:38], v41
	v_ldexp_f64 v[39:40], |v[5:6]|, v43
	v_ldexp_f64 v[41:42], |v[15:16]|, v41
	;; [unrolled: 1-line block ×3, first 2 shown]
	v_mul_f64 v[7:8], v[7:8], v[7:8]
	v_mul_f64 v[39:40], v[39:40], v[39:40]
	v_fma_f64 v[7:8], v[41:42], v[41:42], v[7:8]
	v_fma_f64 v[39:40], v[43:44], v[43:44], v[39:40]
	v_rsq_f64_e32 v[41:42], v[7:8]
	v_rsq_f64_e32 v[43:44], v[39:40]
	v_cmp_eq_f64_e32 vcc, 0, v[7:8]
	v_cmp_eq_f64_e64 s[8:9], 0, v[39:40]
	v_mul_f64 v[45:46], v[7:8], v[41:42]
	v_mul_f64 v[41:42], v[41:42], 0.5
	v_mul_f64 v[47:48], v[39:40], v[43:44]
	v_mul_f64 v[43:44], v[43:44], 0.5
	v_fma_f64 v[49:50], -v[41:42], v[45:46], 0.5
	v_fma_f64 v[51:52], -v[43:44], v[47:48], 0.5
	v_fma_f64 v[45:46], v[45:46], v[49:50], v[45:46]
	v_fma_f64 v[41:42], v[41:42], v[49:50], v[41:42]
	;; [unrolled: 1-line block ×4, first 2 shown]
	v_fma_f64 v[49:50], -v[45:46], v[45:46], v[7:8]
	v_fma_f64 v[51:52], -v[47:48], v[47:48], v[39:40]
	v_fma_f64 v[41:42], v[49:50], v[41:42], v[45:46]
	v_fma_f64 v[43:44], v[51:52], v[43:44], v[47:48]
	v_cndmask_b32_e32 v8, v42, v8, vcc
	v_cndmask_b32_e32 v7, v41, v7, vcc
	v_cndmask_b32_e64 v40, v44, v40, s[8:9]
	v_cndmask_b32_e64 v39, v43, v39, s[8:9]
	v_ldexp_f64 v[7:8], v[7:8], v67
	v_cmp_neq_f64_e32 vcc, s[66:67], v[37:38]
	v_ldexp_f64 v[39:40], v[39:40], v68
	v_cmp_neq_f64_e64 s[8:9], |v[5:6]|, s[66:67]
	v_cndmask_b32_e32 v44, v56, v8, vcc
	v_cndmask_b32_e32 v43, 0, v7, vcc
	v_cndmask_b32_e64 v42, v56, v40, s[8:9]
	v_cndmask_b32_e64 v41, 0, v39, s[8:9]
	v_add_f64 v[7:8], v[43:44], v[41:42]
	s_mov_b32 s8, 0
	s_mov_b32 s9, 0x40240000
	v_mul_f64 v[7:8], v[7:8], 0.5
	v_cmp_ngt_f64_e32 vcc, 1.0, v[7:8]
	v_cndmask_b32_e32 v40, v57, v8, vcc
	v_cndmask_b32_e32 v39, 0, v7, vcc
	v_cmp_ngt_f64_e32 vcc, s[8:9], v[39:40]
                                        ; implicit-def: $vgpr7_vgpr8
	s_and_saveexec_b64 s[8:9], vcc
	s_xor_b64 s[8:9], exec, s[8:9]
	s_cbranch_execz .LBB42_11
; %bb.10:                               ;   in Loop: Header=BB42_5 Depth=1
	v_fma_f64 v[7:8], v[39:40], v[39:40], -1.0
	s_mov_b32 s10, 0
	s_brev_b32 s11, 8
	s_mov_b32 s29, s69
	v_cmp_gt_f64_e32 vcc, s[10:11], v[7:8]
	v_cndmask_b32_e32 v45, 0, v58, vcc
	v_ldexp_f64 v[7:8], v[7:8], v45
	v_rsq_f64_e32 v[45:46], v[7:8]
	v_mul_f64 v[47:48], v[7:8], v[45:46]
	v_mul_f64 v[45:46], v[45:46], 0.5
	v_fma_f64 v[49:50], -v[45:46], v[47:48], 0.5
	v_fma_f64 v[47:48], v[47:48], v[49:50], v[47:48]
	v_fma_f64 v[45:46], v[45:46], v[49:50], v[45:46]
	v_fma_f64 v[49:50], -v[47:48], v[47:48], v[7:8]
	v_fma_f64 v[47:48], v[49:50], v[45:46], v[47:48]
	v_fma_f64 v[49:50], -v[47:48], v[47:48], v[7:8]
	v_fma_f64 v[45:46], v[49:50], v[45:46], v[47:48]
	v_cndmask_b32_e32 v47, 0, v59, vcc
	v_cmp_class_f64_e32 vcc, v[7:8], v55
	v_ldexp_f64 v[45:46], v[45:46], v47
	v_cndmask_b32_e32 v8, v46, v8, vcc
	v_cndmask_b32_e32 v7, v45, v7, vcc
	v_add_f64 v[7:8], v[39:40], v[7:8]
	v_frexp_mant_f64_e32 v[45:46], v[7:8]
	v_cmp_gt_f64_e32 vcc, s[68:69], v[45:46]
	v_cndmask_b32_e64 v47, 0, 1, vcc
	v_ldexp_f64 v[45:46], v[45:46], v47
	v_add_f64 v[47:48], v[45:46], 1.0
	v_add_f64 v[67:68], v[45:46], -1.0
	v_rcp_f64_e32 v[49:50], v[47:48]
	v_add_f64 v[69:70], v[47:48], -1.0
	v_add_f64 v[45:46], v[45:46], -v[69:70]
	v_fma_f64 v[51:52], -v[47:48], v[49:50], 1.0
	v_fma_f64 v[49:50], v[51:52], v[49:50], v[49:50]
	v_fma_f64 v[51:52], -v[47:48], v[49:50], 1.0
	v_fma_f64 v[49:50], v[51:52], v[49:50], v[49:50]
	v_mul_f64 v[51:52], v[67:68], v[49:50]
	v_mul_f64 v[71:72], v[47:48], v[51:52]
	v_fma_f64 v[47:48], v[51:52], v[47:48], -v[71:72]
	v_fma_f64 v[45:46], v[51:52], v[45:46], v[47:48]
	v_add_f64 v[47:48], v[71:72], v[45:46]
	v_add_f64 v[69:70], v[67:68], -v[47:48]
	v_add_f64 v[71:72], v[47:48], -v[71:72]
	;; [unrolled: 1-line block ×5, first 2 shown]
	v_add_f64 v[45:46], v[45:46], v[47:48]
	v_add_f64 v[45:46], v[69:70], v[45:46]
	v_mul_f64 v[45:46], v[49:50], v[45:46]
	v_add_f64 v[47:48], v[51:52], v[45:46]
	v_mul_f64 v[49:50], v[47:48], v[47:48]
	v_fma_f64 v[67:68], v[49:50], s[30:31], v[25:26]
	v_mul_f64 v[69:70], v[47:48], v[49:50]
	v_fma_f64 v[67:68], v[49:50], v[67:68], s[34:35]
	v_fma_f64 v[67:68], v[49:50], v[67:68], s[36:37]
	;; [unrolled: 1-line block ×5, first 2 shown]
	v_ldexp_f64 v[67:68], v[47:48], 1
	v_add_f64 v[47:48], v[47:48], -v[51:52]
	v_mul_f64 v[49:50], v[69:70], v[49:50]
	v_frexp_exp_i32_f64_e32 v69, v[7:8]
	v_add_f64 v[45:46], v[45:46], -v[47:48]
	v_add_f64 v[51:52], v[67:68], v[49:50]
	v_subbrev_co_u32_e32 v69, vcc, 0, v69, vcc
	v_cvt_f64_i32_e32 v[69:70], v69
	v_ldexp_f64 v[45:46], v[45:46], 1
	v_cmp_class_f64_e64 vcc, v[7:8], s86
	v_mul_f64 v[71:72], v[69:70], s[42:43]
	v_add_f64 v[47:48], v[51:52], -v[67:68]
	v_fma_f64 v[67:68], v[69:70], s[42:43], -v[71:72]
	v_add_f64 v[47:48], v[49:50], -v[47:48]
	v_fma_f64 v[49:50], v[69:70], s[44:45], v[67:68]
	v_add_f64 v[45:46], v[45:46], v[47:48]
	v_add_f64 v[47:48], v[71:72], v[49:50]
	;; [unrolled: 1-line block ×3, first 2 shown]
	v_add_f64 v[71:72], v[47:48], -v[71:72]
	v_add_f64 v[69:70], v[47:48], v[67:68]
	v_add_f64 v[51:52], v[67:68], -v[51:52]
	v_add_f64 v[49:50], v[49:50], -v[71:72]
	;; [unrolled: 1-line block ×6, first 2 shown]
	v_add_f64 v[67:68], v[49:50], v[45:46]
	v_add_f64 v[47:48], v[47:48], -v[75:76]
	v_add_f64 v[47:48], v[51:52], v[47:48]
	v_add_f64 v[51:52], v[67:68], -v[49:50]
	;; [unrolled: 2-line block ×3, first 2 shown]
	v_add_f64 v[45:46], v[45:46], -v[51:52]
	v_add_f64 v[71:72], v[69:70], v[47:48]
	v_add_f64 v[49:50], v[49:50], -v[67:68]
	v_add_f64 v[51:52], v[71:72], -v[69:70]
	v_add_f64 v[45:46], v[45:46], v[49:50]
	v_add_f64 v[47:48], v[47:48], -v[51:52]
	v_add_f64 v[45:46], v[45:46], v[47:48]
	v_add_f64 v[45:46], v[71:72], v[45:46]
	v_cndmask_b32_e32 v45, v45, v7, vcc
	v_cndmask_b32_e32 v46, v46, v8, vcc
	v_cmp_neq_f64_e32 vcc, 0, v[7:8]
	v_cndmask_b32_e32 v8, v60, v46, vcc
	v_cndmask_b32_e32 v7, 0, v45, vcc
.LBB42_11:                              ;   in Loop: Header=BB42_5 Depth=1
	s_or_saveexec_b64 s[10:11], s[8:9]
	v_and_b32_e32 v46, 0x7fffffff, v16
	v_mov_b32_e32 v45, v15
	s_xor_b64 exec, exec, s[10:11]
	s_cbranch_execz .LBB42_33
; %bb.12:                               ;   in Loop: Header=BB42_5 Depth=1
	s_mov_b32 s74, 0
	s_mov_b32 s75, 0x39000000
	v_cmp_neq_f64_e64 s[8:9], |v[13:14]|, 1.0
	v_cmp_nlt_f64_e64 s[74:75], |v[15:16]|, s[74:75]
                                        ; implicit-def: $vgpr7_vgpr8
	s_or_b64 s[8:9], s[8:9], s[74:75]
	s_and_saveexec_b64 s[74:75], s[8:9]
	s_xor_b64 s[74:75], exec, s[74:75]
	s_cbranch_execz .LBB42_30
; %bb.13:                               ;   in Loop: Header=BB42_5 Depth=1
	v_ldexp_f64 v[7:8], |v[5:6]|, s87
	v_cmp_ge_f64_e64 s[8:9], |v[15:16]|, v[7:8]
                                        ; implicit-def: $vgpr7_vgpr8
	s_and_saveexec_b64 s[76:77], s[8:9]
	s_xor_b64 s[76:77], exec, s[76:77]
	s_cbranch_execz .LBB42_23
; %bb.14:                               ;   in Loop: Header=BB42_5 Depth=1
	v_cmp_neq_f64_e32 vcc, 0, v[37:38]
	v_mov_b32_e32 v7, v45
	v_mov_b32_e32 v8, v46
	s_and_saveexec_b64 s[8:9], vcc
	s_cbranch_execz .LBB42_16
; %bb.15:                               ;   in Loop: Header=BB42_5 Depth=1
	v_mul_f64 v[7:8], v[15:16], v[15:16]
	v_add_f64 v[47:48], v[37:38], v[43:44]
	v_div_scale_f64 v[49:50], s[78:79], v[47:48], v[47:48], v[7:8]
	v_div_scale_f64 v[69:70], vcc, v[7:8], v[47:48], v[7:8]
	v_rcp_f64_e32 v[51:52], v[49:50]
	v_fma_f64 v[67:68], -v[49:50], v[51:52], 1.0
	v_fma_f64 v[51:52], v[51:52], v[67:68], v[51:52]
	v_fma_f64 v[67:68], -v[49:50], v[51:52], 1.0
	v_fma_f64 v[51:52], v[51:52], v[67:68], v[51:52]
	v_mul_f64 v[67:68], v[69:70], v[51:52]
	v_fma_f64 v[49:50], -v[49:50], v[67:68], v[69:70]
	v_div_fmas_f64 v[49:50], v[49:50], v[51:52], v[67:68]
	v_div_fixup_f64 v[7:8], v[49:50], v[47:48], v[7:8]
.LBB42_16:                              ;   in Loop: Header=BB42_5 Depth=1
	s_or_b64 exec, exec, s[8:9]
	v_add_f64 v[49:50], -|v[13:14]|, 1.0
                                        ; implicit-def: $vgpr47_vgpr48
	v_cmp_ngt_f64_e32 vcc, 0, v[49:50]
	s_and_saveexec_b64 s[8:9], vcc
	s_xor_b64 s[8:9], exec, s[8:9]
	s_cbranch_execz .LBB42_20
; %bb.17:                               ;   in Loop: Header=BB42_5 Depth=1
	v_cmp_neq_f64_e32 vcc, 0, v[49:50]
	v_mov_b32_e32 v48, v46
	v_mov_b32_e32 v47, v45
	s_and_saveexec_b64 s[78:79], vcc
	s_cbranch_execz .LBB42_19
; %bb.18:                               ;   in Loop: Header=BB42_5 Depth=1
	v_mul_f64 v[47:48], v[15:16], v[15:16]
	v_add_f64 v[49:50], v[49:50], v[41:42]
	v_div_scale_f64 v[51:52], s[80:81], v[49:50], v[49:50], v[47:48]
	v_div_scale_f64 v[71:72], vcc, v[47:48], v[49:50], v[47:48]
	v_rcp_f64_e32 v[67:68], v[51:52]
	v_fma_f64 v[69:70], -v[51:52], v[67:68], 1.0
	v_fma_f64 v[67:68], v[67:68], v[69:70], v[67:68]
	v_fma_f64 v[69:70], -v[51:52], v[67:68], 1.0
	v_fma_f64 v[67:68], v[67:68], v[69:70], v[67:68]
	v_mul_f64 v[69:70], v[71:72], v[67:68]
	v_fma_f64 v[51:52], -v[51:52], v[69:70], v[71:72]
	v_div_fmas_f64 v[51:52], v[51:52], v[67:68], v[69:70]
	v_div_fixup_f64 v[47:48], v[51:52], v[49:50], v[47:48]
.LBB42_19:                              ;   in Loop: Header=BB42_5 Depth=1
	s_or_b64 exec, exec, s[78:79]
	s_mov_b32 s80, 0xb5e68a13
                                        ; implicit-def: $vgpr49_vgpr50
	s_mov_b32 s81, 0x3eeba404
.LBB42_20:                              ;   in Loop: Header=BB42_5 Depth=1
	s_andn2_saveexec_b64 s[8:9], s[8:9]
; %bb.21:                               ;   in Loop: Header=BB42_5 Depth=1
	v_add_f64 v[47:48], v[41:42], -v[49:50]
; %bb.22:                               ;   in Loop: Header=BB42_5 Depth=1
	s_or_b64 exec, exec, s[8:9]
	v_mul_f64 v[47:48], v[47:48], 0.5
	s_mov_b32 s8, 0
	s_brev_b32 s9, 8
	s_mov_b32 s29, s69
	v_fma_f64 v[7:8], v[7:8], 0.5, v[47:48]
	v_add_f64 v[47:48], v[39:40], 1.0
	v_mul_f64 v[47:48], v[47:48], v[7:8]
	v_cmp_gt_f64_e32 vcc, s[8:9], v[47:48]
	v_cndmask_b32_e32 v49, 0, v58, vcc
	v_ldexp_f64 v[47:48], v[47:48], v49
	v_rsq_f64_e32 v[49:50], v[47:48]
	v_mul_f64 v[51:52], v[47:48], v[49:50]
	v_mul_f64 v[49:50], v[49:50], 0.5
	v_fma_f64 v[67:68], -v[49:50], v[51:52], 0.5
	v_fma_f64 v[51:52], v[51:52], v[67:68], v[51:52]
	v_fma_f64 v[49:50], v[49:50], v[67:68], v[49:50]
	v_fma_f64 v[69:70], -v[51:52], v[51:52], v[47:48]
	v_fma_f64 v[51:52], v[69:70], v[49:50], v[51:52]
	v_fma_f64 v[67:68], -v[51:52], v[51:52], v[47:48]
	v_fma_f64 v[49:50], v[67:68], v[49:50], v[51:52]
	v_cndmask_b32_e32 v51, 0, v59, vcc
	v_cmp_class_f64_e32 vcc, v[47:48], v55
	v_ldexp_f64 v[49:50], v[49:50], v51
	v_cndmask_b32_e32 v48, v50, v48, vcc
	v_cndmask_b32_e32 v47, v49, v47, vcc
	v_add_f64 v[47:48], v[7:8], v[47:48]
	v_add_f64 v[7:8], v[47:48], 1.0
	v_cmp_ngt_f64_e64 s[8:9], -1.0, v[47:48]
	v_add_f64 v[49:50], v[7:8], -1.0
	v_frexp_exp_i32_f64_e32 v67, v[7:8]
	v_add_f64 v[51:52], v[49:50], -v[7:8]
	v_add_f64 v[49:50], v[47:48], -v[49:50]
	v_add_f64 v[51:52], v[51:52], 1.0
	v_add_f64 v[49:50], v[49:50], v[51:52]
	v_frexp_mant_f64_e32 v[51:52], v[7:8]
	v_cmp_gt_f64_e32 vcc, s[68:69], v[51:52]
	v_subbrev_co_u32_e32 v81, vcc, 0, v67, vcc
	v_sub_u32_e32 v51, 0, v81
	v_ldexp_f64 v[7:8], v[7:8], v51
	v_ldexp_f64 v[49:50], v[49:50], v51
	v_cmp_neq_f64_e32 vcc, s[66:67], v[47:48]
	v_add_f64 v[51:52], v[7:8], -1.0
	v_add_f64 v[67:68], v[51:52], 1.0
	v_add_f64 v[67:68], v[7:8], -v[67:68]
	v_add_f64 v[67:68], v[49:50], v[67:68]
	v_add_f64 v[69:70], v[51:52], v[67:68]
	v_add_f64 v[51:52], v[69:70], -v[51:52]
	v_add_f64 v[51:52], v[67:68], -v[51:52]
	v_add_f64 v[67:68], v[7:8], 1.0
	v_add_f64 v[71:72], v[67:68], -1.0
	v_add_f64 v[7:8], v[7:8], -v[71:72]
	v_add_f64 v[7:8], v[49:50], v[7:8]
	v_add_f64 v[49:50], v[67:68], v[7:8]
	v_add_f64 v[67:68], v[49:50], -v[67:68]
	v_add_f64 v[7:8], v[7:8], -v[67:68]
	v_rcp_f64_e32 v[67:68], v[49:50]
	v_fma_f64 v[71:72], -v[49:50], v[67:68], 1.0
	v_fma_f64 v[67:68], v[71:72], v[67:68], v[67:68]
	v_fma_f64 v[71:72], -v[49:50], v[67:68], 1.0
	v_fma_f64 v[67:68], v[71:72], v[67:68], v[67:68]
	v_mul_f64 v[71:72], v[69:70], v[67:68]
	v_mul_f64 v[73:74], v[49:50], v[71:72]
	v_fma_f64 v[75:76], v[71:72], v[49:50], -v[73:74]
	v_fma_f64 v[75:76], v[71:72], v[7:8], v[75:76]
	v_add_f64 v[77:78], v[73:74], v[75:76]
	v_add_f64 v[79:80], v[69:70], -v[77:78]
	v_add_f64 v[73:74], v[77:78], -v[73:74]
	;; [unrolled: 1-line block ×4, first 2 shown]
	v_add_f64 v[51:52], v[51:52], v[69:70]
	v_add_f64 v[69:70], v[73:74], -v[75:76]
	v_add_f64 v[51:52], v[69:70], v[51:52]
	v_add_f64 v[69:70], v[79:80], v[51:52]
	v_add_f64 v[73:74], v[79:80], -v[69:70]
	v_add_f64 v[51:52], v[51:52], v[73:74]
	v_mul_f64 v[73:74], v[67:68], v[69:70]
	v_mul_f64 v[75:76], v[49:50], v[73:74]
	v_fma_f64 v[49:50], v[73:74], v[49:50], -v[75:76]
	v_fma_f64 v[7:8], v[73:74], v[7:8], v[49:50]
	v_add_f64 v[49:50], v[75:76], v[7:8]
	v_add_f64 v[77:78], v[69:70], -v[49:50]
	v_add_f64 v[75:76], v[49:50], -v[75:76]
	;; [unrolled: 1-line block ×5, first 2 shown]
	v_cvt_f64_i32_e32 v[69:70], v81
	v_add_f64 v[49:50], v[51:52], v[49:50]
	v_add_f64 v[7:8], v[7:8], v[49:50]
	;; [unrolled: 1-line block ×4, first 2 shown]
	v_add_f64 v[51:52], v[49:50], -v[71:72]
	v_mul_f64 v[71:72], v[69:70], s[42:43]
	v_mul_f64 v[7:8], v[67:68], v[7:8]
	v_add_f64 v[51:52], v[73:74], -v[51:52]
	v_fma_f64 v[73:74], v[69:70], s[42:43], -v[71:72]
	v_add_f64 v[7:8], v[51:52], v[7:8]
	v_fma_f64 v[69:70], v[69:70], s[44:45], v[73:74]
	v_add_f64 v[51:52], v[49:50], v[7:8]
	v_add_f64 v[73:74], v[71:72], v[69:70]
	v_add_f64 v[49:50], v[51:52], -v[49:50]
	v_add_f64 v[71:72], v[73:74], -v[71:72]
	;; [unrolled: 1-line block ×3, first 2 shown]
	v_mul_f64 v[49:50], v[51:52], v[51:52]
	v_add_f64 v[69:70], v[69:70], -v[71:72]
	v_ldexp_f64 v[71:72], v[51:52], 1
	v_ldexp_f64 v[7:8], v[7:8], 1
	v_fma_f64 v[67:68], v[49:50], s[30:31], v[25:26]
	v_fma_f64 v[67:68], v[49:50], v[67:68], s[34:35]
	;; [unrolled: 1-line block ×6, first 2 shown]
	v_mul_f64 v[49:50], v[51:52], v[49:50]
	v_mul_f64 v[49:50], v[49:50], v[67:68]
	v_add_f64 v[51:52], v[71:72], v[49:50]
	v_add_f64 v[67:68], v[51:52], -v[71:72]
	v_add_f64 v[49:50], v[49:50], -v[67:68]
	v_add_f64 v[7:8], v[7:8], v[49:50]
	v_add_f64 v[49:50], v[51:52], v[7:8]
	v_add_f64 v[51:52], v[49:50], -v[51:52]
	v_add_f64 v[7:8], v[7:8], -v[51:52]
	v_add_f64 v[51:52], v[73:74], v[49:50]
	v_add_f64 v[67:68], v[51:52], -v[73:74]
	v_add_f64 v[71:72], v[51:52], -v[67:68]
	;; [unrolled: 1-line block ×3, first 2 shown]
	v_add_f64 v[67:68], v[69:70], v[7:8]
	v_add_f64 v[71:72], v[73:74], -v[71:72]
	v_add_f64 v[49:50], v[49:50], v[71:72]
	v_add_f64 v[71:72], v[67:68], -v[69:70]
	;; [unrolled: 2-line block ×3, first 2 shown]
	v_add_f64 v[7:8], v[7:8], -v[71:72]
	v_add_f64 v[67:68], v[51:52], v[49:50]
	v_add_f64 v[69:70], v[69:70], -v[73:74]
	v_add_f64 v[51:52], v[67:68], -v[51:52]
	v_add_f64 v[7:8], v[7:8], v[69:70]
	v_add_f64 v[49:50], v[49:50], -v[51:52]
	v_add_f64 v[7:8], v[7:8], v[49:50]
	v_add_f64 v[7:8], v[67:68], v[7:8]
	v_cndmask_b32_e32 v8, v56, v8, vcc
	v_cndmask_b32_e64 v8, v61, v8, s[8:9]
	v_cmp_nge_f64_e64 s[8:9], -1.0, v[47:48]
	s_and_b64 vcc, s[8:9], vcc
	v_cndmask_b32_e32 v7, 0, v7, vcc
	v_cmp_neq_f64_e32 vcc, -1.0, v[47:48]
	v_cndmask_b32_e32 v8, v60, v8, vcc
.LBB42_23:                              ;   in Loop: Header=BB42_5 Depth=1
	s_andn2_saveexec_b64 s[76:77], s[76:77]
	s_cbranch_execz .LBB42_29
; %bb.24:                               ;   in Loop: Header=BB42_5 Depth=1
	v_cmp_nlt_f64_e64 s[8:9], |v[13:14]|, 1.0
                                        ; implicit-def: $vgpr7_vgpr8
	s_and_saveexec_b64 s[78:79], s[8:9]
	s_xor_b64 s[78:79], exec, s[78:79]
	s_cbranch_execz .LBB42_26
; %bb.25:                               ;   in Loop: Header=BB42_5 Depth=1
	v_mul_f64 v[7:8], v[5:6], v[37:38]
	s_mov_b32 s8, 0
	s_brev_b32 s9, 8
	s_mov_b32 s29, s69
	v_cmp_gt_f64_e32 vcc, s[8:9], v[7:8]
	v_cndmask_b32_e32 v47, 0, v58, vcc
	v_ldexp_f64 v[7:8], v[7:8], v47
	v_rsq_f64_e32 v[47:48], v[7:8]
	v_mul_f64 v[49:50], v[7:8], v[47:48]
	v_mul_f64 v[47:48], v[47:48], 0.5
	v_fma_f64 v[51:52], -v[47:48], v[49:50], 0.5
	v_fma_f64 v[49:50], v[49:50], v[51:52], v[49:50]
	v_fma_f64 v[47:48], v[47:48], v[51:52], v[47:48]
	v_fma_f64 v[67:68], -v[49:50], v[49:50], v[7:8]
	v_fma_f64 v[49:50], v[67:68], v[47:48], v[49:50]
	v_fma_f64 v[51:52], -v[49:50], v[49:50], v[7:8]
	v_fma_f64 v[47:48], v[51:52], v[47:48], v[49:50]
	v_cndmask_b32_e32 v49, 0, v59, vcc
	v_cmp_class_f64_e32 vcc, v[7:8], v55
	v_ldexp_f64 v[47:48], v[47:48], v49
	v_cndmask_b32_e32 v8, v48, v8, vcc
	v_cndmask_b32_e32 v7, v47, v7, vcc
	v_add_f64 v[47:48], v[5:6], v[7:8]
	v_add_f64 v[7:8], v[47:48], 1.0
	v_cmp_ngt_f64_e64 s[8:9], -1.0, v[47:48]
	v_add_f64 v[49:50], v[7:8], -1.0
	v_frexp_exp_i32_f64_e32 v67, v[7:8]
	v_add_f64 v[51:52], v[49:50], -v[7:8]
	v_add_f64 v[49:50], v[47:48], -v[49:50]
	v_add_f64 v[51:52], v[51:52], 1.0
	v_add_f64 v[49:50], v[49:50], v[51:52]
	v_frexp_mant_f64_e32 v[51:52], v[7:8]
	v_cmp_gt_f64_e32 vcc, s[68:69], v[51:52]
	v_subbrev_co_u32_e32 v81, vcc, 0, v67, vcc
	v_sub_u32_e32 v51, 0, v81
	v_ldexp_f64 v[7:8], v[7:8], v51
	v_ldexp_f64 v[49:50], v[49:50], v51
	v_cmp_neq_f64_e32 vcc, s[66:67], v[47:48]
	v_add_f64 v[51:52], v[7:8], -1.0
	v_add_f64 v[67:68], v[51:52], 1.0
	v_add_f64 v[67:68], v[7:8], -v[67:68]
	v_add_f64 v[67:68], v[49:50], v[67:68]
	v_add_f64 v[69:70], v[51:52], v[67:68]
	v_add_f64 v[51:52], v[69:70], -v[51:52]
	v_add_f64 v[51:52], v[67:68], -v[51:52]
	v_add_f64 v[67:68], v[7:8], 1.0
	v_add_f64 v[71:72], v[67:68], -1.0
	v_add_f64 v[7:8], v[7:8], -v[71:72]
	v_add_f64 v[7:8], v[49:50], v[7:8]
	v_add_f64 v[49:50], v[67:68], v[7:8]
	v_add_f64 v[67:68], v[49:50], -v[67:68]
	v_add_f64 v[7:8], v[7:8], -v[67:68]
	v_rcp_f64_e32 v[67:68], v[49:50]
	v_fma_f64 v[71:72], -v[49:50], v[67:68], 1.0
	v_fma_f64 v[67:68], v[71:72], v[67:68], v[67:68]
	v_fma_f64 v[71:72], -v[49:50], v[67:68], 1.0
	v_fma_f64 v[67:68], v[71:72], v[67:68], v[67:68]
	v_mul_f64 v[71:72], v[69:70], v[67:68]
	v_mul_f64 v[73:74], v[49:50], v[71:72]
	v_fma_f64 v[75:76], v[71:72], v[49:50], -v[73:74]
	v_fma_f64 v[75:76], v[71:72], v[7:8], v[75:76]
	v_add_f64 v[77:78], v[73:74], v[75:76]
	v_add_f64 v[79:80], v[69:70], -v[77:78]
	v_add_f64 v[73:74], v[77:78], -v[73:74]
	;; [unrolled: 1-line block ×4, first 2 shown]
	v_add_f64 v[51:52], v[51:52], v[69:70]
	v_add_f64 v[69:70], v[73:74], -v[75:76]
	v_add_f64 v[51:52], v[69:70], v[51:52]
	v_add_f64 v[69:70], v[79:80], v[51:52]
	v_add_f64 v[73:74], v[79:80], -v[69:70]
	v_add_f64 v[51:52], v[51:52], v[73:74]
	v_mul_f64 v[73:74], v[67:68], v[69:70]
	v_mul_f64 v[75:76], v[49:50], v[73:74]
	v_fma_f64 v[49:50], v[73:74], v[49:50], -v[75:76]
	v_fma_f64 v[7:8], v[73:74], v[7:8], v[49:50]
	v_add_f64 v[49:50], v[75:76], v[7:8]
	v_add_f64 v[77:78], v[69:70], -v[49:50]
	v_add_f64 v[75:76], v[49:50], -v[75:76]
	;; [unrolled: 1-line block ×5, first 2 shown]
	v_cvt_f64_i32_e32 v[69:70], v81
	v_add_f64 v[49:50], v[51:52], v[49:50]
	v_add_f64 v[7:8], v[7:8], v[49:50]
	v_add_f64 v[49:50], v[71:72], v[73:74]
	v_add_f64 v[7:8], v[77:78], v[7:8]
	v_add_f64 v[51:52], v[49:50], -v[71:72]
	v_mul_f64 v[71:72], v[69:70], s[42:43]
	v_mul_f64 v[7:8], v[67:68], v[7:8]
	v_add_f64 v[51:52], v[73:74], -v[51:52]
	v_fma_f64 v[73:74], v[69:70], s[42:43], -v[71:72]
	v_add_f64 v[7:8], v[51:52], v[7:8]
	v_fma_f64 v[69:70], v[69:70], s[44:45], v[73:74]
	v_add_f64 v[51:52], v[49:50], v[7:8]
	v_add_f64 v[73:74], v[71:72], v[69:70]
	v_add_f64 v[49:50], v[51:52], -v[49:50]
	v_add_f64 v[71:72], v[73:74], -v[71:72]
	;; [unrolled: 1-line block ×3, first 2 shown]
	v_mul_f64 v[49:50], v[51:52], v[51:52]
	v_add_f64 v[69:70], v[69:70], -v[71:72]
	v_ldexp_f64 v[71:72], v[51:52], 1
	v_ldexp_f64 v[7:8], v[7:8], 1
	v_fma_f64 v[67:68], v[49:50], s[30:31], v[25:26]
	v_fma_f64 v[67:68], v[49:50], v[67:68], s[34:35]
	;; [unrolled: 1-line block ×6, first 2 shown]
	v_mul_f64 v[49:50], v[51:52], v[49:50]
	v_mul_f64 v[49:50], v[49:50], v[67:68]
	v_add_f64 v[51:52], v[71:72], v[49:50]
	v_add_f64 v[67:68], v[51:52], -v[71:72]
	v_add_f64 v[49:50], v[49:50], -v[67:68]
	v_add_f64 v[7:8], v[7:8], v[49:50]
	v_add_f64 v[49:50], v[51:52], v[7:8]
	v_add_f64 v[51:52], v[49:50], -v[51:52]
	v_add_f64 v[7:8], v[7:8], -v[51:52]
	v_add_f64 v[51:52], v[73:74], v[49:50]
	v_add_f64 v[67:68], v[51:52], -v[73:74]
	v_add_f64 v[71:72], v[51:52], -v[67:68]
	;; [unrolled: 1-line block ×3, first 2 shown]
	v_add_f64 v[67:68], v[69:70], v[7:8]
	v_add_f64 v[71:72], v[73:74], -v[71:72]
	v_add_f64 v[49:50], v[49:50], v[71:72]
	v_add_f64 v[71:72], v[67:68], -v[69:70]
	;; [unrolled: 2-line block ×3, first 2 shown]
	v_add_f64 v[7:8], v[7:8], -v[71:72]
	v_add_f64 v[67:68], v[51:52], v[49:50]
	v_add_f64 v[69:70], v[69:70], -v[73:74]
	v_add_f64 v[51:52], v[67:68], -v[51:52]
	v_add_f64 v[7:8], v[7:8], v[69:70]
	v_add_f64 v[49:50], v[49:50], -v[51:52]
	v_add_f64 v[7:8], v[7:8], v[49:50]
	v_add_f64 v[7:8], v[67:68], v[7:8]
	v_cndmask_b32_e32 v8, v56, v8, vcc
	v_cndmask_b32_e64 v8, v61, v8, s[8:9]
	v_cmp_nge_f64_e64 s[8:9], -1.0, v[47:48]
	s_and_b64 vcc, s[8:9], vcc
	v_cndmask_b32_e32 v7, 0, v7, vcc
	v_cmp_neq_f64_e32 vcc, -1.0, v[47:48]
	v_cndmask_b32_e32 v8, v60, v8, vcc
.LBB42_26:                              ;   in Loop: Header=BB42_5 Depth=1
	s_andn2_saveexec_b64 s[8:9], s[78:79]
	s_cbranch_execz .LBB42_28
; %bb.27:                               ;   in Loop: Header=BB42_5 Depth=1
	v_add_f64 v[7:8], -|v[13:14]|, 1.0
	s_mov_b32 s78, 0
	s_brev_b32 s79, 8
	v_mul_f64 v[7:8], v[7:8], v[37:38]
	v_cmp_gt_f64_e32 vcc, s[78:79], v[7:8]
	v_cndmask_b32_e32 v47, 0, v58, vcc
	v_ldexp_f64 v[7:8], v[7:8], v47
	v_rsq_f64_e32 v[47:48], v[7:8]
	v_mul_f64 v[49:50], v[7:8], v[47:48]
	v_mul_f64 v[47:48], v[47:48], 0.5
	v_fma_f64 v[51:52], -v[47:48], v[49:50], 0.5
	v_fma_f64 v[49:50], v[49:50], v[51:52], v[49:50]
	v_fma_f64 v[47:48], v[47:48], v[51:52], v[47:48]
	v_fma_f64 v[51:52], -v[49:50], v[49:50], v[7:8]
	v_fma_f64 v[49:50], v[51:52], v[47:48], v[49:50]
	v_fma_f64 v[51:52], -v[49:50], v[49:50], v[7:8]
	v_fma_f64 v[47:48], v[51:52], v[47:48], v[49:50]
	v_cndmask_b32_e32 v49, 0, v59, vcc
	v_cmp_class_f64_e32 vcc, v[7:8], v55
	v_mov_b32_e32 v50, v46
	v_ldexp_f64 v[47:48], v[47:48], v49
	v_mov_b32_e32 v49, v15
	v_cndmask_b32_e32 v8, v48, v8, vcc
	v_cndmask_b32_e32 v7, v47, v7, vcc
	v_div_scale_f64 v[47:48], s[78:79], v[7:8], v[7:8], v[49:50]
	v_div_scale_f64 v[49:50], vcc, v[49:50], v[7:8], v[49:50]
	v_rcp_f64_e32 v[51:52], v[47:48]
	v_fma_f64 v[67:68], -v[47:48], v[51:52], 1.0
	v_fma_f64 v[51:52], v[51:52], v[67:68], v[51:52]
	v_fma_f64 v[67:68], -v[47:48], v[51:52], 1.0
	v_fma_f64 v[51:52], v[51:52], v[67:68], v[51:52]
	v_mul_f64 v[67:68], v[49:50], v[51:52]
	v_fma_f64 v[47:48], -v[47:48], v[67:68], v[49:50]
	v_div_fmas_f64 v[47:48], v[47:48], v[51:52], v[67:68]
	v_div_fixup_f64 v[7:8], v[47:48], v[7:8], |v[15:16]|
.LBB42_28:                              ;   in Loop: Header=BB42_5 Depth=1
	s_or_b64 exec, exec, s[8:9]
.LBB42_29:                              ;   in Loop: Header=BB42_5 Depth=1
	s_or_b64 exec, exec, s[76:77]
.LBB42_30:                              ;   in Loop: Header=BB42_5 Depth=1
	s_andn2_saveexec_b64 s[8:9], s[74:75]
	s_cbranch_execz .LBB42_32
; %bb.31:                               ;   in Loop: Header=BB42_5 Depth=1
	s_mov_b32 s74, 0
	s_brev_b32 s75, 8
	v_cmp_lt_f64_e64 vcc, |v[15:16]|, s[74:75]
	v_cndmask_b32_e32 v7, 0, v58, vcc
	v_ldexp_f64 v[7:8], |v[15:16]|, v7
	v_rsq_f64_e32 v[47:48], v[7:8]
	v_mul_f64 v[49:50], v[7:8], v[47:48]
	v_mul_f64 v[47:48], v[47:48], 0.5
	v_fma_f64 v[51:52], -v[47:48], v[49:50], 0.5
	v_fma_f64 v[49:50], v[49:50], v[51:52], v[49:50]
	v_fma_f64 v[47:48], v[47:48], v[51:52], v[47:48]
	v_fma_f64 v[51:52], -v[49:50], v[49:50], v[7:8]
	v_fma_f64 v[49:50], v[51:52], v[47:48], v[49:50]
	v_fma_f64 v[51:52], -v[49:50], v[49:50], v[7:8]
	v_fma_f64 v[47:48], v[51:52], v[47:48], v[49:50]
	v_cndmask_b32_e32 v49, 0, v59, vcc
	v_cmp_class_f64_e32 vcc, v[7:8], v55
	v_ldexp_f64 v[47:48], v[47:48], v49
	v_cndmask_b32_e32 v8, v48, v8, vcc
	v_cndmask_b32_e32 v7, v47, v7, vcc
.LBB42_32:                              ;   in Loop: Header=BB42_5 Depth=1
	s_or_b64 exec, exec, s[8:9]
.LBB42_33:                              ;   in Loop: Header=BB42_5 Depth=1
	s_or_b64 exec, exec, s[10:11]
	s_mov_b32 s8, 0
	s_mov_b32 s9, 0x20200000
	v_cmp_nlt_f64_e64 s[10:11], |v[13:14]|, s[8:9]
                                        ; implicit-def: $sgpr8_sgpr9
                                        ; implicit-def: $vgpr47_vgpr48
                                        ; implicit-def: $vgpr51_vgpr52
                                        ; implicit-def: $vgpr49_vgpr50
	s_and_saveexec_b64 s[74:75], s[10:11]
	s_xor_b64 s[10:11], exec, s[74:75]
	s_cbranch_execz .LBB42_57
; %bb.34:                               ;   in Loop: Header=BB42_5 Depth=1
	v_and_b32_e32 v50, 0x7fffffff, v14
	v_mov_b32_e32 v49, v13
	v_div_scale_f64 v[47:48], s[8:9], v[39:40], v[39:40], v[49:50]
	v_div_scale_f64 v[69:70], vcc, v[49:50], v[39:40], v[49:50]
	s_mov_b32 s8, 0x703afb7f
	s_mov_b32 s9, 0x3fe488ce
	v_rcp_f64_e32 v[51:52], v[47:48]
	v_fma_f64 v[67:68], -v[47:48], v[51:52], 1.0
	v_fma_f64 v[51:52], v[51:52], v[67:68], v[51:52]
	v_fma_f64 v[67:68], -v[47:48], v[51:52], 1.0
	v_fma_f64 v[51:52], v[51:52], v[67:68], v[51:52]
	v_mul_f64 v[67:68], v[69:70], v[51:52]
	v_fma_f64 v[47:48], -v[47:48], v[67:68], v[69:70]
	v_div_fmas_f64 v[47:48], v[47:48], v[51:52], v[67:68]
                                        ; implicit-def: $vgpr51_vgpr52
	v_div_fixup_f64 v[47:48], v[47:48], v[39:40], |v[13:14]|
	v_cmp_lt_f64_e32 vcc, s[8:9], v[47:48]
	s_mov_b64 s[8:9], 0
	s_and_saveexec_b64 s[74:75], vcc
	s_cbranch_execz .LBB42_56
; %bb.35:                               ;   in Loop: Header=BB42_5 Depth=1
	s_mov_b32 s76, 0
	s_mov_b32 s77, 0x3c400000
	v_cmp_neq_f64_e64 s[8:9], |v[13:14]|, 1.0
	v_cmp_nlt_f64_e64 s[76:77], |v[15:16]|, s[76:77]
                                        ; implicit-def: $vgpr51_vgpr52
	s_or_b64 s[8:9], s[8:9], s[76:77]
	s_and_saveexec_b64 s[76:77], s[8:9]
	s_xor_b64 s[8:9], exec, s[76:77]
	s_cbranch_execz .LBB42_53
; %bb.36:                               ;   in Loop: Header=BB42_5 Depth=1
	v_ldexp_f64 v[51:52], |v[5:6]|, s87
	v_cmp_ge_f64_e64 s[76:77], |v[15:16]|, v[51:52]
                                        ; implicit-def: $vgpr51_vgpr52
	s_and_saveexec_b64 s[78:79], s[76:77]
	s_xor_b64 s[76:77], exec, s[78:79]
	s_cbranch_execz .LBB42_46
; %bb.37:                               ;   in Loop: Header=BB42_5 Depth=1
	v_cmp_neq_f64_e32 vcc, 0, v[37:38]
	v_mov_b32_e32 v52, v46
	v_mov_b32_e32 v51, v45
	s_and_saveexec_b64 s[78:79], vcc
	s_cbranch_execz .LBB42_39
; %bb.38:                               ;   in Loop: Header=BB42_5 Depth=1
	v_mul_f64 v[51:52], v[15:16], v[15:16]
	v_add_f64 v[37:38], v[37:38], v[43:44]
	v_div_scale_f64 v[43:44], s[80:81], v[37:38], v[37:38], v[51:52]
	v_div_scale_f64 v[71:72], vcc, v[51:52], v[37:38], v[51:52]
	v_rcp_f64_e32 v[67:68], v[43:44]
	v_fma_f64 v[69:70], -v[43:44], v[67:68], 1.0
	v_fma_f64 v[67:68], v[67:68], v[69:70], v[67:68]
	v_fma_f64 v[69:70], -v[43:44], v[67:68], 1.0
	v_fma_f64 v[67:68], v[67:68], v[69:70], v[67:68]
	v_mul_f64 v[69:70], v[71:72], v[67:68]
	v_fma_f64 v[43:44], -v[43:44], v[69:70], v[71:72]
	v_div_fmas_f64 v[43:44], v[43:44], v[67:68], v[69:70]
	v_div_fixup_f64 v[51:52], v[43:44], v[37:38], v[51:52]
.LBB42_39:                              ;   in Loop: Header=BB42_5 Depth=1
	s_or_b64 exec, exec, s[78:79]
	v_cmp_ngt_f64_e32 vcc, 0, v[5:6]
	s_and_saveexec_b64 s[78:79], vcc
	s_xor_b64 s[78:79], exec, s[78:79]
	s_cbranch_execz .LBB42_43
; %bb.40:                               ;   in Loop: Header=BB42_5 Depth=1
	v_cmp_neq_f64_e32 vcc, 0, v[5:6]
	s_and_saveexec_b64 s[80:81], vcc
	s_cbranch_execz .LBB42_42
; %bb.41:                               ;   in Loop: Header=BB42_5 Depth=1
	v_mul_f64 v[15:16], v[15:16], v[15:16]
	v_add_f64 v[5:6], v[5:6], v[41:42]
	v_div_scale_f64 v[37:38], vcc, v[5:6], v[5:6], v[15:16]
	v_div_scale_f64 v[45:46], vcc, v[15:16], v[5:6], v[15:16]
	v_rcp_f64_e32 v[41:42], v[37:38]
	v_fma_f64 v[43:44], -v[37:38], v[41:42], 1.0
	v_fma_f64 v[41:42], v[41:42], v[43:44], v[41:42]
	v_fma_f64 v[43:44], -v[37:38], v[41:42], 1.0
	v_fma_f64 v[41:42], v[41:42], v[43:44], v[41:42]
	v_mul_f64 v[43:44], v[45:46], v[41:42]
	v_fma_f64 v[37:38], -v[37:38], v[43:44], v[45:46]
	v_div_fmas_f64 v[37:38], v[37:38], v[41:42], v[43:44]
	v_div_fixup_f64 v[45:46], v[37:38], v[5:6], v[15:16]
.LBB42_42:                              ;   in Loop: Header=BB42_5 Depth=1
	s_or_b64 exec, exec, s[80:81]
                                        ; implicit-def: $vgpr41_vgpr42
                                        ; implicit-def: $vgpr5_vgpr6
.LBB42_43:                              ;   in Loop: Header=BB42_5 Depth=1
	s_andn2_saveexec_b64 s[78:79], s[78:79]
; %bb.44:                               ;   in Loop: Header=BB42_5 Depth=1
	v_add_f64 v[45:46], v[41:42], -v[5:6]
; %bb.45:                               ;   in Loop: Header=BB42_5 Depth=1
	s_or_b64 exec, exec, s[78:79]
	v_mul_f64 v[5:6], v[45:46], 0.5
	v_add_f64 v[15:16], |v[13:14]|, v[39:40]
	s_mov_b32 s78, 0
	s_brev_b32 s79, 8
	v_fma_f64 v[5:6], v[51:52], 0.5, v[5:6]
	v_mul_f64 v[5:6], v[15:16], v[5:6]
	v_cmp_gt_f64_e32 vcc, s[78:79], v[5:6]
	v_cndmask_b32_e32 v15, 0, v58, vcc
	v_ldexp_f64 v[5:6], v[5:6], v15
	v_rsq_f64_e32 v[15:16], v[5:6]
	v_mul_f64 v[37:38], v[5:6], v[15:16]
	v_mul_f64 v[15:16], v[15:16], 0.5
	v_fma_f64 v[39:40], -v[15:16], v[37:38], 0.5
	v_fma_f64 v[37:38], v[37:38], v[39:40], v[37:38]
	v_fma_f64 v[15:16], v[15:16], v[39:40], v[15:16]
	v_fma_f64 v[39:40], -v[37:38], v[37:38], v[5:6]
	v_fma_f64 v[37:38], v[39:40], v[15:16], v[37:38]
	v_fma_f64 v[39:40], -v[37:38], v[37:38], v[5:6]
	v_fma_f64 v[15:16], v[39:40], v[15:16], v[37:38]
	v_cndmask_b32_e32 v37, 0, v59, vcc
	v_cmp_class_f64_e32 vcc, v[5:6], v55
	v_ldexp_f64 v[15:16], v[15:16], v37
                                        ; implicit-def: $vgpr37_vgpr38
	v_cndmask_b32_e32 v52, v16, v6, vcc
	v_cndmask_b32_e32 v51, v15, v5, vcc
                                        ; implicit-def: $vgpr5_vgpr6
.LBB42_46:                              ;   in Loop: Header=BB42_5 Depth=1
	s_andn2_saveexec_b64 s[76:77], s[76:77]
	s_cbranch_execz .LBB42_52
; %bb.47:                               ;   in Loop: Header=BB42_5 Depth=1
	v_cmp_ngt_f64_e64 s[78:79], |v[13:14]|, 1.0
                                        ; implicit-def: $vgpr51_vgpr52
	s_and_saveexec_b64 s[80:81], s[78:79]
	s_xor_b64 s[78:79], exec, s[80:81]
	s_cbranch_execz .LBB42_49
; %bb.48:                               ;   in Loop: Header=BB42_5 Depth=1
	v_add_f64 v[5:6], -|v[13:14]|, 1.0
	s_mov_b32 s80, 0
	s_brev_b32 s81, 8
	v_mul_f64 v[5:6], v[5:6], v[37:38]
	v_cmp_gt_f64_e32 vcc, s[80:81], v[5:6]
	v_cndmask_b32_e32 v15, 0, v58, vcc
	v_ldexp_f64 v[5:6], v[5:6], v15
	v_rsq_f64_e32 v[15:16], v[5:6]
	v_mul_f64 v[37:38], v[5:6], v[15:16]
	v_mul_f64 v[15:16], v[15:16], 0.5
	v_fma_f64 v[39:40], -v[15:16], v[37:38], 0.5
	v_fma_f64 v[37:38], v[37:38], v[39:40], v[37:38]
	v_fma_f64 v[15:16], v[15:16], v[39:40], v[15:16]
	v_fma_f64 v[39:40], -v[37:38], v[37:38], v[5:6]
	v_fma_f64 v[37:38], v[39:40], v[15:16], v[37:38]
	v_fma_f64 v[39:40], -v[37:38], v[37:38], v[5:6]
	v_fma_f64 v[15:16], v[39:40], v[15:16], v[37:38]
	v_cndmask_b32_e32 v37, 0, v59, vcc
	v_cmp_class_f64_e32 vcc, v[5:6], v55
	v_ldexp_f64 v[15:16], v[15:16], v37
                                        ; implicit-def: $vgpr37_vgpr38
	v_cndmask_b32_e32 v52, v16, v6, vcc
	v_cndmask_b32_e32 v51, v15, v5, vcc
                                        ; implicit-def: $vgpr5_vgpr6
.LBB42_49:                              ;   in Loop: Header=BB42_5 Depth=1
	s_andn2_saveexec_b64 s[78:79], s[78:79]
	s_cbranch_execz .LBB42_51
; %bb.50:                               ;   in Loop: Header=BB42_5 Depth=1
	v_mul_f64 v[5:6], v[37:38], v[5:6]
	s_mov_b32 s80, 0
	s_brev_b32 s81, 8
	s_movk_i32 s29, 0x6a
	v_ldexp_f64 v[15:16], |v[15:16]|, s29
	v_ldexp_f64 v[49:50], |v[13:14]|, s29
	v_cmp_gt_f64_e32 vcc, s[80:81], v[5:6]
	v_mul_f64 v[15:16], |v[13:14]|, v[15:16]
	v_cndmask_b32_e32 v37, 0, v58, vcc
	v_ldexp_f64 v[5:6], v[5:6], v37
	v_rsq_f64_e32 v[37:38], v[5:6]
	v_mul_f64 v[39:40], v[5:6], v[37:38]
	v_mul_f64 v[37:38], v[37:38], 0.5
	v_fma_f64 v[41:42], -v[37:38], v[39:40], 0.5
	v_fma_f64 v[39:40], v[39:40], v[41:42], v[39:40]
	v_fma_f64 v[37:38], v[37:38], v[41:42], v[37:38]
	v_fma_f64 v[41:42], -v[39:40], v[39:40], v[5:6]
	v_fma_f64 v[39:40], v[41:42], v[37:38], v[39:40]
	v_fma_f64 v[41:42], -v[39:40], v[39:40], v[5:6]
	v_fma_f64 v[37:38], v[41:42], v[37:38], v[39:40]
	v_cndmask_b32_e32 v39, 0, v59, vcc
	v_cmp_class_f64_e32 vcc, v[5:6], v55
	v_ldexp_f64 v[37:38], v[37:38], v39
	v_cndmask_b32_e32 v6, v38, v6, vcc
	v_cndmask_b32_e32 v5, v37, v5, vcc
	v_div_scale_f64 v[37:38], s[80:81], v[5:6], v[5:6], v[15:16]
	v_rcp_f64_e32 v[39:40], v[37:38]
	v_fma_f64 v[41:42], -v[37:38], v[39:40], 1.0
	v_fma_f64 v[39:40], v[39:40], v[41:42], v[39:40]
	v_div_scale_f64 v[41:42], vcc, v[15:16], v[5:6], v[15:16]
	v_fma_f64 v[43:44], -v[37:38], v[39:40], 1.0
	v_fma_f64 v[39:40], v[39:40], v[43:44], v[39:40]
	v_mul_f64 v[43:44], v[41:42], v[39:40]
	v_fma_f64 v[37:38], -v[37:38], v[43:44], v[41:42]
	v_div_fmas_f64 v[37:38], v[37:38], v[39:40], v[43:44]
	v_div_fixup_f64 v[51:52], v[37:38], v[5:6], v[15:16]
.LBB42_51:                              ;   in Loop: Header=BB42_5 Depth=1
	s_or_b64 exec, exec, s[78:79]
.LBB42_52:                              ;   in Loop: Header=BB42_5 Depth=1
	s_or_b64 exec, exec, s[76:77]
	s_mov_b32 s80, 0xb5e68a13
                                        ; implicit-def: $vgpr39_vgpr40
	s_mov_b32 s81, 0x3eeba404
.LBB42_53:                              ;   in Loop: Header=BB42_5 Depth=1
	s_andn2_saveexec_b64 s[76:77], s[8:9]
	s_cbranch_execz .LBB42_55
; %bb.54:                               ;   in Loop: Header=BB42_5 Depth=1
	v_add_f64 v[5:6], v[39:40], 1.0
	s_mov_b32 s8, 0
	s_brev_b32 s9, 8
	v_cmp_lt_f64_e64 vcc, |v[15:16]|, s[8:9]
	v_mul_f64 v[5:6], v[5:6], 0.5
	v_cndmask_b32_e32 v37, 0, v58, vcc
	v_ldexp_f64 v[15:16], |v[15:16]|, v37
	v_cmp_gt_f64_e64 s[8:9], s[8:9], v[5:6]
	v_cndmask_b32_e64 v37, 0, v58, s[8:9]
	v_ldexp_f64 v[5:6], v[5:6], v37
	v_rsq_f64_e32 v[37:38], v[15:16]
	v_rsq_f64_e32 v[39:40], v[5:6]
	v_mul_f64 v[41:42], v[15:16], v[37:38]
	v_mul_f64 v[37:38], v[37:38], 0.5
	v_mul_f64 v[43:44], v[5:6], v[39:40]
	v_mul_f64 v[39:40], v[39:40], 0.5
	v_fma_f64 v[45:46], -v[37:38], v[41:42], 0.5
	v_fma_f64 v[49:50], -v[39:40], v[43:44], 0.5
	v_fma_f64 v[41:42], v[41:42], v[45:46], v[41:42]
	v_fma_f64 v[37:38], v[37:38], v[45:46], v[37:38]
	;; [unrolled: 1-line block ×3, first 2 shown]
	v_fma_f64 v[45:46], -v[41:42], v[41:42], v[15:16]
	v_fma_f64 v[39:40], v[39:40], v[49:50], v[39:40]
	v_fma_f64 v[49:50], -v[43:44], v[43:44], v[5:6]
	v_fma_f64 v[41:42], v[45:46], v[37:38], v[41:42]
	v_fma_f64 v[43:44], v[49:50], v[39:40], v[43:44]
	v_fma_f64 v[45:46], -v[41:42], v[41:42], v[15:16]
	v_fma_f64 v[49:50], -v[43:44], v[43:44], v[5:6]
	v_fma_f64 v[37:38], v[45:46], v[37:38], v[41:42]
	v_cndmask_b32_e32 v41, 0, v59, vcc
	v_cndmask_b32_e64 v42, 0, v59, s[8:9]
	v_cmp_class_f64_e32 vcc, v[15:16], v55
	v_cmp_class_f64_e64 s[8:9], v[5:6], v55
	v_fma_f64 v[39:40], v[49:50], v[39:40], v[43:44]
	v_ldexp_f64 v[37:38], v[37:38], v41
	v_mov_b32_e32 v49, 0
	v_mov_b32_e32 v50, 0x3ff00000
	v_ldexp_f64 v[39:40], v[39:40], v42
	v_cndmask_b32_e32 v16, v38, v16, vcc
	v_cndmask_b32_e32 v15, v37, v15, vcc
	v_cndmask_b32_e64 v6, v40, v6, s[8:9]
	v_cndmask_b32_e64 v5, v39, v5, s[8:9]
	v_mul_f64 v[51:52], v[15:16], v[5:6]
.LBB42_55:                              ;   in Loop: Header=BB42_5 Depth=1
	s_or_b64 exec, exec, s[76:77]
	s_mov_b64 s[8:9], exec
.LBB42_56:                              ;   in Loop: Header=BB42_5 Depth=1
	s_or_b64 exec, exec, s[74:75]
                                        ; implicit-def: $vgpr39_vgpr40
.LBB42_57:                              ;   in Loop: Header=BB42_5 Depth=1
	s_andn2_saveexec_b64 s[10:11], s[10:11]
	s_cbranch_execz .LBB42_59
; %bb.58:                               ;   in Loop: Header=BB42_5 Depth=1
	v_ldexp_f64 v[51:52], v[39:40], 53
	v_ldexp_f64 v[49:50], |v[13:14]|, 53
	s_or_b64 s[8:9], s[8:9], exec
                                        ; implicit-def: $vgpr47_vgpr48
.LBB42_59:                              ;   in Loop: Header=BB42_5 Depth=1
	s_or_b64 exec, exec, s[10:11]
	v_cmp_lt_i64_e32 vcc, -1, v[13:14]
	s_xor_b64 s[8:9], s[8:9], -1
	s_and_saveexec_b64 s[10:11], s[8:9]
	s_xor_b64 s[10:11], exec, s[10:11]
	s_cbranch_execz .LBB42_69
; %bb.60:                               ;   in Loop: Header=BB42_5 Depth=1
	s_and_saveexec_b64 s[8:9], vcc
	s_xor_b64 s[74:75], exec, s[8:9]
	s_cbranch_execz .LBB42_64
; %bb.61:                               ;   in Loop: Header=BB42_5 Depth=1
	v_fma_f64 v[13:14], |v[47:48]|, -0.5, 0.5
	v_mul_f64 v[5:6], v[47:48], v[47:48]
	v_cmp_ge_f64_e64 s[8:9], |v[47:48]|, 0.5
	s_mov_b32 s76, 0x9fea6a70
	s_mov_b32 s77, 0x3fa05985
	v_cndmask_b32_e64 v6, v6, v14, s[8:9]
	v_cndmask_b32_e64 v5, v5, v13, s[8:9]
	v_fma_f64 v[15:16], v[5:6], s[76:77], v[27:28]
	s_mov_b32 s76, 0x37024d6a
	s_mov_b32 s77, 0x3f940521
	v_fma_f64 v[15:16], v[5:6], v[15:16], s[76:77]
	s_mov_b32 s76, 0x98a70509
	s_mov_b32 s77, 0x3f7ab3a0
	;; [unrolled: 3-line block ×11, first 2 shown]
	v_mul_f64 v[15:16], v[5:6], v[15:16]
	v_fma_f64 v[5:6], v[47:48], v[15:16], v[47:48]
	v_fma_f64 v[5:6], s[76:77], v[29:30], -v[5:6]
	s_and_saveexec_b64 s[76:77], s[8:9]
	s_cbranch_execz .LBB42_63
; %bb.62:                               ;   in Loop: Header=BB42_5 Depth=1
	v_rsq_f64_e32 v[5:6], v[13:14]
	v_cmp_eq_f64_e64 s[8:9], 0, v[13:14]
	v_mul_f64 v[37:38], v[13:14], v[5:6]
	v_mul_f64 v[5:6], v[5:6], 0.5
	v_fma_f64 v[39:40], -v[5:6], v[37:38], 0.5
	v_fma_f64 v[37:38], v[37:38], v[39:40], v[37:38]
	v_fma_f64 v[5:6], v[5:6], v[39:40], v[5:6]
	v_fma_f64 v[39:40], -v[37:38], v[37:38], v[13:14]
	v_fma_f64 v[5:6], v[39:40], v[5:6], v[37:38]
	v_cndmask_b32_e64 v6, v6, v14, s[8:9]
	v_cndmask_b32_e64 v5, v5, v13, s[8:9]
	v_add_f64 v[37:38], v[5:6], v[5:6]
	v_mul_f64 v[39:40], v[5:6], v[5:6]
	v_rcp_f64_e32 v[41:42], v[37:38]
	v_add_f64 v[43:44], v[13:14], -v[39:40]
	v_fma_f64 v[49:50], v[5:6], v[5:6], -v[39:40]
	v_add_f64 v[13:14], v[13:14], -v[43:44]
	v_fma_f64 v[45:46], -v[37:38], v[41:42], 1.0
	v_add_f64 v[13:14], v[13:14], -v[39:40]
	v_fma_f64 v[39:40], v[45:46], v[41:42], v[41:42]
	v_add_f64 v[13:14], v[13:14], -v[49:50]
	v_fma_f64 v[41:42], -v[37:38], v[39:40], 1.0
	v_add_f64 v[13:14], v[43:44], v[13:14]
	v_fma_f64 v[39:40], v[41:42], v[39:40], v[39:40]
	v_mul_f64 v[41:42], v[13:14], v[39:40]
	v_fma_f64 v[13:14], -v[37:38], v[41:42], v[13:14]
	v_fma_f64 v[13:14], v[13:14], v[39:40], v[41:42]
	v_cndmask_b32_e64 v14, v14, 0, s[8:9]
	v_cndmask_b32_e64 v13, v13, 0, s[8:9]
	v_add_f64 v[37:38], v[5:6], v[13:14]
	v_cmp_neq_f64_e64 s[8:9], 1.0, v[47:48]
	v_add_f64 v[5:6], v[37:38], -v[5:6]
	v_add_f64 v[5:6], v[13:14], -v[5:6]
	v_fma_f64 v[5:6], v[37:38], v[15:16], v[5:6]
	v_add_f64 v[5:6], v[37:38], v[5:6]
	v_add_f64 v[5:6], v[5:6], v[5:6]
	v_cndmask_b32_e64 v6, 0, v6, s[8:9]
	v_cndmask_b32_e64 v5, 0, v5, s[8:9]
.LBB42_63:                              ;   in Loop: Header=BB42_5 Depth=1
	s_or_b64 exec, exec, s[76:77]
                                        ; implicit-def: $vgpr47_vgpr48
.LBB42_64:                              ;   in Loop: Header=BB42_5 Depth=1
	s_andn2_saveexec_b64 s[74:75], s[74:75]
	s_cbranch_execz .LBB42_68
; %bb.65:                               ;   in Loop: Header=BB42_5 Depth=1
	v_fma_f64 v[13:14], |v[47:48]|, -0.5, 0.5
	v_mul_f64 v[5:6], v[47:48], v[47:48]
	v_cmp_ge_f64_e64 s[8:9], |v[47:48]|, 0.5
	s_mov_b32 s76, 0x9fea6a70
	s_mov_b32 s77, 0x3fa05985
	v_cndmask_b32_e64 v6, v6, v14, s[8:9]
	v_cndmask_b32_e64 v5, v5, v13, s[8:9]
	v_fma_f64 v[15:16], v[5:6], s[76:77], v[27:28]
	s_mov_b32 s76, 0x37024d6a
	s_mov_b32 s77, 0x3f940521
	v_fma_f64 v[15:16], v[5:6], v[15:16], s[76:77]
	s_mov_b32 s76, 0x98a70509
	s_mov_b32 s77, 0x3f7ab3a0
	;; [unrolled: 3-line block ×11, first 2 shown]
	v_mul_f64 v[15:16], v[5:6], v[15:16]
	v_fma_f64 v[5:6], -v[47:48], v[15:16], -v[47:48]
	v_fma_f64 v[5:6], s[76:77], v[29:30], -v[5:6]
	s_and_saveexec_b64 s[76:77], s[8:9]
	s_cbranch_execz .LBB42_67
; %bb.66:                               ;   in Loop: Header=BB42_5 Depth=1
	v_rsq_f64_e32 v[5:6], v[13:14]
	v_cmp_eq_f64_e64 s[8:9], 0, v[13:14]
	v_readlane_b32 s78, v83, 2
	v_readlane_b32 s79, v83, 3
	s_mov_b32 s29, s79
	v_writelane_b32 v83, s28, 2
	v_writelane_b32 v83, s29, 3
	v_mul_f64 v[37:38], v[13:14], v[5:6]
	v_mul_f64 v[5:6], v[5:6], 0.5
	v_fma_f64 v[39:40], -v[5:6], v[37:38], 0.5
	v_fma_f64 v[37:38], v[37:38], v[39:40], v[37:38]
	v_fma_f64 v[5:6], v[5:6], v[39:40], v[5:6]
	v_fma_f64 v[39:40], -v[37:38], v[37:38], v[13:14]
	v_fma_f64 v[5:6], v[39:40], v[5:6], v[37:38]
	v_cndmask_b32_e64 v6, v6, v14, s[8:9]
	v_cndmask_b32_e64 v5, v5, v13, s[8:9]
	v_add_f64 v[37:38], v[5:6], v[5:6]
	v_mul_f64 v[39:40], v[5:6], v[5:6]
	v_rcp_f64_e32 v[41:42], v[37:38]
	v_add_f64 v[43:44], v[13:14], -v[39:40]
	v_fma_f64 v[49:50], v[5:6], v[5:6], -v[39:40]
	v_add_f64 v[13:14], v[13:14], -v[43:44]
	v_fma_f64 v[45:46], -v[37:38], v[41:42], 1.0
	v_add_f64 v[13:14], v[13:14], -v[39:40]
	v_fma_f64 v[39:40], v[45:46], v[41:42], v[41:42]
	v_add_f64 v[13:14], v[13:14], -v[49:50]
	v_fma_f64 v[41:42], -v[37:38], v[39:40], 1.0
	v_add_f64 v[13:14], v[43:44], v[13:14]
	v_fma_f64 v[39:40], v[41:42], v[39:40], v[39:40]
	v_mul_f64 v[41:42], v[13:14], v[39:40]
	v_fma_f64 v[13:14], -v[37:38], v[41:42], v[13:14]
	v_fma_f64 v[13:14], v[13:14], v[39:40], v[41:42]
	v_cndmask_b32_e64 v14, v14, 0, s[8:9]
	v_cndmask_b32_e64 v13, v13, 0, s[8:9]
	v_add_f64 v[37:38], v[5:6], v[13:14]
	s_mov_b32 s8, 0x336a0500
	s_mov_b32 s9, 0x3fedd9ad
	;; [unrolled: 1-line block ×3, first 2 shown]
	v_add_f64 v[5:6], v[37:38], -v[5:6]
	v_add_f64 v[5:6], v[13:14], -v[5:6]
	v_fma_f64 v[13:14], v[37:38], v[15:16], v[37:38]
	v_fma_f64 v[5:6], v[37:38], v[15:16], v[5:6]
	v_mul_f64 v[13:14], v[13:14], -2.0
	v_add_f64 v[5:6], v[37:38], v[5:6]
	v_fma_f64 v[13:14], s[8:9], v[29:30], v[13:14]
	v_cmp_lt_f64_e64 s[8:9], 0, v[47:48]
	v_add_f64 v[5:6], v[5:6], v[5:6]
	v_cndmask_b32_e64 v5, v5, v13, s[8:9]
	v_cndmask_b32_e64 v6, v6, v14, s[8:9]
	v_cmp_neq_f64_e64 s[8:9], 1.0, v[47:48]
	v_cndmask_b32_e64 v6, v62, v6, s[8:9]
	v_cndmask_b32_e64 v5, v63, v5, s[8:9]
.LBB42_67:                              ;   in Loop: Header=BB42_5 Depth=1
	s_or_b64 exec, exec, s[76:77]
.LBB42_68:                              ;   in Loop: Header=BB42_5 Depth=1
	s_or_b64 exec, exec, s[74:75]
                                        ; implicit-def: $vgpr49_vgpr50
                                        ; implicit-def: $vgpr51_vgpr52
.LBB42_69:                              ;   in Loop: Header=BB42_5 Depth=1
	s_andn2_saveexec_b64 s[74:75], s[10:11]
	s_cbranch_execz .LBB42_75
; %bb.70:                               ;   in Loop: Header=BB42_5 Depth=1
	s_and_saveexec_b64 s[8:9], vcc
	s_xor_b64 s[76:77], exec, s[8:9]
	s_cbranch_execz .LBB42_72
; %bb.71:                               ;   in Loop: Header=BB42_5 Depth=1
	v_max_f64 v[5:6], |v[51:52]|, |v[51:52]|
	v_max_f64 v[13:14], v[49:50], v[49:50]
	s_mov_b32 s56, s70
	v_cmp_class_f64_e64 s[78:79], v[51:52], s86
	v_cmp_eq_f64_e64 s[10:11], s[66:67], v[49:50]
	v_max_f64 v[15:16], v[13:14], v[5:6]
	v_min_f64 v[5:6], v[13:14], v[5:6]
	v_div_scale_f64 v[13:14], s[8:9], v[15:16], v[15:16], v[5:6]
	s_mov_b32 s8, 0x69efb384
	s_mov_b32 s9, 0x3f4b2bb0
	v_rcp_f64_e32 v[37:38], v[13:14]
	v_fma_f64 v[39:40], -v[13:14], v[37:38], 1.0
	v_fma_f64 v[37:38], v[37:38], v[39:40], v[37:38]
	v_div_scale_f64 v[39:40], vcc, v[5:6], v[15:16], v[5:6]
	v_fma_f64 v[41:42], -v[13:14], v[37:38], 1.0
	v_fma_f64 v[37:38], v[37:38], v[41:42], v[37:38]
	v_mul_f64 v[41:42], v[39:40], v[37:38]
	v_fma_f64 v[13:14], -v[13:14], v[41:42], v[39:40]
	v_div_fmas_f64 v[13:14], v[13:14], v[37:38], v[41:42]
	v_cmp_lt_f64_e64 vcc, v[49:50], |v[51:52]|
	v_div_fixup_f64 v[5:6], v[13:14], v[15:16], v[5:6]
	v_mul_f64 v[13:14], v[5:6], v[5:6]
	v_fma_f64 v[15:16], v[13:14], s[80:81], v[31:32]
	v_fma_f64 v[15:16], v[13:14], v[15:16], s[8:9]
	s_mov_b32 s8, 0xaf56de9b
	s_mov_b32 s9, 0xbf67952d
	v_fma_f64 v[15:16], v[13:14], v[15:16], s[8:9]
	s_mov_b32 s8, 0xa595c56f
	s_mov_b32 s9, 0x3f7d6d43
	v_fma_f64 v[15:16], v[13:14], v[15:16], s[8:9]
	s_mov_b32 s8, 0xa57d9582
	s_mov_b32 s9, 0xbf8c6ea4
	v_fma_f64 v[15:16], v[13:14], v[15:16], s[8:9]
	s_mov_b32 s8, 0x5f08b19f
	s_mov_b32 s9, 0x3f967e29
	v_fma_f64 v[15:16], v[13:14], v[15:16], s[8:9]
	s_mov_b32 s8, 0xfc27006a
	s_mov_b32 s9, 0xbf9e9ae6
	v_fma_f64 v[15:16], v[13:14], v[15:16], s[8:9]
	s_mov_b32 s8, 0x5711927a
	s_mov_b32 s9, 0x3fa2c15b
	v_fma_f64 v[15:16], v[13:14], v[15:16], s[8:9]
	v_cmp_eq_f64_e64 s[8:9], 0, v[51:52]
	v_fma_f64 v[15:16], v[13:14], v[15:16], s[82:83]
	v_fma_f64 v[15:16], v[13:14], v[15:16], s[84:85]
	;; [unrolled: 1-line block ×11, first 2 shown]
	v_mul_f64 v[13:14], v[13:14], v[15:16]
	v_ashrrev_i32_e32 v15, 31, v50
	v_and_b32_e32 v37, 0x54442d18, v15
	v_and_b32_e32 v15, 0x400921fb, v15
	v_fma_f64 v[5:6], v[5:6], v[13:14], v[5:6]
	v_add_f64 v[13:14], -v[5:6], s[70:71]
	v_cndmask_b32_e32 v6, v6, v14, vcc
	v_cndmask_b32_e32 v5, v5, v13, vcc
	v_add_f64 v[13:14], -v[5:6], s[56:57]
	v_cmp_gt_i32_e32 vcc, 0, v50
	v_cndmask_b32_e32 v16, v63, v64, vcc
                                        ; implicit-def: $vgpr49_vgpr50
	v_cndmask_b32_e32 v5, v5, v13, vcc
	v_cndmask_b32_e32 v6, v6, v14, vcc
	;; [unrolled: 1-line block ×3, first 2 shown]
	v_cndmask_b32_e64 v5, v5, v37, s[8:9]
	v_cndmask_b32_e64 v6, v6, v15, s[8:9]
	s_and_b64 vcc, s[10:11], s[78:79]
	v_cndmask_b32_e32 v6, v6, v13, vcc
	v_cndmask_b32_e32 v5, v5, v16, vcc
	v_cmp_o_f64_e32 vcc, v[51:52], v[51:52]
	v_cndmask_b32_e32 v6, v61, v6, vcc
	v_cndmask_b32_e32 v5, 0, v5, vcc
	v_bfi_b32 v6, s91, v6, v52
                                        ; implicit-def: $vgpr51_vgpr52
.LBB42_72:                              ;   in Loop: Header=BB42_5 Depth=1
	s_andn2_saveexec_b64 s[76:77], s[76:77]
	s_cbranch_execz .LBB42_74
; %bb.73:                               ;   in Loop: Header=BB42_5 Depth=1
	v_max_f64 v[5:6], |v[51:52]|, |v[51:52]|
	v_max_f64 v[13:14], v[49:50], v[49:50]
	s_mov_b32 s56, s70
	v_cmp_class_f64_e64 s[78:79], v[51:52], s86
	v_cmp_eq_f64_e64 s[10:11], s[66:67], v[49:50]
	v_max_f64 v[15:16], v[13:14], v[5:6]
	v_min_f64 v[5:6], v[13:14], v[5:6]
	v_div_scale_f64 v[13:14], s[8:9], v[15:16], v[15:16], v[5:6]
	s_mov_b32 s8, 0x69efb384
	s_mov_b32 s9, 0x3f4b2bb0
	v_rcp_f64_e32 v[37:38], v[13:14]
	v_fma_f64 v[39:40], -v[13:14], v[37:38], 1.0
	v_fma_f64 v[37:38], v[37:38], v[39:40], v[37:38]
	v_div_scale_f64 v[39:40], vcc, v[5:6], v[15:16], v[5:6]
	v_fma_f64 v[41:42], -v[13:14], v[37:38], 1.0
	v_fma_f64 v[37:38], v[37:38], v[41:42], v[37:38]
	v_mul_f64 v[41:42], v[39:40], v[37:38]
	v_fma_f64 v[13:14], -v[13:14], v[41:42], v[39:40]
	v_div_fmas_f64 v[13:14], v[13:14], v[37:38], v[41:42]
	v_cmp_lt_f64_e64 vcc, v[49:50], |v[51:52]|
	v_div_fixup_f64 v[5:6], v[13:14], v[15:16], v[5:6]
	v_mul_f64 v[13:14], v[5:6], v[5:6]
	v_fma_f64 v[15:16], v[13:14], s[80:81], v[31:32]
	v_fma_f64 v[15:16], v[13:14], v[15:16], s[8:9]
	s_mov_b32 s8, 0xaf56de9b
	s_mov_b32 s9, 0xbf67952d
	v_fma_f64 v[15:16], v[13:14], v[15:16], s[8:9]
	s_mov_b32 s8, 0xa595c56f
	s_mov_b32 s9, 0x3f7d6d43
	;; [unrolled: 3-line block ×6, first 2 shown]
	v_fma_f64 v[15:16], v[13:14], v[15:16], s[8:9]
	v_cmp_eq_f64_e64 s[8:9], 0, v[51:52]
	v_fma_f64 v[15:16], v[13:14], v[15:16], s[82:83]
	v_fma_f64 v[15:16], v[13:14], v[15:16], s[84:85]
	v_fma_f64 v[15:16], v[13:14], v[15:16], s[92:93]
	v_fma_f64 v[15:16], v[13:14], v[15:16], s[94:95]
	v_fma_f64 v[15:16], v[13:14], v[15:16], s[96:97]
	v_fma_f64 v[15:16], v[13:14], v[15:16], s[98:99]
	v_fma_f64 v[15:16], v[13:14], v[15:16], s[46:47]
	v_fma_f64 v[15:16], v[13:14], v[15:16], s[48:49]
	v_fma_f64 v[15:16], v[13:14], v[15:16], s[50:51]
	v_fma_f64 v[15:16], v[13:14], v[15:16], s[52:53]
	v_fma_f64 v[15:16], v[13:14], v[15:16], s[54:55]
	v_mul_f64 v[13:14], v[13:14], v[15:16]
	v_xor_b32_e32 v15, 0x80000000, v50
	v_ashrrev_i32_e32 v16, 31, v15
	v_and_b32_e32 v37, 0x54442d18, v16
	v_and_b32_e32 v16, 0x400921fb, v16
	v_fma_f64 v[5:6], v[5:6], v[13:14], v[5:6]
	v_add_f64 v[13:14], -v[5:6], s[70:71]
	v_cndmask_b32_e32 v6, v6, v14, vcc
	v_cndmask_b32_e32 v5, v5, v13, vcc
	v_add_f64 v[13:14], -v[5:6], s[56:57]
	v_cmp_gt_i32_e32 vcc, 0, v15
	v_cndmask_b32_e32 v15, v63, v64, vcc
	v_cndmask_b32_e32 v5, v5, v13, vcc
	;; [unrolled: 1-line block ×4, first 2 shown]
	v_cndmask_b32_e64 v5, v5, v37, s[8:9]
	v_cndmask_b32_e64 v6, v6, v16, s[8:9]
	s_and_b64 vcc, s[10:11], s[78:79]
	v_cndmask_b32_e32 v6, v6, v13, vcc
	v_cndmask_b32_e32 v5, v5, v15, vcc
	v_cmp_o_f64_e32 vcc, v[51:52], v[51:52]
	v_cndmask_b32_e32 v6, v61, v6, vcc
	v_cndmask_b32_e32 v5, 0, v5, vcc
	v_bfi_b32 v6, s91, v6, v52
.LBB42_74:                              ;   in Loop: Header=BB42_5 Depth=1
	s_or_b64 exec, exec, s[76:77]
.LBB42_75:                              ;   in Loop: Header=BB42_5 Depth=1
	s_or_b64 exec, exec, s[74:75]
	v_xor_b32_e32 v13, 0x80000000, v8
	v_cndmask_b32_e64 v8, v13, v8, s[6:7]
                                        ; implicit-def: $vgpr13_vgpr14
.LBB42_76:                              ;   in Loop: Header=BB42_5 Depth=1
	s_andn2_saveexec_b64 s[8:9], s[72:73]
	s_cbranch_execz .LBB42_78
; %bb.77:                               ;   in Loop: Header=BB42_5 Depth=1
	s_waitcnt lgkmcnt(0)
	v_mov_b32_e32 v5, s18
	v_mov_b32_e32 v6, s19
	flat_load_dwordx2 v[5:6], v[5:6] glc
	s_waitcnt vmcnt(0) lgkmcnt(0)
	v_add_f64 v[5:6], v[5:6], -v[13:14]
	v_add_f64 v[5:6], v[5:6], s[70:71]
.LBB42_78:                              ;   in Loop: Header=BB42_5 Depth=1
	s_or_b64 exec, exec, s[8:9]
.LBB42_79:                              ;   in Loop: Header=BB42_5 Depth=1
	s_andn2_saveexec_b64 s[8:9], s[58:59]
	s_cbranch_execz .LBB42_81
; %bb.80:                               ;   in Loop: Header=BB42_5 Depth=1
	s_waitcnt lgkmcnt(0)
	v_mov_b32_e32 v5, 0
	v_mov_b32_e32 v6, 0
.LBB42_81:                              ;   in Loop: Header=BB42_5 Depth=1
	s_or_b64 exec, exec, s[8:9]
                                        ; implicit-def: $vgpr13_vgpr14
                                        ; implicit-def: $vgpr41_vgpr42
                                        ; implicit-def: $vgpr39_vgpr40
                                        ; implicit-def: $vgpr37_vgpr38
.LBB42_82:                              ;   in Loop: Header=BB42_5 Depth=1
	s_andn2_saveexec_b64 s[26:27], s[26:27]
	s_cbranch_execz .LBB42_92
; %bb.83:                               ;   in Loop: Header=BB42_5 Depth=1
	v_cmp_lt_f64_e64 s[8:9], |v[13:14]|, |v[15:16]|
	v_and_b32_e32 v45, 0x7fffffff, v14
	v_and_b32_e32 v46, 0x7fffffff, v16
	s_mov_b32 s10, -1
	s_mov_b32 s11, 0x7fdfffff
                                        ; implicit-def: $sgpr58_sgpr59
                                        ; implicit-def: $vgpr43_vgpr44
                                        ; implicit-def: $vgpr7_vgpr8
	v_cndmask_b32_e64 v6, v45, v46, s[8:9]
	s_waitcnt lgkmcnt(0)
	v_cndmask_b32_e64 v5, v13, v15, s[8:9]
	v_cmp_nlt_f64_e32 vcc, s[10:11], v[5:6]
	s_and_saveexec_b64 s[10:11], vcc
	s_xor_b64 s[72:73], exec, s[10:11]
	s_cbranch_execz .LBB42_89
; %bb.84:                               ;   in Loop: Header=BB42_5 Depth=1
	s_mov_b32 s10, 0
	s_mov_b32 s11, 0x20200000
	v_cmp_nlt_f64_e32 vcc, s[10:11], v[5:6]
	s_mov_b32 s10, 0
	v_cndmask_b32_e64 v46, v46, v45, s[8:9]
	v_cndmask_b32_e64 v45, v15, v13, s[8:9]
	s_brev_b32 s11, 4
	v_cmp_ngt_f64_e64 s[10:11], s[10:11], v[45:46]
                                        ; implicit-def: $sgpr58_sgpr59
                                        ; implicit-def: $vgpr43_vgpr44
                                        ; implicit-def: $vgpr7_vgpr8
	s_and_b64 s[10:11], vcc, s[10:11]
	s_and_saveexec_b64 s[74:75], s[10:11]
	s_xor_b64 s[74:75], exec, s[74:75]
	s_cbranch_execz .LBB42_86
; %bb.85:                               ;   in Loop: Header=BB42_5 Depth=1
	v_mul_f64 v[7:8], v[45:46], v[45:46]
	v_min_f64 v[39:40], v[41:42], v[39:40]
	s_mov_b32 s29, s69
	v_fma_f64 v[5:6], v[5:6], v[5:6], v[7:8]
	v_frexp_mant_f64_e32 v[7:8], v[5:6]
	v_cmp_gt_f64_e64 s[10:11], s[68:69], v[7:8]
	v_cndmask_b32_e64 v43, 0, 1, s[10:11]
	v_ldexp_f64 v[7:8], v[7:8], v43
	v_add_f64 v[43:44], v[7:8], 1.0
	v_add_f64 v[49:50], v[7:8], -1.0
	v_rcp_f64_e32 v[45:46], v[43:44]
	v_add_f64 v[51:52], v[43:44], -1.0
	v_add_f64 v[7:8], v[7:8], -v[51:52]
	v_fma_f64 v[47:48], -v[43:44], v[45:46], 1.0
	v_fma_f64 v[45:46], v[47:48], v[45:46], v[45:46]
	v_fma_f64 v[47:48], -v[43:44], v[45:46], 1.0
	v_fma_f64 v[45:46], v[47:48], v[45:46], v[45:46]
	v_mul_f64 v[47:48], v[49:50], v[45:46]
	v_mul_f64 v[67:68], v[43:44], v[47:48]
	v_fma_f64 v[41:42], v[47:48], v[43:44], -v[67:68]
	v_div_scale_f64 v[43:44], s[58:59], v[37:38], v[37:38], v[39:40]
	s_mov_b32 s58, 0x69efb384
	s_mov_b32 s59, 0x3f4b2bb0
	v_fma_f64 v[7:8], v[47:48], v[7:8], v[41:42]
	v_add_f64 v[41:42], v[67:68], v[7:8]
	v_rcp_f64_e32 v[51:52], v[43:44]
	v_add_f64 v[69:70], v[49:50], -v[41:42]
	v_add_f64 v[67:68], v[41:42], -v[67:68]
	;; [unrolled: 1-line block ×3, first 2 shown]
	v_fma_f64 v[71:72], -v[43:44], v[51:52], 1.0
	v_add_f64 v[7:8], v[67:68], -v[7:8]
	v_frexp_exp_i32_f64_e32 v67, v[5:6]
	v_add_f64 v[41:42], v[49:50], -v[41:42]
	v_fma_f64 v[49:50], v[51:52], v[71:72], v[51:52]
	v_add_f64 v[7:8], v[7:8], v[41:42]
	v_div_scale_f64 v[41:42], vcc, v[39:40], v[37:38], v[39:40]
	v_fma_f64 v[51:52], -v[43:44], v[49:50], 1.0
	v_add_f64 v[7:8], v[69:70], v[7:8]
	v_fma_f64 v[49:50], v[49:50], v[51:52], v[49:50]
	v_mul_f64 v[7:8], v[45:46], v[7:8]
	v_mul_f64 v[45:46], v[41:42], v[49:50]
	v_add_f64 v[51:52], v[47:48], v[7:8]
	v_fma_f64 v[41:42], -v[43:44], v[45:46], v[41:42]
	v_mul_f64 v[43:44], v[51:52], v[51:52]
	v_add_f64 v[47:48], v[51:52], -v[47:48]
	v_div_fmas_f64 v[41:42], v[41:42], v[49:50], v[45:46]
	v_fma_f64 v[45:46], v[43:44], s[30:31], v[25:26]
	v_mul_f64 v[49:50], v[51:52], v[43:44]
	v_add_f64 v[7:8], v[7:8], -v[47:48]
	v_fma_f64 v[45:46], v[43:44], v[45:46], s[34:35]
	v_ldexp_f64 v[7:8], v[7:8], 1
	v_div_fixup_f64 v[37:38], v[41:42], v[37:38], v[39:40]
	v_fma_f64 v[39:40], v[43:44], v[45:46], s[36:37]
	v_mul_f64 v[41:42], v[37:38], v[37:38]
	v_fma_f64 v[39:40], v[43:44], v[39:40], s[38:39]
	v_fma_f64 v[45:46], v[41:42], s[80:81], v[31:32]
	;; [unrolled: 1-line block ×4, first 2 shown]
	s_mov_b32 s58, 0xaf56de9b
	s_mov_b32 s59, 0xbf67952d
	v_fma_f64 v[39:40], v[43:44], v[39:40], s[28:29]
	v_fma_f64 v[43:44], v[41:42], v[45:46], s[58:59]
	v_ldexp_f64 v[45:46], v[51:52], 1
	s_mov_b32 s58, 0xa595c56f
	s_mov_b32 s59, 0x3f7d6d43
	v_subbrev_co_u32_e64 v51, vcc, 0, v67, s[10:11]
	v_mul_f64 v[39:40], v[49:50], v[39:40]
	v_cvt_f64_i32_e32 v[51:52], v51
	v_fma_f64 v[43:44], v[41:42], v[43:44], s[58:59]
	s_mov_b32 s10, 0xa57d9582
	s_mov_b32 s11, 0xbf8c6ea4
	v_mul_f64 v[67:68], v[51:52], s[42:43]
	v_cmp_class_f64_e64 vcc, v[5:6], s86
	v_cmp_class_f64_e64 s[58:59], v[13:14], s86
	v_add_f64 v[49:50], v[45:46], v[39:40]
	v_fma_f64 v[43:44], v[41:42], v[43:44], s[10:11]
	s_mov_b32 s10, 0x5f08b19f
	s_mov_b32 s11, 0x3f967e29
	v_fma_f64 v[47:48], v[51:52], s[42:43], -v[67:68]
	v_add_f64 v[45:46], v[49:50], -v[45:46]
	v_fma_f64 v[43:44], v[41:42], v[43:44], s[10:11]
	s_mov_b32 s10, 0xfc27006a
	s_mov_b32 s11, 0xbf9e9ae6
	v_add_f64 v[39:40], v[39:40], -v[45:46]
	v_fma_f64 v[45:46], v[51:52], s[44:45], v[47:48]
	v_fma_f64 v[43:44], v[41:42], v[43:44], s[10:11]
	s_mov_b32 s10, 0x5711927a
	s_mov_b32 s11, 0x3fa2c15b
	v_add_f64 v[7:8], v[7:8], v[39:40]
	v_fma_f64 v[39:40], v[41:42], v[43:44], s[10:11]
	v_add_f64 v[43:44], v[67:68], v[45:46]
	v_cmp_class_f64_e64 s[10:11], v[15:16], s86
	v_add_f64 v[47:48], v[49:50], v[7:8]
	v_fma_f64 v[39:40], v[41:42], v[39:40], s[82:83]
	v_add_f64 v[67:68], v[43:44], -v[67:68]
	s_and_b64 s[58:59], s[58:59], s[10:11]
	v_add_f64 v[51:52], v[43:44], v[47:48]
	v_add_f64 v[49:50], v[47:48], -v[49:50]
	v_fma_f64 v[39:40], v[41:42], v[39:40], s[84:85]
	v_add_f64 v[45:46], v[45:46], -v[67:68]
	v_add_f64 v[69:70], v[51:52], -v[43:44]
	;; [unrolled: 1-line block ×3, first 2 shown]
	v_fma_f64 v[39:40], v[41:42], v[39:40], s[92:93]
	v_add_f64 v[71:72], v[51:52], -v[69:70]
	v_add_f64 v[47:48], v[47:48], -v[69:70]
	v_fma_f64 v[39:40], v[41:42], v[39:40], s[94:95]
	v_add_f64 v[49:50], v[45:46], v[7:8]
	v_add_f64 v[43:44], v[43:44], -v[71:72]
	v_fma_f64 v[39:40], v[41:42], v[39:40], s[96:97]
	v_add_f64 v[43:44], v[47:48], v[43:44]
	;; [unrolled: 3-line block ×3, first 2 shown]
	v_add_f64 v[49:50], v[49:50], -v[47:48]
	v_fma_f64 v[39:40], v[41:42], v[39:40], s[46:47]
	v_add_f64 v[7:8], v[7:8], -v[47:48]
	v_add_f64 v[67:68], v[51:52], v[43:44]
	v_add_f64 v[45:46], v[45:46], -v[49:50]
	v_fma_f64 v[39:40], v[41:42], v[39:40], s[48:49]
	v_add_f64 v[47:48], v[67:68], -v[51:52]
	v_add_f64 v[7:8], v[7:8], v[45:46]
	v_fma_f64 v[39:40], v[41:42], v[39:40], s[50:51]
	v_add_f64 v[43:44], v[43:44], -v[47:48]
	v_fma_f64 v[39:40], v[41:42], v[39:40], s[52:53]
	v_add_f64 v[7:8], v[7:8], v[43:44]
	v_fma_f64 v[39:40], v[41:42], v[39:40], s[54:55]
	v_add_f64 v[7:8], v[67:68], v[7:8]
	v_mul_f64 v[39:40], v[41:42], v[39:40]
	v_cndmask_b32_e32 v8, v8, v6, vcc
	v_cndmask_b32_e32 v7, v7, v5, vcc
	v_mul_f64 v[41:42], v[7:8], 0.5
	v_cmp_neq_f64_e32 vcc, 0, v[5:6]
	v_fma_f64 v[7:8], v[37:38], v[39:40], v[37:38]
                                        ; implicit-def: $vgpr37_vgpr38
                                        ; implicit-def: $vgpr39_vgpr40
	v_cndmask_b32_e32 v44, v60, v42, vcc
	v_cndmask_b32_e32 v43, 0, v41, vcc
                                        ; implicit-def: $vgpr41_vgpr42
.LBB42_86:                              ;   in Loop: Header=BB42_5 Depth=1
	s_andn2_saveexec_b64 s[74:75], s[74:75]
	s_cbranch_execz .LBB42_88
; %bb.87:                               ;   in Loop: Header=BB42_5 Depth=1
	v_frexp_exp_i32_f64_e32 v47, v[37:38]
	v_cmp_class_f64_e64 s[76:77], v[13:14], s86
	v_cmp_class_f64_e64 s[78:79], v[15:16], s86
	v_min_f64 v[39:40], v[41:42], v[39:40]
	s_mov_b32 s29, s69
	v_sub_u32_e32 v7, 0, v47
	v_ldexp_f64 v[5:6], |v[15:16]|, v7
	v_ldexp_f64 v[7:8], |v[13:14]|, v7
	v_div_scale_f64 v[67:68], s[80:81], v[37:38], v[37:38], v[39:40]
	s_mov_b32 s80, 0xb5e68a13
	s_mov_b32 s81, 0x3eeba404
	v_mul_f64 v[5:6], v[5:6], v[5:6]
	v_fma_f64 v[5:6], v[7:8], v[7:8], v[5:6]
	v_rsq_f64_e32 v[7:8], v[5:6]
	v_cmp_eq_f64_e32 vcc, 0, v[5:6]
	v_mul_f64 v[43:44], v[5:6], v[7:8]
	v_mul_f64 v[7:8], v[7:8], 0.5
	v_fma_f64 v[45:46], -v[7:8], v[43:44], 0.5
	v_fma_f64 v[43:44], v[43:44], v[45:46], v[43:44]
	v_fma_f64 v[7:8], v[7:8], v[45:46], v[7:8]
	v_fma_f64 v[45:46], -v[43:44], v[43:44], v[5:6]
	v_fma_f64 v[7:8], v[45:46], v[7:8], v[43:44]
	v_cndmask_b32_e32 v6, v8, v6, vcc
	v_cndmask_b32_e32 v5, v7, v5, vcc
	v_ldexp_f64 v[5:6], v[5:6], v47
	s_or_b64 vcc, s[76:77], s[78:79]
	v_cndmask_b32_e32 v6, v6, v56, vcc
	v_cndmask_b32_e64 v5, v5, 0, vcc
	v_frexp_mant_f64_e32 v[7:8], v[5:6]
	v_cmp_gt_f64_e64 s[10:11], s[68:69], v[7:8]
	v_cndmask_b32_e64 v43, 0, 1, s[10:11]
	v_ldexp_f64 v[7:8], v[7:8], v43
	v_add_f64 v[43:44], v[7:8], 1.0
	v_add_f64 v[49:50], v[7:8], -1.0
	v_rcp_f64_e32 v[45:46], v[43:44]
	v_add_f64 v[41:42], v[43:44], -1.0
	v_add_f64 v[7:8], v[7:8], -v[41:42]
	v_fma_f64 v[47:48], -v[43:44], v[45:46], 1.0
	v_fma_f64 v[45:46], v[47:48], v[45:46], v[45:46]
	v_fma_f64 v[47:48], -v[43:44], v[45:46], 1.0
	v_fma_f64 v[45:46], v[47:48], v[45:46], v[45:46]
	v_mul_f64 v[47:48], v[49:50], v[45:46]
	v_mul_f64 v[51:52], v[43:44], v[47:48]
	v_fma_f64 v[41:42], v[47:48], v[43:44], -v[51:52]
	v_fma_f64 v[7:8], v[47:48], v[7:8], v[41:42]
	v_rcp_f64_e32 v[41:42], v[67:68]
	v_add_f64 v[43:44], v[51:52], v[7:8]
	v_add_f64 v[69:70], v[49:50], -v[43:44]
	v_fma_f64 v[71:72], -v[67:68], v[41:42], 1.0
	v_add_f64 v[51:52], v[43:44], -v[51:52]
	v_add_f64 v[49:50], v[49:50], -v[69:70]
	v_fma_f64 v[41:42], v[41:42], v[71:72], v[41:42]
	v_add_f64 v[7:8], v[51:52], -v[7:8]
	v_add_f64 v[43:44], v[49:50], -v[43:44]
	v_div_scale_f64 v[49:50], vcc, v[39:40], v[37:38], v[39:40]
	v_fma_f64 v[51:52], -v[67:68], v[41:42], 1.0
	v_add_f64 v[7:8], v[7:8], v[43:44]
	v_fma_f64 v[41:42], v[41:42], v[51:52], v[41:42]
	v_add_f64 v[7:8], v[69:70], v[7:8]
	v_mul_f64 v[43:44], v[49:50], v[41:42]
	v_mul_f64 v[7:8], v[45:46], v[7:8]
	v_fma_f64 v[45:46], -v[67:68], v[43:44], v[49:50]
	v_add_f64 v[49:50], v[47:48], v[7:8]
	v_div_fmas_f64 v[41:42], v[45:46], v[41:42], v[43:44]
	s_mov_b32 vcc_lo, 0x69efb384
	s_mov_b32 vcc_hi, 0x3f4b2bb0
	v_mul_f64 v[43:44], v[49:50], v[49:50]
	v_add_f64 v[47:48], v[49:50], -v[47:48]
	v_fma_f64 v[45:46], v[43:44], s[30:31], v[25:26]
	v_mul_f64 v[51:52], v[49:50], v[43:44]
	v_add_f64 v[7:8], v[7:8], -v[47:48]
	v_div_fixup_f64 v[37:38], v[41:42], v[37:38], v[39:40]
	v_fma_f64 v[39:40], v[43:44], v[45:46], s[34:35]
	v_ldexp_f64 v[7:8], v[7:8], 1
	v_mul_f64 v[41:42], v[37:38], v[37:38]
	v_fma_f64 v[39:40], v[43:44], v[39:40], s[36:37]
	v_fma_f64 v[45:46], v[41:42], s[80:81], v[31:32]
	;; [unrolled: 1-line block ×3, first 2 shown]
	v_fma_f64 v[45:46], v[41:42], v[45:46], vcc
	s_mov_b32 vcc_lo, 0xaf56de9b
	s_mov_b32 vcc_hi, 0xbf67952d
	v_fma_f64 v[39:40], v[43:44], v[39:40], s[40:41]
	v_fma_f64 v[45:46], v[41:42], v[45:46], vcc
	s_mov_b32 vcc_lo, 0xa595c56f
	s_mov_b32 vcc_hi, 0x3f7d6d43
	v_fma_f64 v[39:40], v[43:44], v[39:40], s[28:29]
	v_fma_f64 v[43:44], v[41:42], v[45:46], vcc
	v_ldexp_f64 v[45:46], v[49:50], 1
	s_mov_b32 vcc_lo, 0xa57d9582
	s_mov_b32 vcc_hi, 0xbf8c6ea4
	v_mul_f64 v[39:40], v[51:52], v[39:40]
	v_frexp_exp_i32_f64_e32 v51, v[5:6]
	v_fma_f64 v[43:44], v[41:42], v[43:44], vcc
	v_add_f64 v[49:50], v[45:46], v[39:40]
	v_subbrev_co_u32_e64 v51, vcc, 0, v51, s[10:11]
	v_cvt_f64_i32_e32 v[51:52], v51
	s_mov_b32 s10, 0x5f08b19f
	s_mov_b32 s11, 0x3f967e29
	v_fma_f64 v[43:44], v[41:42], v[43:44], s[10:11]
	v_mul_f64 v[67:68], v[51:52], s[42:43]
	v_add_f64 v[45:46], v[49:50], -v[45:46]
	s_mov_b32 s10, 0xfc27006a
	s_mov_b32 s11, 0xbf9e9ae6
	v_cmp_class_f64_e64 vcc, v[5:6], s86
	v_fma_f64 v[43:44], v[41:42], v[43:44], s[10:11]
	v_fma_f64 v[47:48], v[51:52], s[42:43], -v[67:68]
	v_add_f64 v[39:40], v[39:40], -v[45:46]
	s_mov_b32 s10, 0x5711927a
	s_mov_b32 s11, 0x3fa2c15b
	v_fma_f64 v[43:44], v[41:42], v[43:44], s[10:11]
	v_fma_f64 v[45:46], v[51:52], s[44:45], v[47:48]
	v_add_f64 v[7:8], v[7:8], v[39:40]
	s_andn2_b64 s[10:11], s[58:59], exec
	s_and_b64 s[58:59], s[76:77], s[78:79]
	s_and_b64 s[58:59], s[58:59], exec
	s_or_b64 s[58:59], s[10:11], s[58:59]
	v_fma_f64 v[39:40], v[41:42], v[43:44], s[82:83]
	v_add_f64 v[43:44], v[67:68], v[45:46]
	v_add_f64 v[47:48], v[49:50], v[7:8]
	v_fma_f64 v[39:40], v[41:42], v[39:40], s[84:85]
	v_add_f64 v[67:68], v[43:44], -v[67:68]
	v_add_f64 v[51:52], v[43:44], v[47:48]
	v_add_f64 v[49:50], v[47:48], -v[49:50]
	v_fma_f64 v[39:40], v[41:42], v[39:40], s[92:93]
	v_add_f64 v[45:46], v[45:46], -v[67:68]
	v_add_f64 v[69:70], v[51:52], -v[43:44]
	;; [unrolled: 1-line block ×3, first 2 shown]
	v_fma_f64 v[39:40], v[41:42], v[39:40], s[94:95]
	v_add_f64 v[71:72], v[51:52], -v[69:70]
	v_add_f64 v[47:48], v[47:48], -v[69:70]
	v_add_f64 v[49:50], v[45:46], v[7:8]
	v_fma_f64 v[39:40], v[41:42], v[39:40], s[96:97]
	v_add_f64 v[43:44], v[43:44], -v[71:72]
	v_fma_f64 v[39:40], v[41:42], v[39:40], s[98:99]
	v_add_f64 v[43:44], v[47:48], v[43:44]
	v_add_f64 v[47:48], v[49:50], -v[45:46]
	v_fma_f64 v[39:40], v[41:42], v[39:40], s[46:47]
	v_add_f64 v[43:44], v[49:50], v[43:44]
	v_add_f64 v[49:50], v[49:50], -v[47:48]
	v_add_f64 v[7:8], v[7:8], -v[47:48]
	v_fma_f64 v[39:40], v[41:42], v[39:40], s[48:49]
	v_add_f64 v[67:68], v[51:52], v[43:44]
	v_add_f64 v[45:46], v[45:46], -v[49:50]
	v_fma_f64 v[39:40], v[41:42], v[39:40], s[50:51]
	v_add_f64 v[47:48], v[67:68], -v[51:52]
	v_add_f64 v[7:8], v[7:8], v[45:46]
	v_fma_f64 v[39:40], v[41:42], v[39:40], s[52:53]
	v_add_f64 v[43:44], v[43:44], -v[47:48]
	v_fma_f64 v[39:40], v[41:42], v[39:40], s[54:55]
	v_add_f64 v[7:8], v[7:8], v[43:44]
	v_mul_f64 v[39:40], v[41:42], v[39:40]
	v_add_f64 v[41:42], v[67:68], v[7:8]
	v_fma_f64 v[7:8], v[37:38], v[39:40], v[37:38]
	v_cndmask_b32_e32 v37, v41, v5, vcc
	v_cndmask_b32_e32 v38, v42, v6, vcc
	v_cmp_ngt_f64_e32 vcc, 0, v[5:6]
	v_cndmask_b32_e32 v38, v61, v38, vcc
	v_cmp_nge_f64_e32 vcc, 0, v[5:6]
	v_cndmask_b32_e32 v43, 0, v37, vcc
	v_cmp_neq_f64_e32 vcc, 0, v[5:6]
	v_cndmask_b32_e32 v44, v60, v38, vcc
.LBB42_88:                              ;   in Loop: Header=BB42_5 Depth=1
	s_or_b64 exec, exec, s[74:75]
                                        ; implicit-def: $vgpr41_vgpr42
                                        ; implicit-def: $vgpr39_vgpr40
                                        ; implicit-def: $vgpr37_vgpr38
.LBB42_89:                              ;   in Loop: Header=BB42_5 Depth=1
	s_andn2_saveexec_b64 s[72:73], s[72:73]
	s_cbranch_execz .LBB42_91
; %bb.90:                               ;   in Loop: Header=BB42_5 Depth=1
	v_div_scale_f64 v[5:6], s[10:11], s[60:61], s[60:61], v[13:14]
	v_div_scale_f64 v[7:8], s[10:11], s[60:61], s[60:61], v[15:16]
	;; [unrolled: 1-line block ×3, first 2 shown]
	v_min_f64 v[39:40], v[41:42], v[39:40]
	s_mov_b32 s29, s69
	s_andn2_b64 s[58:59], s[58:59], exec
	v_rcp_f64_e32 v[43:44], v[5:6]
	v_rcp_f64_e32 v[45:46], v[7:8]
	v_fma_f64 v[47:48], -v[5:6], v[43:44], 1.0
	v_fma_f64 v[49:50], -v[7:8], v[45:46], 1.0
	v_fma_f64 v[43:44], v[43:44], v[47:48], v[43:44]
	v_div_scale_f64 v[47:48], vcc, v[13:14], s[60:61], v[13:14]
	v_fma_f64 v[45:46], v[45:46], v[49:50], v[45:46]
	v_fma_f64 v[49:50], -v[5:6], v[43:44], 1.0
	v_fma_f64 v[67:68], -v[7:8], v[45:46], 1.0
	v_fma_f64 v[43:44], v[43:44], v[49:50], v[43:44]
	v_fma_f64 v[45:46], v[45:46], v[67:68], v[45:46]
	v_mul_f64 v[49:50], v[47:48], v[43:44]
	v_mul_f64 v[67:68], v[51:52], v[45:46]
	v_fma_f64 v[5:6], -v[5:6], v[49:50], v[47:48]
	v_fma_f64 v[7:8], -v[7:8], v[67:68], v[51:52]
	v_div_fmas_f64 v[5:6], v[5:6], v[43:44], v[49:50]
	s_mov_b64 vcc, s[10:11]
	v_div_fmas_f64 v[7:8], v[7:8], v[45:46], v[67:68]
	v_div_fixup_f64 v[5:6], v[5:6], s[60:61], v[13:14]
	v_div_fixup_f64 v[7:8], v[7:8], s[60:61], v[15:16]
	v_cmp_class_f64_e64 s[10:11], v[5:6], s86
	v_max_f64 v[43:44], |v[5:6]|, |v[7:8]|
	v_cmp_class_f64_e64 s[74:75], v[7:8], s86
	v_frexp_exp_i32_f64_e32 v51, v[43:44]
	v_sub_u32_e32 v45, 0, v51
	v_ldexp_f64 v[43:44], |v[7:8]|, v45
	v_ldexp_f64 v[45:46], |v[5:6]|, v45
	v_mul_f64 v[43:44], v[43:44], v[43:44]
	v_fma_f64 v[43:44], v[45:46], v[45:46], v[43:44]
	v_rsq_f64_e32 v[45:46], v[43:44]
	v_cmp_eq_f64_e32 vcc, 0, v[43:44]
	v_mul_f64 v[47:48], v[43:44], v[45:46]
	v_mul_f64 v[45:46], v[45:46], 0.5
	v_fma_f64 v[49:50], -v[45:46], v[47:48], 0.5
	v_fma_f64 v[47:48], v[47:48], v[49:50], v[47:48]
	v_fma_f64 v[45:46], v[45:46], v[49:50], v[45:46]
	v_fma_f64 v[49:50], -v[47:48], v[47:48], v[43:44]
	v_fma_f64 v[45:46], v[49:50], v[45:46], v[47:48]
	v_cndmask_b32_e32 v6, v46, v44, vcc
	v_cndmask_b32_e32 v5, v45, v43, vcc
	v_ldexp_f64 v[5:6], v[5:6], v51
	s_or_b64 vcc, s[10:11], s[74:75]
	v_cndmask_b32_e32 v6, v6, v56, vcc
	v_cndmask_b32_e64 v5, v5, 0, vcc
	v_frexp_mant_f64_e32 v[7:8], v[5:6]
	v_cmp_gt_f64_e64 s[10:11], s[68:69], v[7:8]
	v_cndmask_b32_e64 v43, 0, 1, s[10:11]
	v_ldexp_f64 v[7:8], v[7:8], v43
	v_add_f64 v[43:44], v[7:8], 1.0
	v_add_f64 v[49:50], v[7:8], -1.0
	v_rcp_f64_e32 v[45:46], v[43:44]
	v_add_f64 v[51:52], v[43:44], -1.0
	v_add_f64 v[7:8], v[7:8], -v[51:52]
	v_fma_f64 v[47:48], -v[43:44], v[45:46], 1.0
	v_fma_f64 v[45:46], v[47:48], v[45:46], v[45:46]
	v_fma_f64 v[47:48], -v[43:44], v[45:46], 1.0
	v_fma_f64 v[45:46], v[47:48], v[45:46], v[45:46]
	v_mul_f64 v[47:48], v[49:50], v[45:46]
	v_mul_f64 v[67:68], v[43:44], v[47:48]
	v_fma_f64 v[41:42], v[47:48], v[43:44], -v[67:68]
	v_div_scale_f64 v[43:44], s[74:75], v[37:38], v[37:38], v[39:40]
	s_mov_b32 s74, 0x69efb384
	s_mov_b32 s75, 0x3f4b2bb0
	v_fma_f64 v[7:8], v[47:48], v[7:8], v[41:42]
	v_add_f64 v[41:42], v[67:68], v[7:8]
	v_rcp_f64_e32 v[51:52], v[43:44]
	v_add_f64 v[69:70], v[49:50], -v[41:42]
	v_add_f64 v[67:68], v[41:42], -v[67:68]
	;; [unrolled: 1-line block ×3, first 2 shown]
	v_fma_f64 v[71:72], -v[43:44], v[51:52], 1.0
	v_add_f64 v[7:8], v[67:68], -v[7:8]
	v_frexp_exp_i32_f64_e32 v67, v[5:6]
	v_add_f64 v[41:42], v[49:50], -v[41:42]
	v_fma_f64 v[49:50], v[51:52], v[71:72], v[51:52]
	v_add_f64 v[7:8], v[7:8], v[41:42]
	v_div_scale_f64 v[41:42], vcc, v[39:40], v[37:38], v[39:40]
	v_fma_f64 v[51:52], -v[43:44], v[49:50], 1.0
	v_add_f64 v[7:8], v[69:70], v[7:8]
	v_fma_f64 v[49:50], v[49:50], v[51:52], v[49:50]
	v_mul_f64 v[7:8], v[45:46], v[7:8]
	v_mul_f64 v[45:46], v[41:42], v[49:50]
	v_add_f64 v[51:52], v[47:48], v[7:8]
	v_fma_f64 v[41:42], -v[43:44], v[45:46], v[41:42]
	v_mul_f64 v[43:44], v[51:52], v[51:52]
	v_add_f64 v[47:48], v[51:52], -v[47:48]
	v_div_fmas_f64 v[41:42], v[41:42], v[49:50], v[45:46]
	v_fma_f64 v[45:46], v[43:44], s[30:31], v[25:26]
	v_mul_f64 v[49:50], v[51:52], v[43:44]
	v_add_f64 v[7:8], v[7:8], -v[47:48]
	v_fma_f64 v[45:46], v[43:44], v[45:46], s[34:35]
	v_ldexp_f64 v[7:8], v[7:8], 1
	v_div_fixup_f64 v[37:38], v[41:42], v[37:38], v[39:40]
	v_fma_f64 v[39:40], v[43:44], v[45:46], s[36:37]
	v_mul_f64 v[41:42], v[37:38], v[37:38]
	v_fma_f64 v[39:40], v[43:44], v[39:40], s[38:39]
	v_fma_f64 v[45:46], v[41:42], s[80:81], v[31:32]
	;; [unrolled: 1-line block ×4, first 2 shown]
	s_mov_b32 s74, 0xaf56de9b
	s_mov_b32 s75, 0xbf67952d
	v_fma_f64 v[39:40], v[43:44], v[39:40], s[28:29]
	v_fma_f64 v[43:44], v[41:42], v[45:46], s[74:75]
	v_ldexp_f64 v[45:46], v[51:52], 1
	s_mov_b32 s74, 0xa595c56f
	s_mov_b32 s75, 0x3f7d6d43
	v_subbrev_co_u32_e64 v51, vcc, 0, v67, s[10:11]
	v_mul_f64 v[39:40], v[49:50], v[39:40]
	v_cvt_f64_i32_e32 v[51:52], v51
	v_fma_f64 v[43:44], v[41:42], v[43:44], s[74:75]
	s_mov_b32 s10, 0xa57d9582
	s_mov_b32 s11, 0xbf8c6ea4
	v_mul_f64 v[67:68], v[51:52], s[42:43]
	v_cmp_class_f64_e64 vcc, v[5:6], s86
	v_cmp_class_f64_e64 s[74:75], v[13:14], s86
	v_add_f64 v[49:50], v[45:46], v[39:40]
	v_fma_f64 v[43:44], v[41:42], v[43:44], s[10:11]
	s_mov_b32 s10, 0x5f08b19f
	s_mov_b32 s11, 0x3f967e29
	v_fma_f64 v[47:48], v[51:52], s[42:43], -v[67:68]
	v_add_f64 v[45:46], v[49:50], -v[45:46]
	v_fma_f64 v[43:44], v[41:42], v[43:44], s[10:11]
	s_mov_b32 s10, 0xfc27006a
	s_mov_b32 s11, 0xbf9e9ae6
	v_add_f64 v[39:40], v[39:40], -v[45:46]
	v_fma_f64 v[45:46], v[51:52], s[44:45], v[47:48]
	v_fma_f64 v[43:44], v[41:42], v[43:44], s[10:11]
	s_mov_b32 s10, 0x5711927a
	s_mov_b32 s11, 0x3fa2c15b
	v_add_f64 v[7:8], v[7:8], v[39:40]
	v_fma_f64 v[39:40], v[41:42], v[43:44], s[10:11]
	v_add_f64 v[43:44], v[67:68], v[45:46]
	v_cmp_class_f64_e64 s[10:11], v[15:16], s86
	v_add_f64 v[47:48], v[49:50], v[7:8]
	v_fma_f64 v[39:40], v[41:42], v[39:40], s[82:83]
	v_add_f64 v[67:68], v[43:44], -v[67:68]
	s_and_b64 s[10:11], s[74:75], s[10:11]
	s_and_b64 s[10:11], s[10:11], exec
	s_or_b64 s[58:59], s[58:59], s[10:11]
	v_add_f64 v[51:52], v[43:44], v[47:48]
	v_add_f64 v[49:50], v[47:48], -v[49:50]
	v_fma_f64 v[39:40], v[41:42], v[39:40], s[84:85]
	v_add_f64 v[45:46], v[45:46], -v[67:68]
	v_add_f64 v[69:70], v[51:52], -v[43:44]
	;; [unrolled: 1-line block ×3, first 2 shown]
	v_fma_f64 v[39:40], v[41:42], v[39:40], s[92:93]
	v_add_f64 v[71:72], v[51:52], -v[69:70]
	v_add_f64 v[47:48], v[47:48], -v[69:70]
	v_fma_f64 v[39:40], v[41:42], v[39:40], s[94:95]
	v_add_f64 v[49:50], v[45:46], v[7:8]
	v_add_f64 v[43:44], v[43:44], -v[71:72]
	v_fma_f64 v[39:40], v[41:42], v[39:40], s[96:97]
	v_add_f64 v[43:44], v[47:48], v[43:44]
	;; [unrolled: 3-line block ×3, first 2 shown]
	v_add_f64 v[49:50], v[49:50], -v[47:48]
	v_fma_f64 v[39:40], v[41:42], v[39:40], s[46:47]
	v_add_f64 v[7:8], v[7:8], -v[47:48]
	v_add_f64 v[67:68], v[51:52], v[43:44]
	v_add_f64 v[45:46], v[45:46], -v[49:50]
	v_fma_f64 v[39:40], v[41:42], v[39:40], s[48:49]
	v_add_f64 v[47:48], v[67:68], -v[51:52]
	v_add_f64 v[7:8], v[7:8], v[45:46]
	v_fma_f64 v[39:40], v[41:42], v[39:40], s[50:51]
	v_add_f64 v[43:44], v[43:44], -v[47:48]
	v_fma_f64 v[39:40], v[41:42], v[39:40], s[52:53]
	v_add_f64 v[7:8], v[7:8], v[43:44]
	v_fma_f64 v[39:40], v[41:42], v[39:40], s[54:55]
	v_add_f64 v[7:8], v[67:68], v[7:8]
	v_mul_f64 v[39:40], v[41:42], v[39:40]
	v_cndmask_b32_e32 v8, v8, v6, vcc
	v_cndmask_b32_e32 v7, v7, v5, vcc
	v_add_f64 v[41:42], v[7:8], 1.0
	v_cmp_ngt_f64_e32 vcc, 0, v[5:6]
	v_fma_f64 v[7:8], v[37:38], v[39:40], v[37:38]
	v_cndmask_b32_e32 v13, v61, v42, vcc
	v_cmp_nge_f64_e32 vcc, 0, v[5:6]
	v_cndmask_b32_e32 v43, 0, v41, vcc
	v_cmp_neq_f64_e32 vcc, 0, v[5:6]
	v_cndmask_b32_e32 v44, v60, v13, vcc
.LBB42_91:                              ;   in Loop: Header=BB42_5 Depth=1
	s_or_b64 exec, exec, s[72:73]
	v_add_f64 v[5:6], -v[7:8], s[70:71]
	s_mov_b32 s56, s70
	v_ashrrev_i32_e32 v13, 31, v14
	v_cmp_gt_i32_e32 vcc, 0, v14
	v_and_b32_e32 v39, 0x54442d18, v13
	v_and_b32_e32 v13, 0x400921fb, v13
	v_cndmask_b32_e32 v14, v63, v64, vcc
	v_cndmask_b32_e64 v6, v8, v6, s[8:9]
	v_cndmask_b32_e64 v5, v7, v5, s[8:9]
	v_add_f64 v[37:38], -v[5:6], s[56:57]
	v_cmp_eq_f64_e64 s[8:9], 0, v[15:16]
	v_add_f64 v[7:8], v[43:44], s[42:43]
	v_cndmask_b32_e32 v15, v65, v66, vcc
	v_bfi_b32 v15, s91, v15, v16
	v_cndmask_b32_e32 v6, v6, v38, vcc
	v_cndmask_b32_e32 v5, v5, v37, vcc
	v_cndmask_b32_e64 v6, v6, v13, s[8:9]
	v_xor_b32_e32 v16, 0x80000000, v8
	v_cndmask_b32_e64 v5, v5, v39, s[8:9]
	v_cndmask_b32_e64 v6, v6, v15, s[58:59]
	;; [unrolled: 1-line block ×3, first 2 shown]
	v_and_b32_e32 v6, 0x7fffffff, v6
	v_cndmask_b32_e64 v8, v16, v8, s[6:7]
.LBB42_92:                              ;   in Loop: Header=BB42_5 Depth=1
	s_or_b64 exec, exec, s[26:27]
                                        ; implicit-def: $vgpr15_vgpr16
.LBB42_93:                              ;   in Loop: Header=BB42_5 Depth=1
	s_andn2_saveexec_b64 s[6:7], s[16:17]
	s_cbranch_execz .LBB42_107
; %bb.94:                               ;   in Loop: Header=BB42_5 Depth=1
	v_cmp_neq_f64_e64 s[8:9], |v[13:14]|, s[66:67]
                                        ; implicit-def: $vgpr7_vgpr8
	s_and_saveexec_b64 s[10:11], s[8:9]
	s_xor_b64 s[8:9], exec, s[10:11]
	s_cbranch_execz .LBB42_104
; %bb.95:                               ;   in Loop: Header=BB42_5 Depth=1
	v_cmp_neq_f64_e64 s[10:11], |v[15:16]|, s[66:67]
	s_waitcnt lgkmcnt(0)
	v_xor_b32_e32 v8, 0x80000000, v16
	v_mov_b32_e32 v7, v15
	s_and_saveexec_b64 s[16:17], s[10:11]
	s_xor_b64 s[10:11], exec, s[16:17]
	s_cbranch_execz .LBB42_101
; %bb.96:                               ;   in Loop: Header=BB42_5 Depth=1
	v_cmp_neq_f64_e32 vcc, 0, v[13:14]
                                        ; implicit-def: $vgpr7_vgpr8
	s_and_saveexec_b64 s[16:17], vcc
	s_xor_b64 s[16:17], exec, s[16:17]
	s_cbranch_execz .LBB42_98
; %bb.97:                               ;   in Loop: Header=BB42_5 Depth=1
	v_add_f64 v[5:6], v[15:16], 0
                                        ; implicit-def: $vgpr15_vgpr16
	v_add_f64 v[7:8], v[13:14], v[5:6]
.LBB42_98:                              ;   in Loop: Header=BB42_5 Depth=1
	s_or_saveexec_b64 s[16:17], s[16:17]
	v_mov_b32_e32 v5, v7
	v_mov_b32_e32 v6, v8
	s_xor_b64 exec, exec, s[16:17]
	s_cbranch_execz .LBB42_100
; %bb.99:                               ;   in Loop: Header=BB42_5 Depth=1
	v_mov_b32_e32 v5, s18
	v_mov_b32_e32 v6, s19
	flat_load_dwordx2 v[5:6], v[5:6] glc
	s_waitcnt vmcnt(0)
	v_add_f64 v[7:8], v[15:16], v[15:16]
	s_waitcnt lgkmcnt(0)
	v_add_f64 v[5:6], v[5:6], s[70:71]
.LBB42_100:                             ;   in Loop: Header=BB42_5 Depth=1
	s_or_b64 exec, exec, s[16:17]
                                        ; implicit-def: $vgpr13_vgpr14
.LBB42_101:                             ;   in Loop: Header=BB42_5 Depth=1
	s_andn2_saveexec_b64 s[10:11], s[10:11]
; %bb.102:                              ;   in Loop: Header=BB42_5 Depth=1
	v_add_f64 v[5:6], v[13:14], v[13:14]
; %bb.103:                              ;   in Loop: Header=BB42_5 Depth=1
	s_or_b64 exec, exec, s[10:11]
                                        ; implicit-def: $vgpr15_vgpr16
.LBB42_104:                             ;   in Loop: Header=BB42_5 Depth=1
	s_andn2_saveexec_b64 s[8:9], s[8:9]
	s_cbranch_execz .LBB42_106
; %bb.105:                              ;   in Loop: Header=BB42_5 Depth=1
	s_waitcnt lgkmcnt(0)
	v_add_f64 v[5:6], v[15:16], v[15:16]
	v_mov_b32_e32 v7, 0
	v_mov_b32_e32 v8, 0xfff00000
.LBB42_106:                             ;   in Loop: Header=BB42_5 Depth=1
	s_or_b64 exec, exec, s[8:9]
.LBB42_107:                             ;   in Loop: Header=BB42_5 Depth=1
	s_or_b64 exec, exec, s[6:7]
	v_cmp_o_f64_e32 vcc, v[17:18], v[19:20]
	v_mov_b32_e32 v13, s18
	v_mov_b32_e32 v14, s19
	flat_store_dwordx2 v[13:14], v[21:22]
	s_waitcnt vmcnt(0)
                                        ; implicit-def: $vgpr15_vgpr16
	s_and_saveexec_b64 s[6:7], vcc
	s_xor_b64 s[16:17], exec, s[6:7]
	s_cbranch_execz .LBB42_195
; %bb.108:                              ;   in Loop: Header=BB42_5 Depth=1
	v_max_f64 v[39:40], |v[19:20]|, |v[19:20]|
	v_max_f64 v[41:42], |v[17:18]|, |v[17:18]|
	v_cmp_gt_i64_e64 s[6:7], 0, v[19:20]
                                        ; implicit-def: $vgpr15_vgpr16
	v_max_f64 v[37:38], v[41:42], v[39:40]
	v_cmp_nlt_f64_e32 vcc, s[64:65], v[37:38]
	s_and_saveexec_b64 s[8:9], vcc
	s_xor_b64 s[26:27], exec, s[8:9]
	s_cbranch_execz .LBB42_184
; %bb.109:                              ;   in Loop: Header=BB42_5 Depth=1
	v_cmp_neq_f64_e32 vcc, 1.0, v[17:18]
	v_cmp_neq_f64_e64 s[8:9], 0, v[19:20]
	v_xor_b32_e32 v16, 0x80000000, v20
	v_mov_b32_e32 v15, v19
	s_or_b64 s[8:9], vcc, s[8:9]
	s_and_saveexec_b64 s[10:11], s[8:9]
	s_xor_b64 s[58:59], exec, s[10:11]
	s_cbranch_execz .LBB42_181
; %bb.110:                              ;   in Loop: Header=BB42_5 Depth=1
	v_mov_b32_e32 v13, s22
	v_mov_b32_e32 v14, s23
	flat_store_dword v[13:14], v54
	s_waitcnt vmcnt(0)
	flat_load_dword v13, v[13:14] glc
	s_waitcnt vmcnt(0)
	s_mov_b32 s10, 0x1409212f
	s_mov_b32 s11, 0x3e43988e
	v_cmp_nlt_f64_e64 s[8:9], |v[17:18]|, s[10:11]
	v_cmp_nlt_f64_e64 s[10:11], |v[19:20]|, s[10:11]
	s_or_b64 s[8:9], s[8:9], s[10:11]
	s_waitcnt lgkmcnt(0)
	v_add_f32_e32 v15, 1.0, v13
	v_mov_b32_e32 v13, s24
	v_mov_b32_e32 v14, s25
	flat_store_dword v[13:14], v15
	s_waitcnt vmcnt(0)
	flat_load_dword v13, v[13:14] glc
	s_waitcnt vmcnt(0)
	v_mov_b32_e32 v15, v19
	s_and_saveexec_b64 s[10:11], s[8:9]
	s_xor_b64 s[72:73], exec, s[10:11]
	s_cbranch_execz .LBB42_178
; %bb.111:                              ;   in Loop: Header=BB42_5 Depth=1
	v_add_f64 v[37:38], |v[17:18]|, 1.0
	s_waitcnt lgkmcnt(0)
	v_add_f64 v[13:14], |v[17:18]|, -1.0
	v_max_f64 v[15:16], v[39:40], v[37:38]
	v_max_f64 v[39:40], v[39:40], |v[13:14]|
	v_frexp_exp_i32_f64_e32 v67, v[15:16]
	v_frexp_exp_i32_f64_e32 v68, v[39:40]
	v_sub_u32_e32 v41, 0, v67
	v_sub_u32_e32 v43, 0, v68
	v_ldexp_f64 v[15:16], v[37:38], v41
	v_ldexp_f64 v[39:40], |v[13:14]|, v43
	v_ldexp_f64 v[41:42], |v[19:20]|, v41
	v_ldexp_f64 v[43:44], |v[19:20]|, v43
	v_mul_f64 v[15:16], v[15:16], v[15:16]
	v_mul_f64 v[39:40], v[39:40], v[39:40]
	v_fma_f64 v[15:16], v[41:42], v[41:42], v[15:16]
	v_fma_f64 v[39:40], v[43:44], v[43:44], v[39:40]
	v_rsq_f64_e32 v[41:42], v[15:16]
	v_rsq_f64_e32 v[43:44], v[39:40]
	v_cmp_eq_f64_e32 vcc, 0, v[15:16]
	v_cmp_eq_f64_e64 s[8:9], 0, v[39:40]
	v_mul_f64 v[45:46], v[15:16], v[41:42]
	v_mul_f64 v[41:42], v[41:42], 0.5
	v_mul_f64 v[47:48], v[39:40], v[43:44]
	v_mul_f64 v[43:44], v[43:44], 0.5
	v_fma_f64 v[49:50], -v[41:42], v[45:46], 0.5
	v_fma_f64 v[51:52], -v[43:44], v[47:48], 0.5
	v_fma_f64 v[45:46], v[45:46], v[49:50], v[45:46]
	v_fma_f64 v[41:42], v[41:42], v[49:50], v[41:42]
	;; [unrolled: 1-line block ×4, first 2 shown]
	v_fma_f64 v[49:50], -v[45:46], v[45:46], v[15:16]
	v_fma_f64 v[51:52], -v[47:48], v[47:48], v[39:40]
	v_fma_f64 v[41:42], v[49:50], v[41:42], v[45:46]
	v_fma_f64 v[43:44], v[51:52], v[43:44], v[47:48]
	v_cndmask_b32_e32 v16, v42, v16, vcc
	v_cndmask_b32_e32 v15, v41, v15, vcc
	v_cndmask_b32_e64 v40, v44, v40, s[8:9]
	v_cndmask_b32_e64 v39, v43, v39, s[8:9]
	v_ldexp_f64 v[15:16], v[15:16], v67
	v_cmp_neq_f64_e32 vcc, s[66:67], v[37:38]
	v_ldexp_f64 v[39:40], v[39:40], v68
	v_cmp_neq_f64_e64 s[8:9], |v[13:14]|, s[66:67]
	v_cndmask_b32_e32 v44, v56, v16, vcc
	v_cndmask_b32_e32 v43, 0, v15, vcc
	v_cndmask_b32_e64 v42, v56, v40, s[8:9]
	v_cndmask_b32_e64 v41, 0, v39, s[8:9]
	v_add_f64 v[15:16], v[43:44], v[41:42]
	s_mov_b32 s8, 0
	s_mov_b32 s9, 0x40240000
	v_mul_f64 v[15:16], v[15:16], 0.5
	v_cmp_ngt_f64_e32 vcc, 1.0, v[15:16]
	v_cndmask_b32_e32 v40, v57, v16, vcc
	v_cndmask_b32_e32 v39, 0, v15, vcc
	v_cmp_ngt_f64_e32 vcc, s[8:9], v[39:40]
                                        ; implicit-def: $vgpr15_vgpr16
	s_and_saveexec_b64 s[8:9], vcc
	s_xor_b64 s[8:9], exec, s[8:9]
	s_cbranch_execz .LBB42_113
; %bb.112:                              ;   in Loop: Header=BB42_5 Depth=1
	v_fma_f64 v[15:16], v[39:40], v[39:40], -1.0
	s_mov_b32 s10, 0
	s_brev_b32 s11, 8
	s_mov_b32 s29, s69
	v_cmp_gt_f64_e32 vcc, s[10:11], v[15:16]
	v_cndmask_b32_e32 v45, 0, v58, vcc
	v_ldexp_f64 v[15:16], v[15:16], v45
	v_rsq_f64_e32 v[45:46], v[15:16]
	v_mul_f64 v[47:48], v[15:16], v[45:46]
	v_mul_f64 v[45:46], v[45:46], 0.5
	v_fma_f64 v[49:50], -v[45:46], v[47:48], 0.5
	v_fma_f64 v[47:48], v[47:48], v[49:50], v[47:48]
	v_fma_f64 v[45:46], v[45:46], v[49:50], v[45:46]
	v_fma_f64 v[49:50], -v[47:48], v[47:48], v[15:16]
	v_fma_f64 v[47:48], v[49:50], v[45:46], v[47:48]
	v_fma_f64 v[49:50], -v[47:48], v[47:48], v[15:16]
	v_fma_f64 v[45:46], v[49:50], v[45:46], v[47:48]
	v_cndmask_b32_e32 v47, 0, v59, vcc
	v_cmp_class_f64_e32 vcc, v[15:16], v55
	v_ldexp_f64 v[45:46], v[45:46], v47
	v_cndmask_b32_e32 v16, v46, v16, vcc
	v_cndmask_b32_e32 v15, v45, v15, vcc
	v_add_f64 v[15:16], v[39:40], v[15:16]
	v_frexp_mant_f64_e32 v[45:46], v[15:16]
	v_cmp_gt_f64_e32 vcc, s[68:69], v[45:46]
	v_cndmask_b32_e64 v47, 0, 1, vcc
	v_ldexp_f64 v[45:46], v[45:46], v47
	v_add_f64 v[47:48], v[45:46], 1.0
	v_add_f64 v[67:68], v[45:46], -1.0
	v_rcp_f64_e32 v[49:50], v[47:48]
	v_add_f64 v[69:70], v[47:48], -1.0
	v_add_f64 v[45:46], v[45:46], -v[69:70]
	v_fma_f64 v[51:52], -v[47:48], v[49:50], 1.0
	v_fma_f64 v[49:50], v[51:52], v[49:50], v[49:50]
	v_fma_f64 v[51:52], -v[47:48], v[49:50], 1.0
	v_fma_f64 v[49:50], v[51:52], v[49:50], v[49:50]
	v_mul_f64 v[51:52], v[67:68], v[49:50]
	v_mul_f64 v[71:72], v[47:48], v[51:52]
	v_fma_f64 v[47:48], v[51:52], v[47:48], -v[71:72]
	v_fma_f64 v[45:46], v[51:52], v[45:46], v[47:48]
	v_add_f64 v[47:48], v[71:72], v[45:46]
	v_add_f64 v[69:70], v[67:68], -v[47:48]
	v_add_f64 v[71:72], v[47:48], -v[71:72]
	;; [unrolled: 1-line block ×5, first 2 shown]
	v_add_f64 v[45:46], v[45:46], v[47:48]
	v_add_f64 v[45:46], v[69:70], v[45:46]
	v_mul_f64 v[45:46], v[49:50], v[45:46]
	v_add_f64 v[47:48], v[51:52], v[45:46]
	v_mul_f64 v[49:50], v[47:48], v[47:48]
	v_fma_f64 v[67:68], v[49:50], s[30:31], v[25:26]
	v_mul_f64 v[69:70], v[47:48], v[49:50]
	v_fma_f64 v[67:68], v[49:50], v[67:68], s[34:35]
	v_fma_f64 v[67:68], v[49:50], v[67:68], s[36:37]
	;; [unrolled: 1-line block ×5, first 2 shown]
	v_ldexp_f64 v[67:68], v[47:48], 1
	v_add_f64 v[47:48], v[47:48], -v[51:52]
	v_mul_f64 v[49:50], v[69:70], v[49:50]
	v_frexp_exp_i32_f64_e32 v69, v[15:16]
	v_add_f64 v[45:46], v[45:46], -v[47:48]
	v_add_f64 v[51:52], v[67:68], v[49:50]
	v_subbrev_co_u32_e32 v69, vcc, 0, v69, vcc
	v_cvt_f64_i32_e32 v[69:70], v69
	v_ldexp_f64 v[45:46], v[45:46], 1
	v_cmp_class_f64_e64 vcc, v[15:16], s86
	v_mul_f64 v[71:72], v[69:70], s[42:43]
	v_add_f64 v[47:48], v[51:52], -v[67:68]
	v_fma_f64 v[67:68], v[69:70], s[42:43], -v[71:72]
	v_add_f64 v[47:48], v[49:50], -v[47:48]
	v_fma_f64 v[49:50], v[69:70], s[44:45], v[67:68]
	v_add_f64 v[45:46], v[45:46], v[47:48]
	v_add_f64 v[47:48], v[71:72], v[49:50]
	;; [unrolled: 1-line block ×3, first 2 shown]
	v_add_f64 v[71:72], v[47:48], -v[71:72]
	v_add_f64 v[69:70], v[47:48], v[67:68]
	v_add_f64 v[51:52], v[67:68], -v[51:52]
	v_add_f64 v[49:50], v[49:50], -v[71:72]
	;; [unrolled: 1-line block ×6, first 2 shown]
	v_add_f64 v[67:68], v[49:50], v[45:46]
	v_add_f64 v[47:48], v[47:48], -v[75:76]
	v_add_f64 v[47:48], v[51:52], v[47:48]
	v_add_f64 v[51:52], v[67:68], -v[49:50]
	;; [unrolled: 2-line block ×3, first 2 shown]
	v_add_f64 v[45:46], v[45:46], -v[51:52]
	v_add_f64 v[71:72], v[69:70], v[47:48]
	v_add_f64 v[49:50], v[49:50], -v[67:68]
	v_add_f64 v[51:52], v[71:72], -v[69:70]
	v_add_f64 v[45:46], v[45:46], v[49:50]
	v_add_f64 v[47:48], v[47:48], -v[51:52]
	v_add_f64 v[45:46], v[45:46], v[47:48]
	v_add_f64 v[45:46], v[71:72], v[45:46]
	v_cndmask_b32_e32 v45, v45, v15, vcc
	v_cndmask_b32_e32 v46, v46, v16, vcc
	v_cmp_neq_f64_e32 vcc, 0, v[15:16]
	v_cndmask_b32_e32 v16, v60, v46, vcc
	v_cndmask_b32_e32 v15, 0, v45, vcc
.LBB42_113:                             ;   in Loop: Header=BB42_5 Depth=1
	s_or_saveexec_b64 s[10:11], s[8:9]
	v_and_b32_e32 v46, 0x7fffffff, v20
	v_mov_b32_e32 v45, v19
	s_xor_b64 exec, exec, s[10:11]
	s_cbranch_execz .LBB42_135
; %bb.114:                              ;   in Loop: Header=BB42_5 Depth=1
	s_mov_b32 s74, 0
	s_mov_b32 s75, 0x39000000
	v_cmp_neq_f64_e64 s[8:9], |v[17:18]|, 1.0
	v_cmp_nlt_f64_e64 s[74:75], |v[19:20]|, s[74:75]
                                        ; implicit-def: $vgpr15_vgpr16
	s_or_b64 s[8:9], s[8:9], s[74:75]
	s_and_saveexec_b64 s[74:75], s[8:9]
	s_xor_b64 s[74:75], exec, s[74:75]
	s_cbranch_execz .LBB42_132
; %bb.115:                              ;   in Loop: Header=BB42_5 Depth=1
	v_ldexp_f64 v[15:16], |v[13:14]|, s87
	v_cmp_ge_f64_e64 s[8:9], |v[19:20]|, v[15:16]
                                        ; implicit-def: $vgpr15_vgpr16
	s_and_saveexec_b64 s[76:77], s[8:9]
	s_xor_b64 s[76:77], exec, s[76:77]
	s_cbranch_execz .LBB42_125
; %bb.116:                              ;   in Loop: Header=BB42_5 Depth=1
	v_cmp_neq_f64_e32 vcc, 0, v[37:38]
	v_mov_b32_e32 v15, v45
	v_mov_b32_e32 v16, v46
	s_and_saveexec_b64 s[8:9], vcc
	s_cbranch_execz .LBB42_118
; %bb.117:                              ;   in Loop: Header=BB42_5 Depth=1
	v_mul_f64 v[15:16], v[19:20], v[19:20]
	v_add_f64 v[47:48], v[37:38], v[43:44]
	v_div_scale_f64 v[49:50], s[78:79], v[47:48], v[47:48], v[15:16]
	v_div_scale_f64 v[69:70], vcc, v[15:16], v[47:48], v[15:16]
	v_rcp_f64_e32 v[51:52], v[49:50]
	v_fma_f64 v[67:68], -v[49:50], v[51:52], 1.0
	v_fma_f64 v[51:52], v[51:52], v[67:68], v[51:52]
	v_fma_f64 v[67:68], -v[49:50], v[51:52], 1.0
	v_fma_f64 v[51:52], v[51:52], v[67:68], v[51:52]
	v_mul_f64 v[67:68], v[69:70], v[51:52]
	v_fma_f64 v[49:50], -v[49:50], v[67:68], v[69:70]
	v_div_fmas_f64 v[49:50], v[49:50], v[51:52], v[67:68]
	v_div_fixup_f64 v[15:16], v[49:50], v[47:48], v[15:16]
.LBB42_118:                             ;   in Loop: Header=BB42_5 Depth=1
	s_or_b64 exec, exec, s[8:9]
	v_add_f64 v[49:50], -|v[17:18]|, 1.0
                                        ; implicit-def: $vgpr47_vgpr48
	v_cmp_ngt_f64_e32 vcc, 0, v[49:50]
	s_and_saveexec_b64 s[8:9], vcc
	s_xor_b64 s[8:9], exec, s[8:9]
	s_cbranch_execz .LBB42_122
; %bb.119:                              ;   in Loop: Header=BB42_5 Depth=1
	v_cmp_neq_f64_e32 vcc, 0, v[49:50]
	v_mov_b32_e32 v48, v46
	v_mov_b32_e32 v47, v45
	s_and_saveexec_b64 s[78:79], vcc
	s_cbranch_execz .LBB42_121
; %bb.120:                              ;   in Loop: Header=BB42_5 Depth=1
	v_mul_f64 v[47:48], v[19:20], v[19:20]
	v_add_f64 v[49:50], v[49:50], v[41:42]
	v_div_scale_f64 v[51:52], s[80:81], v[49:50], v[49:50], v[47:48]
	v_div_scale_f64 v[71:72], vcc, v[47:48], v[49:50], v[47:48]
	v_rcp_f64_e32 v[67:68], v[51:52]
	v_fma_f64 v[69:70], -v[51:52], v[67:68], 1.0
	v_fma_f64 v[67:68], v[67:68], v[69:70], v[67:68]
	v_fma_f64 v[69:70], -v[51:52], v[67:68], 1.0
	v_fma_f64 v[67:68], v[67:68], v[69:70], v[67:68]
	v_mul_f64 v[69:70], v[71:72], v[67:68]
	v_fma_f64 v[51:52], -v[51:52], v[69:70], v[71:72]
	v_div_fmas_f64 v[51:52], v[51:52], v[67:68], v[69:70]
	v_div_fixup_f64 v[47:48], v[51:52], v[49:50], v[47:48]
.LBB42_121:                             ;   in Loop: Header=BB42_5 Depth=1
	s_or_b64 exec, exec, s[78:79]
	s_mov_b32 s80, 0xb5e68a13
	s_mov_b32 s81, 0x3eeba404
                                        ; implicit-def: $vgpr49_vgpr50
.LBB42_122:                             ;   in Loop: Header=BB42_5 Depth=1
	s_andn2_saveexec_b64 s[8:9], s[8:9]
; %bb.123:                              ;   in Loop: Header=BB42_5 Depth=1
	v_add_f64 v[47:48], v[41:42], -v[49:50]
; %bb.124:                              ;   in Loop: Header=BB42_5 Depth=1
	s_or_b64 exec, exec, s[8:9]
	v_mul_f64 v[47:48], v[47:48], 0.5
	s_mov_b32 s8, 0
	s_brev_b32 s9, 8
	s_mov_b32 s29, s69
	v_fma_f64 v[15:16], v[15:16], 0.5, v[47:48]
	v_add_f64 v[47:48], v[39:40], 1.0
	v_mul_f64 v[47:48], v[47:48], v[15:16]
	v_cmp_gt_f64_e32 vcc, s[8:9], v[47:48]
	v_cndmask_b32_e32 v49, 0, v58, vcc
	v_ldexp_f64 v[47:48], v[47:48], v49
	v_rsq_f64_e32 v[49:50], v[47:48]
	v_mul_f64 v[51:52], v[47:48], v[49:50]
	v_mul_f64 v[49:50], v[49:50], 0.5
	v_fma_f64 v[67:68], -v[49:50], v[51:52], 0.5
	v_fma_f64 v[51:52], v[51:52], v[67:68], v[51:52]
	v_fma_f64 v[49:50], v[49:50], v[67:68], v[49:50]
	v_fma_f64 v[69:70], -v[51:52], v[51:52], v[47:48]
	v_fma_f64 v[51:52], v[69:70], v[49:50], v[51:52]
	v_fma_f64 v[67:68], -v[51:52], v[51:52], v[47:48]
	v_fma_f64 v[49:50], v[67:68], v[49:50], v[51:52]
	v_cndmask_b32_e32 v51, 0, v59, vcc
	v_cmp_class_f64_e32 vcc, v[47:48], v55
	v_ldexp_f64 v[49:50], v[49:50], v51
	v_cndmask_b32_e32 v48, v50, v48, vcc
	v_cndmask_b32_e32 v47, v49, v47, vcc
	v_add_f64 v[47:48], v[15:16], v[47:48]
	v_add_f64 v[15:16], v[47:48], 1.0
	v_cmp_ngt_f64_e64 s[8:9], -1.0, v[47:48]
	v_add_f64 v[49:50], v[15:16], -1.0
	v_frexp_exp_i32_f64_e32 v67, v[15:16]
	v_add_f64 v[51:52], v[49:50], -v[15:16]
	v_add_f64 v[49:50], v[47:48], -v[49:50]
	v_add_f64 v[51:52], v[51:52], 1.0
	v_add_f64 v[49:50], v[49:50], v[51:52]
	v_frexp_mant_f64_e32 v[51:52], v[15:16]
	v_cmp_gt_f64_e32 vcc, s[68:69], v[51:52]
	v_subbrev_co_u32_e32 v81, vcc, 0, v67, vcc
	v_sub_u32_e32 v51, 0, v81
	v_ldexp_f64 v[15:16], v[15:16], v51
	v_ldexp_f64 v[49:50], v[49:50], v51
	v_cmp_neq_f64_e32 vcc, s[66:67], v[47:48]
	v_add_f64 v[51:52], v[15:16], -1.0
	v_add_f64 v[67:68], v[51:52], 1.0
	v_add_f64 v[67:68], v[15:16], -v[67:68]
	v_add_f64 v[67:68], v[49:50], v[67:68]
	v_add_f64 v[69:70], v[51:52], v[67:68]
	v_add_f64 v[51:52], v[69:70], -v[51:52]
	v_add_f64 v[51:52], v[67:68], -v[51:52]
	v_add_f64 v[67:68], v[15:16], 1.0
	v_add_f64 v[71:72], v[67:68], -1.0
	v_add_f64 v[15:16], v[15:16], -v[71:72]
	v_add_f64 v[15:16], v[49:50], v[15:16]
	v_add_f64 v[49:50], v[67:68], v[15:16]
	v_add_f64 v[67:68], v[49:50], -v[67:68]
	v_add_f64 v[15:16], v[15:16], -v[67:68]
	v_rcp_f64_e32 v[67:68], v[49:50]
	v_fma_f64 v[71:72], -v[49:50], v[67:68], 1.0
	v_fma_f64 v[67:68], v[71:72], v[67:68], v[67:68]
	v_fma_f64 v[71:72], -v[49:50], v[67:68], 1.0
	v_fma_f64 v[67:68], v[71:72], v[67:68], v[67:68]
	v_mul_f64 v[71:72], v[69:70], v[67:68]
	v_mul_f64 v[73:74], v[49:50], v[71:72]
	v_fma_f64 v[75:76], v[71:72], v[49:50], -v[73:74]
	v_fma_f64 v[75:76], v[71:72], v[15:16], v[75:76]
	v_add_f64 v[77:78], v[73:74], v[75:76]
	v_add_f64 v[79:80], v[69:70], -v[77:78]
	v_add_f64 v[73:74], v[77:78], -v[73:74]
	;; [unrolled: 1-line block ×4, first 2 shown]
	v_add_f64 v[51:52], v[51:52], v[69:70]
	v_add_f64 v[69:70], v[73:74], -v[75:76]
	v_add_f64 v[51:52], v[69:70], v[51:52]
	v_add_f64 v[69:70], v[79:80], v[51:52]
	v_add_f64 v[73:74], v[79:80], -v[69:70]
	v_add_f64 v[51:52], v[51:52], v[73:74]
	v_mul_f64 v[73:74], v[67:68], v[69:70]
	v_mul_f64 v[75:76], v[49:50], v[73:74]
	v_fma_f64 v[49:50], v[73:74], v[49:50], -v[75:76]
	v_fma_f64 v[15:16], v[73:74], v[15:16], v[49:50]
	v_add_f64 v[49:50], v[75:76], v[15:16]
	v_add_f64 v[77:78], v[69:70], -v[49:50]
	v_add_f64 v[75:76], v[49:50], -v[75:76]
	;; [unrolled: 1-line block ×5, first 2 shown]
	v_cvt_f64_i32_e32 v[69:70], v81
	v_add_f64 v[49:50], v[51:52], v[49:50]
	v_add_f64 v[15:16], v[15:16], v[49:50]
	;; [unrolled: 1-line block ×4, first 2 shown]
	v_add_f64 v[51:52], v[49:50], -v[71:72]
	v_mul_f64 v[71:72], v[69:70], s[42:43]
	v_mul_f64 v[15:16], v[67:68], v[15:16]
	v_add_f64 v[51:52], v[73:74], -v[51:52]
	v_fma_f64 v[73:74], v[69:70], s[42:43], -v[71:72]
	v_add_f64 v[15:16], v[51:52], v[15:16]
	v_fma_f64 v[69:70], v[69:70], s[44:45], v[73:74]
	v_add_f64 v[51:52], v[49:50], v[15:16]
	v_add_f64 v[73:74], v[71:72], v[69:70]
	v_add_f64 v[49:50], v[51:52], -v[49:50]
	v_add_f64 v[71:72], v[73:74], -v[71:72]
	v_add_f64 v[15:16], v[15:16], -v[49:50]
	v_mul_f64 v[49:50], v[51:52], v[51:52]
	v_add_f64 v[69:70], v[69:70], -v[71:72]
	v_ldexp_f64 v[71:72], v[51:52], 1
	v_ldexp_f64 v[15:16], v[15:16], 1
	v_fma_f64 v[67:68], v[49:50], s[30:31], v[25:26]
	v_fma_f64 v[67:68], v[49:50], v[67:68], s[34:35]
	;; [unrolled: 1-line block ×6, first 2 shown]
	v_mul_f64 v[49:50], v[51:52], v[49:50]
	v_mul_f64 v[49:50], v[49:50], v[67:68]
	v_add_f64 v[51:52], v[71:72], v[49:50]
	v_add_f64 v[67:68], v[51:52], -v[71:72]
	v_add_f64 v[49:50], v[49:50], -v[67:68]
	v_add_f64 v[15:16], v[15:16], v[49:50]
	v_add_f64 v[49:50], v[51:52], v[15:16]
	v_add_f64 v[51:52], v[49:50], -v[51:52]
	v_add_f64 v[15:16], v[15:16], -v[51:52]
	v_add_f64 v[51:52], v[73:74], v[49:50]
	v_add_f64 v[67:68], v[51:52], -v[73:74]
	v_add_f64 v[71:72], v[51:52], -v[67:68]
	;; [unrolled: 1-line block ×3, first 2 shown]
	v_add_f64 v[67:68], v[69:70], v[15:16]
	v_add_f64 v[71:72], v[73:74], -v[71:72]
	v_add_f64 v[49:50], v[49:50], v[71:72]
	v_add_f64 v[71:72], v[67:68], -v[69:70]
	;; [unrolled: 2-line block ×3, first 2 shown]
	v_add_f64 v[15:16], v[15:16], -v[71:72]
	v_add_f64 v[67:68], v[51:52], v[49:50]
	v_add_f64 v[69:70], v[69:70], -v[73:74]
	v_add_f64 v[51:52], v[67:68], -v[51:52]
	v_add_f64 v[15:16], v[15:16], v[69:70]
	v_add_f64 v[49:50], v[49:50], -v[51:52]
	v_add_f64 v[15:16], v[15:16], v[49:50]
	v_add_f64 v[15:16], v[67:68], v[15:16]
	v_cndmask_b32_e32 v16, v56, v16, vcc
	v_cndmask_b32_e64 v16, v61, v16, s[8:9]
	v_cmp_nge_f64_e64 s[8:9], -1.0, v[47:48]
	s_and_b64 vcc, s[8:9], vcc
	v_cndmask_b32_e32 v15, 0, v15, vcc
	v_cmp_neq_f64_e32 vcc, -1.0, v[47:48]
	v_cndmask_b32_e32 v16, v60, v16, vcc
.LBB42_125:                             ;   in Loop: Header=BB42_5 Depth=1
	s_andn2_saveexec_b64 s[76:77], s[76:77]
	s_cbranch_execz .LBB42_131
; %bb.126:                              ;   in Loop: Header=BB42_5 Depth=1
	v_cmp_nlt_f64_e64 s[8:9], |v[17:18]|, 1.0
                                        ; implicit-def: $vgpr15_vgpr16
	s_and_saveexec_b64 s[78:79], s[8:9]
	s_xor_b64 s[78:79], exec, s[78:79]
	s_cbranch_execz .LBB42_128
; %bb.127:                              ;   in Loop: Header=BB42_5 Depth=1
	v_mul_f64 v[15:16], v[13:14], v[37:38]
	s_mov_b32 s8, 0
	s_brev_b32 s9, 8
	s_mov_b32 s29, s69
	v_cmp_gt_f64_e32 vcc, s[8:9], v[15:16]
	v_cndmask_b32_e32 v47, 0, v58, vcc
	v_ldexp_f64 v[15:16], v[15:16], v47
	v_rsq_f64_e32 v[47:48], v[15:16]
	v_mul_f64 v[49:50], v[15:16], v[47:48]
	v_mul_f64 v[47:48], v[47:48], 0.5
	v_fma_f64 v[51:52], -v[47:48], v[49:50], 0.5
	v_fma_f64 v[49:50], v[49:50], v[51:52], v[49:50]
	v_fma_f64 v[47:48], v[47:48], v[51:52], v[47:48]
	v_fma_f64 v[67:68], -v[49:50], v[49:50], v[15:16]
	v_fma_f64 v[49:50], v[67:68], v[47:48], v[49:50]
	v_fma_f64 v[51:52], -v[49:50], v[49:50], v[15:16]
	v_fma_f64 v[47:48], v[51:52], v[47:48], v[49:50]
	v_cndmask_b32_e32 v49, 0, v59, vcc
	v_cmp_class_f64_e32 vcc, v[15:16], v55
	v_ldexp_f64 v[47:48], v[47:48], v49
	v_cndmask_b32_e32 v16, v48, v16, vcc
	v_cndmask_b32_e32 v15, v47, v15, vcc
	v_add_f64 v[47:48], v[13:14], v[15:16]
	v_add_f64 v[15:16], v[47:48], 1.0
	v_cmp_ngt_f64_e64 s[8:9], -1.0, v[47:48]
	v_add_f64 v[49:50], v[15:16], -1.0
	v_frexp_exp_i32_f64_e32 v67, v[15:16]
	v_add_f64 v[51:52], v[49:50], -v[15:16]
	v_add_f64 v[49:50], v[47:48], -v[49:50]
	v_add_f64 v[51:52], v[51:52], 1.0
	v_add_f64 v[49:50], v[49:50], v[51:52]
	v_frexp_mant_f64_e32 v[51:52], v[15:16]
	v_cmp_gt_f64_e32 vcc, s[68:69], v[51:52]
	v_subbrev_co_u32_e32 v81, vcc, 0, v67, vcc
	v_sub_u32_e32 v51, 0, v81
	v_ldexp_f64 v[15:16], v[15:16], v51
	v_ldexp_f64 v[49:50], v[49:50], v51
	v_cmp_neq_f64_e32 vcc, s[66:67], v[47:48]
	v_add_f64 v[51:52], v[15:16], -1.0
	v_add_f64 v[67:68], v[51:52], 1.0
	v_add_f64 v[67:68], v[15:16], -v[67:68]
	v_add_f64 v[67:68], v[49:50], v[67:68]
	v_add_f64 v[69:70], v[51:52], v[67:68]
	v_add_f64 v[51:52], v[69:70], -v[51:52]
	v_add_f64 v[51:52], v[67:68], -v[51:52]
	v_add_f64 v[67:68], v[15:16], 1.0
	v_add_f64 v[71:72], v[67:68], -1.0
	v_add_f64 v[15:16], v[15:16], -v[71:72]
	v_add_f64 v[15:16], v[49:50], v[15:16]
	v_add_f64 v[49:50], v[67:68], v[15:16]
	v_add_f64 v[67:68], v[49:50], -v[67:68]
	v_add_f64 v[15:16], v[15:16], -v[67:68]
	v_rcp_f64_e32 v[67:68], v[49:50]
	v_fma_f64 v[71:72], -v[49:50], v[67:68], 1.0
	v_fma_f64 v[67:68], v[71:72], v[67:68], v[67:68]
	v_fma_f64 v[71:72], -v[49:50], v[67:68], 1.0
	v_fma_f64 v[67:68], v[71:72], v[67:68], v[67:68]
	v_mul_f64 v[71:72], v[69:70], v[67:68]
	v_mul_f64 v[73:74], v[49:50], v[71:72]
	v_fma_f64 v[75:76], v[71:72], v[49:50], -v[73:74]
	v_fma_f64 v[75:76], v[71:72], v[15:16], v[75:76]
	v_add_f64 v[77:78], v[73:74], v[75:76]
	v_add_f64 v[79:80], v[69:70], -v[77:78]
	v_add_f64 v[73:74], v[77:78], -v[73:74]
	;; [unrolled: 1-line block ×4, first 2 shown]
	v_add_f64 v[51:52], v[51:52], v[69:70]
	v_add_f64 v[69:70], v[73:74], -v[75:76]
	v_add_f64 v[51:52], v[69:70], v[51:52]
	v_add_f64 v[69:70], v[79:80], v[51:52]
	v_add_f64 v[73:74], v[79:80], -v[69:70]
	v_add_f64 v[51:52], v[51:52], v[73:74]
	v_mul_f64 v[73:74], v[67:68], v[69:70]
	v_mul_f64 v[75:76], v[49:50], v[73:74]
	v_fma_f64 v[49:50], v[73:74], v[49:50], -v[75:76]
	v_fma_f64 v[15:16], v[73:74], v[15:16], v[49:50]
	v_add_f64 v[49:50], v[75:76], v[15:16]
	v_add_f64 v[77:78], v[69:70], -v[49:50]
	v_add_f64 v[75:76], v[49:50], -v[75:76]
	;; [unrolled: 1-line block ×5, first 2 shown]
	v_cvt_f64_i32_e32 v[69:70], v81
	v_add_f64 v[49:50], v[51:52], v[49:50]
	v_add_f64 v[15:16], v[15:16], v[49:50]
	;; [unrolled: 1-line block ×4, first 2 shown]
	v_add_f64 v[51:52], v[49:50], -v[71:72]
	v_mul_f64 v[71:72], v[69:70], s[42:43]
	v_mul_f64 v[15:16], v[67:68], v[15:16]
	v_add_f64 v[51:52], v[73:74], -v[51:52]
	v_fma_f64 v[73:74], v[69:70], s[42:43], -v[71:72]
	v_add_f64 v[15:16], v[51:52], v[15:16]
	v_fma_f64 v[69:70], v[69:70], s[44:45], v[73:74]
	v_add_f64 v[51:52], v[49:50], v[15:16]
	v_add_f64 v[73:74], v[71:72], v[69:70]
	v_add_f64 v[49:50], v[51:52], -v[49:50]
	v_add_f64 v[71:72], v[73:74], -v[71:72]
	;; [unrolled: 1-line block ×3, first 2 shown]
	v_mul_f64 v[49:50], v[51:52], v[51:52]
	v_add_f64 v[69:70], v[69:70], -v[71:72]
	v_ldexp_f64 v[71:72], v[51:52], 1
	v_ldexp_f64 v[15:16], v[15:16], 1
	v_fma_f64 v[67:68], v[49:50], s[30:31], v[25:26]
	v_fma_f64 v[67:68], v[49:50], v[67:68], s[34:35]
	;; [unrolled: 1-line block ×6, first 2 shown]
	v_mul_f64 v[49:50], v[51:52], v[49:50]
	v_mul_f64 v[49:50], v[49:50], v[67:68]
	v_add_f64 v[51:52], v[71:72], v[49:50]
	v_add_f64 v[67:68], v[51:52], -v[71:72]
	v_add_f64 v[49:50], v[49:50], -v[67:68]
	v_add_f64 v[15:16], v[15:16], v[49:50]
	v_add_f64 v[49:50], v[51:52], v[15:16]
	v_add_f64 v[51:52], v[49:50], -v[51:52]
	v_add_f64 v[15:16], v[15:16], -v[51:52]
	v_add_f64 v[51:52], v[73:74], v[49:50]
	v_add_f64 v[67:68], v[51:52], -v[73:74]
	v_add_f64 v[71:72], v[51:52], -v[67:68]
	;; [unrolled: 1-line block ×3, first 2 shown]
	v_add_f64 v[67:68], v[69:70], v[15:16]
	v_add_f64 v[71:72], v[73:74], -v[71:72]
	v_add_f64 v[49:50], v[49:50], v[71:72]
	v_add_f64 v[71:72], v[67:68], -v[69:70]
	;; [unrolled: 2-line block ×3, first 2 shown]
	v_add_f64 v[15:16], v[15:16], -v[71:72]
	v_add_f64 v[67:68], v[51:52], v[49:50]
	v_add_f64 v[69:70], v[69:70], -v[73:74]
	v_add_f64 v[51:52], v[67:68], -v[51:52]
	v_add_f64 v[15:16], v[15:16], v[69:70]
	v_add_f64 v[49:50], v[49:50], -v[51:52]
	v_add_f64 v[15:16], v[15:16], v[49:50]
	v_add_f64 v[15:16], v[67:68], v[15:16]
	v_cndmask_b32_e32 v16, v56, v16, vcc
	v_cndmask_b32_e64 v16, v61, v16, s[8:9]
	v_cmp_nge_f64_e64 s[8:9], -1.0, v[47:48]
	s_and_b64 vcc, s[8:9], vcc
	v_cndmask_b32_e32 v15, 0, v15, vcc
	v_cmp_neq_f64_e32 vcc, -1.0, v[47:48]
	v_cndmask_b32_e32 v16, v60, v16, vcc
.LBB42_128:                             ;   in Loop: Header=BB42_5 Depth=1
	s_andn2_saveexec_b64 s[8:9], s[78:79]
	s_cbranch_execz .LBB42_130
; %bb.129:                              ;   in Loop: Header=BB42_5 Depth=1
	v_add_f64 v[15:16], -|v[17:18]|, 1.0
	s_mov_b32 s78, 0
	s_brev_b32 s79, 8
	v_mul_f64 v[15:16], v[15:16], v[37:38]
	v_cmp_gt_f64_e32 vcc, s[78:79], v[15:16]
	v_cndmask_b32_e32 v47, 0, v58, vcc
	v_ldexp_f64 v[15:16], v[15:16], v47
	v_rsq_f64_e32 v[47:48], v[15:16]
	v_mul_f64 v[49:50], v[15:16], v[47:48]
	v_mul_f64 v[47:48], v[47:48], 0.5
	v_fma_f64 v[51:52], -v[47:48], v[49:50], 0.5
	v_fma_f64 v[49:50], v[49:50], v[51:52], v[49:50]
	v_fma_f64 v[47:48], v[47:48], v[51:52], v[47:48]
	v_fma_f64 v[51:52], -v[49:50], v[49:50], v[15:16]
	v_fma_f64 v[49:50], v[51:52], v[47:48], v[49:50]
	v_fma_f64 v[51:52], -v[49:50], v[49:50], v[15:16]
	v_fma_f64 v[47:48], v[51:52], v[47:48], v[49:50]
	v_cndmask_b32_e32 v49, 0, v59, vcc
	v_cmp_class_f64_e32 vcc, v[15:16], v55
	v_mov_b32_e32 v50, v46
	v_ldexp_f64 v[47:48], v[47:48], v49
	v_mov_b32_e32 v49, v19
	v_cndmask_b32_e32 v16, v48, v16, vcc
	v_cndmask_b32_e32 v15, v47, v15, vcc
	v_div_scale_f64 v[47:48], s[78:79], v[15:16], v[15:16], v[49:50]
	v_div_scale_f64 v[49:50], vcc, v[49:50], v[15:16], v[49:50]
	v_rcp_f64_e32 v[51:52], v[47:48]
	v_fma_f64 v[67:68], -v[47:48], v[51:52], 1.0
	v_fma_f64 v[51:52], v[51:52], v[67:68], v[51:52]
	v_fma_f64 v[67:68], -v[47:48], v[51:52], 1.0
	v_fma_f64 v[51:52], v[51:52], v[67:68], v[51:52]
	v_mul_f64 v[67:68], v[49:50], v[51:52]
	v_fma_f64 v[47:48], -v[47:48], v[67:68], v[49:50]
	v_div_fmas_f64 v[47:48], v[47:48], v[51:52], v[67:68]
	v_div_fixup_f64 v[15:16], v[47:48], v[15:16], |v[19:20]|
.LBB42_130:                             ;   in Loop: Header=BB42_5 Depth=1
	s_or_b64 exec, exec, s[8:9]
.LBB42_131:                             ;   in Loop: Header=BB42_5 Depth=1
	s_or_b64 exec, exec, s[76:77]
.LBB42_132:                             ;   in Loop: Header=BB42_5 Depth=1
	s_andn2_saveexec_b64 s[8:9], s[74:75]
	s_cbranch_execz .LBB42_134
; %bb.133:                              ;   in Loop: Header=BB42_5 Depth=1
	s_mov_b32 s74, 0
	s_brev_b32 s75, 8
	v_cmp_lt_f64_e64 vcc, |v[19:20]|, s[74:75]
	v_cndmask_b32_e32 v15, 0, v58, vcc
	v_ldexp_f64 v[15:16], |v[19:20]|, v15
	v_rsq_f64_e32 v[47:48], v[15:16]
	v_mul_f64 v[49:50], v[15:16], v[47:48]
	v_mul_f64 v[47:48], v[47:48], 0.5
	v_fma_f64 v[51:52], -v[47:48], v[49:50], 0.5
	v_fma_f64 v[49:50], v[49:50], v[51:52], v[49:50]
	v_fma_f64 v[47:48], v[47:48], v[51:52], v[47:48]
	v_fma_f64 v[51:52], -v[49:50], v[49:50], v[15:16]
	v_fma_f64 v[49:50], v[51:52], v[47:48], v[49:50]
	v_fma_f64 v[51:52], -v[49:50], v[49:50], v[15:16]
	v_fma_f64 v[47:48], v[51:52], v[47:48], v[49:50]
	v_cndmask_b32_e32 v49, 0, v59, vcc
	v_cmp_class_f64_e32 vcc, v[15:16], v55
	v_ldexp_f64 v[47:48], v[47:48], v49
	v_cndmask_b32_e32 v16, v48, v16, vcc
	v_cndmask_b32_e32 v15, v47, v15, vcc
.LBB42_134:                             ;   in Loop: Header=BB42_5 Depth=1
	s_or_b64 exec, exec, s[8:9]
.LBB42_135:                             ;   in Loop: Header=BB42_5 Depth=1
	s_or_b64 exec, exec, s[10:11]
	s_mov_b32 s8, 0
	s_mov_b32 s9, 0x20200000
	v_cmp_nlt_f64_e64 s[10:11], |v[17:18]|, s[8:9]
                                        ; implicit-def: $sgpr8_sgpr9
                                        ; implicit-def: $vgpr47_vgpr48
                                        ; implicit-def: $vgpr51_vgpr52
                                        ; implicit-def: $vgpr49_vgpr50
	s_and_saveexec_b64 s[74:75], s[10:11]
	s_xor_b64 s[10:11], exec, s[74:75]
	s_cbranch_execz .LBB42_159
; %bb.136:                              ;   in Loop: Header=BB42_5 Depth=1
	v_and_b32_e32 v50, 0x7fffffff, v18
	v_mov_b32_e32 v49, v17
	v_div_scale_f64 v[47:48], s[8:9], v[39:40], v[39:40], v[49:50]
	v_div_scale_f64 v[69:70], vcc, v[49:50], v[39:40], v[49:50]
	s_mov_b32 s8, 0x703afb7f
	s_mov_b32 s9, 0x3fe488ce
	v_rcp_f64_e32 v[51:52], v[47:48]
	v_fma_f64 v[67:68], -v[47:48], v[51:52], 1.0
	v_fma_f64 v[51:52], v[51:52], v[67:68], v[51:52]
	v_fma_f64 v[67:68], -v[47:48], v[51:52], 1.0
	v_fma_f64 v[51:52], v[51:52], v[67:68], v[51:52]
	v_mul_f64 v[67:68], v[69:70], v[51:52]
	v_fma_f64 v[47:48], -v[47:48], v[67:68], v[69:70]
	v_div_fmas_f64 v[47:48], v[47:48], v[51:52], v[67:68]
                                        ; implicit-def: $vgpr51_vgpr52
	v_div_fixup_f64 v[47:48], v[47:48], v[39:40], |v[17:18]|
	v_cmp_lt_f64_e32 vcc, s[8:9], v[47:48]
	s_mov_b64 s[8:9], 0
	s_and_saveexec_b64 s[74:75], vcc
	s_cbranch_execz .LBB42_158
; %bb.137:                              ;   in Loop: Header=BB42_5 Depth=1
	s_mov_b32 s76, 0
	s_mov_b32 s77, 0x3c400000
	v_cmp_neq_f64_e64 s[8:9], |v[17:18]|, 1.0
	v_cmp_nlt_f64_e64 s[76:77], |v[19:20]|, s[76:77]
                                        ; implicit-def: $vgpr51_vgpr52
	s_or_b64 s[8:9], s[8:9], s[76:77]
	s_and_saveexec_b64 s[76:77], s[8:9]
	s_xor_b64 s[8:9], exec, s[76:77]
	s_cbranch_execz .LBB42_155
; %bb.138:                              ;   in Loop: Header=BB42_5 Depth=1
	v_ldexp_f64 v[51:52], |v[13:14]|, s87
	v_cmp_ge_f64_e64 s[76:77], |v[19:20]|, v[51:52]
                                        ; implicit-def: $vgpr51_vgpr52
	s_and_saveexec_b64 s[78:79], s[76:77]
	s_xor_b64 s[76:77], exec, s[78:79]
	s_cbranch_execz .LBB42_148
; %bb.139:                              ;   in Loop: Header=BB42_5 Depth=1
	v_cmp_neq_f64_e32 vcc, 0, v[37:38]
	v_mov_b32_e32 v52, v46
	v_mov_b32_e32 v51, v45
	s_and_saveexec_b64 s[78:79], vcc
	s_cbranch_execz .LBB42_141
; %bb.140:                              ;   in Loop: Header=BB42_5 Depth=1
	v_mul_f64 v[51:52], v[19:20], v[19:20]
	v_add_f64 v[37:38], v[37:38], v[43:44]
	v_div_scale_f64 v[43:44], s[80:81], v[37:38], v[37:38], v[51:52]
	v_div_scale_f64 v[71:72], vcc, v[51:52], v[37:38], v[51:52]
	v_rcp_f64_e32 v[67:68], v[43:44]
	v_fma_f64 v[69:70], -v[43:44], v[67:68], 1.0
	v_fma_f64 v[67:68], v[67:68], v[69:70], v[67:68]
	v_fma_f64 v[69:70], -v[43:44], v[67:68], 1.0
	v_fma_f64 v[67:68], v[67:68], v[69:70], v[67:68]
	v_mul_f64 v[69:70], v[71:72], v[67:68]
	v_fma_f64 v[43:44], -v[43:44], v[69:70], v[71:72]
	v_div_fmas_f64 v[43:44], v[43:44], v[67:68], v[69:70]
	v_div_fixup_f64 v[51:52], v[43:44], v[37:38], v[51:52]
.LBB42_141:                             ;   in Loop: Header=BB42_5 Depth=1
	s_or_b64 exec, exec, s[78:79]
	v_cmp_ngt_f64_e32 vcc, 0, v[13:14]
	s_and_saveexec_b64 s[78:79], vcc
	s_xor_b64 s[78:79], exec, s[78:79]
	s_cbranch_execz .LBB42_145
; %bb.142:                              ;   in Loop: Header=BB42_5 Depth=1
	v_cmp_neq_f64_e32 vcc, 0, v[13:14]
	s_and_saveexec_b64 s[80:81], vcc
	s_cbranch_execz .LBB42_144
; %bb.143:                              ;   in Loop: Header=BB42_5 Depth=1
	v_mul_f64 v[19:20], v[19:20], v[19:20]
	v_add_f64 v[13:14], v[13:14], v[41:42]
	v_div_scale_f64 v[37:38], vcc, v[13:14], v[13:14], v[19:20]
	v_div_scale_f64 v[45:46], vcc, v[19:20], v[13:14], v[19:20]
	v_rcp_f64_e32 v[41:42], v[37:38]
	v_fma_f64 v[43:44], -v[37:38], v[41:42], 1.0
	v_fma_f64 v[41:42], v[41:42], v[43:44], v[41:42]
	v_fma_f64 v[43:44], -v[37:38], v[41:42], 1.0
	v_fma_f64 v[41:42], v[41:42], v[43:44], v[41:42]
	v_mul_f64 v[43:44], v[45:46], v[41:42]
	v_fma_f64 v[37:38], -v[37:38], v[43:44], v[45:46]
	v_div_fmas_f64 v[37:38], v[37:38], v[41:42], v[43:44]
	v_div_fixup_f64 v[45:46], v[37:38], v[13:14], v[19:20]
.LBB42_144:                             ;   in Loop: Header=BB42_5 Depth=1
	s_or_b64 exec, exec, s[80:81]
                                        ; implicit-def: $vgpr41_vgpr42
                                        ; implicit-def: $vgpr13_vgpr14
.LBB42_145:                             ;   in Loop: Header=BB42_5 Depth=1
	s_andn2_saveexec_b64 s[78:79], s[78:79]
; %bb.146:                              ;   in Loop: Header=BB42_5 Depth=1
	v_add_f64 v[45:46], v[41:42], -v[13:14]
; %bb.147:                              ;   in Loop: Header=BB42_5 Depth=1
	s_or_b64 exec, exec, s[78:79]
	v_mul_f64 v[13:14], v[45:46], 0.5
	v_add_f64 v[19:20], |v[17:18]|, v[39:40]
	s_mov_b32 s78, 0
	s_brev_b32 s79, 8
	v_fma_f64 v[13:14], v[51:52], 0.5, v[13:14]
	v_mul_f64 v[13:14], v[19:20], v[13:14]
	v_cmp_gt_f64_e32 vcc, s[78:79], v[13:14]
	v_cndmask_b32_e32 v19, 0, v58, vcc
	v_ldexp_f64 v[13:14], v[13:14], v19
	v_rsq_f64_e32 v[19:20], v[13:14]
	v_mul_f64 v[37:38], v[13:14], v[19:20]
	v_mul_f64 v[19:20], v[19:20], 0.5
	v_fma_f64 v[39:40], -v[19:20], v[37:38], 0.5
	v_fma_f64 v[37:38], v[37:38], v[39:40], v[37:38]
	v_fma_f64 v[19:20], v[19:20], v[39:40], v[19:20]
	v_fma_f64 v[39:40], -v[37:38], v[37:38], v[13:14]
	v_fma_f64 v[37:38], v[39:40], v[19:20], v[37:38]
	v_fma_f64 v[39:40], -v[37:38], v[37:38], v[13:14]
	v_fma_f64 v[19:20], v[39:40], v[19:20], v[37:38]
	v_cndmask_b32_e32 v37, 0, v59, vcc
	v_cmp_class_f64_e32 vcc, v[13:14], v55
	v_ldexp_f64 v[19:20], v[19:20], v37
                                        ; implicit-def: $vgpr37_vgpr38
	v_cndmask_b32_e32 v52, v20, v14, vcc
	v_cndmask_b32_e32 v51, v19, v13, vcc
                                        ; implicit-def: $vgpr13_vgpr14
.LBB42_148:                             ;   in Loop: Header=BB42_5 Depth=1
	s_andn2_saveexec_b64 s[76:77], s[76:77]
	s_cbranch_execz .LBB42_154
; %bb.149:                              ;   in Loop: Header=BB42_5 Depth=1
	v_cmp_ngt_f64_e64 s[78:79], |v[17:18]|, 1.0
                                        ; implicit-def: $vgpr51_vgpr52
	s_and_saveexec_b64 s[80:81], s[78:79]
	s_xor_b64 s[78:79], exec, s[80:81]
	s_cbranch_execz .LBB42_151
; %bb.150:                              ;   in Loop: Header=BB42_5 Depth=1
	v_add_f64 v[13:14], -|v[17:18]|, 1.0
	s_mov_b32 s80, 0
	s_brev_b32 s81, 8
	v_mul_f64 v[13:14], v[13:14], v[37:38]
	v_cmp_gt_f64_e32 vcc, s[80:81], v[13:14]
	v_cndmask_b32_e32 v19, 0, v58, vcc
	v_ldexp_f64 v[13:14], v[13:14], v19
	v_rsq_f64_e32 v[19:20], v[13:14]
	v_mul_f64 v[37:38], v[13:14], v[19:20]
	v_mul_f64 v[19:20], v[19:20], 0.5
	v_fma_f64 v[39:40], -v[19:20], v[37:38], 0.5
	v_fma_f64 v[37:38], v[37:38], v[39:40], v[37:38]
	v_fma_f64 v[19:20], v[19:20], v[39:40], v[19:20]
	v_fma_f64 v[39:40], -v[37:38], v[37:38], v[13:14]
	v_fma_f64 v[37:38], v[39:40], v[19:20], v[37:38]
	v_fma_f64 v[39:40], -v[37:38], v[37:38], v[13:14]
	v_fma_f64 v[19:20], v[39:40], v[19:20], v[37:38]
	v_cndmask_b32_e32 v37, 0, v59, vcc
	v_cmp_class_f64_e32 vcc, v[13:14], v55
	v_ldexp_f64 v[19:20], v[19:20], v37
                                        ; implicit-def: $vgpr37_vgpr38
	v_cndmask_b32_e32 v52, v20, v14, vcc
	v_cndmask_b32_e32 v51, v19, v13, vcc
                                        ; implicit-def: $vgpr13_vgpr14
.LBB42_151:                             ;   in Loop: Header=BB42_5 Depth=1
	s_andn2_saveexec_b64 s[78:79], s[78:79]
	s_cbranch_execz .LBB42_153
; %bb.152:                              ;   in Loop: Header=BB42_5 Depth=1
	v_mul_f64 v[13:14], v[37:38], v[13:14]
	s_mov_b32 s80, 0
	s_brev_b32 s81, 8
	s_movk_i32 s29, 0x6a
	v_ldexp_f64 v[19:20], |v[19:20]|, s29
	v_ldexp_f64 v[49:50], |v[17:18]|, s29
	v_cmp_gt_f64_e32 vcc, s[80:81], v[13:14]
	v_mul_f64 v[19:20], |v[17:18]|, v[19:20]
	v_cndmask_b32_e32 v37, 0, v58, vcc
	v_ldexp_f64 v[13:14], v[13:14], v37
	v_rsq_f64_e32 v[37:38], v[13:14]
	v_mul_f64 v[39:40], v[13:14], v[37:38]
	v_mul_f64 v[37:38], v[37:38], 0.5
	v_fma_f64 v[41:42], -v[37:38], v[39:40], 0.5
	v_fma_f64 v[39:40], v[39:40], v[41:42], v[39:40]
	v_fma_f64 v[37:38], v[37:38], v[41:42], v[37:38]
	v_fma_f64 v[41:42], -v[39:40], v[39:40], v[13:14]
	v_fma_f64 v[39:40], v[41:42], v[37:38], v[39:40]
	v_fma_f64 v[41:42], -v[39:40], v[39:40], v[13:14]
	v_fma_f64 v[37:38], v[41:42], v[37:38], v[39:40]
	v_cndmask_b32_e32 v39, 0, v59, vcc
	v_cmp_class_f64_e32 vcc, v[13:14], v55
	v_ldexp_f64 v[37:38], v[37:38], v39
	v_cndmask_b32_e32 v14, v38, v14, vcc
	v_cndmask_b32_e32 v13, v37, v13, vcc
	v_div_scale_f64 v[37:38], s[80:81], v[13:14], v[13:14], v[19:20]
	v_rcp_f64_e32 v[39:40], v[37:38]
	v_fma_f64 v[41:42], -v[37:38], v[39:40], 1.0
	v_fma_f64 v[39:40], v[39:40], v[41:42], v[39:40]
	v_div_scale_f64 v[41:42], vcc, v[19:20], v[13:14], v[19:20]
	v_fma_f64 v[43:44], -v[37:38], v[39:40], 1.0
	v_fma_f64 v[39:40], v[39:40], v[43:44], v[39:40]
	v_mul_f64 v[43:44], v[41:42], v[39:40]
	v_fma_f64 v[37:38], -v[37:38], v[43:44], v[41:42]
	v_div_fmas_f64 v[37:38], v[37:38], v[39:40], v[43:44]
	v_div_fixup_f64 v[51:52], v[37:38], v[13:14], v[19:20]
.LBB42_153:                             ;   in Loop: Header=BB42_5 Depth=1
	s_or_b64 exec, exec, s[78:79]
.LBB42_154:                             ;   in Loop: Header=BB42_5 Depth=1
	s_or_b64 exec, exec, s[76:77]
	s_mov_b32 s80, 0xb5e68a13
	s_mov_b32 s81, 0x3eeba404
                                        ; implicit-def: $vgpr39_vgpr40
.LBB42_155:                             ;   in Loop: Header=BB42_5 Depth=1
	s_andn2_saveexec_b64 s[76:77], s[8:9]
	s_cbranch_execz .LBB42_157
; %bb.156:                              ;   in Loop: Header=BB42_5 Depth=1
	v_add_f64 v[13:14], v[39:40], 1.0
	s_mov_b32 s8, 0
	s_brev_b32 s9, 8
	v_cmp_lt_f64_e64 vcc, |v[19:20]|, s[8:9]
	v_mul_f64 v[13:14], v[13:14], 0.5
	v_cndmask_b32_e32 v37, 0, v58, vcc
	v_ldexp_f64 v[19:20], |v[19:20]|, v37
	v_cmp_gt_f64_e64 s[8:9], s[8:9], v[13:14]
	v_cndmask_b32_e64 v37, 0, v58, s[8:9]
	v_ldexp_f64 v[13:14], v[13:14], v37
	v_rsq_f64_e32 v[37:38], v[19:20]
	v_rsq_f64_e32 v[39:40], v[13:14]
	v_mul_f64 v[41:42], v[19:20], v[37:38]
	v_mul_f64 v[37:38], v[37:38], 0.5
	v_mul_f64 v[43:44], v[13:14], v[39:40]
	v_mul_f64 v[39:40], v[39:40], 0.5
	v_fma_f64 v[45:46], -v[37:38], v[41:42], 0.5
	v_fma_f64 v[49:50], -v[39:40], v[43:44], 0.5
	v_fma_f64 v[41:42], v[41:42], v[45:46], v[41:42]
	v_fma_f64 v[37:38], v[37:38], v[45:46], v[37:38]
	v_fma_f64 v[43:44], v[43:44], v[49:50], v[43:44]
	v_fma_f64 v[45:46], -v[41:42], v[41:42], v[19:20]
	v_fma_f64 v[39:40], v[39:40], v[49:50], v[39:40]
	v_fma_f64 v[49:50], -v[43:44], v[43:44], v[13:14]
	v_fma_f64 v[41:42], v[45:46], v[37:38], v[41:42]
	v_fma_f64 v[43:44], v[49:50], v[39:40], v[43:44]
	v_fma_f64 v[45:46], -v[41:42], v[41:42], v[19:20]
	v_fma_f64 v[49:50], -v[43:44], v[43:44], v[13:14]
	v_fma_f64 v[37:38], v[45:46], v[37:38], v[41:42]
	v_cndmask_b32_e32 v41, 0, v59, vcc
	v_cndmask_b32_e64 v42, 0, v59, s[8:9]
	v_cmp_class_f64_e32 vcc, v[19:20], v55
	v_cmp_class_f64_e64 s[8:9], v[13:14], v55
	v_fma_f64 v[39:40], v[49:50], v[39:40], v[43:44]
	v_ldexp_f64 v[37:38], v[37:38], v41
	v_mov_b32_e32 v49, 0
	v_mov_b32_e32 v50, 0x3ff00000
	v_ldexp_f64 v[39:40], v[39:40], v42
	v_cndmask_b32_e32 v20, v38, v20, vcc
	v_cndmask_b32_e32 v19, v37, v19, vcc
	v_cndmask_b32_e64 v14, v40, v14, s[8:9]
	v_cndmask_b32_e64 v13, v39, v13, s[8:9]
	v_mul_f64 v[51:52], v[19:20], v[13:14]
.LBB42_157:                             ;   in Loop: Header=BB42_5 Depth=1
	s_or_b64 exec, exec, s[76:77]
	s_mov_b64 s[8:9], exec
.LBB42_158:                             ;   in Loop: Header=BB42_5 Depth=1
	s_or_b64 exec, exec, s[74:75]
                                        ; implicit-def: $vgpr39_vgpr40
.LBB42_159:                             ;   in Loop: Header=BB42_5 Depth=1
	s_andn2_saveexec_b64 s[10:11], s[10:11]
	s_cbranch_execz .LBB42_161
; %bb.160:                              ;   in Loop: Header=BB42_5 Depth=1
	v_ldexp_f64 v[51:52], v[39:40], 53
	v_ldexp_f64 v[49:50], |v[17:18]|, 53
	s_or_b64 s[8:9], s[8:9], exec
                                        ; implicit-def: $vgpr47_vgpr48
.LBB42_161:                             ;   in Loop: Header=BB42_5 Depth=1
	s_or_b64 exec, exec, s[10:11]
	v_cmp_lt_i64_e32 vcc, -1, v[17:18]
	s_xor_b64 s[8:9], s[8:9], -1
	s_and_saveexec_b64 s[10:11], s[8:9]
	s_xor_b64 s[10:11], exec, s[10:11]
	s_cbranch_execz .LBB42_171
; %bb.162:                              ;   in Loop: Header=BB42_5 Depth=1
	s_and_saveexec_b64 s[8:9], vcc
	s_xor_b64 s[74:75], exec, s[8:9]
	s_cbranch_execz .LBB42_166
; %bb.163:                              ;   in Loop: Header=BB42_5 Depth=1
	v_fma_f64 v[17:18], |v[47:48]|, -0.5, 0.5
	v_mul_f64 v[13:14], v[47:48], v[47:48]
	v_cmp_ge_f64_e64 s[8:9], |v[47:48]|, 0.5
	s_mov_b32 s76, 0x9fea6a70
	s_mov_b32 s77, 0x3fa05985
	v_cndmask_b32_e64 v14, v14, v18, s[8:9]
	v_cndmask_b32_e64 v13, v13, v17, s[8:9]
	v_fma_f64 v[19:20], v[13:14], s[76:77], v[27:28]
	s_mov_b32 s76, 0x37024d6a
	s_mov_b32 s77, 0x3f940521
	v_fma_f64 v[19:20], v[13:14], v[19:20], s[76:77]
	s_mov_b32 s76, 0x98a70509
	s_mov_b32 s77, 0x3f7ab3a0
	;; [unrolled: 3-line block ×11, first 2 shown]
	v_mul_f64 v[19:20], v[13:14], v[19:20]
	v_fma_f64 v[13:14], v[47:48], v[19:20], v[47:48]
	v_fma_f64 v[13:14], s[76:77], v[29:30], -v[13:14]
	s_and_saveexec_b64 s[76:77], s[8:9]
	s_cbranch_execz .LBB42_165
; %bb.164:                              ;   in Loop: Header=BB42_5 Depth=1
	v_rsq_f64_e32 v[13:14], v[17:18]
	v_cmp_eq_f64_e64 s[8:9], 0, v[17:18]
	v_mul_f64 v[37:38], v[17:18], v[13:14]
	v_mul_f64 v[13:14], v[13:14], 0.5
	v_fma_f64 v[39:40], -v[13:14], v[37:38], 0.5
	v_fma_f64 v[37:38], v[37:38], v[39:40], v[37:38]
	v_fma_f64 v[13:14], v[13:14], v[39:40], v[13:14]
	v_fma_f64 v[39:40], -v[37:38], v[37:38], v[17:18]
	v_fma_f64 v[13:14], v[39:40], v[13:14], v[37:38]
	v_cndmask_b32_e64 v14, v14, v18, s[8:9]
	v_cndmask_b32_e64 v13, v13, v17, s[8:9]
	v_add_f64 v[37:38], v[13:14], v[13:14]
	v_mul_f64 v[39:40], v[13:14], v[13:14]
	v_rcp_f64_e32 v[41:42], v[37:38]
	v_add_f64 v[43:44], v[17:18], -v[39:40]
	v_fma_f64 v[49:50], v[13:14], v[13:14], -v[39:40]
	v_add_f64 v[17:18], v[17:18], -v[43:44]
	v_fma_f64 v[45:46], -v[37:38], v[41:42], 1.0
	v_add_f64 v[17:18], v[17:18], -v[39:40]
	v_fma_f64 v[39:40], v[45:46], v[41:42], v[41:42]
	v_add_f64 v[17:18], v[17:18], -v[49:50]
	v_fma_f64 v[41:42], -v[37:38], v[39:40], 1.0
	v_add_f64 v[17:18], v[43:44], v[17:18]
	v_fma_f64 v[39:40], v[41:42], v[39:40], v[39:40]
	v_mul_f64 v[41:42], v[17:18], v[39:40]
	v_fma_f64 v[17:18], -v[37:38], v[41:42], v[17:18]
	v_fma_f64 v[17:18], v[17:18], v[39:40], v[41:42]
	v_cndmask_b32_e64 v18, v18, 0, s[8:9]
	v_cndmask_b32_e64 v17, v17, 0, s[8:9]
	v_add_f64 v[37:38], v[13:14], v[17:18]
	v_cmp_neq_f64_e64 s[8:9], 1.0, v[47:48]
	v_add_f64 v[13:14], v[37:38], -v[13:14]
	v_add_f64 v[13:14], v[17:18], -v[13:14]
	v_fma_f64 v[13:14], v[37:38], v[19:20], v[13:14]
	v_add_f64 v[13:14], v[37:38], v[13:14]
	v_add_f64 v[13:14], v[13:14], v[13:14]
	v_cndmask_b32_e64 v14, 0, v14, s[8:9]
	v_cndmask_b32_e64 v13, 0, v13, s[8:9]
.LBB42_165:                             ;   in Loop: Header=BB42_5 Depth=1
	s_or_b64 exec, exec, s[76:77]
                                        ; implicit-def: $vgpr47_vgpr48
.LBB42_166:                             ;   in Loop: Header=BB42_5 Depth=1
	s_andn2_saveexec_b64 s[74:75], s[74:75]
	s_cbranch_execz .LBB42_170
; %bb.167:                              ;   in Loop: Header=BB42_5 Depth=1
	v_fma_f64 v[17:18], |v[47:48]|, -0.5, 0.5
	v_mul_f64 v[13:14], v[47:48], v[47:48]
	v_cmp_ge_f64_e64 s[8:9], |v[47:48]|, 0.5
	s_mov_b32 s76, 0x9fea6a70
	s_mov_b32 s77, 0x3fa05985
	v_cndmask_b32_e64 v14, v14, v18, s[8:9]
	v_cndmask_b32_e64 v13, v13, v17, s[8:9]
	v_fma_f64 v[19:20], v[13:14], s[76:77], v[27:28]
	s_mov_b32 s76, 0x37024d6a
	s_mov_b32 s77, 0x3f940521
	v_fma_f64 v[19:20], v[13:14], v[19:20], s[76:77]
	s_mov_b32 s76, 0x98a70509
	s_mov_b32 s77, 0x3f7ab3a0
	;; [unrolled: 3-line block ×11, first 2 shown]
	v_mul_f64 v[19:20], v[13:14], v[19:20]
	v_fma_f64 v[13:14], -v[47:48], v[19:20], -v[47:48]
	v_fma_f64 v[13:14], s[76:77], v[29:30], -v[13:14]
	s_and_saveexec_b64 s[76:77], s[8:9]
	s_cbranch_execz .LBB42_169
; %bb.168:                              ;   in Loop: Header=BB42_5 Depth=1
	v_rsq_f64_e32 v[13:14], v[17:18]
	v_cmp_eq_f64_e64 s[8:9], 0, v[17:18]
	v_readlane_b32 s78, v83, 2
	v_readlane_b32 s79, v83, 3
	s_mov_b32 s29, s79
	v_writelane_b32 v83, s28, 2
	v_writelane_b32 v83, s29, 3
	v_mul_f64 v[37:38], v[17:18], v[13:14]
	v_mul_f64 v[13:14], v[13:14], 0.5
	v_fma_f64 v[39:40], -v[13:14], v[37:38], 0.5
	v_fma_f64 v[37:38], v[37:38], v[39:40], v[37:38]
	v_fma_f64 v[13:14], v[13:14], v[39:40], v[13:14]
	v_fma_f64 v[39:40], -v[37:38], v[37:38], v[17:18]
	v_fma_f64 v[13:14], v[39:40], v[13:14], v[37:38]
	v_cndmask_b32_e64 v14, v14, v18, s[8:9]
	v_cndmask_b32_e64 v13, v13, v17, s[8:9]
	v_add_f64 v[37:38], v[13:14], v[13:14]
	v_mul_f64 v[39:40], v[13:14], v[13:14]
	v_rcp_f64_e32 v[41:42], v[37:38]
	v_add_f64 v[43:44], v[17:18], -v[39:40]
	v_fma_f64 v[49:50], v[13:14], v[13:14], -v[39:40]
	v_add_f64 v[17:18], v[17:18], -v[43:44]
	v_fma_f64 v[45:46], -v[37:38], v[41:42], 1.0
	v_add_f64 v[17:18], v[17:18], -v[39:40]
	v_fma_f64 v[39:40], v[45:46], v[41:42], v[41:42]
	v_add_f64 v[17:18], v[17:18], -v[49:50]
	v_fma_f64 v[41:42], -v[37:38], v[39:40], 1.0
	v_add_f64 v[17:18], v[43:44], v[17:18]
	v_fma_f64 v[39:40], v[41:42], v[39:40], v[39:40]
	v_mul_f64 v[41:42], v[17:18], v[39:40]
	v_fma_f64 v[17:18], -v[37:38], v[41:42], v[17:18]
	v_fma_f64 v[17:18], v[17:18], v[39:40], v[41:42]
	v_cndmask_b32_e64 v18, v18, 0, s[8:9]
	v_cndmask_b32_e64 v17, v17, 0, s[8:9]
	v_add_f64 v[37:38], v[13:14], v[17:18]
	s_mov_b32 s8, 0x336a0500
	s_mov_b32 s9, 0x3fedd9ad
	;; [unrolled: 1-line block ×3, first 2 shown]
	v_add_f64 v[13:14], v[37:38], -v[13:14]
	v_add_f64 v[13:14], v[17:18], -v[13:14]
	v_fma_f64 v[17:18], v[37:38], v[19:20], v[37:38]
	v_fma_f64 v[13:14], v[37:38], v[19:20], v[13:14]
	v_mul_f64 v[17:18], v[17:18], -2.0
	v_add_f64 v[13:14], v[37:38], v[13:14]
	v_fma_f64 v[17:18], s[8:9], v[29:30], v[17:18]
	v_cmp_lt_f64_e64 s[8:9], 0, v[47:48]
	v_add_f64 v[13:14], v[13:14], v[13:14]
	v_cndmask_b32_e64 v13, v13, v17, s[8:9]
	v_cndmask_b32_e64 v14, v14, v18, s[8:9]
	v_cmp_neq_f64_e64 s[8:9], 1.0, v[47:48]
	v_cndmask_b32_e64 v14, v62, v14, s[8:9]
	v_cndmask_b32_e64 v13, v63, v13, s[8:9]
.LBB42_169:                             ;   in Loop: Header=BB42_5 Depth=1
	s_or_b64 exec, exec, s[76:77]
.LBB42_170:                             ;   in Loop: Header=BB42_5 Depth=1
	s_or_b64 exec, exec, s[74:75]
                                        ; implicit-def: $vgpr49_vgpr50
                                        ; implicit-def: $vgpr51_vgpr52
.LBB42_171:                             ;   in Loop: Header=BB42_5 Depth=1
	s_andn2_saveexec_b64 s[74:75], s[10:11]
	s_cbranch_execz .LBB42_177
; %bb.172:                              ;   in Loop: Header=BB42_5 Depth=1
	s_and_saveexec_b64 s[8:9], vcc
	s_xor_b64 s[76:77], exec, s[8:9]
	s_cbranch_execz .LBB42_174
; %bb.173:                              ;   in Loop: Header=BB42_5 Depth=1
	v_max_f64 v[13:14], |v[51:52]|, |v[51:52]|
	v_max_f64 v[17:18], v[49:50], v[49:50]
	s_mov_b32 s56, s70
	v_cmp_class_f64_e64 s[78:79], v[51:52], s86
	v_cmp_eq_f64_e64 s[10:11], s[66:67], v[49:50]
	v_max_f64 v[19:20], v[17:18], v[13:14]
	v_min_f64 v[13:14], v[17:18], v[13:14]
	v_div_scale_f64 v[17:18], s[8:9], v[19:20], v[19:20], v[13:14]
	s_mov_b32 s8, 0x69efb384
	s_mov_b32 s9, 0x3f4b2bb0
	v_rcp_f64_e32 v[37:38], v[17:18]
	v_fma_f64 v[39:40], -v[17:18], v[37:38], 1.0
	v_fma_f64 v[37:38], v[37:38], v[39:40], v[37:38]
	v_div_scale_f64 v[39:40], vcc, v[13:14], v[19:20], v[13:14]
	v_fma_f64 v[41:42], -v[17:18], v[37:38], 1.0
	v_fma_f64 v[37:38], v[37:38], v[41:42], v[37:38]
	v_mul_f64 v[41:42], v[39:40], v[37:38]
	v_fma_f64 v[17:18], -v[17:18], v[41:42], v[39:40]
	v_div_fmas_f64 v[17:18], v[17:18], v[37:38], v[41:42]
	v_cmp_lt_f64_e64 vcc, v[49:50], |v[51:52]|
	v_div_fixup_f64 v[13:14], v[17:18], v[19:20], v[13:14]
	v_mul_f64 v[17:18], v[13:14], v[13:14]
	v_fma_f64 v[19:20], v[17:18], s[80:81], v[31:32]
	v_fma_f64 v[19:20], v[17:18], v[19:20], s[8:9]
	s_mov_b32 s8, 0xaf56de9b
	s_mov_b32 s9, 0xbf67952d
	v_fma_f64 v[19:20], v[17:18], v[19:20], s[8:9]
	s_mov_b32 s8, 0xa595c56f
	s_mov_b32 s9, 0x3f7d6d43
	;; [unrolled: 3-line block ×6, first 2 shown]
	v_fma_f64 v[19:20], v[17:18], v[19:20], s[8:9]
	v_cmp_eq_f64_e64 s[8:9], 0, v[51:52]
	v_fma_f64 v[19:20], v[17:18], v[19:20], s[82:83]
	v_fma_f64 v[19:20], v[17:18], v[19:20], s[84:85]
	;; [unrolled: 1-line block ×11, first 2 shown]
	v_mul_f64 v[17:18], v[17:18], v[19:20]
	v_ashrrev_i32_e32 v19, 31, v50
	v_and_b32_e32 v37, 0x54442d18, v19
	v_and_b32_e32 v19, 0x400921fb, v19
	v_fma_f64 v[13:14], v[13:14], v[17:18], v[13:14]
	v_add_f64 v[17:18], -v[13:14], s[70:71]
	v_cndmask_b32_e32 v14, v14, v18, vcc
	v_cndmask_b32_e32 v13, v13, v17, vcc
	v_add_f64 v[17:18], -v[13:14], s[56:57]
	v_cmp_gt_i32_e32 vcc, 0, v50
	v_cndmask_b32_e32 v20, v63, v64, vcc
                                        ; implicit-def: $vgpr49_vgpr50
	v_cndmask_b32_e32 v13, v13, v17, vcc
	v_cndmask_b32_e32 v14, v14, v18, vcc
	;; [unrolled: 1-line block ×3, first 2 shown]
	v_cndmask_b32_e64 v13, v13, v37, s[8:9]
	v_cndmask_b32_e64 v14, v14, v19, s[8:9]
	s_and_b64 vcc, s[10:11], s[78:79]
	v_cndmask_b32_e32 v14, v14, v17, vcc
	v_cndmask_b32_e32 v13, v13, v20, vcc
	v_cmp_o_f64_e32 vcc, v[51:52], v[51:52]
	v_cndmask_b32_e32 v14, v61, v14, vcc
	v_cndmask_b32_e32 v13, 0, v13, vcc
	v_bfi_b32 v14, s91, v14, v52
                                        ; implicit-def: $vgpr51_vgpr52
.LBB42_174:                             ;   in Loop: Header=BB42_5 Depth=1
	s_andn2_saveexec_b64 s[76:77], s[76:77]
	s_cbranch_execz .LBB42_176
; %bb.175:                              ;   in Loop: Header=BB42_5 Depth=1
	v_max_f64 v[13:14], |v[51:52]|, |v[51:52]|
	v_max_f64 v[17:18], v[49:50], v[49:50]
	s_mov_b32 s56, s70
	v_cmp_class_f64_e64 s[78:79], v[51:52], s86
	v_cmp_eq_f64_e64 s[10:11], s[66:67], v[49:50]
	v_max_f64 v[19:20], v[17:18], v[13:14]
	v_min_f64 v[13:14], v[17:18], v[13:14]
	v_div_scale_f64 v[17:18], s[8:9], v[19:20], v[19:20], v[13:14]
	s_mov_b32 s8, 0x69efb384
	s_mov_b32 s9, 0x3f4b2bb0
	v_rcp_f64_e32 v[37:38], v[17:18]
	v_fma_f64 v[39:40], -v[17:18], v[37:38], 1.0
	v_fma_f64 v[37:38], v[37:38], v[39:40], v[37:38]
	v_div_scale_f64 v[39:40], vcc, v[13:14], v[19:20], v[13:14]
	v_fma_f64 v[41:42], -v[17:18], v[37:38], 1.0
	v_fma_f64 v[37:38], v[37:38], v[41:42], v[37:38]
	v_mul_f64 v[41:42], v[39:40], v[37:38]
	v_fma_f64 v[17:18], -v[17:18], v[41:42], v[39:40]
	v_div_fmas_f64 v[17:18], v[17:18], v[37:38], v[41:42]
	v_cmp_lt_f64_e64 vcc, v[49:50], |v[51:52]|
	v_div_fixup_f64 v[13:14], v[17:18], v[19:20], v[13:14]
	v_mul_f64 v[17:18], v[13:14], v[13:14]
	v_fma_f64 v[19:20], v[17:18], s[80:81], v[31:32]
	v_fma_f64 v[19:20], v[17:18], v[19:20], s[8:9]
	s_mov_b32 s8, 0xaf56de9b
	s_mov_b32 s9, 0xbf67952d
	v_fma_f64 v[19:20], v[17:18], v[19:20], s[8:9]
	s_mov_b32 s8, 0xa595c56f
	s_mov_b32 s9, 0x3f7d6d43
	;; [unrolled: 3-line block ×6, first 2 shown]
	v_fma_f64 v[19:20], v[17:18], v[19:20], s[8:9]
	v_cmp_eq_f64_e64 s[8:9], 0, v[51:52]
	v_fma_f64 v[19:20], v[17:18], v[19:20], s[82:83]
	v_fma_f64 v[19:20], v[17:18], v[19:20], s[84:85]
	;; [unrolled: 1-line block ×11, first 2 shown]
	v_mul_f64 v[17:18], v[17:18], v[19:20]
	v_xor_b32_e32 v19, 0x80000000, v50
	v_ashrrev_i32_e32 v20, 31, v19
	v_and_b32_e32 v37, 0x54442d18, v20
	v_and_b32_e32 v20, 0x400921fb, v20
	v_fma_f64 v[13:14], v[13:14], v[17:18], v[13:14]
	v_add_f64 v[17:18], -v[13:14], s[70:71]
	v_cndmask_b32_e32 v14, v14, v18, vcc
	v_cndmask_b32_e32 v13, v13, v17, vcc
	v_add_f64 v[17:18], -v[13:14], s[56:57]
	v_cmp_gt_i32_e32 vcc, 0, v19
	v_cndmask_b32_e32 v19, v63, v64, vcc
	v_cndmask_b32_e32 v13, v13, v17, vcc
	;; [unrolled: 1-line block ×4, first 2 shown]
	v_cndmask_b32_e64 v13, v13, v37, s[8:9]
	v_cndmask_b32_e64 v14, v14, v20, s[8:9]
	s_and_b64 vcc, s[10:11], s[78:79]
	v_cndmask_b32_e32 v14, v14, v17, vcc
	v_cndmask_b32_e32 v13, v13, v19, vcc
	v_cmp_o_f64_e32 vcc, v[51:52], v[51:52]
	v_cndmask_b32_e32 v14, v61, v14, vcc
	v_cndmask_b32_e32 v13, 0, v13, vcc
	v_bfi_b32 v14, s91, v14, v52
.LBB42_176:                             ;   in Loop: Header=BB42_5 Depth=1
	s_or_b64 exec, exec, s[76:77]
.LBB42_177:                             ;   in Loop: Header=BB42_5 Depth=1
	s_or_b64 exec, exec, s[74:75]
	v_xor_b32_e32 v17, 0x80000000, v16
	v_cndmask_b32_e64 v16, v17, v16, s[6:7]
                                        ; implicit-def: $vgpr17_vgpr18
.LBB42_178:                             ;   in Loop: Header=BB42_5 Depth=1
	s_andn2_saveexec_b64 s[8:9], s[72:73]
	s_cbranch_execz .LBB42_180
; %bb.179:                              ;   in Loop: Header=BB42_5 Depth=1
	s_waitcnt lgkmcnt(0)
	v_mov_b32_e32 v13, s18
	v_mov_b32_e32 v14, s19
	flat_load_dwordx2 v[13:14], v[13:14] glc
	s_waitcnt vmcnt(0) lgkmcnt(0)
	v_add_f64 v[13:14], v[13:14], -v[17:18]
	v_add_f64 v[13:14], v[13:14], s[70:71]
.LBB42_180:                             ;   in Loop: Header=BB42_5 Depth=1
	s_or_b64 exec, exec, s[8:9]
.LBB42_181:                             ;   in Loop: Header=BB42_5 Depth=1
	s_andn2_saveexec_b64 s[8:9], s[58:59]
	s_cbranch_execz .LBB42_183
; %bb.182:                              ;   in Loop: Header=BB42_5 Depth=1
	s_waitcnt lgkmcnt(0)
	v_mov_b32_e32 v13, 0
	v_mov_b32_e32 v14, 0
.LBB42_183:                             ;   in Loop: Header=BB42_5 Depth=1
	s_or_b64 exec, exec, s[8:9]
                                        ; implicit-def: $vgpr17_vgpr18
                                        ; implicit-def: $vgpr41_vgpr42
                                        ; implicit-def: $vgpr39_vgpr40
                                        ; implicit-def: $vgpr37_vgpr38
.LBB42_184:                             ;   in Loop: Header=BB42_5 Depth=1
	s_andn2_saveexec_b64 s[26:27], s[26:27]
	s_cbranch_execz .LBB42_194
; %bb.185:                              ;   in Loop: Header=BB42_5 Depth=1
	v_cmp_lt_f64_e64 s[8:9], |v[17:18]|, |v[19:20]|
	v_and_b32_e32 v45, 0x7fffffff, v18
	v_and_b32_e32 v46, 0x7fffffff, v20
	s_mov_b32 s10, -1
	s_mov_b32 s11, 0x7fdfffff
                                        ; implicit-def: $sgpr58_sgpr59
                                        ; implicit-def: $vgpr43_vgpr44
                                        ; implicit-def: $vgpr15_vgpr16
	v_cndmask_b32_e64 v14, v45, v46, s[8:9]
	s_waitcnt lgkmcnt(0)
	v_cndmask_b32_e64 v13, v17, v19, s[8:9]
	v_cmp_nlt_f64_e32 vcc, s[10:11], v[13:14]
	s_and_saveexec_b64 s[10:11], vcc
	s_xor_b64 s[72:73], exec, s[10:11]
	s_cbranch_execz .LBB42_191
; %bb.186:                              ;   in Loop: Header=BB42_5 Depth=1
	s_mov_b32 s10, 0
	s_mov_b32 s11, 0x20200000
	v_cmp_nlt_f64_e32 vcc, s[10:11], v[13:14]
	s_mov_b32 s10, 0
	v_cndmask_b32_e64 v46, v46, v45, s[8:9]
	v_cndmask_b32_e64 v45, v19, v17, s[8:9]
	s_brev_b32 s11, 4
	v_cmp_ngt_f64_e64 s[10:11], s[10:11], v[45:46]
                                        ; implicit-def: $sgpr58_sgpr59
                                        ; implicit-def: $vgpr43_vgpr44
                                        ; implicit-def: $vgpr15_vgpr16
	s_and_b64 s[10:11], vcc, s[10:11]
	s_and_saveexec_b64 s[74:75], s[10:11]
	s_xor_b64 s[74:75], exec, s[74:75]
	s_cbranch_execz .LBB42_188
; %bb.187:                              ;   in Loop: Header=BB42_5 Depth=1
	v_mul_f64 v[15:16], v[45:46], v[45:46]
	v_min_f64 v[39:40], v[41:42], v[39:40]
	s_mov_b32 s29, s69
	v_fma_f64 v[13:14], v[13:14], v[13:14], v[15:16]
	v_frexp_mant_f64_e32 v[15:16], v[13:14]
	v_cmp_gt_f64_e64 s[10:11], s[68:69], v[15:16]
	v_cndmask_b32_e64 v43, 0, 1, s[10:11]
	v_ldexp_f64 v[15:16], v[15:16], v43
	v_add_f64 v[43:44], v[15:16], 1.0
	v_add_f64 v[49:50], v[15:16], -1.0
	v_rcp_f64_e32 v[45:46], v[43:44]
	v_add_f64 v[51:52], v[43:44], -1.0
	v_add_f64 v[15:16], v[15:16], -v[51:52]
	v_fma_f64 v[47:48], -v[43:44], v[45:46], 1.0
	v_fma_f64 v[45:46], v[47:48], v[45:46], v[45:46]
	v_fma_f64 v[47:48], -v[43:44], v[45:46], 1.0
	v_fma_f64 v[45:46], v[47:48], v[45:46], v[45:46]
	v_mul_f64 v[47:48], v[49:50], v[45:46]
	v_mul_f64 v[67:68], v[43:44], v[47:48]
	v_fma_f64 v[41:42], v[47:48], v[43:44], -v[67:68]
	v_div_scale_f64 v[43:44], s[58:59], v[37:38], v[37:38], v[39:40]
	s_mov_b32 s58, 0x69efb384
	s_mov_b32 s59, 0x3f4b2bb0
	v_fma_f64 v[15:16], v[47:48], v[15:16], v[41:42]
	v_add_f64 v[41:42], v[67:68], v[15:16]
	v_rcp_f64_e32 v[51:52], v[43:44]
	v_add_f64 v[69:70], v[49:50], -v[41:42]
	v_add_f64 v[67:68], v[41:42], -v[67:68]
	;; [unrolled: 1-line block ×3, first 2 shown]
	v_fma_f64 v[71:72], -v[43:44], v[51:52], 1.0
	v_add_f64 v[15:16], v[67:68], -v[15:16]
	v_frexp_exp_i32_f64_e32 v67, v[13:14]
	v_add_f64 v[41:42], v[49:50], -v[41:42]
	v_fma_f64 v[49:50], v[51:52], v[71:72], v[51:52]
	v_add_f64 v[15:16], v[15:16], v[41:42]
	v_div_scale_f64 v[41:42], vcc, v[39:40], v[37:38], v[39:40]
	v_fma_f64 v[51:52], -v[43:44], v[49:50], 1.0
	v_add_f64 v[15:16], v[69:70], v[15:16]
	v_fma_f64 v[49:50], v[49:50], v[51:52], v[49:50]
	v_mul_f64 v[15:16], v[45:46], v[15:16]
	v_mul_f64 v[45:46], v[41:42], v[49:50]
	v_add_f64 v[51:52], v[47:48], v[15:16]
	v_fma_f64 v[41:42], -v[43:44], v[45:46], v[41:42]
	v_mul_f64 v[43:44], v[51:52], v[51:52]
	v_add_f64 v[47:48], v[51:52], -v[47:48]
	v_div_fmas_f64 v[41:42], v[41:42], v[49:50], v[45:46]
	v_fma_f64 v[45:46], v[43:44], s[30:31], v[25:26]
	v_mul_f64 v[49:50], v[51:52], v[43:44]
	v_add_f64 v[15:16], v[15:16], -v[47:48]
	v_fma_f64 v[45:46], v[43:44], v[45:46], s[34:35]
	v_ldexp_f64 v[15:16], v[15:16], 1
	v_div_fixup_f64 v[37:38], v[41:42], v[37:38], v[39:40]
	v_fma_f64 v[39:40], v[43:44], v[45:46], s[36:37]
	v_mul_f64 v[41:42], v[37:38], v[37:38]
	v_fma_f64 v[39:40], v[43:44], v[39:40], s[38:39]
	v_fma_f64 v[45:46], v[41:42], s[80:81], v[31:32]
	;; [unrolled: 1-line block ×4, first 2 shown]
	s_mov_b32 s58, 0xaf56de9b
	s_mov_b32 s59, 0xbf67952d
	v_fma_f64 v[39:40], v[43:44], v[39:40], s[28:29]
	v_fma_f64 v[43:44], v[41:42], v[45:46], s[58:59]
	v_ldexp_f64 v[45:46], v[51:52], 1
	s_mov_b32 s58, 0xa595c56f
	s_mov_b32 s59, 0x3f7d6d43
	v_subbrev_co_u32_e64 v51, vcc, 0, v67, s[10:11]
	v_mul_f64 v[39:40], v[49:50], v[39:40]
	s_mov_b32 s10, 0xa57d9582
	v_fma_f64 v[43:44], v[41:42], v[43:44], s[58:59]
	s_mov_b32 s11, 0xbf8c6ea4
	v_cvt_f64_i32_e32 v[51:52], v51
	v_cmp_class_f64_e64 vcc, v[13:14], s86
	v_cmp_class_f64_e64 s[58:59], v[17:18], s86
	v_add_f64 v[49:50], v[45:46], v[39:40]
	v_mul_f64 v[67:68], v[51:52], s[42:43]
	v_fma_f64 v[43:44], v[41:42], v[43:44], s[10:11]
	s_mov_b32 s10, 0x5f08b19f
	s_mov_b32 s11, 0x3f967e29
	v_add_f64 v[45:46], v[49:50], -v[45:46]
	v_fma_f64 v[47:48], v[51:52], s[42:43], -v[67:68]
	v_fma_f64 v[43:44], v[41:42], v[43:44], s[10:11]
	s_mov_b32 s10, 0xfc27006a
	s_mov_b32 s11, 0xbf9e9ae6
	v_add_f64 v[39:40], v[39:40], -v[45:46]
	v_fma_f64 v[45:46], v[51:52], s[44:45], v[47:48]
	v_fma_f64 v[43:44], v[41:42], v[43:44], s[10:11]
	s_mov_b32 s10, 0x5711927a
	s_mov_b32 s11, 0x3fa2c15b
	v_add_f64 v[15:16], v[15:16], v[39:40]
	v_fma_f64 v[39:40], v[41:42], v[43:44], s[10:11]
	v_add_f64 v[43:44], v[67:68], v[45:46]
	v_cmp_class_f64_e64 s[10:11], v[19:20], s86
	v_add_f64 v[47:48], v[49:50], v[15:16]
	v_fma_f64 v[39:40], v[41:42], v[39:40], s[82:83]
	v_add_f64 v[67:68], v[43:44], -v[67:68]
	s_and_b64 s[58:59], s[58:59], s[10:11]
	v_add_f64 v[51:52], v[43:44], v[47:48]
	v_add_f64 v[49:50], v[47:48], -v[49:50]
	v_fma_f64 v[39:40], v[41:42], v[39:40], s[84:85]
	v_add_f64 v[45:46], v[45:46], -v[67:68]
	v_add_f64 v[69:70], v[51:52], -v[43:44]
	;; [unrolled: 1-line block ×3, first 2 shown]
	v_fma_f64 v[39:40], v[41:42], v[39:40], s[92:93]
	v_add_f64 v[71:72], v[51:52], -v[69:70]
	v_add_f64 v[47:48], v[47:48], -v[69:70]
	v_fma_f64 v[39:40], v[41:42], v[39:40], s[94:95]
	v_add_f64 v[49:50], v[45:46], v[15:16]
	v_add_f64 v[43:44], v[43:44], -v[71:72]
	v_fma_f64 v[39:40], v[41:42], v[39:40], s[96:97]
	v_add_f64 v[43:44], v[47:48], v[43:44]
	v_add_f64 v[47:48], v[49:50], -v[45:46]
	v_fma_f64 v[39:40], v[41:42], v[39:40], s[98:99]
	v_add_f64 v[43:44], v[49:50], v[43:44]
	v_add_f64 v[49:50], v[49:50], -v[47:48]
	v_fma_f64 v[39:40], v[41:42], v[39:40], s[46:47]
	v_add_f64 v[15:16], v[15:16], -v[47:48]
	v_add_f64 v[67:68], v[51:52], v[43:44]
	v_add_f64 v[45:46], v[45:46], -v[49:50]
	v_fma_f64 v[39:40], v[41:42], v[39:40], s[48:49]
	v_add_f64 v[47:48], v[67:68], -v[51:52]
	v_add_f64 v[15:16], v[15:16], v[45:46]
	v_fma_f64 v[39:40], v[41:42], v[39:40], s[50:51]
	v_add_f64 v[43:44], v[43:44], -v[47:48]
	v_fma_f64 v[39:40], v[41:42], v[39:40], s[52:53]
	v_add_f64 v[15:16], v[15:16], v[43:44]
	v_fma_f64 v[39:40], v[41:42], v[39:40], s[54:55]
	v_add_f64 v[15:16], v[67:68], v[15:16]
	v_mul_f64 v[39:40], v[41:42], v[39:40]
	v_cndmask_b32_e32 v16, v16, v14, vcc
	v_cndmask_b32_e32 v15, v15, v13, vcc
	v_mul_f64 v[41:42], v[15:16], 0.5
	v_cmp_neq_f64_e32 vcc, 0, v[13:14]
	v_fma_f64 v[15:16], v[37:38], v[39:40], v[37:38]
                                        ; implicit-def: $vgpr37_vgpr38
                                        ; implicit-def: $vgpr39_vgpr40
	v_cndmask_b32_e32 v44, v60, v42, vcc
	v_cndmask_b32_e32 v43, 0, v41, vcc
                                        ; implicit-def: $vgpr41_vgpr42
.LBB42_188:                             ;   in Loop: Header=BB42_5 Depth=1
	s_andn2_saveexec_b64 s[74:75], s[74:75]
	s_cbranch_execz .LBB42_190
; %bb.189:                              ;   in Loop: Header=BB42_5 Depth=1
	v_frexp_exp_i32_f64_e32 v47, v[37:38]
	v_cmp_class_f64_e64 s[76:77], v[17:18], s86
	v_cmp_class_f64_e64 s[78:79], v[19:20], s86
	v_min_f64 v[39:40], v[41:42], v[39:40]
	s_mov_b32 s29, s69
	v_sub_u32_e32 v15, 0, v47
	v_ldexp_f64 v[13:14], |v[19:20]|, v15
	v_ldexp_f64 v[15:16], |v[17:18]|, v15
	v_div_scale_f64 v[67:68], s[80:81], v[37:38], v[37:38], v[39:40]
	s_mov_b32 s80, 0xb5e68a13
	s_mov_b32 s81, 0x3eeba404
	v_mul_f64 v[13:14], v[13:14], v[13:14]
	v_fma_f64 v[13:14], v[15:16], v[15:16], v[13:14]
	v_rsq_f64_e32 v[15:16], v[13:14]
	v_cmp_eq_f64_e32 vcc, 0, v[13:14]
	v_mul_f64 v[43:44], v[13:14], v[15:16]
	v_mul_f64 v[15:16], v[15:16], 0.5
	v_fma_f64 v[45:46], -v[15:16], v[43:44], 0.5
	v_fma_f64 v[43:44], v[43:44], v[45:46], v[43:44]
	v_fma_f64 v[15:16], v[15:16], v[45:46], v[15:16]
	v_fma_f64 v[45:46], -v[43:44], v[43:44], v[13:14]
	v_fma_f64 v[15:16], v[45:46], v[15:16], v[43:44]
	v_cndmask_b32_e32 v14, v16, v14, vcc
	v_cndmask_b32_e32 v13, v15, v13, vcc
	v_ldexp_f64 v[13:14], v[13:14], v47
	s_or_b64 vcc, s[76:77], s[78:79]
	v_cndmask_b32_e32 v14, v14, v56, vcc
	v_cndmask_b32_e64 v13, v13, 0, vcc
	v_frexp_mant_f64_e32 v[15:16], v[13:14]
	v_cmp_gt_f64_e64 s[10:11], s[68:69], v[15:16]
	v_cndmask_b32_e64 v43, 0, 1, s[10:11]
	v_ldexp_f64 v[15:16], v[15:16], v43
	v_add_f64 v[43:44], v[15:16], 1.0
	v_add_f64 v[49:50], v[15:16], -1.0
	v_rcp_f64_e32 v[45:46], v[43:44]
	v_add_f64 v[41:42], v[43:44], -1.0
	v_add_f64 v[15:16], v[15:16], -v[41:42]
	v_fma_f64 v[47:48], -v[43:44], v[45:46], 1.0
	v_fma_f64 v[45:46], v[47:48], v[45:46], v[45:46]
	v_fma_f64 v[47:48], -v[43:44], v[45:46], 1.0
	v_fma_f64 v[45:46], v[47:48], v[45:46], v[45:46]
	v_mul_f64 v[47:48], v[49:50], v[45:46]
	v_mul_f64 v[51:52], v[43:44], v[47:48]
	v_fma_f64 v[41:42], v[47:48], v[43:44], -v[51:52]
	v_fma_f64 v[15:16], v[47:48], v[15:16], v[41:42]
	v_rcp_f64_e32 v[41:42], v[67:68]
	v_add_f64 v[43:44], v[51:52], v[15:16]
	v_add_f64 v[69:70], v[49:50], -v[43:44]
	v_fma_f64 v[71:72], -v[67:68], v[41:42], 1.0
	v_add_f64 v[51:52], v[43:44], -v[51:52]
	v_add_f64 v[49:50], v[49:50], -v[69:70]
	v_fma_f64 v[41:42], v[41:42], v[71:72], v[41:42]
	v_add_f64 v[15:16], v[51:52], -v[15:16]
	v_add_f64 v[43:44], v[49:50], -v[43:44]
	v_div_scale_f64 v[49:50], vcc, v[39:40], v[37:38], v[39:40]
	v_fma_f64 v[51:52], -v[67:68], v[41:42], 1.0
	v_add_f64 v[15:16], v[15:16], v[43:44]
	v_fma_f64 v[41:42], v[41:42], v[51:52], v[41:42]
	v_add_f64 v[15:16], v[69:70], v[15:16]
	v_mul_f64 v[43:44], v[49:50], v[41:42]
	v_mul_f64 v[15:16], v[45:46], v[15:16]
	v_fma_f64 v[45:46], -v[67:68], v[43:44], v[49:50]
	v_add_f64 v[49:50], v[47:48], v[15:16]
	v_div_fmas_f64 v[41:42], v[45:46], v[41:42], v[43:44]
	s_mov_b32 vcc_lo, 0x69efb384
	s_mov_b32 vcc_hi, 0x3f4b2bb0
	v_mul_f64 v[43:44], v[49:50], v[49:50]
	v_add_f64 v[47:48], v[49:50], -v[47:48]
	v_fma_f64 v[45:46], v[43:44], s[30:31], v[25:26]
	v_mul_f64 v[51:52], v[49:50], v[43:44]
	v_add_f64 v[15:16], v[15:16], -v[47:48]
	v_div_fixup_f64 v[37:38], v[41:42], v[37:38], v[39:40]
	v_fma_f64 v[39:40], v[43:44], v[45:46], s[34:35]
	v_ldexp_f64 v[15:16], v[15:16], 1
	v_mul_f64 v[41:42], v[37:38], v[37:38]
	v_fma_f64 v[39:40], v[43:44], v[39:40], s[36:37]
	v_fma_f64 v[45:46], v[41:42], s[80:81], v[31:32]
	;; [unrolled: 1-line block ×3, first 2 shown]
	v_fma_f64 v[45:46], v[41:42], v[45:46], vcc
	s_mov_b32 vcc_lo, 0xaf56de9b
	s_mov_b32 vcc_hi, 0xbf67952d
	v_fma_f64 v[39:40], v[43:44], v[39:40], s[40:41]
	v_fma_f64 v[45:46], v[41:42], v[45:46], vcc
	s_mov_b32 vcc_lo, 0xa595c56f
	s_mov_b32 vcc_hi, 0x3f7d6d43
	v_fma_f64 v[39:40], v[43:44], v[39:40], s[28:29]
	v_fma_f64 v[43:44], v[41:42], v[45:46], vcc
	v_ldexp_f64 v[45:46], v[49:50], 1
	s_mov_b32 vcc_lo, 0xa57d9582
	s_mov_b32 vcc_hi, 0xbf8c6ea4
	v_mul_f64 v[39:40], v[51:52], v[39:40]
	v_frexp_exp_i32_f64_e32 v51, v[13:14]
	v_fma_f64 v[43:44], v[41:42], v[43:44], vcc
	v_add_f64 v[49:50], v[45:46], v[39:40]
	v_subbrev_co_u32_e64 v51, vcc, 0, v51, s[10:11]
	v_cvt_f64_i32_e32 v[51:52], v51
	s_mov_b32 s10, 0x5f08b19f
	s_mov_b32 s11, 0x3f967e29
	v_fma_f64 v[43:44], v[41:42], v[43:44], s[10:11]
	v_mul_f64 v[67:68], v[51:52], s[42:43]
	v_add_f64 v[45:46], v[49:50], -v[45:46]
	s_mov_b32 s10, 0xfc27006a
	s_mov_b32 s11, 0xbf9e9ae6
	v_cmp_class_f64_e64 vcc, v[13:14], s86
	v_fma_f64 v[43:44], v[41:42], v[43:44], s[10:11]
	v_fma_f64 v[47:48], v[51:52], s[42:43], -v[67:68]
	v_add_f64 v[39:40], v[39:40], -v[45:46]
	s_mov_b32 s10, 0x5711927a
	s_mov_b32 s11, 0x3fa2c15b
	v_fma_f64 v[43:44], v[41:42], v[43:44], s[10:11]
	v_fma_f64 v[45:46], v[51:52], s[44:45], v[47:48]
	v_add_f64 v[15:16], v[15:16], v[39:40]
	s_andn2_b64 s[10:11], s[58:59], exec
	s_and_b64 s[58:59], s[76:77], s[78:79]
	s_and_b64 s[58:59], s[58:59], exec
	s_or_b64 s[58:59], s[10:11], s[58:59]
	v_fma_f64 v[39:40], v[41:42], v[43:44], s[82:83]
	v_add_f64 v[43:44], v[67:68], v[45:46]
	v_add_f64 v[47:48], v[49:50], v[15:16]
	v_fma_f64 v[39:40], v[41:42], v[39:40], s[84:85]
	v_add_f64 v[67:68], v[43:44], -v[67:68]
	v_add_f64 v[51:52], v[43:44], v[47:48]
	v_add_f64 v[49:50], v[47:48], -v[49:50]
	v_fma_f64 v[39:40], v[41:42], v[39:40], s[92:93]
	v_add_f64 v[45:46], v[45:46], -v[67:68]
	v_add_f64 v[69:70], v[51:52], -v[43:44]
	v_add_f64 v[15:16], v[15:16], -v[49:50]
	v_fma_f64 v[39:40], v[41:42], v[39:40], s[94:95]
	v_add_f64 v[71:72], v[51:52], -v[69:70]
	v_add_f64 v[47:48], v[47:48], -v[69:70]
	v_add_f64 v[49:50], v[45:46], v[15:16]
	v_fma_f64 v[39:40], v[41:42], v[39:40], s[96:97]
	v_add_f64 v[43:44], v[43:44], -v[71:72]
	v_fma_f64 v[39:40], v[41:42], v[39:40], s[98:99]
	v_add_f64 v[43:44], v[47:48], v[43:44]
	v_add_f64 v[47:48], v[49:50], -v[45:46]
	v_fma_f64 v[39:40], v[41:42], v[39:40], s[46:47]
	v_add_f64 v[43:44], v[49:50], v[43:44]
	v_add_f64 v[49:50], v[49:50], -v[47:48]
	v_add_f64 v[15:16], v[15:16], -v[47:48]
	v_fma_f64 v[39:40], v[41:42], v[39:40], s[48:49]
	v_add_f64 v[67:68], v[51:52], v[43:44]
	v_add_f64 v[45:46], v[45:46], -v[49:50]
	v_fma_f64 v[39:40], v[41:42], v[39:40], s[50:51]
	v_add_f64 v[47:48], v[67:68], -v[51:52]
	v_add_f64 v[15:16], v[15:16], v[45:46]
	v_fma_f64 v[39:40], v[41:42], v[39:40], s[52:53]
	v_add_f64 v[43:44], v[43:44], -v[47:48]
	v_fma_f64 v[39:40], v[41:42], v[39:40], s[54:55]
	v_add_f64 v[15:16], v[15:16], v[43:44]
	v_mul_f64 v[39:40], v[41:42], v[39:40]
	v_add_f64 v[41:42], v[67:68], v[15:16]
	v_fma_f64 v[15:16], v[37:38], v[39:40], v[37:38]
	v_cndmask_b32_e32 v37, v41, v13, vcc
	v_cndmask_b32_e32 v38, v42, v14, vcc
	v_cmp_ngt_f64_e32 vcc, 0, v[13:14]
	v_cndmask_b32_e32 v38, v61, v38, vcc
	v_cmp_nge_f64_e32 vcc, 0, v[13:14]
	v_cndmask_b32_e32 v43, 0, v37, vcc
	v_cmp_neq_f64_e32 vcc, 0, v[13:14]
	v_cndmask_b32_e32 v44, v60, v38, vcc
.LBB42_190:                             ;   in Loop: Header=BB42_5 Depth=1
	s_or_b64 exec, exec, s[74:75]
                                        ; implicit-def: $vgpr41_vgpr42
                                        ; implicit-def: $vgpr39_vgpr40
                                        ; implicit-def: $vgpr37_vgpr38
.LBB42_191:                             ;   in Loop: Header=BB42_5 Depth=1
	s_andn2_saveexec_b64 s[72:73], s[72:73]
	s_cbranch_execz .LBB42_193
; %bb.192:                              ;   in Loop: Header=BB42_5 Depth=1
	v_div_scale_f64 v[13:14], s[10:11], s[60:61], s[60:61], v[17:18]
	v_div_scale_f64 v[15:16], s[10:11], s[60:61], s[60:61], v[19:20]
	;; [unrolled: 1-line block ×3, first 2 shown]
	v_min_f64 v[39:40], v[41:42], v[39:40]
	s_mov_b32 s29, s69
	s_andn2_b64 s[58:59], s[58:59], exec
	v_rcp_f64_e32 v[43:44], v[13:14]
	v_rcp_f64_e32 v[45:46], v[15:16]
	v_fma_f64 v[47:48], -v[13:14], v[43:44], 1.0
	v_fma_f64 v[49:50], -v[15:16], v[45:46], 1.0
	v_fma_f64 v[43:44], v[43:44], v[47:48], v[43:44]
	v_div_scale_f64 v[47:48], vcc, v[17:18], s[60:61], v[17:18]
	v_fma_f64 v[45:46], v[45:46], v[49:50], v[45:46]
	v_fma_f64 v[49:50], -v[13:14], v[43:44], 1.0
	v_fma_f64 v[67:68], -v[15:16], v[45:46], 1.0
	v_fma_f64 v[43:44], v[43:44], v[49:50], v[43:44]
	v_fma_f64 v[45:46], v[45:46], v[67:68], v[45:46]
	v_mul_f64 v[49:50], v[47:48], v[43:44]
	v_mul_f64 v[67:68], v[51:52], v[45:46]
	v_fma_f64 v[13:14], -v[13:14], v[49:50], v[47:48]
	v_fma_f64 v[15:16], -v[15:16], v[67:68], v[51:52]
	v_div_fmas_f64 v[13:14], v[13:14], v[43:44], v[49:50]
	s_mov_b64 vcc, s[10:11]
	v_div_fmas_f64 v[15:16], v[15:16], v[45:46], v[67:68]
	v_div_fixup_f64 v[13:14], v[13:14], s[60:61], v[17:18]
	v_div_fixup_f64 v[15:16], v[15:16], s[60:61], v[19:20]
	v_cmp_class_f64_e64 s[10:11], v[13:14], s86
	v_max_f64 v[43:44], |v[13:14]|, |v[15:16]|
	v_cmp_class_f64_e64 s[74:75], v[15:16], s86
	v_frexp_exp_i32_f64_e32 v51, v[43:44]
	v_sub_u32_e32 v45, 0, v51
	v_ldexp_f64 v[43:44], |v[15:16]|, v45
	v_ldexp_f64 v[45:46], |v[13:14]|, v45
	v_mul_f64 v[43:44], v[43:44], v[43:44]
	v_fma_f64 v[43:44], v[45:46], v[45:46], v[43:44]
	v_rsq_f64_e32 v[45:46], v[43:44]
	v_cmp_eq_f64_e32 vcc, 0, v[43:44]
	v_mul_f64 v[47:48], v[43:44], v[45:46]
	v_mul_f64 v[45:46], v[45:46], 0.5
	v_fma_f64 v[49:50], -v[45:46], v[47:48], 0.5
	v_fma_f64 v[47:48], v[47:48], v[49:50], v[47:48]
	v_fma_f64 v[45:46], v[45:46], v[49:50], v[45:46]
	v_fma_f64 v[49:50], -v[47:48], v[47:48], v[43:44]
	v_fma_f64 v[45:46], v[49:50], v[45:46], v[47:48]
	v_cndmask_b32_e32 v14, v46, v44, vcc
	v_cndmask_b32_e32 v13, v45, v43, vcc
	v_ldexp_f64 v[13:14], v[13:14], v51
	s_or_b64 vcc, s[10:11], s[74:75]
	v_cndmask_b32_e32 v14, v14, v56, vcc
	v_cndmask_b32_e64 v13, v13, 0, vcc
	v_frexp_mant_f64_e32 v[15:16], v[13:14]
	v_cmp_gt_f64_e64 s[10:11], s[68:69], v[15:16]
	v_cndmask_b32_e64 v43, 0, 1, s[10:11]
	v_ldexp_f64 v[15:16], v[15:16], v43
	v_add_f64 v[43:44], v[15:16], 1.0
	v_add_f64 v[49:50], v[15:16], -1.0
	v_rcp_f64_e32 v[45:46], v[43:44]
	v_add_f64 v[51:52], v[43:44], -1.0
	v_add_f64 v[15:16], v[15:16], -v[51:52]
	v_fma_f64 v[47:48], -v[43:44], v[45:46], 1.0
	v_fma_f64 v[45:46], v[47:48], v[45:46], v[45:46]
	v_fma_f64 v[47:48], -v[43:44], v[45:46], 1.0
	v_fma_f64 v[45:46], v[47:48], v[45:46], v[45:46]
	v_mul_f64 v[47:48], v[49:50], v[45:46]
	v_mul_f64 v[67:68], v[43:44], v[47:48]
	v_fma_f64 v[41:42], v[47:48], v[43:44], -v[67:68]
	v_div_scale_f64 v[43:44], s[74:75], v[37:38], v[37:38], v[39:40]
	s_mov_b32 s74, 0x69efb384
	s_mov_b32 s75, 0x3f4b2bb0
	v_fma_f64 v[15:16], v[47:48], v[15:16], v[41:42]
	v_add_f64 v[41:42], v[67:68], v[15:16]
	v_rcp_f64_e32 v[51:52], v[43:44]
	v_add_f64 v[69:70], v[49:50], -v[41:42]
	v_add_f64 v[67:68], v[41:42], -v[67:68]
	;; [unrolled: 1-line block ×3, first 2 shown]
	v_fma_f64 v[71:72], -v[43:44], v[51:52], 1.0
	v_add_f64 v[15:16], v[67:68], -v[15:16]
	v_frexp_exp_i32_f64_e32 v67, v[13:14]
	v_add_f64 v[41:42], v[49:50], -v[41:42]
	v_fma_f64 v[49:50], v[51:52], v[71:72], v[51:52]
	v_add_f64 v[15:16], v[15:16], v[41:42]
	v_div_scale_f64 v[41:42], vcc, v[39:40], v[37:38], v[39:40]
	v_fma_f64 v[51:52], -v[43:44], v[49:50], 1.0
	v_add_f64 v[15:16], v[69:70], v[15:16]
	v_fma_f64 v[49:50], v[49:50], v[51:52], v[49:50]
	v_mul_f64 v[15:16], v[45:46], v[15:16]
	v_mul_f64 v[45:46], v[41:42], v[49:50]
	v_add_f64 v[51:52], v[47:48], v[15:16]
	v_fma_f64 v[41:42], -v[43:44], v[45:46], v[41:42]
	v_mul_f64 v[43:44], v[51:52], v[51:52]
	v_add_f64 v[47:48], v[51:52], -v[47:48]
	v_div_fmas_f64 v[41:42], v[41:42], v[49:50], v[45:46]
	v_fma_f64 v[45:46], v[43:44], s[30:31], v[25:26]
	v_mul_f64 v[49:50], v[51:52], v[43:44]
	v_add_f64 v[15:16], v[15:16], -v[47:48]
	v_fma_f64 v[45:46], v[43:44], v[45:46], s[34:35]
	v_ldexp_f64 v[15:16], v[15:16], 1
	v_div_fixup_f64 v[37:38], v[41:42], v[37:38], v[39:40]
	v_fma_f64 v[39:40], v[43:44], v[45:46], s[36:37]
	v_mul_f64 v[41:42], v[37:38], v[37:38]
	v_fma_f64 v[39:40], v[43:44], v[39:40], s[38:39]
	v_fma_f64 v[45:46], v[41:42], s[80:81], v[31:32]
	;; [unrolled: 1-line block ×4, first 2 shown]
	s_mov_b32 s74, 0xaf56de9b
	s_mov_b32 s75, 0xbf67952d
	v_fma_f64 v[39:40], v[43:44], v[39:40], s[28:29]
	v_fma_f64 v[43:44], v[41:42], v[45:46], s[74:75]
	v_ldexp_f64 v[45:46], v[51:52], 1
	s_mov_b32 s74, 0xa595c56f
	s_mov_b32 s75, 0x3f7d6d43
	v_subbrev_co_u32_e64 v51, vcc, 0, v67, s[10:11]
	v_mul_f64 v[39:40], v[49:50], v[39:40]
	v_cvt_f64_i32_e32 v[51:52], v51
	v_fma_f64 v[43:44], v[41:42], v[43:44], s[74:75]
	s_mov_b32 s10, 0xa57d9582
	s_mov_b32 s11, 0xbf8c6ea4
	v_mul_f64 v[67:68], v[51:52], s[42:43]
	v_cmp_class_f64_e64 vcc, v[13:14], s86
	v_cmp_class_f64_e64 s[74:75], v[17:18], s86
	v_add_f64 v[49:50], v[45:46], v[39:40]
	v_fma_f64 v[43:44], v[41:42], v[43:44], s[10:11]
	s_mov_b32 s10, 0x5f08b19f
	s_mov_b32 s11, 0x3f967e29
	v_fma_f64 v[47:48], v[51:52], s[42:43], -v[67:68]
	v_add_f64 v[45:46], v[49:50], -v[45:46]
	v_fma_f64 v[43:44], v[41:42], v[43:44], s[10:11]
	s_mov_b32 s10, 0xfc27006a
	s_mov_b32 s11, 0xbf9e9ae6
	v_add_f64 v[39:40], v[39:40], -v[45:46]
	v_fma_f64 v[45:46], v[51:52], s[44:45], v[47:48]
	v_fma_f64 v[43:44], v[41:42], v[43:44], s[10:11]
	s_mov_b32 s10, 0x5711927a
	s_mov_b32 s11, 0x3fa2c15b
	v_add_f64 v[15:16], v[15:16], v[39:40]
	v_fma_f64 v[39:40], v[41:42], v[43:44], s[10:11]
	v_add_f64 v[43:44], v[67:68], v[45:46]
	v_cmp_class_f64_e64 s[10:11], v[19:20], s86
	v_add_f64 v[47:48], v[49:50], v[15:16]
	v_fma_f64 v[39:40], v[41:42], v[39:40], s[82:83]
	v_add_f64 v[67:68], v[43:44], -v[67:68]
	s_and_b64 s[10:11], s[74:75], s[10:11]
	s_and_b64 s[10:11], s[10:11], exec
	s_or_b64 s[58:59], s[58:59], s[10:11]
	v_add_f64 v[51:52], v[43:44], v[47:48]
	v_add_f64 v[49:50], v[47:48], -v[49:50]
	v_fma_f64 v[39:40], v[41:42], v[39:40], s[84:85]
	v_add_f64 v[45:46], v[45:46], -v[67:68]
	v_add_f64 v[69:70], v[51:52], -v[43:44]
	;; [unrolled: 1-line block ×3, first 2 shown]
	v_fma_f64 v[39:40], v[41:42], v[39:40], s[92:93]
	v_add_f64 v[71:72], v[51:52], -v[69:70]
	v_add_f64 v[47:48], v[47:48], -v[69:70]
	v_fma_f64 v[39:40], v[41:42], v[39:40], s[94:95]
	v_add_f64 v[49:50], v[45:46], v[15:16]
	v_add_f64 v[43:44], v[43:44], -v[71:72]
	v_fma_f64 v[39:40], v[41:42], v[39:40], s[96:97]
	v_add_f64 v[43:44], v[47:48], v[43:44]
	;; [unrolled: 3-line block ×3, first 2 shown]
	v_add_f64 v[49:50], v[49:50], -v[47:48]
	v_fma_f64 v[39:40], v[41:42], v[39:40], s[46:47]
	v_add_f64 v[15:16], v[15:16], -v[47:48]
	v_add_f64 v[67:68], v[51:52], v[43:44]
	v_add_f64 v[45:46], v[45:46], -v[49:50]
	v_fma_f64 v[39:40], v[41:42], v[39:40], s[48:49]
	v_add_f64 v[47:48], v[67:68], -v[51:52]
	v_add_f64 v[15:16], v[15:16], v[45:46]
	v_fma_f64 v[39:40], v[41:42], v[39:40], s[50:51]
	v_add_f64 v[43:44], v[43:44], -v[47:48]
	v_fma_f64 v[39:40], v[41:42], v[39:40], s[52:53]
	v_add_f64 v[15:16], v[15:16], v[43:44]
	v_fma_f64 v[39:40], v[41:42], v[39:40], s[54:55]
	v_add_f64 v[15:16], v[67:68], v[15:16]
	v_mul_f64 v[39:40], v[41:42], v[39:40]
	v_cndmask_b32_e32 v16, v16, v14, vcc
	v_cndmask_b32_e32 v15, v15, v13, vcc
	v_add_f64 v[41:42], v[15:16], 1.0
	v_cmp_ngt_f64_e32 vcc, 0, v[13:14]
	v_fma_f64 v[15:16], v[37:38], v[39:40], v[37:38]
	v_cndmask_b32_e32 v17, v61, v42, vcc
	v_cmp_nge_f64_e32 vcc, 0, v[13:14]
	v_cndmask_b32_e32 v43, 0, v41, vcc
	v_cmp_neq_f64_e32 vcc, 0, v[13:14]
	v_cndmask_b32_e32 v44, v60, v17, vcc
.LBB42_193:                             ;   in Loop: Header=BB42_5 Depth=1
	s_or_b64 exec, exec, s[72:73]
	v_add_f64 v[13:14], -v[15:16], s[70:71]
	s_mov_b32 s56, s70
	v_ashrrev_i32_e32 v17, 31, v18
	v_cmp_gt_i32_e32 vcc, 0, v18
	v_and_b32_e32 v39, 0x54442d18, v17
	v_and_b32_e32 v17, 0x400921fb, v17
	v_cndmask_b32_e32 v18, v63, v64, vcc
	v_cndmask_b32_e64 v14, v16, v14, s[8:9]
	v_cndmask_b32_e64 v13, v15, v13, s[8:9]
	v_add_f64 v[37:38], -v[13:14], s[56:57]
	v_cmp_eq_f64_e64 s[8:9], 0, v[19:20]
	v_add_f64 v[15:16], v[43:44], s[42:43]
	v_cndmask_b32_e32 v19, v65, v66, vcc
	v_bfi_b32 v19, s91, v19, v20
	v_cndmask_b32_e32 v14, v14, v38, vcc
	v_cndmask_b32_e32 v13, v13, v37, vcc
	v_cndmask_b32_e64 v14, v14, v17, s[8:9]
	v_xor_b32_e32 v20, 0x80000000, v16
	v_cndmask_b32_e64 v13, v13, v39, s[8:9]
	v_cndmask_b32_e64 v14, v14, v19, s[58:59]
	;; [unrolled: 1-line block ×3, first 2 shown]
	v_and_b32_e32 v14, 0x7fffffff, v14
	v_cndmask_b32_e64 v16, v20, v16, s[6:7]
.LBB42_194:                             ;   in Loop: Header=BB42_5 Depth=1
	s_or_b64 exec, exec, s[26:27]
                                        ; implicit-def: $vgpr19_vgpr20
.LBB42_195:                             ;   in Loop: Header=BB42_5 Depth=1
	s_andn2_saveexec_b64 s[6:7], s[16:17]
	s_cbranch_execz .LBB42_209
; %bb.196:                              ;   in Loop: Header=BB42_5 Depth=1
	v_cmp_neq_f64_e64 s[8:9], |v[17:18]|, s[66:67]
                                        ; implicit-def: $vgpr15_vgpr16
	s_and_saveexec_b64 s[10:11], s[8:9]
	s_xor_b64 s[8:9], exec, s[10:11]
	s_cbranch_execz .LBB42_206
; %bb.197:                              ;   in Loop: Header=BB42_5 Depth=1
	v_cmp_neq_f64_e64 s[10:11], |v[19:20]|, s[66:67]
	s_waitcnt lgkmcnt(0)
	v_xor_b32_e32 v16, 0x80000000, v20
	v_mov_b32_e32 v15, v19
	s_and_saveexec_b64 s[16:17], s[10:11]
	s_xor_b64 s[10:11], exec, s[16:17]
	s_cbranch_execz .LBB42_203
; %bb.198:                              ;   in Loop: Header=BB42_5 Depth=1
	v_cmp_neq_f64_e32 vcc, 0, v[17:18]
                                        ; implicit-def: $vgpr15_vgpr16
	s_and_saveexec_b64 s[16:17], vcc
	s_xor_b64 s[16:17], exec, s[16:17]
	s_cbranch_execz .LBB42_200
; %bb.199:                              ;   in Loop: Header=BB42_5 Depth=1
	v_add_f64 v[13:14], v[19:20], 0
                                        ; implicit-def: $vgpr19_vgpr20
	v_add_f64 v[15:16], v[17:18], v[13:14]
.LBB42_200:                             ;   in Loop: Header=BB42_5 Depth=1
	s_or_saveexec_b64 s[16:17], s[16:17]
	v_mov_b32_e32 v13, v15
	v_mov_b32_e32 v14, v16
	s_xor_b64 exec, exec, s[16:17]
	s_cbranch_execz .LBB42_202
; %bb.201:                              ;   in Loop: Header=BB42_5 Depth=1
	v_mov_b32_e32 v13, s18
	v_mov_b32_e32 v14, s19
	flat_load_dwordx2 v[13:14], v[13:14] glc
	s_waitcnt vmcnt(0)
	v_add_f64 v[15:16], v[19:20], v[19:20]
	s_waitcnt lgkmcnt(0)
	v_add_f64 v[13:14], v[13:14], s[70:71]
.LBB42_202:                             ;   in Loop: Header=BB42_5 Depth=1
	s_or_b64 exec, exec, s[16:17]
                                        ; implicit-def: $vgpr17_vgpr18
.LBB42_203:                             ;   in Loop: Header=BB42_5 Depth=1
	s_andn2_saveexec_b64 s[10:11], s[10:11]
; %bb.204:                              ;   in Loop: Header=BB42_5 Depth=1
	v_add_f64 v[13:14], v[17:18], v[17:18]
; %bb.205:                              ;   in Loop: Header=BB42_5 Depth=1
	s_or_b64 exec, exec, s[10:11]
                                        ; implicit-def: $vgpr19_vgpr20
.LBB42_206:                             ;   in Loop: Header=BB42_5 Depth=1
	s_andn2_saveexec_b64 s[8:9], s[8:9]
	s_cbranch_execz .LBB42_208
; %bb.207:                              ;   in Loop: Header=BB42_5 Depth=1
	s_waitcnt lgkmcnt(0)
	v_add_f64 v[13:14], v[19:20], v[19:20]
	v_mov_b32_e32 v15, 0
	v_mov_b32_e32 v16, 0xfff00000
.LBB42_208:                             ;   in Loop: Header=BB42_5 Depth=1
	s_or_b64 exec, exec, s[8:9]
.LBB42_209:                             ;   in Loop: Header=BB42_5 Depth=1
	s_or_b64 exec, exec, s[6:7]
	v_cmp_o_f64_e32 vcc, v[9:10], v[11:12]
	v_mov_b32_e32 v17, s18
	v_mov_b32_e32 v18, s19
	flat_store_dwordx2 v[17:18], v[21:22]
	s_waitcnt vmcnt(0)
                                        ; implicit-def: $vgpr19_vgpr20
	s_and_saveexec_b64 s[6:7], vcc
	s_xor_b64 s[16:17], exec, s[6:7]
	s_cbranch_execz .LBB42_297
; %bb.210:                              ;   in Loop: Header=BB42_5 Depth=1
	v_max_f64 v[39:40], |v[11:12]|, |v[11:12]|
	v_max_f64 v[41:42], |v[9:10]|, |v[9:10]|
	v_cmp_gt_i64_e64 s[6:7], 0, v[11:12]
                                        ; implicit-def: $vgpr19_vgpr20
	v_max_f64 v[37:38], v[41:42], v[39:40]
	v_cmp_nlt_f64_e32 vcc, s[64:65], v[37:38]
	s_and_saveexec_b64 s[8:9], vcc
	s_xor_b64 s[26:27], exec, s[8:9]
	s_cbranch_execz .LBB42_286
; %bb.211:                              ;   in Loop: Header=BB42_5 Depth=1
	v_cmp_neq_f64_e32 vcc, 1.0, v[9:10]
	v_cmp_neq_f64_e64 s[8:9], 0, v[11:12]
	v_xor_b32_e32 v20, 0x80000000, v12
	v_mov_b32_e32 v19, v11
	s_or_b64 s[8:9], vcc, s[8:9]
	s_and_saveexec_b64 s[10:11], s[8:9]
	s_xor_b64 s[58:59], exec, s[10:11]
	s_cbranch_execz .LBB42_283
; %bb.212:                              ;   in Loop: Header=BB42_5 Depth=1
	v_mov_b32_e32 v17, s22
	v_mov_b32_e32 v18, s23
	flat_store_dword v[17:18], v54
	s_waitcnt vmcnt(0)
	flat_load_dword v17, v[17:18] glc
	s_waitcnt vmcnt(0)
	s_mov_b32 s10, 0x1409212f
	s_mov_b32 s11, 0x3e43988e
	v_cmp_nlt_f64_e64 s[8:9], |v[9:10]|, s[10:11]
	v_cmp_nlt_f64_e64 s[10:11], |v[11:12]|, s[10:11]
	s_or_b64 s[8:9], s[8:9], s[10:11]
	s_waitcnt lgkmcnt(0)
	v_add_f32_e32 v19, 1.0, v17
	v_mov_b32_e32 v17, s24
	v_mov_b32_e32 v18, s25
	flat_store_dword v[17:18], v19
	s_waitcnt vmcnt(0)
	flat_load_dword v17, v[17:18] glc
	s_waitcnt vmcnt(0)
	v_mov_b32_e32 v19, v11
	s_and_saveexec_b64 s[10:11], s[8:9]
	s_xor_b64 s[72:73], exec, s[10:11]
	s_cbranch_execz .LBB42_280
; %bb.213:                              ;   in Loop: Header=BB42_5 Depth=1
	v_add_f64 v[37:38], |v[9:10]|, 1.0
	s_waitcnt lgkmcnt(0)
	v_add_f64 v[17:18], |v[9:10]|, -1.0
	v_max_f64 v[19:20], v[39:40], v[37:38]
	v_max_f64 v[39:40], v[39:40], |v[17:18]|
	v_frexp_exp_i32_f64_e32 v67, v[19:20]
	v_frexp_exp_i32_f64_e32 v68, v[39:40]
	v_sub_u32_e32 v41, 0, v67
	v_sub_u32_e32 v43, 0, v68
	v_ldexp_f64 v[19:20], v[37:38], v41
	v_ldexp_f64 v[39:40], |v[17:18]|, v43
	v_ldexp_f64 v[41:42], |v[11:12]|, v41
	;; [unrolled: 1-line block ×3, first 2 shown]
	v_mul_f64 v[19:20], v[19:20], v[19:20]
	v_mul_f64 v[39:40], v[39:40], v[39:40]
	v_fma_f64 v[19:20], v[41:42], v[41:42], v[19:20]
	v_fma_f64 v[39:40], v[43:44], v[43:44], v[39:40]
	v_rsq_f64_e32 v[41:42], v[19:20]
	v_rsq_f64_e32 v[43:44], v[39:40]
	v_cmp_eq_f64_e32 vcc, 0, v[19:20]
	v_cmp_eq_f64_e64 s[8:9], 0, v[39:40]
	v_mul_f64 v[45:46], v[19:20], v[41:42]
	v_mul_f64 v[41:42], v[41:42], 0.5
	v_mul_f64 v[47:48], v[39:40], v[43:44]
	v_mul_f64 v[43:44], v[43:44], 0.5
	v_fma_f64 v[49:50], -v[41:42], v[45:46], 0.5
	v_fma_f64 v[51:52], -v[43:44], v[47:48], 0.5
	v_fma_f64 v[45:46], v[45:46], v[49:50], v[45:46]
	v_fma_f64 v[41:42], v[41:42], v[49:50], v[41:42]
	;; [unrolled: 1-line block ×4, first 2 shown]
	v_fma_f64 v[49:50], -v[45:46], v[45:46], v[19:20]
	v_fma_f64 v[51:52], -v[47:48], v[47:48], v[39:40]
	v_fma_f64 v[41:42], v[49:50], v[41:42], v[45:46]
	v_fma_f64 v[43:44], v[51:52], v[43:44], v[47:48]
	v_cndmask_b32_e32 v20, v42, v20, vcc
	v_cndmask_b32_e32 v19, v41, v19, vcc
	v_cndmask_b32_e64 v40, v44, v40, s[8:9]
	v_cndmask_b32_e64 v39, v43, v39, s[8:9]
	v_ldexp_f64 v[19:20], v[19:20], v67
	v_cmp_neq_f64_e32 vcc, s[66:67], v[37:38]
	v_ldexp_f64 v[39:40], v[39:40], v68
	v_cmp_neq_f64_e64 s[8:9], |v[17:18]|, s[66:67]
	v_cndmask_b32_e32 v44, v56, v20, vcc
	v_cndmask_b32_e32 v43, 0, v19, vcc
	v_cndmask_b32_e64 v42, v56, v40, s[8:9]
	v_cndmask_b32_e64 v41, 0, v39, s[8:9]
	v_add_f64 v[19:20], v[43:44], v[41:42]
	s_mov_b32 s8, 0
	s_mov_b32 s9, 0x40240000
	v_mul_f64 v[19:20], v[19:20], 0.5
	v_cmp_ngt_f64_e32 vcc, 1.0, v[19:20]
	v_cndmask_b32_e32 v40, v57, v20, vcc
	v_cndmask_b32_e32 v39, 0, v19, vcc
	v_cmp_ngt_f64_e32 vcc, s[8:9], v[39:40]
                                        ; implicit-def: $vgpr19_vgpr20
	s_and_saveexec_b64 s[8:9], vcc
	s_xor_b64 s[8:9], exec, s[8:9]
	s_cbranch_execz .LBB42_215
; %bb.214:                              ;   in Loop: Header=BB42_5 Depth=1
	v_fma_f64 v[19:20], v[39:40], v[39:40], -1.0
	s_mov_b32 s10, 0
	s_brev_b32 s11, 8
	s_mov_b32 s29, s69
	v_cmp_gt_f64_e32 vcc, s[10:11], v[19:20]
	v_cndmask_b32_e32 v45, 0, v58, vcc
	v_ldexp_f64 v[19:20], v[19:20], v45
	v_rsq_f64_e32 v[45:46], v[19:20]
	v_mul_f64 v[47:48], v[19:20], v[45:46]
	v_mul_f64 v[45:46], v[45:46], 0.5
	v_fma_f64 v[49:50], -v[45:46], v[47:48], 0.5
	v_fma_f64 v[47:48], v[47:48], v[49:50], v[47:48]
	v_fma_f64 v[45:46], v[45:46], v[49:50], v[45:46]
	v_fma_f64 v[49:50], -v[47:48], v[47:48], v[19:20]
	v_fma_f64 v[47:48], v[49:50], v[45:46], v[47:48]
	v_fma_f64 v[49:50], -v[47:48], v[47:48], v[19:20]
	v_fma_f64 v[45:46], v[49:50], v[45:46], v[47:48]
	v_cndmask_b32_e32 v47, 0, v59, vcc
	v_cmp_class_f64_e32 vcc, v[19:20], v55
	v_ldexp_f64 v[45:46], v[45:46], v47
	v_cndmask_b32_e32 v20, v46, v20, vcc
	v_cndmask_b32_e32 v19, v45, v19, vcc
	v_add_f64 v[19:20], v[39:40], v[19:20]
	v_frexp_mant_f64_e32 v[45:46], v[19:20]
	v_cmp_gt_f64_e32 vcc, s[68:69], v[45:46]
	v_cndmask_b32_e64 v47, 0, 1, vcc
	v_ldexp_f64 v[45:46], v[45:46], v47
	v_add_f64 v[47:48], v[45:46], 1.0
	v_add_f64 v[67:68], v[45:46], -1.0
	v_rcp_f64_e32 v[49:50], v[47:48]
	v_add_f64 v[69:70], v[47:48], -1.0
	v_add_f64 v[45:46], v[45:46], -v[69:70]
	v_fma_f64 v[51:52], -v[47:48], v[49:50], 1.0
	v_fma_f64 v[49:50], v[51:52], v[49:50], v[49:50]
	v_fma_f64 v[51:52], -v[47:48], v[49:50], 1.0
	v_fma_f64 v[49:50], v[51:52], v[49:50], v[49:50]
	v_mul_f64 v[51:52], v[67:68], v[49:50]
	v_mul_f64 v[71:72], v[47:48], v[51:52]
	v_fma_f64 v[47:48], v[51:52], v[47:48], -v[71:72]
	v_fma_f64 v[45:46], v[51:52], v[45:46], v[47:48]
	v_add_f64 v[47:48], v[71:72], v[45:46]
	v_add_f64 v[69:70], v[67:68], -v[47:48]
	v_add_f64 v[71:72], v[47:48], -v[71:72]
	;; [unrolled: 1-line block ×5, first 2 shown]
	v_add_f64 v[45:46], v[45:46], v[47:48]
	v_add_f64 v[45:46], v[69:70], v[45:46]
	v_mul_f64 v[45:46], v[49:50], v[45:46]
	v_add_f64 v[47:48], v[51:52], v[45:46]
	v_mul_f64 v[49:50], v[47:48], v[47:48]
	v_fma_f64 v[67:68], v[49:50], s[30:31], v[25:26]
	v_mul_f64 v[69:70], v[47:48], v[49:50]
	v_fma_f64 v[67:68], v[49:50], v[67:68], s[34:35]
	v_fma_f64 v[67:68], v[49:50], v[67:68], s[36:37]
	;; [unrolled: 1-line block ×5, first 2 shown]
	v_ldexp_f64 v[67:68], v[47:48], 1
	v_add_f64 v[47:48], v[47:48], -v[51:52]
	v_mul_f64 v[49:50], v[69:70], v[49:50]
	v_frexp_exp_i32_f64_e32 v69, v[19:20]
	v_add_f64 v[45:46], v[45:46], -v[47:48]
	v_add_f64 v[51:52], v[67:68], v[49:50]
	v_subbrev_co_u32_e32 v69, vcc, 0, v69, vcc
	v_cvt_f64_i32_e32 v[69:70], v69
	v_ldexp_f64 v[45:46], v[45:46], 1
	v_cmp_class_f64_e64 vcc, v[19:20], s86
	v_mul_f64 v[71:72], v[69:70], s[42:43]
	v_add_f64 v[47:48], v[51:52], -v[67:68]
	v_fma_f64 v[67:68], v[69:70], s[42:43], -v[71:72]
	v_add_f64 v[47:48], v[49:50], -v[47:48]
	v_fma_f64 v[49:50], v[69:70], s[44:45], v[67:68]
	v_add_f64 v[45:46], v[45:46], v[47:48]
	v_add_f64 v[47:48], v[71:72], v[49:50]
	;; [unrolled: 1-line block ×3, first 2 shown]
	v_add_f64 v[71:72], v[47:48], -v[71:72]
	v_add_f64 v[69:70], v[47:48], v[67:68]
	v_add_f64 v[51:52], v[67:68], -v[51:52]
	v_add_f64 v[49:50], v[49:50], -v[71:72]
	;; [unrolled: 1-line block ×6, first 2 shown]
	v_add_f64 v[67:68], v[49:50], v[45:46]
	v_add_f64 v[47:48], v[47:48], -v[75:76]
	v_add_f64 v[47:48], v[51:52], v[47:48]
	v_add_f64 v[51:52], v[67:68], -v[49:50]
	;; [unrolled: 2-line block ×3, first 2 shown]
	v_add_f64 v[45:46], v[45:46], -v[51:52]
	v_add_f64 v[71:72], v[69:70], v[47:48]
	v_add_f64 v[49:50], v[49:50], -v[67:68]
	v_add_f64 v[51:52], v[71:72], -v[69:70]
	v_add_f64 v[45:46], v[45:46], v[49:50]
	v_add_f64 v[47:48], v[47:48], -v[51:52]
	v_add_f64 v[45:46], v[45:46], v[47:48]
	v_add_f64 v[45:46], v[71:72], v[45:46]
	v_cndmask_b32_e32 v45, v45, v19, vcc
	v_cndmask_b32_e32 v46, v46, v20, vcc
	v_cmp_neq_f64_e32 vcc, 0, v[19:20]
	v_cndmask_b32_e32 v20, v60, v46, vcc
	v_cndmask_b32_e32 v19, 0, v45, vcc
.LBB42_215:                             ;   in Loop: Header=BB42_5 Depth=1
	s_or_saveexec_b64 s[10:11], s[8:9]
	v_and_b32_e32 v46, 0x7fffffff, v12
	v_mov_b32_e32 v45, v11
	s_xor_b64 exec, exec, s[10:11]
	s_cbranch_execz .LBB42_237
; %bb.216:                              ;   in Loop: Header=BB42_5 Depth=1
	s_mov_b32 s74, 0
	s_mov_b32 s75, 0x39000000
	v_cmp_neq_f64_e64 s[8:9], |v[9:10]|, 1.0
	v_cmp_nlt_f64_e64 s[74:75], |v[11:12]|, s[74:75]
                                        ; implicit-def: $vgpr19_vgpr20
	s_or_b64 s[8:9], s[8:9], s[74:75]
	s_and_saveexec_b64 s[74:75], s[8:9]
	s_xor_b64 s[74:75], exec, s[74:75]
	s_cbranch_execz .LBB42_234
; %bb.217:                              ;   in Loop: Header=BB42_5 Depth=1
	v_ldexp_f64 v[19:20], |v[17:18]|, s87
	v_cmp_ge_f64_e64 s[8:9], |v[11:12]|, v[19:20]
                                        ; implicit-def: $vgpr19_vgpr20
	s_and_saveexec_b64 s[76:77], s[8:9]
	s_xor_b64 s[76:77], exec, s[76:77]
	s_cbranch_execz .LBB42_227
; %bb.218:                              ;   in Loop: Header=BB42_5 Depth=1
	v_cmp_neq_f64_e32 vcc, 0, v[37:38]
	v_mov_b32_e32 v19, v45
	v_mov_b32_e32 v20, v46
	s_and_saveexec_b64 s[8:9], vcc
	s_cbranch_execz .LBB42_220
; %bb.219:                              ;   in Loop: Header=BB42_5 Depth=1
	v_mul_f64 v[19:20], v[11:12], v[11:12]
	v_add_f64 v[47:48], v[37:38], v[43:44]
	v_div_scale_f64 v[49:50], s[78:79], v[47:48], v[47:48], v[19:20]
	v_div_scale_f64 v[69:70], vcc, v[19:20], v[47:48], v[19:20]
	v_rcp_f64_e32 v[51:52], v[49:50]
	v_fma_f64 v[67:68], -v[49:50], v[51:52], 1.0
	v_fma_f64 v[51:52], v[51:52], v[67:68], v[51:52]
	v_fma_f64 v[67:68], -v[49:50], v[51:52], 1.0
	v_fma_f64 v[51:52], v[51:52], v[67:68], v[51:52]
	v_mul_f64 v[67:68], v[69:70], v[51:52]
	v_fma_f64 v[49:50], -v[49:50], v[67:68], v[69:70]
	v_div_fmas_f64 v[49:50], v[49:50], v[51:52], v[67:68]
	v_div_fixup_f64 v[19:20], v[49:50], v[47:48], v[19:20]
.LBB42_220:                             ;   in Loop: Header=BB42_5 Depth=1
	s_or_b64 exec, exec, s[8:9]
	v_add_f64 v[49:50], -|v[9:10]|, 1.0
                                        ; implicit-def: $vgpr47_vgpr48
	v_cmp_ngt_f64_e32 vcc, 0, v[49:50]
	s_and_saveexec_b64 s[8:9], vcc
	s_xor_b64 s[8:9], exec, s[8:9]
	s_cbranch_execz .LBB42_224
; %bb.221:                              ;   in Loop: Header=BB42_5 Depth=1
	v_cmp_neq_f64_e32 vcc, 0, v[49:50]
	v_mov_b32_e32 v48, v46
	v_mov_b32_e32 v47, v45
	s_and_saveexec_b64 s[78:79], vcc
	s_cbranch_execz .LBB42_223
; %bb.222:                              ;   in Loop: Header=BB42_5 Depth=1
	v_mul_f64 v[47:48], v[11:12], v[11:12]
	v_add_f64 v[49:50], v[49:50], v[41:42]
	v_div_scale_f64 v[51:52], s[80:81], v[49:50], v[49:50], v[47:48]
	v_div_scale_f64 v[71:72], vcc, v[47:48], v[49:50], v[47:48]
	v_rcp_f64_e32 v[67:68], v[51:52]
	v_fma_f64 v[69:70], -v[51:52], v[67:68], 1.0
	v_fma_f64 v[67:68], v[67:68], v[69:70], v[67:68]
	v_fma_f64 v[69:70], -v[51:52], v[67:68], 1.0
	v_fma_f64 v[67:68], v[67:68], v[69:70], v[67:68]
	v_mul_f64 v[69:70], v[71:72], v[67:68]
	v_fma_f64 v[51:52], -v[51:52], v[69:70], v[71:72]
	v_div_fmas_f64 v[51:52], v[51:52], v[67:68], v[69:70]
	v_div_fixup_f64 v[47:48], v[51:52], v[49:50], v[47:48]
.LBB42_223:                             ;   in Loop: Header=BB42_5 Depth=1
	s_or_b64 exec, exec, s[78:79]
	s_mov_b32 s80, 0xb5e68a13
	s_mov_b32 s81, 0x3eeba404
                                        ; implicit-def: $vgpr49_vgpr50
.LBB42_224:                             ;   in Loop: Header=BB42_5 Depth=1
	s_andn2_saveexec_b64 s[8:9], s[8:9]
; %bb.225:                              ;   in Loop: Header=BB42_5 Depth=1
	v_add_f64 v[47:48], v[41:42], -v[49:50]
; %bb.226:                              ;   in Loop: Header=BB42_5 Depth=1
	s_or_b64 exec, exec, s[8:9]
	v_mul_f64 v[47:48], v[47:48], 0.5
	s_mov_b32 s8, 0
	s_brev_b32 s9, 8
	s_mov_b32 s29, s69
	v_fma_f64 v[19:20], v[19:20], 0.5, v[47:48]
	v_add_f64 v[47:48], v[39:40], 1.0
	v_mul_f64 v[47:48], v[47:48], v[19:20]
	v_cmp_gt_f64_e32 vcc, s[8:9], v[47:48]
	v_cndmask_b32_e32 v49, 0, v58, vcc
	v_ldexp_f64 v[47:48], v[47:48], v49
	v_rsq_f64_e32 v[49:50], v[47:48]
	v_mul_f64 v[51:52], v[47:48], v[49:50]
	v_mul_f64 v[49:50], v[49:50], 0.5
	v_fma_f64 v[67:68], -v[49:50], v[51:52], 0.5
	v_fma_f64 v[51:52], v[51:52], v[67:68], v[51:52]
	v_fma_f64 v[49:50], v[49:50], v[67:68], v[49:50]
	v_fma_f64 v[69:70], -v[51:52], v[51:52], v[47:48]
	v_fma_f64 v[51:52], v[69:70], v[49:50], v[51:52]
	v_fma_f64 v[67:68], -v[51:52], v[51:52], v[47:48]
	v_fma_f64 v[49:50], v[67:68], v[49:50], v[51:52]
	v_cndmask_b32_e32 v51, 0, v59, vcc
	v_cmp_class_f64_e32 vcc, v[47:48], v55
	v_ldexp_f64 v[49:50], v[49:50], v51
	v_cndmask_b32_e32 v48, v50, v48, vcc
	v_cndmask_b32_e32 v47, v49, v47, vcc
	v_add_f64 v[47:48], v[19:20], v[47:48]
	v_add_f64 v[19:20], v[47:48], 1.0
	v_cmp_ngt_f64_e64 s[8:9], -1.0, v[47:48]
	v_add_f64 v[49:50], v[19:20], -1.0
	v_frexp_exp_i32_f64_e32 v67, v[19:20]
	v_add_f64 v[51:52], v[49:50], -v[19:20]
	v_add_f64 v[49:50], v[47:48], -v[49:50]
	v_add_f64 v[51:52], v[51:52], 1.0
	v_add_f64 v[49:50], v[49:50], v[51:52]
	v_frexp_mant_f64_e32 v[51:52], v[19:20]
	v_cmp_gt_f64_e32 vcc, s[68:69], v[51:52]
	v_subbrev_co_u32_e32 v81, vcc, 0, v67, vcc
	v_sub_u32_e32 v51, 0, v81
	v_ldexp_f64 v[19:20], v[19:20], v51
	v_ldexp_f64 v[49:50], v[49:50], v51
	v_cmp_neq_f64_e32 vcc, s[66:67], v[47:48]
	v_add_f64 v[51:52], v[19:20], -1.0
	v_add_f64 v[67:68], v[51:52], 1.0
	v_add_f64 v[67:68], v[19:20], -v[67:68]
	v_add_f64 v[67:68], v[49:50], v[67:68]
	v_add_f64 v[69:70], v[51:52], v[67:68]
	v_add_f64 v[51:52], v[69:70], -v[51:52]
	v_add_f64 v[51:52], v[67:68], -v[51:52]
	v_add_f64 v[67:68], v[19:20], 1.0
	v_add_f64 v[71:72], v[67:68], -1.0
	v_add_f64 v[19:20], v[19:20], -v[71:72]
	v_add_f64 v[19:20], v[49:50], v[19:20]
	v_add_f64 v[49:50], v[67:68], v[19:20]
	v_add_f64 v[67:68], v[49:50], -v[67:68]
	v_add_f64 v[19:20], v[19:20], -v[67:68]
	v_rcp_f64_e32 v[67:68], v[49:50]
	v_fma_f64 v[71:72], -v[49:50], v[67:68], 1.0
	v_fma_f64 v[67:68], v[71:72], v[67:68], v[67:68]
	v_fma_f64 v[71:72], -v[49:50], v[67:68], 1.0
	v_fma_f64 v[67:68], v[71:72], v[67:68], v[67:68]
	v_mul_f64 v[71:72], v[69:70], v[67:68]
	v_mul_f64 v[73:74], v[49:50], v[71:72]
	v_fma_f64 v[75:76], v[71:72], v[49:50], -v[73:74]
	v_fma_f64 v[75:76], v[71:72], v[19:20], v[75:76]
	v_add_f64 v[77:78], v[73:74], v[75:76]
	v_add_f64 v[79:80], v[69:70], -v[77:78]
	v_add_f64 v[73:74], v[77:78], -v[73:74]
	;; [unrolled: 1-line block ×4, first 2 shown]
	v_add_f64 v[51:52], v[51:52], v[69:70]
	v_add_f64 v[69:70], v[73:74], -v[75:76]
	v_add_f64 v[51:52], v[69:70], v[51:52]
	v_add_f64 v[69:70], v[79:80], v[51:52]
	v_add_f64 v[73:74], v[79:80], -v[69:70]
	v_add_f64 v[51:52], v[51:52], v[73:74]
	v_mul_f64 v[73:74], v[67:68], v[69:70]
	v_mul_f64 v[75:76], v[49:50], v[73:74]
	v_fma_f64 v[49:50], v[73:74], v[49:50], -v[75:76]
	v_fma_f64 v[19:20], v[73:74], v[19:20], v[49:50]
	v_add_f64 v[49:50], v[75:76], v[19:20]
	v_add_f64 v[77:78], v[69:70], -v[49:50]
	v_add_f64 v[75:76], v[49:50], -v[75:76]
	;; [unrolled: 1-line block ×5, first 2 shown]
	v_cvt_f64_i32_e32 v[69:70], v81
	v_add_f64 v[49:50], v[51:52], v[49:50]
	v_add_f64 v[19:20], v[19:20], v[49:50]
	;; [unrolled: 1-line block ×4, first 2 shown]
	v_add_f64 v[51:52], v[49:50], -v[71:72]
	v_mul_f64 v[71:72], v[69:70], s[42:43]
	v_mul_f64 v[19:20], v[67:68], v[19:20]
	v_add_f64 v[51:52], v[73:74], -v[51:52]
	v_fma_f64 v[73:74], v[69:70], s[42:43], -v[71:72]
	v_add_f64 v[19:20], v[51:52], v[19:20]
	v_fma_f64 v[69:70], v[69:70], s[44:45], v[73:74]
	v_add_f64 v[51:52], v[49:50], v[19:20]
	v_add_f64 v[73:74], v[71:72], v[69:70]
	v_add_f64 v[49:50], v[51:52], -v[49:50]
	v_add_f64 v[71:72], v[73:74], -v[71:72]
	;; [unrolled: 1-line block ×3, first 2 shown]
	v_mul_f64 v[49:50], v[51:52], v[51:52]
	v_add_f64 v[69:70], v[69:70], -v[71:72]
	v_ldexp_f64 v[71:72], v[51:52], 1
	v_ldexp_f64 v[19:20], v[19:20], 1
	v_fma_f64 v[67:68], v[49:50], s[30:31], v[25:26]
	v_fma_f64 v[67:68], v[49:50], v[67:68], s[34:35]
	v_fma_f64 v[67:68], v[49:50], v[67:68], s[36:37]
	v_fma_f64 v[67:68], v[49:50], v[67:68], s[38:39]
	v_fma_f64 v[67:68], v[49:50], v[67:68], s[40:41]
	v_fma_f64 v[67:68], v[49:50], v[67:68], s[28:29]
	v_mul_f64 v[49:50], v[51:52], v[49:50]
	v_mul_f64 v[49:50], v[49:50], v[67:68]
	v_add_f64 v[51:52], v[71:72], v[49:50]
	v_add_f64 v[67:68], v[51:52], -v[71:72]
	v_add_f64 v[49:50], v[49:50], -v[67:68]
	v_add_f64 v[19:20], v[19:20], v[49:50]
	v_add_f64 v[49:50], v[51:52], v[19:20]
	v_add_f64 v[51:52], v[49:50], -v[51:52]
	v_add_f64 v[19:20], v[19:20], -v[51:52]
	v_add_f64 v[51:52], v[73:74], v[49:50]
	v_add_f64 v[67:68], v[51:52], -v[73:74]
	v_add_f64 v[71:72], v[51:52], -v[67:68]
	;; [unrolled: 1-line block ×3, first 2 shown]
	v_add_f64 v[67:68], v[69:70], v[19:20]
	v_add_f64 v[71:72], v[73:74], -v[71:72]
	v_add_f64 v[49:50], v[49:50], v[71:72]
	v_add_f64 v[71:72], v[67:68], -v[69:70]
	;; [unrolled: 2-line block ×3, first 2 shown]
	v_add_f64 v[19:20], v[19:20], -v[71:72]
	v_add_f64 v[67:68], v[51:52], v[49:50]
	v_add_f64 v[69:70], v[69:70], -v[73:74]
	v_add_f64 v[51:52], v[67:68], -v[51:52]
	v_add_f64 v[19:20], v[19:20], v[69:70]
	v_add_f64 v[49:50], v[49:50], -v[51:52]
	v_add_f64 v[19:20], v[19:20], v[49:50]
	v_add_f64 v[19:20], v[67:68], v[19:20]
	v_cndmask_b32_e32 v20, v56, v20, vcc
	v_cndmask_b32_e64 v20, v61, v20, s[8:9]
	v_cmp_nge_f64_e64 s[8:9], -1.0, v[47:48]
	s_and_b64 vcc, s[8:9], vcc
	v_cndmask_b32_e32 v19, 0, v19, vcc
	v_cmp_neq_f64_e32 vcc, -1.0, v[47:48]
	v_cndmask_b32_e32 v20, v60, v20, vcc
.LBB42_227:                             ;   in Loop: Header=BB42_5 Depth=1
	s_andn2_saveexec_b64 s[76:77], s[76:77]
	s_cbranch_execz .LBB42_233
; %bb.228:                              ;   in Loop: Header=BB42_5 Depth=1
	v_cmp_nlt_f64_e64 s[8:9], |v[9:10]|, 1.0
                                        ; implicit-def: $vgpr19_vgpr20
	s_and_saveexec_b64 s[78:79], s[8:9]
	s_xor_b64 s[78:79], exec, s[78:79]
	s_cbranch_execz .LBB42_230
; %bb.229:                              ;   in Loop: Header=BB42_5 Depth=1
	v_mul_f64 v[19:20], v[17:18], v[37:38]
	s_mov_b32 s8, 0
	s_brev_b32 s9, 8
	s_mov_b32 s29, s69
	v_cmp_gt_f64_e32 vcc, s[8:9], v[19:20]
	v_cndmask_b32_e32 v47, 0, v58, vcc
	v_ldexp_f64 v[19:20], v[19:20], v47
	v_rsq_f64_e32 v[47:48], v[19:20]
	v_mul_f64 v[49:50], v[19:20], v[47:48]
	v_mul_f64 v[47:48], v[47:48], 0.5
	v_fma_f64 v[51:52], -v[47:48], v[49:50], 0.5
	v_fma_f64 v[49:50], v[49:50], v[51:52], v[49:50]
	v_fma_f64 v[47:48], v[47:48], v[51:52], v[47:48]
	v_fma_f64 v[67:68], -v[49:50], v[49:50], v[19:20]
	v_fma_f64 v[49:50], v[67:68], v[47:48], v[49:50]
	v_fma_f64 v[51:52], -v[49:50], v[49:50], v[19:20]
	v_fma_f64 v[47:48], v[51:52], v[47:48], v[49:50]
	v_cndmask_b32_e32 v49, 0, v59, vcc
	v_cmp_class_f64_e32 vcc, v[19:20], v55
	v_ldexp_f64 v[47:48], v[47:48], v49
	v_cndmask_b32_e32 v20, v48, v20, vcc
	v_cndmask_b32_e32 v19, v47, v19, vcc
	v_add_f64 v[47:48], v[17:18], v[19:20]
	v_add_f64 v[19:20], v[47:48], 1.0
	v_cmp_ngt_f64_e64 s[8:9], -1.0, v[47:48]
	v_add_f64 v[49:50], v[19:20], -1.0
	v_frexp_exp_i32_f64_e32 v67, v[19:20]
	v_add_f64 v[51:52], v[49:50], -v[19:20]
	v_add_f64 v[49:50], v[47:48], -v[49:50]
	v_add_f64 v[51:52], v[51:52], 1.0
	v_add_f64 v[49:50], v[49:50], v[51:52]
	v_frexp_mant_f64_e32 v[51:52], v[19:20]
	v_cmp_gt_f64_e32 vcc, s[68:69], v[51:52]
	v_subbrev_co_u32_e32 v81, vcc, 0, v67, vcc
	v_sub_u32_e32 v51, 0, v81
	v_ldexp_f64 v[19:20], v[19:20], v51
	v_ldexp_f64 v[49:50], v[49:50], v51
	v_cmp_neq_f64_e32 vcc, s[66:67], v[47:48]
	v_add_f64 v[51:52], v[19:20], -1.0
	v_add_f64 v[67:68], v[51:52], 1.0
	v_add_f64 v[67:68], v[19:20], -v[67:68]
	v_add_f64 v[67:68], v[49:50], v[67:68]
	v_add_f64 v[69:70], v[51:52], v[67:68]
	v_add_f64 v[51:52], v[69:70], -v[51:52]
	v_add_f64 v[51:52], v[67:68], -v[51:52]
	v_add_f64 v[67:68], v[19:20], 1.0
	v_add_f64 v[71:72], v[67:68], -1.0
	v_add_f64 v[19:20], v[19:20], -v[71:72]
	v_add_f64 v[19:20], v[49:50], v[19:20]
	v_add_f64 v[49:50], v[67:68], v[19:20]
	v_add_f64 v[67:68], v[49:50], -v[67:68]
	v_add_f64 v[19:20], v[19:20], -v[67:68]
	v_rcp_f64_e32 v[67:68], v[49:50]
	v_fma_f64 v[71:72], -v[49:50], v[67:68], 1.0
	v_fma_f64 v[67:68], v[71:72], v[67:68], v[67:68]
	v_fma_f64 v[71:72], -v[49:50], v[67:68], 1.0
	v_fma_f64 v[67:68], v[71:72], v[67:68], v[67:68]
	v_mul_f64 v[71:72], v[69:70], v[67:68]
	v_mul_f64 v[73:74], v[49:50], v[71:72]
	v_fma_f64 v[75:76], v[71:72], v[49:50], -v[73:74]
	v_fma_f64 v[75:76], v[71:72], v[19:20], v[75:76]
	v_add_f64 v[77:78], v[73:74], v[75:76]
	v_add_f64 v[79:80], v[69:70], -v[77:78]
	v_add_f64 v[73:74], v[77:78], -v[73:74]
	;; [unrolled: 1-line block ×4, first 2 shown]
	v_add_f64 v[51:52], v[51:52], v[69:70]
	v_add_f64 v[69:70], v[73:74], -v[75:76]
	v_add_f64 v[51:52], v[69:70], v[51:52]
	v_add_f64 v[69:70], v[79:80], v[51:52]
	v_add_f64 v[73:74], v[79:80], -v[69:70]
	v_add_f64 v[51:52], v[51:52], v[73:74]
	v_mul_f64 v[73:74], v[67:68], v[69:70]
	v_mul_f64 v[75:76], v[49:50], v[73:74]
	v_fma_f64 v[49:50], v[73:74], v[49:50], -v[75:76]
	v_fma_f64 v[19:20], v[73:74], v[19:20], v[49:50]
	v_add_f64 v[49:50], v[75:76], v[19:20]
	v_add_f64 v[77:78], v[69:70], -v[49:50]
	v_add_f64 v[75:76], v[49:50], -v[75:76]
	;; [unrolled: 1-line block ×5, first 2 shown]
	v_cvt_f64_i32_e32 v[69:70], v81
	v_add_f64 v[49:50], v[51:52], v[49:50]
	v_add_f64 v[19:20], v[19:20], v[49:50]
	;; [unrolled: 1-line block ×4, first 2 shown]
	v_add_f64 v[51:52], v[49:50], -v[71:72]
	v_mul_f64 v[71:72], v[69:70], s[42:43]
	v_mul_f64 v[19:20], v[67:68], v[19:20]
	v_add_f64 v[51:52], v[73:74], -v[51:52]
	v_fma_f64 v[73:74], v[69:70], s[42:43], -v[71:72]
	v_add_f64 v[19:20], v[51:52], v[19:20]
	v_fma_f64 v[69:70], v[69:70], s[44:45], v[73:74]
	v_add_f64 v[51:52], v[49:50], v[19:20]
	v_add_f64 v[73:74], v[71:72], v[69:70]
	v_add_f64 v[49:50], v[51:52], -v[49:50]
	v_add_f64 v[71:72], v[73:74], -v[71:72]
	;; [unrolled: 1-line block ×3, first 2 shown]
	v_mul_f64 v[49:50], v[51:52], v[51:52]
	v_add_f64 v[69:70], v[69:70], -v[71:72]
	v_ldexp_f64 v[71:72], v[51:52], 1
	v_ldexp_f64 v[19:20], v[19:20], 1
	v_fma_f64 v[67:68], v[49:50], s[30:31], v[25:26]
	v_fma_f64 v[67:68], v[49:50], v[67:68], s[34:35]
	v_fma_f64 v[67:68], v[49:50], v[67:68], s[36:37]
	v_fma_f64 v[67:68], v[49:50], v[67:68], s[38:39]
	v_fma_f64 v[67:68], v[49:50], v[67:68], s[40:41]
	v_fma_f64 v[67:68], v[49:50], v[67:68], s[28:29]
	v_mul_f64 v[49:50], v[51:52], v[49:50]
	v_mul_f64 v[49:50], v[49:50], v[67:68]
	v_add_f64 v[51:52], v[71:72], v[49:50]
	v_add_f64 v[67:68], v[51:52], -v[71:72]
	v_add_f64 v[49:50], v[49:50], -v[67:68]
	v_add_f64 v[19:20], v[19:20], v[49:50]
	v_add_f64 v[49:50], v[51:52], v[19:20]
	v_add_f64 v[51:52], v[49:50], -v[51:52]
	v_add_f64 v[19:20], v[19:20], -v[51:52]
	v_add_f64 v[51:52], v[73:74], v[49:50]
	v_add_f64 v[67:68], v[51:52], -v[73:74]
	v_add_f64 v[71:72], v[51:52], -v[67:68]
	v_add_f64 v[49:50], v[49:50], -v[67:68]
	v_add_f64 v[67:68], v[69:70], v[19:20]
	v_add_f64 v[71:72], v[73:74], -v[71:72]
	v_add_f64 v[49:50], v[49:50], v[71:72]
	v_add_f64 v[71:72], v[67:68], -v[69:70]
	;; [unrolled: 2-line block ×3, first 2 shown]
	v_add_f64 v[19:20], v[19:20], -v[71:72]
	v_add_f64 v[67:68], v[51:52], v[49:50]
	v_add_f64 v[69:70], v[69:70], -v[73:74]
	v_add_f64 v[51:52], v[67:68], -v[51:52]
	v_add_f64 v[19:20], v[19:20], v[69:70]
	v_add_f64 v[49:50], v[49:50], -v[51:52]
	v_add_f64 v[19:20], v[19:20], v[49:50]
	v_add_f64 v[19:20], v[67:68], v[19:20]
	v_cndmask_b32_e32 v20, v56, v20, vcc
	v_cndmask_b32_e64 v20, v61, v20, s[8:9]
	v_cmp_nge_f64_e64 s[8:9], -1.0, v[47:48]
	s_and_b64 vcc, s[8:9], vcc
	v_cndmask_b32_e32 v19, 0, v19, vcc
	v_cmp_neq_f64_e32 vcc, -1.0, v[47:48]
	v_cndmask_b32_e32 v20, v60, v20, vcc
.LBB42_230:                             ;   in Loop: Header=BB42_5 Depth=1
	s_andn2_saveexec_b64 s[8:9], s[78:79]
	s_cbranch_execz .LBB42_232
; %bb.231:                              ;   in Loop: Header=BB42_5 Depth=1
	v_add_f64 v[19:20], -|v[9:10]|, 1.0
	s_mov_b32 s78, 0
	s_brev_b32 s79, 8
	v_mul_f64 v[19:20], v[19:20], v[37:38]
	v_cmp_gt_f64_e32 vcc, s[78:79], v[19:20]
	v_cndmask_b32_e32 v47, 0, v58, vcc
	v_ldexp_f64 v[19:20], v[19:20], v47
	v_rsq_f64_e32 v[47:48], v[19:20]
	v_mul_f64 v[49:50], v[19:20], v[47:48]
	v_mul_f64 v[47:48], v[47:48], 0.5
	v_fma_f64 v[51:52], -v[47:48], v[49:50], 0.5
	v_fma_f64 v[49:50], v[49:50], v[51:52], v[49:50]
	v_fma_f64 v[47:48], v[47:48], v[51:52], v[47:48]
	v_fma_f64 v[51:52], -v[49:50], v[49:50], v[19:20]
	v_fma_f64 v[49:50], v[51:52], v[47:48], v[49:50]
	v_fma_f64 v[51:52], -v[49:50], v[49:50], v[19:20]
	v_fma_f64 v[47:48], v[51:52], v[47:48], v[49:50]
	v_cndmask_b32_e32 v49, 0, v59, vcc
	v_cmp_class_f64_e32 vcc, v[19:20], v55
	v_mov_b32_e32 v50, v46
	v_ldexp_f64 v[47:48], v[47:48], v49
	v_mov_b32_e32 v49, v11
	v_cndmask_b32_e32 v20, v48, v20, vcc
	v_cndmask_b32_e32 v19, v47, v19, vcc
	v_div_scale_f64 v[47:48], s[78:79], v[19:20], v[19:20], v[49:50]
	v_div_scale_f64 v[49:50], vcc, v[49:50], v[19:20], v[49:50]
	v_rcp_f64_e32 v[51:52], v[47:48]
	v_fma_f64 v[67:68], -v[47:48], v[51:52], 1.0
	v_fma_f64 v[51:52], v[51:52], v[67:68], v[51:52]
	v_fma_f64 v[67:68], -v[47:48], v[51:52], 1.0
	v_fma_f64 v[51:52], v[51:52], v[67:68], v[51:52]
	v_mul_f64 v[67:68], v[49:50], v[51:52]
	v_fma_f64 v[47:48], -v[47:48], v[67:68], v[49:50]
	v_div_fmas_f64 v[47:48], v[47:48], v[51:52], v[67:68]
	v_div_fixup_f64 v[19:20], v[47:48], v[19:20], |v[11:12]|
.LBB42_232:                             ;   in Loop: Header=BB42_5 Depth=1
	s_or_b64 exec, exec, s[8:9]
.LBB42_233:                             ;   in Loop: Header=BB42_5 Depth=1
	s_or_b64 exec, exec, s[76:77]
.LBB42_234:                             ;   in Loop: Header=BB42_5 Depth=1
	s_andn2_saveexec_b64 s[8:9], s[74:75]
	s_cbranch_execz .LBB42_236
; %bb.235:                              ;   in Loop: Header=BB42_5 Depth=1
	s_mov_b32 s74, 0
	s_brev_b32 s75, 8
	v_cmp_lt_f64_e64 vcc, |v[11:12]|, s[74:75]
	v_cndmask_b32_e32 v19, 0, v58, vcc
	v_ldexp_f64 v[19:20], |v[11:12]|, v19
	v_rsq_f64_e32 v[47:48], v[19:20]
	v_mul_f64 v[49:50], v[19:20], v[47:48]
	v_mul_f64 v[47:48], v[47:48], 0.5
	v_fma_f64 v[51:52], -v[47:48], v[49:50], 0.5
	v_fma_f64 v[49:50], v[49:50], v[51:52], v[49:50]
	v_fma_f64 v[47:48], v[47:48], v[51:52], v[47:48]
	v_fma_f64 v[51:52], -v[49:50], v[49:50], v[19:20]
	v_fma_f64 v[49:50], v[51:52], v[47:48], v[49:50]
	v_fma_f64 v[51:52], -v[49:50], v[49:50], v[19:20]
	v_fma_f64 v[47:48], v[51:52], v[47:48], v[49:50]
	v_cndmask_b32_e32 v49, 0, v59, vcc
	v_cmp_class_f64_e32 vcc, v[19:20], v55
	v_ldexp_f64 v[47:48], v[47:48], v49
	v_cndmask_b32_e32 v20, v48, v20, vcc
	v_cndmask_b32_e32 v19, v47, v19, vcc
.LBB42_236:                             ;   in Loop: Header=BB42_5 Depth=1
	s_or_b64 exec, exec, s[8:9]
.LBB42_237:                             ;   in Loop: Header=BB42_5 Depth=1
	s_or_b64 exec, exec, s[10:11]
	s_mov_b32 s8, 0
	s_mov_b32 s9, 0x20200000
	v_cmp_nlt_f64_e64 s[10:11], |v[9:10]|, s[8:9]
                                        ; implicit-def: $sgpr8_sgpr9
                                        ; implicit-def: $vgpr47_vgpr48
                                        ; implicit-def: $vgpr51_vgpr52
                                        ; implicit-def: $vgpr49_vgpr50
	s_and_saveexec_b64 s[74:75], s[10:11]
	s_xor_b64 s[10:11], exec, s[74:75]
	s_cbranch_execz .LBB42_261
; %bb.238:                              ;   in Loop: Header=BB42_5 Depth=1
	v_and_b32_e32 v50, 0x7fffffff, v10
	v_mov_b32_e32 v49, v9
	v_div_scale_f64 v[47:48], s[8:9], v[39:40], v[39:40], v[49:50]
	v_div_scale_f64 v[69:70], vcc, v[49:50], v[39:40], v[49:50]
	s_mov_b32 s8, 0x703afb7f
	s_mov_b32 s9, 0x3fe488ce
	v_rcp_f64_e32 v[51:52], v[47:48]
	v_fma_f64 v[67:68], -v[47:48], v[51:52], 1.0
	v_fma_f64 v[51:52], v[51:52], v[67:68], v[51:52]
	v_fma_f64 v[67:68], -v[47:48], v[51:52], 1.0
	v_fma_f64 v[51:52], v[51:52], v[67:68], v[51:52]
	v_mul_f64 v[67:68], v[69:70], v[51:52]
	v_fma_f64 v[47:48], -v[47:48], v[67:68], v[69:70]
	v_div_fmas_f64 v[47:48], v[47:48], v[51:52], v[67:68]
                                        ; implicit-def: $vgpr51_vgpr52
	v_div_fixup_f64 v[47:48], v[47:48], v[39:40], |v[9:10]|
	v_cmp_lt_f64_e32 vcc, s[8:9], v[47:48]
	s_mov_b64 s[8:9], 0
	s_and_saveexec_b64 s[74:75], vcc
	s_cbranch_execz .LBB42_260
; %bb.239:                              ;   in Loop: Header=BB42_5 Depth=1
	s_mov_b32 s76, 0
	s_mov_b32 s77, 0x3c400000
	v_cmp_neq_f64_e64 s[8:9], |v[9:10]|, 1.0
	v_cmp_nlt_f64_e64 s[76:77], |v[11:12]|, s[76:77]
                                        ; implicit-def: $vgpr51_vgpr52
	s_or_b64 s[8:9], s[8:9], s[76:77]
	s_and_saveexec_b64 s[76:77], s[8:9]
	s_xor_b64 s[8:9], exec, s[76:77]
	s_cbranch_execz .LBB42_257
; %bb.240:                              ;   in Loop: Header=BB42_5 Depth=1
	v_ldexp_f64 v[51:52], |v[17:18]|, s87
	v_cmp_ge_f64_e64 s[76:77], |v[11:12]|, v[51:52]
                                        ; implicit-def: $vgpr51_vgpr52
	s_and_saveexec_b64 s[78:79], s[76:77]
	s_xor_b64 s[76:77], exec, s[78:79]
	s_cbranch_execz .LBB42_250
; %bb.241:                              ;   in Loop: Header=BB42_5 Depth=1
	v_cmp_neq_f64_e32 vcc, 0, v[37:38]
	v_mov_b32_e32 v52, v46
	v_mov_b32_e32 v51, v45
	s_and_saveexec_b64 s[78:79], vcc
	s_cbranch_execz .LBB42_243
; %bb.242:                              ;   in Loop: Header=BB42_5 Depth=1
	v_mul_f64 v[51:52], v[11:12], v[11:12]
	v_add_f64 v[37:38], v[37:38], v[43:44]
	v_div_scale_f64 v[43:44], s[80:81], v[37:38], v[37:38], v[51:52]
	v_div_scale_f64 v[71:72], vcc, v[51:52], v[37:38], v[51:52]
	v_rcp_f64_e32 v[67:68], v[43:44]
	v_fma_f64 v[69:70], -v[43:44], v[67:68], 1.0
	v_fma_f64 v[67:68], v[67:68], v[69:70], v[67:68]
	v_fma_f64 v[69:70], -v[43:44], v[67:68], 1.0
	v_fma_f64 v[67:68], v[67:68], v[69:70], v[67:68]
	v_mul_f64 v[69:70], v[71:72], v[67:68]
	v_fma_f64 v[43:44], -v[43:44], v[69:70], v[71:72]
	v_div_fmas_f64 v[43:44], v[43:44], v[67:68], v[69:70]
	v_div_fixup_f64 v[51:52], v[43:44], v[37:38], v[51:52]
.LBB42_243:                             ;   in Loop: Header=BB42_5 Depth=1
	s_or_b64 exec, exec, s[78:79]
	v_cmp_ngt_f64_e32 vcc, 0, v[17:18]
	s_and_saveexec_b64 s[78:79], vcc
	s_xor_b64 s[78:79], exec, s[78:79]
	s_cbranch_execz .LBB42_247
; %bb.244:                              ;   in Loop: Header=BB42_5 Depth=1
	v_cmp_neq_f64_e32 vcc, 0, v[17:18]
	s_and_saveexec_b64 s[80:81], vcc
	s_cbranch_execz .LBB42_246
; %bb.245:                              ;   in Loop: Header=BB42_5 Depth=1
	v_mul_f64 v[11:12], v[11:12], v[11:12]
	v_add_f64 v[17:18], v[17:18], v[41:42]
	v_div_scale_f64 v[37:38], vcc, v[17:18], v[17:18], v[11:12]
	v_div_scale_f64 v[45:46], vcc, v[11:12], v[17:18], v[11:12]
	v_rcp_f64_e32 v[41:42], v[37:38]
	v_fma_f64 v[43:44], -v[37:38], v[41:42], 1.0
	v_fma_f64 v[41:42], v[41:42], v[43:44], v[41:42]
	v_fma_f64 v[43:44], -v[37:38], v[41:42], 1.0
	v_fma_f64 v[41:42], v[41:42], v[43:44], v[41:42]
	v_mul_f64 v[43:44], v[45:46], v[41:42]
	v_fma_f64 v[37:38], -v[37:38], v[43:44], v[45:46]
	v_div_fmas_f64 v[37:38], v[37:38], v[41:42], v[43:44]
	v_div_fixup_f64 v[45:46], v[37:38], v[17:18], v[11:12]
.LBB42_246:                             ;   in Loop: Header=BB42_5 Depth=1
	s_or_b64 exec, exec, s[80:81]
                                        ; implicit-def: $vgpr41_vgpr42
                                        ; implicit-def: $vgpr17_vgpr18
.LBB42_247:                             ;   in Loop: Header=BB42_5 Depth=1
	s_andn2_saveexec_b64 s[78:79], s[78:79]
; %bb.248:                              ;   in Loop: Header=BB42_5 Depth=1
	v_add_f64 v[45:46], v[41:42], -v[17:18]
; %bb.249:                              ;   in Loop: Header=BB42_5 Depth=1
	s_or_b64 exec, exec, s[78:79]
	v_mul_f64 v[11:12], v[45:46], 0.5
	v_add_f64 v[17:18], |v[9:10]|, v[39:40]
	s_mov_b32 s78, 0
	s_brev_b32 s79, 8
	v_fma_f64 v[11:12], v[51:52], 0.5, v[11:12]
	v_mul_f64 v[11:12], v[17:18], v[11:12]
	v_cmp_gt_f64_e32 vcc, s[78:79], v[11:12]
	v_cndmask_b32_e32 v17, 0, v58, vcc
	v_ldexp_f64 v[11:12], v[11:12], v17
	v_rsq_f64_e32 v[17:18], v[11:12]
	v_mul_f64 v[37:38], v[11:12], v[17:18]
	v_mul_f64 v[17:18], v[17:18], 0.5
	v_fma_f64 v[39:40], -v[17:18], v[37:38], 0.5
	v_fma_f64 v[37:38], v[37:38], v[39:40], v[37:38]
	v_fma_f64 v[17:18], v[17:18], v[39:40], v[17:18]
	v_fma_f64 v[39:40], -v[37:38], v[37:38], v[11:12]
	v_fma_f64 v[37:38], v[39:40], v[17:18], v[37:38]
	v_fma_f64 v[39:40], -v[37:38], v[37:38], v[11:12]
	v_fma_f64 v[17:18], v[39:40], v[17:18], v[37:38]
	v_cndmask_b32_e32 v37, 0, v59, vcc
	v_cmp_class_f64_e32 vcc, v[11:12], v55
	v_ldexp_f64 v[17:18], v[17:18], v37
                                        ; implicit-def: $vgpr37_vgpr38
	v_cndmask_b32_e32 v52, v18, v12, vcc
	v_cndmask_b32_e32 v51, v17, v11, vcc
                                        ; implicit-def: $vgpr17_vgpr18
.LBB42_250:                             ;   in Loop: Header=BB42_5 Depth=1
	s_andn2_saveexec_b64 s[76:77], s[76:77]
	s_cbranch_execz .LBB42_256
; %bb.251:                              ;   in Loop: Header=BB42_5 Depth=1
	v_cmp_ngt_f64_e64 s[78:79], |v[9:10]|, 1.0
                                        ; implicit-def: $vgpr51_vgpr52
	s_and_saveexec_b64 s[80:81], s[78:79]
	s_xor_b64 s[78:79], exec, s[80:81]
	s_cbranch_execz .LBB42_253
; %bb.252:                              ;   in Loop: Header=BB42_5 Depth=1
	v_add_f64 v[11:12], -|v[9:10]|, 1.0
	s_mov_b32 s80, 0
	s_brev_b32 s81, 8
	v_mul_f64 v[11:12], v[11:12], v[37:38]
	v_cmp_gt_f64_e32 vcc, s[80:81], v[11:12]
	v_cndmask_b32_e32 v17, 0, v58, vcc
	v_ldexp_f64 v[11:12], v[11:12], v17
	v_rsq_f64_e32 v[17:18], v[11:12]
	v_mul_f64 v[37:38], v[11:12], v[17:18]
	v_mul_f64 v[17:18], v[17:18], 0.5
	v_fma_f64 v[39:40], -v[17:18], v[37:38], 0.5
	v_fma_f64 v[37:38], v[37:38], v[39:40], v[37:38]
	v_fma_f64 v[17:18], v[17:18], v[39:40], v[17:18]
	v_fma_f64 v[39:40], -v[37:38], v[37:38], v[11:12]
	v_fma_f64 v[37:38], v[39:40], v[17:18], v[37:38]
	v_fma_f64 v[39:40], -v[37:38], v[37:38], v[11:12]
	v_fma_f64 v[17:18], v[39:40], v[17:18], v[37:38]
	v_cndmask_b32_e32 v37, 0, v59, vcc
	v_cmp_class_f64_e32 vcc, v[11:12], v55
	v_ldexp_f64 v[17:18], v[17:18], v37
                                        ; implicit-def: $vgpr37_vgpr38
	v_cndmask_b32_e32 v52, v18, v12, vcc
	v_cndmask_b32_e32 v51, v17, v11, vcc
                                        ; implicit-def: $vgpr17_vgpr18
.LBB42_253:                             ;   in Loop: Header=BB42_5 Depth=1
	s_andn2_saveexec_b64 s[78:79], s[78:79]
	s_cbranch_execz .LBB42_255
; %bb.254:                              ;   in Loop: Header=BB42_5 Depth=1
	v_mul_f64 v[17:18], v[37:38], v[17:18]
	s_mov_b32 s80, 0
	s_brev_b32 s81, 8
	s_movk_i32 s29, 0x6a
	v_ldexp_f64 v[11:12], |v[11:12]|, s29
	v_ldexp_f64 v[49:50], |v[9:10]|, s29
	v_cmp_gt_f64_e32 vcc, s[80:81], v[17:18]
	v_mul_f64 v[11:12], |v[9:10]|, v[11:12]
	v_cndmask_b32_e32 v37, 0, v58, vcc
	v_ldexp_f64 v[17:18], v[17:18], v37
	v_rsq_f64_e32 v[37:38], v[17:18]
	v_mul_f64 v[39:40], v[17:18], v[37:38]
	v_mul_f64 v[37:38], v[37:38], 0.5
	v_fma_f64 v[41:42], -v[37:38], v[39:40], 0.5
	v_fma_f64 v[39:40], v[39:40], v[41:42], v[39:40]
	v_fma_f64 v[37:38], v[37:38], v[41:42], v[37:38]
	v_fma_f64 v[41:42], -v[39:40], v[39:40], v[17:18]
	v_fma_f64 v[39:40], v[41:42], v[37:38], v[39:40]
	v_fma_f64 v[41:42], -v[39:40], v[39:40], v[17:18]
	v_fma_f64 v[37:38], v[41:42], v[37:38], v[39:40]
	v_cndmask_b32_e32 v39, 0, v59, vcc
	v_cmp_class_f64_e32 vcc, v[17:18], v55
	v_ldexp_f64 v[37:38], v[37:38], v39
	v_cndmask_b32_e32 v18, v38, v18, vcc
	v_cndmask_b32_e32 v17, v37, v17, vcc
	v_div_scale_f64 v[37:38], s[80:81], v[17:18], v[17:18], v[11:12]
	v_rcp_f64_e32 v[39:40], v[37:38]
	v_fma_f64 v[41:42], -v[37:38], v[39:40], 1.0
	v_fma_f64 v[39:40], v[39:40], v[41:42], v[39:40]
	v_div_scale_f64 v[41:42], vcc, v[11:12], v[17:18], v[11:12]
	v_fma_f64 v[43:44], -v[37:38], v[39:40], 1.0
	v_fma_f64 v[39:40], v[39:40], v[43:44], v[39:40]
	v_mul_f64 v[43:44], v[41:42], v[39:40]
	v_fma_f64 v[37:38], -v[37:38], v[43:44], v[41:42]
	v_div_fmas_f64 v[37:38], v[37:38], v[39:40], v[43:44]
	v_div_fixup_f64 v[51:52], v[37:38], v[17:18], v[11:12]
.LBB42_255:                             ;   in Loop: Header=BB42_5 Depth=1
	s_or_b64 exec, exec, s[78:79]
.LBB42_256:                             ;   in Loop: Header=BB42_5 Depth=1
	s_or_b64 exec, exec, s[76:77]
	s_mov_b32 s80, 0xb5e68a13
	s_mov_b32 s81, 0x3eeba404
                                        ; implicit-def: $vgpr39_vgpr40
.LBB42_257:                             ;   in Loop: Header=BB42_5 Depth=1
	s_andn2_saveexec_b64 s[76:77], s[8:9]
	s_cbranch_execz .LBB42_259
; %bb.258:                              ;   in Loop: Header=BB42_5 Depth=1
	v_add_f64 v[17:18], v[39:40], 1.0
	s_mov_b32 s8, 0
	s_brev_b32 s9, 8
	v_cmp_lt_f64_e64 vcc, |v[11:12]|, s[8:9]
	v_mul_f64 v[17:18], v[17:18], 0.5
	v_cndmask_b32_e32 v37, 0, v58, vcc
	v_ldexp_f64 v[11:12], |v[11:12]|, v37
	v_cmp_gt_f64_e64 s[8:9], s[8:9], v[17:18]
	v_cndmask_b32_e64 v37, 0, v58, s[8:9]
	v_ldexp_f64 v[17:18], v[17:18], v37
	v_rsq_f64_e32 v[37:38], v[11:12]
	v_rsq_f64_e32 v[39:40], v[17:18]
	v_mul_f64 v[41:42], v[11:12], v[37:38]
	v_mul_f64 v[37:38], v[37:38], 0.5
	v_mul_f64 v[43:44], v[17:18], v[39:40]
	v_mul_f64 v[39:40], v[39:40], 0.5
	v_fma_f64 v[45:46], -v[37:38], v[41:42], 0.5
	v_fma_f64 v[49:50], -v[39:40], v[43:44], 0.5
	v_fma_f64 v[41:42], v[41:42], v[45:46], v[41:42]
	v_fma_f64 v[37:38], v[37:38], v[45:46], v[37:38]
	;; [unrolled: 1-line block ×3, first 2 shown]
	v_fma_f64 v[45:46], -v[41:42], v[41:42], v[11:12]
	v_fma_f64 v[39:40], v[39:40], v[49:50], v[39:40]
	v_fma_f64 v[49:50], -v[43:44], v[43:44], v[17:18]
	v_fma_f64 v[41:42], v[45:46], v[37:38], v[41:42]
	v_fma_f64 v[43:44], v[49:50], v[39:40], v[43:44]
	v_fma_f64 v[45:46], -v[41:42], v[41:42], v[11:12]
	v_fma_f64 v[49:50], -v[43:44], v[43:44], v[17:18]
	v_fma_f64 v[37:38], v[45:46], v[37:38], v[41:42]
	v_cndmask_b32_e32 v41, 0, v59, vcc
	v_cndmask_b32_e64 v42, 0, v59, s[8:9]
	v_cmp_class_f64_e32 vcc, v[11:12], v55
	v_cmp_class_f64_e64 s[8:9], v[17:18], v55
	v_fma_f64 v[39:40], v[49:50], v[39:40], v[43:44]
	v_ldexp_f64 v[37:38], v[37:38], v41
	v_mov_b32_e32 v49, 0
	v_mov_b32_e32 v50, 0x3ff00000
	v_ldexp_f64 v[39:40], v[39:40], v42
	v_cndmask_b32_e32 v12, v38, v12, vcc
	v_cndmask_b32_e32 v11, v37, v11, vcc
	v_cndmask_b32_e64 v18, v40, v18, s[8:9]
	v_cndmask_b32_e64 v17, v39, v17, s[8:9]
	v_mul_f64 v[51:52], v[11:12], v[17:18]
.LBB42_259:                             ;   in Loop: Header=BB42_5 Depth=1
	s_or_b64 exec, exec, s[76:77]
	s_mov_b64 s[8:9], exec
.LBB42_260:                             ;   in Loop: Header=BB42_5 Depth=1
	s_or_b64 exec, exec, s[74:75]
                                        ; implicit-def: $vgpr39_vgpr40
.LBB42_261:                             ;   in Loop: Header=BB42_5 Depth=1
	s_andn2_saveexec_b64 s[10:11], s[10:11]
	s_cbranch_execz .LBB42_263
; %bb.262:                              ;   in Loop: Header=BB42_5 Depth=1
	v_ldexp_f64 v[51:52], v[39:40], 53
	v_ldexp_f64 v[49:50], |v[9:10]|, 53
	s_or_b64 s[8:9], s[8:9], exec
                                        ; implicit-def: $vgpr47_vgpr48
.LBB42_263:                             ;   in Loop: Header=BB42_5 Depth=1
	s_or_b64 exec, exec, s[10:11]
	v_cmp_lt_i64_e32 vcc, -1, v[9:10]
	s_xor_b64 s[8:9], s[8:9], -1
	s_and_saveexec_b64 s[10:11], s[8:9]
	s_xor_b64 s[10:11], exec, s[10:11]
	s_cbranch_execz .LBB42_273
; %bb.264:                              ;   in Loop: Header=BB42_5 Depth=1
	s_and_saveexec_b64 s[8:9], vcc
	s_xor_b64 s[74:75], exec, s[8:9]
	s_cbranch_execz .LBB42_268
; %bb.265:                              ;   in Loop: Header=BB42_5 Depth=1
	v_fma_f64 v[9:10], |v[47:48]|, -0.5, 0.5
	v_mul_f64 v[11:12], v[47:48], v[47:48]
	v_cmp_ge_f64_e64 s[8:9], |v[47:48]|, 0.5
	s_mov_b32 s76, 0x9fea6a70
	s_mov_b32 s77, 0x3fa05985
	v_cndmask_b32_e64 v12, v12, v10, s[8:9]
	v_cndmask_b32_e64 v11, v11, v9, s[8:9]
	v_fma_f64 v[17:18], v[11:12], s[76:77], v[27:28]
	s_mov_b32 s76, 0x37024d6a
	s_mov_b32 s77, 0x3f940521
	v_fma_f64 v[17:18], v[11:12], v[17:18], s[76:77]
	s_mov_b32 s76, 0x98a70509
	s_mov_b32 s77, 0x3f7ab3a0
	;; [unrolled: 3-line block ×11, first 2 shown]
	v_mul_f64 v[11:12], v[11:12], v[17:18]
	v_fma_f64 v[17:18], v[47:48], v[11:12], v[47:48]
	v_fma_f64 v[17:18], s[76:77], v[29:30], -v[17:18]
	s_and_saveexec_b64 s[76:77], s[8:9]
	s_cbranch_execz .LBB42_267
; %bb.266:                              ;   in Loop: Header=BB42_5 Depth=1
	v_rsq_f64_e32 v[17:18], v[9:10]
	v_cmp_eq_f64_e64 s[8:9], 0, v[9:10]
	v_mul_f64 v[37:38], v[9:10], v[17:18]
	v_mul_f64 v[17:18], v[17:18], 0.5
	v_fma_f64 v[39:40], -v[17:18], v[37:38], 0.5
	v_fma_f64 v[37:38], v[37:38], v[39:40], v[37:38]
	v_fma_f64 v[17:18], v[17:18], v[39:40], v[17:18]
	v_fma_f64 v[39:40], -v[37:38], v[37:38], v[9:10]
	v_fma_f64 v[17:18], v[39:40], v[17:18], v[37:38]
	v_cndmask_b32_e64 v18, v18, v10, s[8:9]
	v_cndmask_b32_e64 v17, v17, v9, s[8:9]
	v_add_f64 v[37:38], v[17:18], v[17:18]
	v_mul_f64 v[39:40], v[17:18], v[17:18]
	v_rcp_f64_e32 v[41:42], v[37:38]
	v_add_f64 v[43:44], v[9:10], -v[39:40]
	v_fma_f64 v[49:50], v[17:18], v[17:18], -v[39:40]
	v_add_f64 v[9:10], v[9:10], -v[43:44]
	v_fma_f64 v[45:46], -v[37:38], v[41:42], 1.0
	v_add_f64 v[9:10], v[9:10], -v[39:40]
	v_fma_f64 v[39:40], v[45:46], v[41:42], v[41:42]
	v_add_f64 v[9:10], v[9:10], -v[49:50]
	v_fma_f64 v[41:42], -v[37:38], v[39:40], 1.0
	v_add_f64 v[9:10], v[43:44], v[9:10]
	v_fma_f64 v[39:40], v[41:42], v[39:40], v[39:40]
	v_mul_f64 v[41:42], v[9:10], v[39:40]
	v_fma_f64 v[9:10], -v[37:38], v[41:42], v[9:10]
	v_fma_f64 v[9:10], v[9:10], v[39:40], v[41:42]
	v_cndmask_b32_e64 v10, v10, 0, s[8:9]
	v_cndmask_b32_e64 v9, v9, 0, s[8:9]
	v_add_f64 v[37:38], v[17:18], v[9:10]
	v_cmp_neq_f64_e64 s[8:9], 1.0, v[47:48]
	v_add_f64 v[17:18], v[37:38], -v[17:18]
	v_add_f64 v[9:10], v[9:10], -v[17:18]
	v_fma_f64 v[9:10], v[37:38], v[11:12], v[9:10]
	v_add_f64 v[9:10], v[37:38], v[9:10]
	v_add_f64 v[9:10], v[9:10], v[9:10]
	v_cndmask_b32_e64 v18, 0, v10, s[8:9]
	v_cndmask_b32_e64 v17, 0, v9, s[8:9]
.LBB42_267:                             ;   in Loop: Header=BB42_5 Depth=1
	s_or_b64 exec, exec, s[76:77]
                                        ; implicit-def: $vgpr47_vgpr48
.LBB42_268:                             ;   in Loop: Header=BB42_5 Depth=1
	s_andn2_saveexec_b64 s[74:75], s[74:75]
	s_cbranch_execz .LBB42_272
; %bb.269:                              ;   in Loop: Header=BB42_5 Depth=1
	v_fma_f64 v[9:10], |v[47:48]|, -0.5, 0.5
	v_mul_f64 v[11:12], v[47:48], v[47:48]
	v_cmp_ge_f64_e64 s[8:9], |v[47:48]|, 0.5
	s_mov_b32 s76, 0x9fea6a70
	s_mov_b32 s77, 0x3fa05985
	v_cndmask_b32_e64 v12, v12, v10, s[8:9]
	v_cndmask_b32_e64 v11, v11, v9, s[8:9]
	v_fma_f64 v[17:18], v[11:12], s[76:77], v[27:28]
	s_mov_b32 s76, 0x37024d6a
	s_mov_b32 s77, 0x3f940521
	v_fma_f64 v[17:18], v[11:12], v[17:18], s[76:77]
	s_mov_b32 s76, 0x98a70509
	s_mov_b32 s77, 0x3f7ab3a0
	;; [unrolled: 3-line block ×11, first 2 shown]
	v_mul_f64 v[11:12], v[11:12], v[17:18]
	v_fma_f64 v[17:18], -v[47:48], v[11:12], -v[47:48]
	v_fma_f64 v[17:18], s[76:77], v[29:30], -v[17:18]
	s_and_saveexec_b64 s[76:77], s[8:9]
	s_cbranch_execz .LBB42_271
; %bb.270:                              ;   in Loop: Header=BB42_5 Depth=1
	v_rsq_f64_e32 v[17:18], v[9:10]
	v_cmp_eq_f64_e64 s[8:9], 0, v[9:10]
	v_readlane_b32 s78, v83, 2
	v_readlane_b32 s79, v83, 3
	s_mov_b32 s29, s79
	v_writelane_b32 v83, s28, 2
	v_writelane_b32 v83, s29, 3
	v_mul_f64 v[37:38], v[9:10], v[17:18]
	v_mul_f64 v[17:18], v[17:18], 0.5
	v_fma_f64 v[39:40], -v[17:18], v[37:38], 0.5
	v_fma_f64 v[37:38], v[37:38], v[39:40], v[37:38]
	v_fma_f64 v[17:18], v[17:18], v[39:40], v[17:18]
	v_fma_f64 v[39:40], -v[37:38], v[37:38], v[9:10]
	v_fma_f64 v[17:18], v[39:40], v[17:18], v[37:38]
	v_cndmask_b32_e64 v18, v18, v10, s[8:9]
	v_cndmask_b32_e64 v17, v17, v9, s[8:9]
	v_add_f64 v[37:38], v[17:18], v[17:18]
	v_mul_f64 v[39:40], v[17:18], v[17:18]
	v_rcp_f64_e32 v[41:42], v[37:38]
	v_add_f64 v[43:44], v[9:10], -v[39:40]
	v_fma_f64 v[49:50], v[17:18], v[17:18], -v[39:40]
	v_add_f64 v[9:10], v[9:10], -v[43:44]
	v_fma_f64 v[45:46], -v[37:38], v[41:42], 1.0
	v_add_f64 v[9:10], v[9:10], -v[39:40]
	v_fma_f64 v[39:40], v[45:46], v[41:42], v[41:42]
	v_add_f64 v[9:10], v[9:10], -v[49:50]
	v_fma_f64 v[41:42], -v[37:38], v[39:40], 1.0
	v_add_f64 v[9:10], v[43:44], v[9:10]
	v_fma_f64 v[39:40], v[41:42], v[39:40], v[39:40]
	v_mul_f64 v[41:42], v[9:10], v[39:40]
	v_fma_f64 v[9:10], -v[37:38], v[41:42], v[9:10]
	v_fma_f64 v[9:10], v[9:10], v[39:40], v[41:42]
	v_cndmask_b32_e64 v10, v10, 0, s[8:9]
	v_cndmask_b32_e64 v9, v9, 0, s[8:9]
	v_add_f64 v[37:38], v[17:18], v[9:10]
	s_mov_b32 s8, 0x336a0500
	s_mov_b32 s9, 0x3fedd9ad
	;; [unrolled: 1-line block ×3, first 2 shown]
	v_add_f64 v[17:18], v[37:38], -v[17:18]
	v_add_f64 v[9:10], v[9:10], -v[17:18]
	v_fma_f64 v[17:18], v[37:38], v[11:12], v[37:38]
	v_fma_f64 v[9:10], v[37:38], v[11:12], v[9:10]
	v_mul_f64 v[11:12], v[17:18], -2.0
	v_add_f64 v[9:10], v[37:38], v[9:10]
	v_fma_f64 v[11:12], s[8:9], v[29:30], v[11:12]
	v_cmp_lt_f64_e64 s[8:9], 0, v[47:48]
	v_add_f64 v[9:10], v[9:10], v[9:10]
	v_cndmask_b32_e64 v9, v9, v11, s[8:9]
	v_cndmask_b32_e64 v10, v10, v12, s[8:9]
	v_cmp_neq_f64_e64 s[8:9], 1.0, v[47:48]
	v_cndmask_b32_e64 v18, v62, v10, s[8:9]
	v_cndmask_b32_e64 v17, v63, v9, s[8:9]
.LBB42_271:                             ;   in Loop: Header=BB42_5 Depth=1
	s_or_b64 exec, exec, s[76:77]
.LBB42_272:                             ;   in Loop: Header=BB42_5 Depth=1
	s_or_b64 exec, exec, s[74:75]
                                        ; implicit-def: $vgpr49_vgpr50
                                        ; implicit-def: $vgpr51_vgpr52
.LBB42_273:                             ;   in Loop: Header=BB42_5 Depth=1
	s_andn2_saveexec_b64 s[74:75], s[10:11]
	s_cbranch_execz .LBB42_279
; %bb.274:                              ;   in Loop: Header=BB42_5 Depth=1
	s_and_saveexec_b64 s[8:9], vcc
	s_xor_b64 s[76:77], exec, s[8:9]
	s_cbranch_execz .LBB42_276
; %bb.275:                              ;   in Loop: Header=BB42_5 Depth=1
	v_max_f64 v[9:10], |v[51:52]|, |v[51:52]|
	v_max_f64 v[11:12], v[49:50], v[49:50]
	s_mov_b32 s56, s70
	v_cmp_class_f64_e64 s[78:79], v[51:52], s86
	v_cmp_eq_f64_e64 s[10:11], s[66:67], v[49:50]
	v_max_f64 v[17:18], v[11:12], v[9:10]
	v_min_f64 v[9:10], v[11:12], v[9:10]
	v_div_scale_f64 v[11:12], s[8:9], v[17:18], v[17:18], v[9:10]
	s_mov_b32 s8, 0x69efb384
	s_mov_b32 s9, 0x3f4b2bb0
	v_rcp_f64_e32 v[37:38], v[11:12]
	v_fma_f64 v[39:40], -v[11:12], v[37:38], 1.0
	v_fma_f64 v[37:38], v[37:38], v[39:40], v[37:38]
	v_div_scale_f64 v[39:40], vcc, v[9:10], v[17:18], v[9:10]
	v_fma_f64 v[41:42], -v[11:12], v[37:38], 1.0
	v_fma_f64 v[37:38], v[37:38], v[41:42], v[37:38]
	v_mul_f64 v[41:42], v[39:40], v[37:38]
	v_fma_f64 v[11:12], -v[11:12], v[41:42], v[39:40]
	v_div_fmas_f64 v[11:12], v[11:12], v[37:38], v[41:42]
	v_cmp_lt_f64_e64 vcc, v[49:50], |v[51:52]|
	v_div_fixup_f64 v[9:10], v[11:12], v[17:18], v[9:10]
	v_mul_f64 v[11:12], v[9:10], v[9:10]
	v_fma_f64 v[17:18], v[11:12], s[80:81], v[31:32]
	v_fma_f64 v[17:18], v[11:12], v[17:18], s[8:9]
	s_mov_b32 s8, 0xaf56de9b
	s_mov_b32 s9, 0xbf67952d
	v_fma_f64 v[17:18], v[11:12], v[17:18], s[8:9]
	s_mov_b32 s8, 0xa595c56f
	s_mov_b32 s9, 0x3f7d6d43
	;; [unrolled: 3-line block ×6, first 2 shown]
	v_fma_f64 v[17:18], v[11:12], v[17:18], s[8:9]
	v_cmp_eq_f64_e64 s[8:9], 0, v[51:52]
	v_fma_f64 v[17:18], v[11:12], v[17:18], s[82:83]
	v_fma_f64 v[17:18], v[11:12], v[17:18], s[84:85]
	v_fma_f64 v[17:18], v[11:12], v[17:18], s[92:93]
	v_fma_f64 v[17:18], v[11:12], v[17:18], s[94:95]
	v_fma_f64 v[17:18], v[11:12], v[17:18], s[96:97]
	v_fma_f64 v[17:18], v[11:12], v[17:18], s[98:99]
	v_fma_f64 v[17:18], v[11:12], v[17:18], s[46:47]
	v_fma_f64 v[17:18], v[11:12], v[17:18], s[48:49]
	v_fma_f64 v[17:18], v[11:12], v[17:18], s[50:51]
	v_fma_f64 v[17:18], v[11:12], v[17:18], s[52:53]
	v_fma_f64 v[17:18], v[11:12], v[17:18], s[54:55]
	v_mul_f64 v[11:12], v[11:12], v[17:18]
	v_ashrrev_i32_e32 v17, 31, v50
	v_and_b32_e32 v37, 0x54442d18, v17
	v_and_b32_e32 v17, 0x400921fb, v17
	v_fma_f64 v[9:10], v[9:10], v[11:12], v[9:10]
	v_add_f64 v[11:12], -v[9:10], s[70:71]
	v_cndmask_b32_e32 v10, v10, v12, vcc
	v_cndmask_b32_e32 v9, v9, v11, vcc
	v_add_f64 v[11:12], -v[9:10], s[56:57]
	v_cmp_gt_i32_e32 vcc, 0, v50
	v_cndmask_b32_e32 v18, v63, v64, vcc
                                        ; implicit-def: $vgpr49_vgpr50
	v_cndmask_b32_e32 v9, v9, v11, vcc
	v_cndmask_b32_e32 v10, v10, v12, vcc
	;; [unrolled: 1-line block ×3, first 2 shown]
	v_cndmask_b32_e64 v9, v9, v37, s[8:9]
	v_cndmask_b32_e64 v10, v10, v17, s[8:9]
	s_and_b64 vcc, s[10:11], s[78:79]
	v_cndmask_b32_e32 v10, v10, v11, vcc
	v_cndmask_b32_e32 v9, v9, v18, vcc
	v_cmp_o_f64_e32 vcc, v[51:52], v[51:52]
	v_cndmask_b32_e32 v17, 0, v9, vcc
	v_cndmask_b32_e32 v9, v61, v10, vcc
	v_bfi_b32 v18, s91, v9, v52
                                        ; implicit-def: $vgpr51_vgpr52
.LBB42_276:                             ;   in Loop: Header=BB42_5 Depth=1
	s_andn2_saveexec_b64 s[76:77], s[76:77]
	s_cbranch_execz .LBB42_278
; %bb.277:                              ;   in Loop: Header=BB42_5 Depth=1
	v_max_f64 v[9:10], |v[51:52]|, |v[51:52]|
	v_max_f64 v[11:12], v[49:50], v[49:50]
	s_mov_b32 s56, s70
	v_cmp_class_f64_e64 s[78:79], v[51:52], s86
	v_cmp_eq_f64_e64 s[10:11], s[66:67], v[49:50]
	v_max_f64 v[17:18], v[11:12], v[9:10]
	v_min_f64 v[9:10], v[11:12], v[9:10]
	v_div_scale_f64 v[11:12], s[8:9], v[17:18], v[17:18], v[9:10]
	s_mov_b32 s8, 0x69efb384
	s_mov_b32 s9, 0x3f4b2bb0
	v_rcp_f64_e32 v[37:38], v[11:12]
	v_fma_f64 v[39:40], -v[11:12], v[37:38], 1.0
	v_fma_f64 v[37:38], v[37:38], v[39:40], v[37:38]
	v_div_scale_f64 v[39:40], vcc, v[9:10], v[17:18], v[9:10]
	v_fma_f64 v[41:42], -v[11:12], v[37:38], 1.0
	v_fma_f64 v[37:38], v[37:38], v[41:42], v[37:38]
	v_mul_f64 v[41:42], v[39:40], v[37:38]
	v_fma_f64 v[11:12], -v[11:12], v[41:42], v[39:40]
	v_div_fmas_f64 v[11:12], v[11:12], v[37:38], v[41:42]
	v_cmp_lt_f64_e64 vcc, v[49:50], |v[51:52]|
	v_div_fixup_f64 v[9:10], v[11:12], v[17:18], v[9:10]
	v_mul_f64 v[11:12], v[9:10], v[9:10]
	v_fma_f64 v[17:18], v[11:12], s[80:81], v[31:32]
	v_fma_f64 v[17:18], v[11:12], v[17:18], s[8:9]
	s_mov_b32 s8, 0xaf56de9b
	s_mov_b32 s9, 0xbf67952d
	v_fma_f64 v[17:18], v[11:12], v[17:18], s[8:9]
	s_mov_b32 s8, 0xa595c56f
	s_mov_b32 s9, 0x3f7d6d43
	;; [unrolled: 3-line block ×6, first 2 shown]
	v_fma_f64 v[17:18], v[11:12], v[17:18], s[8:9]
	v_cmp_eq_f64_e64 s[8:9], 0, v[51:52]
	v_fma_f64 v[17:18], v[11:12], v[17:18], s[82:83]
	v_fma_f64 v[17:18], v[11:12], v[17:18], s[84:85]
	;; [unrolled: 1-line block ×11, first 2 shown]
	v_mul_f64 v[11:12], v[11:12], v[17:18]
	v_xor_b32_e32 v17, 0x80000000, v50
	v_ashrrev_i32_e32 v18, 31, v17
	v_and_b32_e32 v37, 0x54442d18, v18
	v_and_b32_e32 v18, 0x400921fb, v18
	v_fma_f64 v[9:10], v[9:10], v[11:12], v[9:10]
	v_add_f64 v[11:12], -v[9:10], s[70:71]
	v_cndmask_b32_e32 v10, v10, v12, vcc
	v_cndmask_b32_e32 v9, v9, v11, vcc
	v_add_f64 v[11:12], -v[9:10], s[56:57]
	v_cmp_gt_i32_e32 vcc, 0, v17
	v_cndmask_b32_e32 v17, v63, v64, vcc
	v_cndmask_b32_e32 v9, v9, v11, vcc
	;; [unrolled: 1-line block ×4, first 2 shown]
	v_cndmask_b32_e64 v9, v9, v37, s[8:9]
	v_cndmask_b32_e64 v10, v10, v18, s[8:9]
	s_and_b64 vcc, s[10:11], s[78:79]
	v_cndmask_b32_e32 v10, v10, v11, vcc
	v_cndmask_b32_e32 v9, v9, v17, vcc
	v_cmp_o_f64_e32 vcc, v[51:52], v[51:52]
	v_cndmask_b32_e32 v17, 0, v9, vcc
	v_cndmask_b32_e32 v9, v61, v10, vcc
	v_bfi_b32 v18, s91, v9, v52
.LBB42_278:                             ;   in Loop: Header=BB42_5 Depth=1
	s_or_b64 exec, exec, s[76:77]
.LBB42_279:                             ;   in Loop: Header=BB42_5 Depth=1
	s_or_b64 exec, exec, s[74:75]
	v_xor_b32_e32 v9, 0x80000000, v20
	v_cndmask_b32_e64 v20, v9, v20, s[6:7]
                                        ; implicit-def: $vgpr9_vgpr10
.LBB42_280:                             ;   in Loop: Header=BB42_5 Depth=1
	s_andn2_saveexec_b64 s[8:9], s[72:73]
	s_cbranch_execz .LBB42_282
; %bb.281:                              ;   in Loop: Header=BB42_5 Depth=1
	v_mov_b32_e32 v11, s18
	v_mov_b32_e32 v12, s19
	flat_load_dwordx2 v[11:12], v[11:12] glc
	s_waitcnt vmcnt(0) lgkmcnt(0)
	v_add_f64 v[9:10], v[11:12], -v[9:10]
	v_add_f64 v[17:18], v[9:10], s[70:71]
.LBB42_282:                             ;   in Loop: Header=BB42_5 Depth=1
	s_or_b64 exec, exec, s[8:9]
.LBB42_283:                             ;   in Loop: Header=BB42_5 Depth=1
	s_andn2_saveexec_b64 s[8:9], s[58:59]
	s_cbranch_execz .LBB42_285
; %bb.284:                              ;   in Loop: Header=BB42_5 Depth=1
	s_waitcnt lgkmcnt(0)
	v_mov_b32_e32 v17, 0
	v_mov_b32_e32 v18, 0
.LBB42_285:                             ;   in Loop: Header=BB42_5 Depth=1
	s_or_b64 exec, exec, s[8:9]
                                        ; implicit-def: $vgpr9_vgpr10
                                        ; implicit-def: $vgpr41_vgpr42
                                        ; implicit-def: $vgpr39_vgpr40
                                        ; implicit-def: $vgpr37_vgpr38
.LBB42_286:                             ;   in Loop: Header=BB42_5 Depth=1
	s_andn2_saveexec_b64 s[26:27], s[26:27]
	s_cbranch_execz .LBB42_296
; %bb.287:                              ;   in Loop: Header=BB42_5 Depth=1
	v_cmp_lt_f64_e64 s[8:9], |v[9:10]|, |v[11:12]|
	v_and_b32_e32 v45, 0x7fffffff, v10
	v_and_b32_e32 v46, 0x7fffffff, v12
	s_mov_b32 s10, -1
	s_mov_b32 s11, 0x7fdfffff
                                        ; implicit-def: $sgpr58_sgpr59
                                        ; implicit-def: $vgpr43_vgpr44
                                        ; implicit-def: $vgpr19_vgpr20
	v_cndmask_b32_e64 v18, v45, v46, s[8:9]
	s_waitcnt lgkmcnt(0)
	v_cndmask_b32_e64 v17, v9, v11, s[8:9]
	v_cmp_nlt_f64_e32 vcc, s[10:11], v[17:18]
	s_and_saveexec_b64 s[10:11], vcc
	s_xor_b64 s[72:73], exec, s[10:11]
	s_cbranch_execz .LBB42_293
; %bb.288:                              ;   in Loop: Header=BB42_5 Depth=1
	s_mov_b32 s10, 0
	s_mov_b32 s11, 0x20200000
	v_cmp_nlt_f64_e32 vcc, s[10:11], v[17:18]
	s_mov_b32 s10, 0
	v_cndmask_b32_e64 v46, v46, v45, s[8:9]
	v_cndmask_b32_e64 v45, v11, v9, s[8:9]
	s_brev_b32 s11, 4
	v_cmp_ngt_f64_e64 s[10:11], s[10:11], v[45:46]
                                        ; implicit-def: $sgpr58_sgpr59
                                        ; implicit-def: $vgpr43_vgpr44
                                        ; implicit-def: $vgpr19_vgpr20
	s_and_b64 s[10:11], vcc, s[10:11]
	s_and_saveexec_b64 s[74:75], s[10:11]
	s_xor_b64 s[74:75], exec, s[74:75]
	s_cbranch_execz .LBB42_290
; %bb.289:                              ;   in Loop: Header=BB42_5 Depth=1
	v_mul_f64 v[19:20], v[45:46], v[45:46]
	v_min_f64 v[39:40], v[41:42], v[39:40]
	s_mov_b32 s29, s69
	v_fma_f64 v[17:18], v[17:18], v[17:18], v[19:20]
	v_frexp_mant_f64_e32 v[19:20], v[17:18]
	v_cmp_gt_f64_e64 s[10:11], s[68:69], v[19:20]
	v_cndmask_b32_e64 v43, 0, 1, s[10:11]
	v_ldexp_f64 v[19:20], v[19:20], v43
	v_add_f64 v[43:44], v[19:20], 1.0
	v_add_f64 v[49:50], v[19:20], -1.0
	v_rcp_f64_e32 v[45:46], v[43:44]
	v_add_f64 v[51:52], v[43:44], -1.0
	v_add_f64 v[19:20], v[19:20], -v[51:52]
	v_fma_f64 v[47:48], -v[43:44], v[45:46], 1.0
	v_fma_f64 v[45:46], v[47:48], v[45:46], v[45:46]
	v_fma_f64 v[47:48], -v[43:44], v[45:46], 1.0
	v_fma_f64 v[45:46], v[47:48], v[45:46], v[45:46]
	v_mul_f64 v[47:48], v[49:50], v[45:46]
	v_mul_f64 v[67:68], v[43:44], v[47:48]
	v_fma_f64 v[41:42], v[47:48], v[43:44], -v[67:68]
	v_div_scale_f64 v[43:44], s[58:59], v[37:38], v[37:38], v[39:40]
	s_mov_b32 s58, 0x69efb384
	s_mov_b32 s59, 0x3f4b2bb0
	v_fma_f64 v[19:20], v[47:48], v[19:20], v[41:42]
	v_add_f64 v[41:42], v[67:68], v[19:20]
	v_rcp_f64_e32 v[51:52], v[43:44]
	v_add_f64 v[69:70], v[49:50], -v[41:42]
	v_add_f64 v[67:68], v[41:42], -v[67:68]
	;; [unrolled: 1-line block ×3, first 2 shown]
	v_fma_f64 v[71:72], -v[43:44], v[51:52], 1.0
	v_add_f64 v[19:20], v[67:68], -v[19:20]
	v_frexp_exp_i32_f64_e32 v67, v[17:18]
	v_add_f64 v[41:42], v[49:50], -v[41:42]
	v_fma_f64 v[49:50], v[51:52], v[71:72], v[51:52]
	v_add_f64 v[19:20], v[19:20], v[41:42]
	v_div_scale_f64 v[41:42], vcc, v[39:40], v[37:38], v[39:40]
	v_fma_f64 v[51:52], -v[43:44], v[49:50], 1.0
	v_add_f64 v[19:20], v[69:70], v[19:20]
	v_fma_f64 v[49:50], v[49:50], v[51:52], v[49:50]
	v_mul_f64 v[19:20], v[45:46], v[19:20]
	v_mul_f64 v[45:46], v[41:42], v[49:50]
	v_add_f64 v[51:52], v[47:48], v[19:20]
	v_fma_f64 v[41:42], -v[43:44], v[45:46], v[41:42]
	v_mul_f64 v[43:44], v[51:52], v[51:52]
	v_add_f64 v[47:48], v[51:52], -v[47:48]
	v_div_fmas_f64 v[41:42], v[41:42], v[49:50], v[45:46]
	v_fma_f64 v[45:46], v[43:44], s[30:31], v[25:26]
	v_mul_f64 v[49:50], v[51:52], v[43:44]
	v_add_f64 v[19:20], v[19:20], -v[47:48]
	v_fma_f64 v[45:46], v[43:44], v[45:46], s[34:35]
	v_ldexp_f64 v[19:20], v[19:20], 1
	v_div_fixup_f64 v[37:38], v[41:42], v[37:38], v[39:40]
	v_fma_f64 v[39:40], v[43:44], v[45:46], s[36:37]
	v_mul_f64 v[41:42], v[37:38], v[37:38]
	v_fma_f64 v[39:40], v[43:44], v[39:40], s[38:39]
	v_fma_f64 v[45:46], v[41:42], s[80:81], v[31:32]
	;; [unrolled: 1-line block ×4, first 2 shown]
	s_mov_b32 s58, 0xaf56de9b
	s_mov_b32 s59, 0xbf67952d
	v_fma_f64 v[39:40], v[43:44], v[39:40], s[28:29]
	v_fma_f64 v[43:44], v[41:42], v[45:46], s[58:59]
	v_ldexp_f64 v[45:46], v[51:52], 1
	s_mov_b32 s58, 0xa595c56f
	s_mov_b32 s59, 0x3f7d6d43
	v_subbrev_co_u32_e64 v51, vcc, 0, v67, s[10:11]
	v_mul_f64 v[39:40], v[49:50], v[39:40]
	s_mov_b32 s10, 0xa57d9582
	v_fma_f64 v[43:44], v[41:42], v[43:44], s[58:59]
	s_mov_b32 s11, 0xbf8c6ea4
	v_cvt_f64_i32_e32 v[51:52], v51
	v_cmp_class_f64_e64 vcc, v[17:18], s86
	v_cmp_class_f64_e64 s[58:59], v[9:10], s86
	v_add_f64 v[49:50], v[45:46], v[39:40]
	v_mul_f64 v[67:68], v[51:52], s[42:43]
	v_fma_f64 v[43:44], v[41:42], v[43:44], s[10:11]
	s_mov_b32 s10, 0x5f08b19f
	s_mov_b32 s11, 0x3f967e29
	v_add_f64 v[45:46], v[49:50], -v[45:46]
	v_fma_f64 v[47:48], v[51:52], s[42:43], -v[67:68]
	v_fma_f64 v[43:44], v[41:42], v[43:44], s[10:11]
	s_mov_b32 s10, 0xfc27006a
	s_mov_b32 s11, 0xbf9e9ae6
	v_add_f64 v[39:40], v[39:40], -v[45:46]
	v_fma_f64 v[45:46], v[51:52], s[44:45], v[47:48]
	v_fma_f64 v[43:44], v[41:42], v[43:44], s[10:11]
	s_mov_b32 s10, 0x5711927a
	s_mov_b32 s11, 0x3fa2c15b
	v_add_f64 v[19:20], v[19:20], v[39:40]
	v_fma_f64 v[39:40], v[41:42], v[43:44], s[10:11]
	v_add_f64 v[43:44], v[67:68], v[45:46]
	v_cmp_class_f64_e64 s[10:11], v[11:12], s86
	v_add_f64 v[47:48], v[49:50], v[19:20]
	v_fma_f64 v[39:40], v[41:42], v[39:40], s[82:83]
	v_add_f64 v[67:68], v[43:44], -v[67:68]
	s_and_b64 s[58:59], s[58:59], s[10:11]
	v_add_f64 v[51:52], v[43:44], v[47:48]
	v_add_f64 v[49:50], v[47:48], -v[49:50]
	v_fma_f64 v[39:40], v[41:42], v[39:40], s[84:85]
	v_add_f64 v[45:46], v[45:46], -v[67:68]
	v_add_f64 v[69:70], v[51:52], -v[43:44]
	;; [unrolled: 1-line block ×3, first 2 shown]
	v_fma_f64 v[39:40], v[41:42], v[39:40], s[92:93]
	v_add_f64 v[71:72], v[51:52], -v[69:70]
	v_add_f64 v[47:48], v[47:48], -v[69:70]
	v_fma_f64 v[39:40], v[41:42], v[39:40], s[94:95]
	v_add_f64 v[49:50], v[45:46], v[19:20]
	v_add_f64 v[43:44], v[43:44], -v[71:72]
	v_fma_f64 v[39:40], v[41:42], v[39:40], s[96:97]
	v_add_f64 v[43:44], v[47:48], v[43:44]
	;; [unrolled: 3-line block ×3, first 2 shown]
	v_add_f64 v[49:50], v[49:50], -v[47:48]
	v_fma_f64 v[39:40], v[41:42], v[39:40], s[46:47]
	v_add_f64 v[19:20], v[19:20], -v[47:48]
	v_add_f64 v[67:68], v[51:52], v[43:44]
	v_add_f64 v[45:46], v[45:46], -v[49:50]
	v_fma_f64 v[39:40], v[41:42], v[39:40], s[48:49]
	v_add_f64 v[47:48], v[67:68], -v[51:52]
	v_add_f64 v[19:20], v[19:20], v[45:46]
	v_fma_f64 v[39:40], v[41:42], v[39:40], s[50:51]
	v_add_f64 v[43:44], v[43:44], -v[47:48]
	v_fma_f64 v[39:40], v[41:42], v[39:40], s[52:53]
	v_add_f64 v[19:20], v[19:20], v[43:44]
	v_fma_f64 v[39:40], v[41:42], v[39:40], s[54:55]
	v_add_f64 v[19:20], v[67:68], v[19:20]
	v_mul_f64 v[39:40], v[41:42], v[39:40]
	v_cndmask_b32_e32 v20, v20, v18, vcc
	v_cndmask_b32_e32 v19, v19, v17, vcc
	v_mul_f64 v[41:42], v[19:20], 0.5
	v_cmp_neq_f64_e32 vcc, 0, v[17:18]
	v_fma_f64 v[19:20], v[37:38], v[39:40], v[37:38]
                                        ; implicit-def: $vgpr37_vgpr38
                                        ; implicit-def: $vgpr39_vgpr40
	v_cndmask_b32_e32 v44, v60, v42, vcc
	v_cndmask_b32_e32 v43, 0, v41, vcc
                                        ; implicit-def: $vgpr41_vgpr42
.LBB42_290:                             ;   in Loop: Header=BB42_5 Depth=1
	s_andn2_saveexec_b64 s[74:75], s[74:75]
	s_cbranch_execz .LBB42_292
; %bb.291:                              ;   in Loop: Header=BB42_5 Depth=1
	v_frexp_exp_i32_f64_e32 v47, v[37:38]
	v_cmp_class_f64_e64 s[76:77], v[9:10], s86
	v_cmp_class_f64_e64 s[78:79], v[11:12], s86
	v_min_f64 v[39:40], v[41:42], v[39:40]
	s_mov_b32 s29, s69
	v_sub_u32_e32 v19, 0, v47
	v_ldexp_f64 v[17:18], |v[11:12]|, v19
	v_ldexp_f64 v[19:20], |v[9:10]|, v19
	v_div_scale_f64 v[67:68], s[80:81], v[37:38], v[37:38], v[39:40]
	s_mov_b32 s80, 0xb5e68a13
	s_mov_b32 s81, 0x3eeba404
	v_mul_f64 v[17:18], v[17:18], v[17:18]
	v_fma_f64 v[17:18], v[19:20], v[19:20], v[17:18]
	v_rsq_f64_e32 v[19:20], v[17:18]
	v_cmp_eq_f64_e32 vcc, 0, v[17:18]
	v_mul_f64 v[43:44], v[17:18], v[19:20]
	v_mul_f64 v[19:20], v[19:20], 0.5
	v_fma_f64 v[45:46], -v[19:20], v[43:44], 0.5
	v_fma_f64 v[43:44], v[43:44], v[45:46], v[43:44]
	v_fma_f64 v[19:20], v[19:20], v[45:46], v[19:20]
	v_fma_f64 v[45:46], -v[43:44], v[43:44], v[17:18]
	v_fma_f64 v[19:20], v[45:46], v[19:20], v[43:44]
	v_cndmask_b32_e32 v18, v20, v18, vcc
	v_cndmask_b32_e32 v17, v19, v17, vcc
	v_ldexp_f64 v[17:18], v[17:18], v47
	s_or_b64 vcc, s[76:77], s[78:79]
	v_cndmask_b32_e32 v18, v18, v56, vcc
	v_cndmask_b32_e64 v17, v17, 0, vcc
	v_frexp_mant_f64_e32 v[19:20], v[17:18]
	v_cmp_gt_f64_e64 s[10:11], s[68:69], v[19:20]
	v_cndmask_b32_e64 v43, 0, 1, s[10:11]
	v_ldexp_f64 v[19:20], v[19:20], v43
	v_add_f64 v[43:44], v[19:20], 1.0
	v_add_f64 v[49:50], v[19:20], -1.0
	v_rcp_f64_e32 v[45:46], v[43:44]
	v_add_f64 v[41:42], v[43:44], -1.0
	v_add_f64 v[19:20], v[19:20], -v[41:42]
	v_fma_f64 v[47:48], -v[43:44], v[45:46], 1.0
	v_fma_f64 v[45:46], v[47:48], v[45:46], v[45:46]
	v_fma_f64 v[47:48], -v[43:44], v[45:46], 1.0
	v_fma_f64 v[45:46], v[47:48], v[45:46], v[45:46]
	v_mul_f64 v[47:48], v[49:50], v[45:46]
	v_mul_f64 v[51:52], v[43:44], v[47:48]
	v_fma_f64 v[41:42], v[47:48], v[43:44], -v[51:52]
	v_fma_f64 v[19:20], v[47:48], v[19:20], v[41:42]
	v_rcp_f64_e32 v[41:42], v[67:68]
	v_add_f64 v[43:44], v[51:52], v[19:20]
	v_add_f64 v[69:70], v[49:50], -v[43:44]
	v_fma_f64 v[71:72], -v[67:68], v[41:42], 1.0
	v_add_f64 v[51:52], v[43:44], -v[51:52]
	v_add_f64 v[49:50], v[49:50], -v[69:70]
	v_fma_f64 v[41:42], v[41:42], v[71:72], v[41:42]
	v_add_f64 v[19:20], v[51:52], -v[19:20]
	v_add_f64 v[43:44], v[49:50], -v[43:44]
	v_div_scale_f64 v[49:50], vcc, v[39:40], v[37:38], v[39:40]
	v_fma_f64 v[51:52], -v[67:68], v[41:42], 1.0
	v_add_f64 v[19:20], v[19:20], v[43:44]
	v_fma_f64 v[41:42], v[41:42], v[51:52], v[41:42]
	v_add_f64 v[19:20], v[69:70], v[19:20]
	v_mul_f64 v[43:44], v[49:50], v[41:42]
	v_mul_f64 v[19:20], v[45:46], v[19:20]
	v_fma_f64 v[45:46], -v[67:68], v[43:44], v[49:50]
	v_add_f64 v[49:50], v[47:48], v[19:20]
	v_div_fmas_f64 v[41:42], v[45:46], v[41:42], v[43:44]
	s_mov_b32 vcc_lo, 0x69efb384
	s_mov_b32 vcc_hi, 0x3f4b2bb0
	v_mul_f64 v[43:44], v[49:50], v[49:50]
	v_add_f64 v[47:48], v[49:50], -v[47:48]
	v_fma_f64 v[45:46], v[43:44], s[30:31], v[25:26]
	v_mul_f64 v[51:52], v[49:50], v[43:44]
	v_add_f64 v[19:20], v[19:20], -v[47:48]
	v_div_fixup_f64 v[37:38], v[41:42], v[37:38], v[39:40]
	v_fma_f64 v[39:40], v[43:44], v[45:46], s[34:35]
	v_ldexp_f64 v[19:20], v[19:20], 1
	v_mul_f64 v[41:42], v[37:38], v[37:38]
	v_fma_f64 v[39:40], v[43:44], v[39:40], s[36:37]
	v_fma_f64 v[45:46], v[41:42], s[80:81], v[31:32]
	v_fma_f64 v[39:40], v[43:44], v[39:40], s[38:39]
	v_fma_f64 v[45:46], v[41:42], v[45:46], vcc
	s_mov_b32 vcc_lo, 0xaf56de9b
	s_mov_b32 vcc_hi, 0xbf67952d
	v_fma_f64 v[39:40], v[43:44], v[39:40], s[40:41]
	v_fma_f64 v[45:46], v[41:42], v[45:46], vcc
	s_mov_b32 vcc_lo, 0xa595c56f
	s_mov_b32 vcc_hi, 0x3f7d6d43
	v_fma_f64 v[39:40], v[43:44], v[39:40], s[28:29]
	v_fma_f64 v[43:44], v[41:42], v[45:46], vcc
	v_ldexp_f64 v[45:46], v[49:50], 1
	s_mov_b32 vcc_lo, 0xa57d9582
	s_mov_b32 vcc_hi, 0xbf8c6ea4
	v_mul_f64 v[39:40], v[51:52], v[39:40]
	v_frexp_exp_i32_f64_e32 v51, v[17:18]
	v_fma_f64 v[43:44], v[41:42], v[43:44], vcc
	v_add_f64 v[49:50], v[45:46], v[39:40]
	v_subbrev_co_u32_e64 v51, vcc, 0, v51, s[10:11]
	v_cvt_f64_i32_e32 v[51:52], v51
	s_mov_b32 s10, 0x5f08b19f
	s_mov_b32 s11, 0x3f967e29
	v_fma_f64 v[43:44], v[41:42], v[43:44], s[10:11]
	v_mul_f64 v[67:68], v[51:52], s[42:43]
	v_add_f64 v[45:46], v[49:50], -v[45:46]
	s_mov_b32 s10, 0xfc27006a
	s_mov_b32 s11, 0xbf9e9ae6
	v_cmp_class_f64_e64 vcc, v[17:18], s86
	v_fma_f64 v[43:44], v[41:42], v[43:44], s[10:11]
	v_fma_f64 v[47:48], v[51:52], s[42:43], -v[67:68]
	v_add_f64 v[39:40], v[39:40], -v[45:46]
	s_mov_b32 s10, 0x5711927a
	s_mov_b32 s11, 0x3fa2c15b
	v_fma_f64 v[43:44], v[41:42], v[43:44], s[10:11]
	v_fma_f64 v[45:46], v[51:52], s[44:45], v[47:48]
	v_add_f64 v[19:20], v[19:20], v[39:40]
	s_andn2_b64 s[10:11], s[58:59], exec
	s_and_b64 s[58:59], s[76:77], s[78:79]
	s_and_b64 s[58:59], s[58:59], exec
	s_or_b64 s[58:59], s[10:11], s[58:59]
	v_fma_f64 v[39:40], v[41:42], v[43:44], s[82:83]
	v_add_f64 v[43:44], v[67:68], v[45:46]
	v_add_f64 v[47:48], v[49:50], v[19:20]
	v_fma_f64 v[39:40], v[41:42], v[39:40], s[84:85]
	v_add_f64 v[67:68], v[43:44], -v[67:68]
	v_add_f64 v[51:52], v[43:44], v[47:48]
	v_add_f64 v[49:50], v[47:48], -v[49:50]
	v_fma_f64 v[39:40], v[41:42], v[39:40], s[92:93]
	v_add_f64 v[45:46], v[45:46], -v[67:68]
	v_add_f64 v[69:70], v[51:52], -v[43:44]
	;; [unrolled: 1-line block ×3, first 2 shown]
	v_fma_f64 v[39:40], v[41:42], v[39:40], s[94:95]
	v_add_f64 v[71:72], v[51:52], -v[69:70]
	v_add_f64 v[47:48], v[47:48], -v[69:70]
	v_add_f64 v[49:50], v[45:46], v[19:20]
	v_fma_f64 v[39:40], v[41:42], v[39:40], s[96:97]
	v_add_f64 v[43:44], v[43:44], -v[71:72]
	v_fma_f64 v[39:40], v[41:42], v[39:40], s[98:99]
	v_add_f64 v[43:44], v[47:48], v[43:44]
	v_add_f64 v[47:48], v[49:50], -v[45:46]
	v_fma_f64 v[39:40], v[41:42], v[39:40], s[46:47]
	v_add_f64 v[43:44], v[49:50], v[43:44]
	v_add_f64 v[49:50], v[49:50], -v[47:48]
	v_add_f64 v[19:20], v[19:20], -v[47:48]
	v_fma_f64 v[39:40], v[41:42], v[39:40], s[48:49]
	v_add_f64 v[67:68], v[51:52], v[43:44]
	v_add_f64 v[45:46], v[45:46], -v[49:50]
	v_fma_f64 v[39:40], v[41:42], v[39:40], s[50:51]
	v_add_f64 v[47:48], v[67:68], -v[51:52]
	v_add_f64 v[19:20], v[19:20], v[45:46]
	v_fma_f64 v[39:40], v[41:42], v[39:40], s[52:53]
	v_add_f64 v[43:44], v[43:44], -v[47:48]
	v_fma_f64 v[39:40], v[41:42], v[39:40], s[54:55]
	v_add_f64 v[19:20], v[19:20], v[43:44]
	v_mul_f64 v[39:40], v[41:42], v[39:40]
	v_add_f64 v[41:42], v[67:68], v[19:20]
	v_fma_f64 v[19:20], v[37:38], v[39:40], v[37:38]
	v_cndmask_b32_e32 v37, v41, v17, vcc
	v_cndmask_b32_e32 v38, v42, v18, vcc
	v_cmp_ngt_f64_e32 vcc, 0, v[17:18]
	v_cndmask_b32_e32 v38, v61, v38, vcc
	v_cmp_nge_f64_e32 vcc, 0, v[17:18]
	v_cndmask_b32_e32 v43, 0, v37, vcc
	v_cmp_neq_f64_e32 vcc, 0, v[17:18]
	v_cndmask_b32_e32 v44, v60, v38, vcc
.LBB42_292:                             ;   in Loop: Header=BB42_5 Depth=1
	s_or_b64 exec, exec, s[74:75]
                                        ; implicit-def: $vgpr41_vgpr42
                                        ; implicit-def: $vgpr39_vgpr40
                                        ; implicit-def: $vgpr37_vgpr38
.LBB42_293:                             ;   in Loop: Header=BB42_5 Depth=1
	s_andn2_saveexec_b64 s[72:73], s[72:73]
	s_cbranch_execz .LBB42_295
; %bb.294:                              ;   in Loop: Header=BB42_5 Depth=1
	v_div_scale_f64 v[17:18], s[10:11], s[60:61], s[60:61], v[9:10]
	v_div_scale_f64 v[19:20], s[10:11], s[60:61], s[60:61], v[11:12]
	v_div_scale_f64 v[51:52], s[10:11], v[11:12], s[60:61], v[11:12]
	v_min_f64 v[39:40], v[41:42], v[39:40]
	s_mov_b32 s29, s69
	s_andn2_b64 s[58:59], s[58:59], exec
	v_rcp_f64_e32 v[43:44], v[17:18]
	v_rcp_f64_e32 v[45:46], v[19:20]
	v_fma_f64 v[47:48], -v[17:18], v[43:44], 1.0
	v_fma_f64 v[49:50], -v[19:20], v[45:46], 1.0
	v_fma_f64 v[43:44], v[43:44], v[47:48], v[43:44]
	v_div_scale_f64 v[47:48], vcc, v[9:10], s[60:61], v[9:10]
	v_fma_f64 v[45:46], v[45:46], v[49:50], v[45:46]
	v_fma_f64 v[49:50], -v[17:18], v[43:44], 1.0
	v_fma_f64 v[67:68], -v[19:20], v[45:46], 1.0
	v_fma_f64 v[43:44], v[43:44], v[49:50], v[43:44]
	v_fma_f64 v[45:46], v[45:46], v[67:68], v[45:46]
	v_mul_f64 v[49:50], v[47:48], v[43:44]
	v_mul_f64 v[67:68], v[51:52], v[45:46]
	v_fma_f64 v[17:18], -v[17:18], v[49:50], v[47:48]
	v_fma_f64 v[19:20], -v[19:20], v[67:68], v[51:52]
	v_div_fmas_f64 v[17:18], v[17:18], v[43:44], v[49:50]
	s_mov_b64 vcc, s[10:11]
	v_div_fmas_f64 v[19:20], v[19:20], v[45:46], v[67:68]
	v_div_fixup_f64 v[17:18], v[17:18], s[60:61], v[9:10]
	v_div_fixup_f64 v[19:20], v[19:20], s[60:61], v[11:12]
	v_cmp_class_f64_e64 s[10:11], v[17:18], s86
	v_max_f64 v[43:44], |v[17:18]|, |v[19:20]|
	v_cmp_class_f64_e64 s[74:75], v[19:20], s86
	v_frexp_exp_i32_f64_e32 v51, v[43:44]
	v_sub_u32_e32 v45, 0, v51
	v_ldexp_f64 v[43:44], |v[19:20]|, v45
	v_ldexp_f64 v[45:46], |v[17:18]|, v45
	v_mul_f64 v[43:44], v[43:44], v[43:44]
	v_fma_f64 v[43:44], v[45:46], v[45:46], v[43:44]
	v_rsq_f64_e32 v[45:46], v[43:44]
	v_cmp_eq_f64_e32 vcc, 0, v[43:44]
	v_mul_f64 v[47:48], v[43:44], v[45:46]
	v_mul_f64 v[45:46], v[45:46], 0.5
	v_fma_f64 v[49:50], -v[45:46], v[47:48], 0.5
	v_fma_f64 v[47:48], v[47:48], v[49:50], v[47:48]
	v_fma_f64 v[45:46], v[45:46], v[49:50], v[45:46]
	v_fma_f64 v[49:50], -v[47:48], v[47:48], v[43:44]
	v_fma_f64 v[45:46], v[49:50], v[45:46], v[47:48]
	v_cndmask_b32_e32 v18, v46, v44, vcc
	v_cndmask_b32_e32 v17, v45, v43, vcc
	v_ldexp_f64 v[17:18], v[17:18], v51
	s_or_b64 vcc, s[10:11], s[74:75]
	v_cndmask_b32_e32 v18, v18, v56, vcc
	v_cndmask_b32_e64 v17, v17, 0, vcc
	v_frexp_mant_f64_e32 v[19:20], v[17:18]
	v_cmp_gt_f64_e64 s[10:11], s[68:69], v[19:20]
	v_cndmask_b32_e64 v43, 0, 1, s[10:11]
	v_ldexp_f64 v[19:20], v[19:20], v43
	v_add_f64 v[43:44], v[19:20], 1.0
	v_add_f64 v[49:50], v[19:20], -1.0
	v_rcp_f64_e32 v[45:46], v[43:44]
	v_add_f64 v[51:52], v[43:44], -1.0
	v_add_f64 v[19:20], v[19:20], -v[51:52]
	v_fma_f64 v[47:48], -v[43:44], v[45:46], 1.0
	v_fma_f64 v[45:46], v[47:48], v[45:46], v[45:46]
	v_fma_f64 v[47:48], -v[43:44], v[45:46], 1.0
	v_fma_f64 v[45:46], v[47:48], v[45:46], v[45:46]
	v_mul_f64 v[47:48], v[49:50], v[45:46]
	v_mul_f64 v[67:68], v[43:44], v[47:48]
	v_fma_f64 v[41:42], v[47:48], v[43:44], -v[67:68]
	v_div_scale_f64 v[43:44], s[74:75], v[37:38], v[37:38], v[39:40]
	s_mov_b32 s74, 0x69efb384
	s_mov_b32 s75, 0x3f4b2bb0
	v_fma_f64 v[19:20], v[47:48], v[19:20], v[41:42]
	v_add_f64 v[41:42], v[67:68], v[19:20]
	v_rcp_f64_e32 v[51:52], v[43:44]
	v_add_f64 v[69:70], v[49:50], -v[41:42]
	v_add_f64 v[67:68], v[41:42], -v[67:68]
	;; [unrolled: 1-line block ×3, first 2 shown]
	v_fma_f64 v[71:72], -v[43:44], v[51:52], 1.0
	v_add_f64 v[19:20], v[67:68], -v[19:20]
	v_frexp_exp_i32_f64_e32 v67, v[17:18]
	v_add_f64 v[41:42], v[49:50], -v[41:42]
	v_fma_f64 v[49:50], v[51:52], v[71:72], v[51:52]
	v_add_f64 v[19:20], v[19:20], v[41:42]
	v_div_scale_f64 v[41:42], vcc, v[39:40], v[37:38], v[39:40]
	v_fma_f64 v[51:52], -v[43:44], v[49:50], 1.0
	v_add_f64 v[19:20], v[69:70], v[19:20]
	v_fma_f64 v[49:50], v[49:50], v[51:52], v[49:50]
	v_mul_f64 v[19:20], v[45:46], v[19:20]
	v_mul_f64 v[45:46], v[41:42], v[49:50]
	v_add_f64 v[51:52], v[47:48], v[19:20]
	v_fma_f64 v[41:42], -v[43:44], v[45:46], v[41:42]
	v_mul_f64 v[43:44], v[51:52], v[51:52]
	v_add_f64 v[47:48], v[51:52], -v[47:48]
	v_div_fmas_f64 v[41:42], v[41:42], v[49:50], v[45:46]
	v_fma_f64 v[45:46], v[43:44], s[30:31], v[25:26]
	v_mul_f64 v[49:50], v[51:52], v[43:44]
	v_add_f64 v[19:20], v[19:20], -v[47:48]
	v_fma_f64 v[45:46], v[43:44], v[45:46], s[34:35]
	v_ldexp_f64 v[19:20], v[19:20], 1
	v_div_fixup_f64 v[37:38], v[41:42], v[37:38], v[39:40]
	v_fma_f64 v[39:40], v[43:44], v[45:46], s[36:37]
	v_mul_f64 v[41:42], v[37:38], v[37:38]
	v_fma_f64 v[39:40], v[43:44], v[39:40], s[38:39]
	v_fma_f64 v[45:46], v[41:42], s[80:81], v[31:32]
	;; [unrolled: 1-line block ×4, first 2 shown]
	s_mov_b32 s74, 0xaf56de9b
	s_mov_b32 s75, 0xbf67952d
	v_fma_f64 v[39:40], v[43:44], v[39:40], s[28:29]
	v_fma_f64 v[43:44], v[41:42], v[45:46], s[74:75]
	v_ldexp_f64 v[45:46], v[51:52], 1
	s_mov_b32 s74, 0xa595c56f
	s_mov_b32 s75, 0x3f7d6d43
	v_subbrev_co_u32_e64 v51, vcc, 0, v67, s[10:11]
	v_mul_f64 v[39:40], v[49:50], v[39:40]
	v_cvt_f64_i32_e32 v[51:52], v51
	v_fma_f64 v[43:44], v[41:42], v[43:44], s[74:75]
	s_mov_b32 s10, 0xa57d9582
	s_mov_b32 s11, 0xbf8c6ea4
	v_mul_f64 v[67:68], v[51:52], s[42:43]
	v_cmp_class_f64_e64 vcc, v[17:18], s86
	v_cmp_class_f64_e64 s[74:75], v[9:10], s86
	v_add_f64 v[49:50], v[45:46], v[39:40]
	v_fma_f64 v[43:44], v[41:42], v[43:44], s[10:11]
	s_mov_b32 s10, 0x5f08b19f
	s_mov_b32 s11, 0x3f967e29
	v_fma_f64 v[47:48], v[51:52], s[42:43], -v[67:68]
	v_add_f64 v[45:46], v[49:50], -v[45:46]
	v_fma_f64 v[43:44], v[41:42], v[43:44], s[10:11]
	s_mov_b32 s10, 0xfc27006a
	s_mov_b32 s11, 0xbf9e9ae6
	v_add_f64 v[39:40], v[39:40], -v[45:46]
	v_fma_f64 v[45:46], v[51:52], s[44:45], v[47:48]
	v_fma_f64 v[43:44], v[41:42], v[43:44], s[10:11]
	s_mov_b32 s10, 0x5711927a
	s_mov_b32 s11, 0x3fa2c15b
	v_add_f64 v[19:20], v[19:20], v[39:40]
	v_fma_f64 v[39:40], v[41:42], v[43:44], s[10:11]
	v_add_f64 v[43:44], v[67:68], v[45:46]
	v_cmp_class_f64_e64 s[10:11], v[11:12], s86
	v_add_f64 v[47:48], v[49:50], v[19:20]
	v_fma_f64 v[39:40], v[41:42], v[39:40], s[82:83]
	v_add_f64 v[67:68], v[43:44], -v[67:68]
	s_and_b64 s[10:11], s[74:75], s[10:11]
	s_and_b64 s[10:11], s[10:11], exec
	s_or_b64 s[58:59], s[58:59], s[10:11]
	v_add_f64 v[51:52], v[43:44], v[47:48]
	v_add_f64 v[49:50], v[47:48], -v[49:50]
	v_fma_f64 v[39:40], v[41:42], v[39:40], s[84:85]
	v_add_f64 v[45:46], v[45:46], -v[67:68]
	v_add_f64 v[69:70], v[51:52], -v[43:44]
	;; [unrolled: 1-line block ×3, first 2 shown]
	v_fma_f64 v[39:40], v[41:42], v[39:40], s[92:93]
	v_add_f64 v[71:72], v[51:52], -v[69:70]
	v_add_f64 v[47:48], v[47:48], -v[69:70]
	v_fma_f64 v[39:40], v[41:42], v[39:40], s[94:95]
	v_add_f64 v[49:50], v[45:46], v[19:20]
	v_add_f64 v[43:44], v[43:44], -v[71:72]
	v_fma_f64 v[39:40], v[41:42], v[39:40], s[96:97]
	v_add_f64 v[43:44], v[47:48], v[43:44]
	;; [unrolled: 3-line block ×3, first 2 shown]
	v_add_f64 v[49:50], v[49:50], -v[47:48]
	v_fma_f64 v[39:40], v[41:42], v[39:40], s[46:47]
	v_add_f64 v[19:20], v[19:20], -v[47:48]
	v_add_f64 v[67:68], v[51:52], v[43:44]
	v_add_f64 v[45:46], v[45:46], -v[49:50]
	v_fma_f64 v[39:40], v[41:42], v[39:40], s[48:49]
	v_add_f64 v[47:48], v[67:68], -v[51:52]
	v_add_f64 v[19:20], v[19:20], v[45:46]
	v_fma_f64 v[39:40], v[41:42], v[39:40], s[50:51]
	v_add_f64 v[43:44], v[43:44], -v[47:48]
	v_fma_f64 v[39:40], v[41:42], v[39:40], s[52:53]
	v_add_f64 v[19:20], v[19:20], v[43:44]
	v_fma_f64 v[39:40], v[41:42], v[39:40], s[54:55]
	v_add_f64 v[19:20], v[67:68], v[19:20]
	v_mul_f64 v[39:40], v[41:42], v[39:40]
	v_cndmask_b32_e32 v20, v20, v18, vcc
	v_cndmask_b32_e32 v19, v19, v17, vcc
	v_add_f64 v[41:42], v[19:20], 1.0
	v_cmp_ngt_f64_e32 vcc, 0, v[17:18]
	v_fma_f64 v[19:20], v[37:38], v[39:40], v[37:38]
	v_cndmask_b32_e32 v9, v61, v42, vcc
	v_cmp_nge_f64_e32 vcc, 0, v[17:18]
	v_cndmask_b32_e32 v43, 0, v41, vcc
	v_cmp_neq_f64_e32 vcc, 0, v[17:18]
	v_cndmask_b32_e32 v44, v60, v9, vcc
.LBB42_295:                             ;   in Loop: Header=BB42_5 Depth=1
	s_or_b64 exec, exec, s[72:73]
	v_add_f64 v[17:18], -v[19:20], s[70:71]
	s_mov_b32 s56, s70
	v_ashrrev_i32_e32 v9, 31, v10
	v_cmp_gt_i32_e32 vcc, 0, v10
	v_and_b32_e32 v39, 0x54442d18, v9
	v_and_b32_e32 v9, 0x400921fb, v9
	v_cndmask_b32_e32 v10, v63, v64, vcc
	v_cndmask_b32_e64 v18, v20, v18, s[8:9]
	v_cndmask_b32_e64 v17, v19, v17, s[8:9]
	v_add_f64 v[37:38], -v[17:18], s[56:57]
	v_cmp_eq_f64_e64 s[8:9], 0, v[11:12]
	v_add_f64 v[19:20], v[43:44], s[42:43]
	v_cndmask_b32_e32 v11, v65, v66, vcc
	v_bfi_b32 v11, s91, v11, v12
	v_cndmask_b32_e32 v18, v18, v38, vcc
	v_cndmask_b32_e32 v17, v17, v37, vcc
	v_cndmask_b32_e64 v9, v18, v9, s[8:9]
	v_xor_b32_e32 v12, 0x80000000, v20
	v_cndmask_b32_e64 v17, v17, v39, s[8:9]
	v_cndmask_b32_e64 v9, v9, v11, s[58:59]
	;; [unrolled: 1-line block ×3, first 2 shown]
	v_and_b32_e32 v18, 0x7fffffff, v9
	v_cndmask_b32_e64 v20, v12, v20, s[6:7]
.LBB42_296:                             ;   in Loop: Header=BB42_5 Depth=1
	s_or_b64 exec, exec, s[26:27]
                                        ; implicit-def: $vgpr11_vgpr12
.LBB42_297:                             ;   in Loop: Header=BB42_5 Depth=1
	s_andn2_saveexec_b64 s[6:7], s[16:17]
	s_cbranch_execz .LBB42_311
; %bb.298:                              ;   in Loop: Header=BB42_5 Depth=1
	v_cmp_neq_f64_e64 s[8:9], |v[9:10]|, s[66:67]
                                        ; implicit-def: $vgpr19_vgpr20
	s_and_saveexec_b64 s[10:11], s[8:9]
	s_xor_b64 s[8:9], exec, s[10:11]
	s_cbranch_execz .LBB42_308
; %bb.299:                              ;   in Loop: Header=BB42_5 Depth=1
	v_cmp_neq_f64_e64 s[10:11], |v[11:12]|, s[66:67]
	s_waitcnt lgkmcnt(0)
	v_xor_b32_e32 v20, 0x80000000, v12
	v_mov_b32_e32 v19, v11
	s_and_saveexec_b64 s[16:17], s[10:11]
	s_xor_b64 s[10:11], exec, s[16:17]
	s_cbranch_execz .LBB42_305
; %bb.300:                              ;   in Loop: Header=BB42_5 Depth=1
	v_cmp_neq_f64_e32 vcc, 0, v[9:10]
                                        ; implicit-def: $vgpr19_vgpr20
	s_and_saveexec_b64 s[16:17], vcc
	s_xor_b64 s[16:17], exec, s[16:17]
	s_cbranch_execz .LBB42_302
; %bb.301:                              ;   in Loop: Header=BB42_5 Depth=1
	v_add_f64 v[11:12], v[11:12], 0
	v_add_f64 v[19:20], v[9:10], v[11:12]
                                        ; implicit-def: $vgpr11_vgpr12
.LBB42_302:                             ;   in Loop: Header=BB42_5 Depth=1
	s_or_saveexec_b64 s[16:17], s[16:17]
	v_mov_b32_e32 v17, v19
	v_mov_b32_e32 v18, v20
	s_xor_b64 exec, exec, s[16:17]
	s_cbranch_execz .LBB42_304
; %bb.303:                              ;   in Loop: Header=BB42_5 Depth=1
	v_mov_b32_e32 v9, s18
	v_mov_b32_e32 v10, s19
	flat_load_dwordx2 v[9:10], v[9:10] glc
	s_waitcnt vmcnt(0)
	v_add_f64 v[19:20], v[11:12], v[11:12]
	s_waitcnt lgkmcnt(0)
	v_add_f64 v[17:18], v[9:10], s[70:71]
.LBB42_304:                             ;   in Loop: Header=BB42_5 Depth=1
	s_or_b64 exec, exec, s[16:17]
                                        ; implicit-def: $vgpr9_vgpr10
.LBB42_305:                             ;   in Loop: Header=BB42_5 Depth=1
	s_andn2_saveexec_b64 s[10:11], s[10:11]
; %bb.306:                              ;   in Loop: Header=BB42_5 Depth=1
	v_add_f64 v[17:18], v[9:10], v[9:10]
; %bb.307:                              ;   in Loop: Header=BB42_5 Depth=1
	s_or_b64 exec, exec, s[10:11]
                                        ; implicit-def: $vgpr11_vgpr12
.LBB42_308:                             ;   in Loop: Header=BB42_5 Depth=1
	s_andn2_saveexec_b64 s[8:9], s[8:9]
	s_cbranch_execz .LBB42_310
; %bb.309:                              ;   in Loop: Header=BB42_5 Depth=1
	s_waitcnt lgkmcnt(0)
	v_add_f64 v[17:18], v[11:12], v[11:12]
	v_mov_b32_e32 v19, 0
	v_mov_b32_e32 v20, 0xfff00000
.LBB42_310:                             ;   in Loop: Header=BB42_5 Depth=1
	s_or_b64 exec, exec, s[8:9]
.LBB42_311:                             ;   in Loop: Header=BB42_5 Depth=1
	s_or_b64 exec, exec, s[6:7]
	v_cmp_o_f64_e32 vcc, v[1:2], v[3:4]
	v_mov_b32_e32 v9, s18
	v_mov_b32_e32 v10, s19
	flat_store_dwordx2 v[9:10], v[21:22]
	s_waitcnt vmcnt(0)
                                        ; implicit-def: $vgpr11_vgpr12
	s_and_saveexec_b64 s[6:7], vcc
	s_xor_b64 s[16:17], exec, s[6:7]
	s_cbranch_execz .LBB42_399
; %bb.312:                              ;   in Loop: Header=BB42_5 Depth=1
	v_max_f64 v[39:40], |v[3:4]|, |v[3:4]|
	v_max_f64 v[41:42], |v[1:2]|, |v[1:2]|
	v_cmp_gt_i64_e64 s[6:7], 0, v[3:4]
                                        ; implicit-def: $vgpr11_vgpr12
	v_max_f64 v[37:38], v[41:42], v[39:40]
	v_cmp_nlt_f64_e32 vcc, s[64:65], v[37:38]
	s_and_saveexec_b64 s[8:9], vcc
	s_xor_b64 s[26:27], exec, s[8:9]
	s_cbranch_execz .LBB42_388
; %bb.313:                              ;   in Loop: Header=BB42_5 Depth=1
	v_cmp_neq_f64_e32 vcc, 1.0, v[1:2]
	v_cmp_neq_f64_e64 s[8:9], 0, v[3:4]
	v_xor_b32_e32 v12, 0x80000000, v4
	v_mov_b32_e32 v11, v3
	s_or_b64 s[8:9], vcc, s[8:9]
	s_and_saveexec_b64 s[10:11], s[8:9]
	s_xor_b64 s[58:59], exec, s[10:11]
	s_cbranch_execz .LBB42_385
; %bb.314:                              ;   in Loop: Header=BB42_5 Depth=1
	v_mov_b32_e32 v9, s22
	v_mov_b32_e32 v10, s23
	flat_store_dword v[9:10], v54
	s_waitcnt vmcnt(0)
	flat_load_dword v9, v[9:10] glc
	s_waitcnt vmcnt(0)
	s_mov_b32 s10, 0x1409212f
	s_mov_b32 s11, 0x3e43988e
	v_cmp_nlt_f64_e64 s[8:9], |v[1:2]|, s[10:11]
	v_cmp_nlt_f64_e64 s[10:11], |v[3:4]|, s[10:11]
	s_or_b64 s[8:9], s[8:9], s[10:11]
	s_waitcnt lgkmcnt(0)
	v_add_f32_e32 v11, 1.0, v9
	v_mov_b32_e32 v9, s24
	v_mov_b32_e32 v10, s25
	flat_store_dword v[9:10], v11
	s_waitcnt vmcnt(0)
	flat_load_dword v9, v[9:10] glc
	s_waitcnt vmcnt(0)
	v_mov_b32_e32 v11, v3
	s_and_saveexec_b64 s[10:11], s[8:9]
	s_xor_b64 s[72:73], exec, s[10:11]
	s_cbranch_execz .LBB42_382
; %bb.315:                              ;   in Loop: Header=BB42_5 Depth=1
	v_add_f64 v[37:38], |v[1:2]|, 1.0
	s_waitcnt lgkmcnt(0)
	v_add_f64 v[9:10], |v[1:2]|, -1.0
	v_max_f64 v[11:12], v[39:40], v[37:38]
	v_max_f64 v[39:40], v[39:40], |v[9:10]|
	v_frexp_exp_i32_f64_e32 v67, v[11:12]
	v_frexp_exp_i32_f64_e32 v68, v[39:40]
	v_sub_u32_e32 v41, 0, v67
	v_sub_u32_e32 v43, 0, v68
	v_ldexp_f64 v[11:12], v[37:38], v41
	v_ldexp_f64 v[39:40], |v[9:10]|, v43
	v_ldexp_f64 v[41:42], |v[3:4]|, v41
	;; [unrolled: 1-line block ×3, first 2 shown]
	v_mul_f64 v[11:12], v[11:12], v[11:12]
	v_mul_f64 v[39:40], v[39:40], v[39:40]
	v_fma_f64 v[11:12], v[41:42], v[41:42], v[11:12]
	v_fma_f64 v[39:40], v[43:44], v[43:44], v[39:40]
	v_rsq_f64_e32 v[41:42], v[11:12]
	v_rsq_f64_e32 v[43:44], v[39:40]
	v_cmp_eq_f64_e32 vcc, 0, v[11:12]
	v_cmp_eq_f64_e64 s[8:9], 0, v[39:40]
	v_mul_f64 v[45:46], v[11:12], v[41:42]
	v_mul_f64 v[41:42], v[41:42], 0.5
	v_mul_f64 v[47:48], v[39:40], v[43:44]
	v_mul_f64 v[43:44], v[43:44], 0.5
	v_fma_f64 v[49:50], -v[41:42], v[45:46], 0.5
	v_fma_f64 v[51:52], -v[43:44], v[47:48], 0.5
	v_fma_f64 v[45:46], v[45:46], v[49:50], v[45:46]
	v_fma_f64 v[41:42], v[41:42], v[49:50], v[41:42]
	v_fma_f64 v[47:48], v[47:48], v[51:52], v[47:48]
	v_fma_f64 v[43:44], v[43:44], v[51:52], v[43:44]
	v_fma_f64 v[49:50], -v[45:46], v[45:46], v[11:12]
	v_fma_f64 v[51:52], -v[47:48], v[47:48], v[39:40]
	v_fma_f64 v[41:42], v[49:50], v[41:42], v[45:46]
	v_fma_f64 v[43:44], v[51:52], v[43:44], v[47:48]
	v_cndmask_b32_e32 v12, v42, v12, vcc
	v_cndmask_b32_e32 v11, v41, v11, vcc
	v_cndmask_b32_e64 v40, v44, v40, s[8:9]
	v_cndmask_b32_e64 v39, v43, v39, s[8:9]
	v_ldexp_f64 v[11:12], v[11:12], v67
	v_cmp_neq_f64_e32 vcc, s[66:67], v[37:38]
	v_ldexp_f64 v[39:40], v[39:40], v68
	v_cmp_neq_f64_e64 s[8:9], |v[9:10]|, s[66:67]
	v_cndmask_b32_e32 v44, v56, v12, vcc
	v_cndmask_b32_e32 v43, 0, v11, vcc
	v_cndmask_b32_e64 v42, v56, v40, s[8:9]
	v_cndmask_b32_e64 v41, 0, v39, s[8:9]
	v_add_f64 v[11:12], v[43:44], v[41:42]
	s_mov_b32 s8, 0
	s_mov_b32 s9, 0x40240000
	v_mul_f64 v[11:12], v[11:12], 0.5
	v_cmp_ngt_f64_e32 vcc, 1.0, v[11:12]
	v_cndmask_b32_e32 v40, v57, v12, vcc
	v_cndmask_b32_e32 v39, 0, v11, vcc
	v_cmp_ngt_f64_e32 vcc, s[8:9], v[39:40]
                                        ; implicit-def: $vgpr11_vgpr12
	s_and_saveexec_b64 s[8:9], vcc
	s_xor_b64 s[8:9], exec, s[8:9]
	s_cbranch_execz .LBB42_317
; %bb.316:                              ;   in Loop: Header=BB42_5 Depth=1
	v_fma_f64 v[11:12], v[39:40], v[39:40], -1.0
	s_mov_b32 s10, 0
	s_brev_b32 s11, 8
	s_mov_b32 s29, s69
	v_cmp_gt_f64_e32 vcc, s[10:11], v[11:12]
	v_cndmask_b32_e32 v45, 0, v58, vcc
	v_ldexp_f64 v[11:12], v[11:12], v45
	v_rsq_f64_e32 v[45:46], v[11:12]
	v_mul_f64 v[47:48], v[11:12], v[45:46]
	v_mul_f64 v[45:46], v[45:46], 0.5
	v_fma_f64 v[49:50], -v[45:46], v[47:48], 0.5
	v_fma_f64 v[47:48], v[47:48], v[49:50], v[47:48]
	v_fma_f64 v[45:46], v[45:46], v[49:50], v[45:46]
	v_fma_f64 v[49:50], -v[47:48], v[47:48], v[11:12]
	v_fma_f64 v[47:48], v[49:50], v[45:46], v[47:48]
	v_fma_f64 v[49:50], -v[47:48], v[47:48], v[11:12]
	v_fma_f64 v[45:46], v[49:50], v[45:46], v[47:48]
	v_cndmask_b32_e32 v47, 0, v59, vcc
	v_cmp_class_f64_e32 vcc, v[11:12], v55
	v_ldexp_f64 v[45:46], v[45:46], v47
	v_cndmask_b32_e32 v12, v46, v12, vcc
	v_cndmask_b32_e32 v11, v45, v11, vcc
	v_add_f64 v[11:12], v[39:40], v[11:12]
	v_frexp_mant_f64_e32 v[45:46], v[11:12]
	v_cmp_gt_f64_e32 vcc, s[68:69], v[45:46]
	v_cndmask_b32_e64 v47, 0, 1, vcc
	v_ldexp_f64 v[45:46], v[45:46], v47
	v_add_f64 v[47:48], v[45:46], 1.0
	v_add_f64 v[67:68], v[45:46], -1.0
	v_rcp_f64_e32 v[49:50], v[47:48]
	v_add_f64 v[69:70], v[47:48], -1.0
	v_add_f64 v[45:46], v[45:46], -v[69:70]
	v_fma_f64 v[51:52], -v[47:48], v[49:50], 1.0
	v_fma_f64 v[49:50], v[51:52], v[49:50], v[49:50]
	v_fma_f64 v[51:52], -v[47:48], v[49:50], 1.0
	v_fma_f64 v[49:50], v[51:52], v[49:50], v[49:50]
	v_mul_f64 v[51:52], v[67:68], v[49:50]
	v_mul_f64 v[71:72], v[47:48], v[51:52]
	v_fma_f64 v[47:48], v[51:52], v[47:48], -v[71:72]
	v_fma_f64 v[45:46], v[51:52], v[45:46], v[47:48]
	v_add_f64 v[47:48], v[71:72], v[45:46]
	v_add_f64 v[69:70], v[67:68], -v[47:48]
	v_add_f64 v[71:72], v[47:48], -v[71:72]
	;; [unrolled: 1-line block ×5, first 2 shown]
	v_add_f64 v[45:46], v[45:46], v[47:48]
	v_add_f64 v[45:46], v[69:70], v[45:46]
	v_mul_f64 v[45:46], v[49:50], v[45:46]
	v_add_f64 v[47:48], v[51:52], v[45:46]
	v_mul_f64 v[49:50], v[47:48], v[47:48]
	v_fma_f64 v[67:68], v[49:50], s[30:31], v[25:26]
	v_mul_f64 v[69:70], v[47:48], v[49:50]
	v_fma_f64 v[67:68], v[49:50], v[67:68], s[34:35]
	v_fma_f64 v[67:68], v[49:50], v[67:68], s[36:37]
	;; [unrolled: 1-line block ×5, first 2 shown]
	v_ldexp_f64 v[67:68], v[47:48], 1
	v_add_f64 v[47:48], v[47:48], -v[51:52]
	v_mul_f64 v[49:50], v[69:70], v[49:50]
	v_frexp_exp_i32_f64_e32 v69, v[11:12]
	v_add_f64 v[45:46], v[45:46], -v[47:48]
	v_add_f64 v[51:52], v[67:68], v[49:50]
	v_subbrev_co_u32_e32 v69, vcc, 0, v69, vcc
	v_cvt_f64_i32_e32 v[69:70], v69
	v_ldexp_f64 v[45:46], v[45:46], 1
	v_cmp_class_f64_e64 vcc, v[11:12], s86
	v_mul_f64 v[71:72], v[69:70], s[42:43]
	v_add_f64 v[47:48], v[51:52], -v[67:68]
	v_fma_f64 v[67:68], v[69:70], s[42:43], -v[71:72]
	v_add_f64 v[47:48], v[49:50], -v[47:48]
	v_fma_f64 v[49:50], v[69:70], s[44:45], v[67:68]
	v_add_f64 v[45:46], v[45:46], v[47:48]
	v_add_f64 v[47:48], v[71:72], v[49:50]
	;; [unrolled: 1-line block ×3, first 2 shown]
	v_add_f64 v[71:72], v[47:48], -v[71:72]
	v_add_f64 v[69:70], v[47:48], v[67:68]
	v_add_f64 v[51:52], v[67:68], -v[51:52]
	v_add_f64 v[49:50], v[49:50], -v[71:72]
	;; [unrolled: 1-line block ×6, first 2 shown]
	v_add_f64 v[67:68], v[49:50], v[45:46]
	v_add_f64 v[47:48], v[47:48], -v[75:76]
	v_add_f64 v[47:48], v[51:52], v[47:48]
	v_add_f64 v[51:52], v[67:68], -v[49:50]
	;; [unrolled: 2-line block ×3, first 2 shown]
	v_add_f64 v[45:46], v[45:46], -v[51:52]
	v_add_f64 v[71:72], v[69:70], v[47:48]
	v_add_f64 v[49:50], v[49:50], -v[67:68]
	v_add_f64 v[51:52], v[71:72], -v[69:70]
	v_add_f64 v[45:46], v[45:46], v[49:50]
	v_add_f64 v[47:48], v[47:48], -v[51:52]
	v_add_f64 v[45:46], v[45:46], v[47:48]
	v_add_f64 v[45:46], v[71:72], v[45:46]
	v_cndmask_b32_e32 v45, v45, v11, vcc
	v_cndmask_b32_e32 v46, v46, v12, vcc
	v_cmp_neq_f64_e32 vcc, 0, v[11:12]
	v_cndmask_b32_e32 v12, v60, v46, vcc
	v_cndmask_b32_e32 v11, 0, v45, vcc
.LBB42_317:                             ;   in Loop: Header=BB42_5 Depth=1
	s_or_saveexec_b64 s[10:11], s[8:9]
	v_and_b32_e32 v46, 0x7fffffff, v4
	v_mov_b32_e32 v45, v3
	s_xor_b64 exec, exec, s[10:11]
	s_cbranch_execz .LBB42_339
; %bb.318:                              ;   in Loop: Header=BB42_5 Depth=1
	s_mov_b32 s74, 0
	s_mov_b32 s75, 0x39000000
	v_cmp_neq_f64_e64 s[8:9], |v[1:2]|, 1.0
	v_cmp_nlt_f64_e64 s[74:75], |v[3:4]|, s[74:75]
                                        ; implicit-def: $vgpr11_vgpr12
	s_or_b64 s[8:9], s[8:9], s[74:75]
	s_and_saveexec_b64 s[74:75], s[8:9]
	s_xor_b64 s[74:75], exec, s[74:75]
	s_cbranch_execz .LBB42_336
; %bb.319:                              ;   in Loop: Header=BB42_5 Depth=1
	v_ldexp_f64 v[11:12], |v[9:10]|, s87
	v_cmp_ge_f64_e64 s[8:9], |v[3:4]|, v[11:12]
                                        ; implicit-def: $vgpr11_vgpr12
	s_and_saveexec_b64 s[76:77], s[8:9]
	s_xor_b64 s[76:77], exec, s[76:77]
	s_cbranch_execz .LBB42_329
; %bb.320:                              ;   in Loop: Header=BB42_5 Depth=1
	v_cmp_neq_f64_e32 vcc, 0, v[37:38]
	v_mov_b32_e32 v11, v45
	v_mov_b32_e32 v12, v46
	s_and_saveexec_b64 s[8:9], vcc
	s_cbranch_execz .LBB42_322
; %bb.321:                              ;   in Loop: Header=BB42_5 Depth=1
	v_mul_f64 v[11:12], v[3:4], v[3:4]
	v_add_f64 v[47:48], v[37:38], v[43:44]
	v_div_scale_f64 v[49:50], s[78:79], v[47:48], v[47:48], v[11:12]
	v_div_scale_f64 v[69:70], vcc, v[11:12], v[47:48], v[11:12]
	v_rcp_f64_e32 v[51:52], v[49:50]
	v_fma_f64 v[67:68], -v[49:50], v[51:52], 1.0
	v_fma_f64 v[51:52], v[51:52], v[67:68], v[51:52]
	v_fma_f64 v[67:68], -v[49:50], v[51:52], 1.0
	v_fma_f64 v[51:52], v[51:52], v[67:68], v[51:52]
	v_mul_f64 v[67:68], v[69:70], v[51:52]
	v_fma_f64 v[49:50], -v[49:50], v[67:68], v[69:70]
	v_div_fmas_f64 v[49:50], v[49:50], v[51:52], v[67:68]
	v_div_fixup_f64 v[11:12], v[49:50], v[47:48], v[11:12]
.LBB42_322:                             ;   in Loop: Header=BB42_5 Depth=1
	s_or_b64 exec, exec, s[8:9]
	v_add_f64 v[49:50], -|v[1:2]|, 1.0
                                        ; implicit-def: $vgpr47_vgpr48
	v_cmp_ngt_f64_e32 vcc, 0, v[49:50]
	s_and_saveexec_b64 s[8:9], vcc
	s_xor_b64 s[8:9], exec, s[8:9]
	s_cbranch_execz .LBB42_326
; %bb.323:                              ;   in Loop: Header=BB42_5 Depth=1
	v_cmp_neq_f64_e32 vcc, 0, v[49:50]
	v_mov_b32_e32 v48, v46
	v_mov_b32_e32 v47, v45
	s_and_saveexec_b64 s[78:79], vcc
	s_cbranch_execz .LBB42_325
; %bb.324:                              ;   in Loop: Header=BB42_5 Depth=1
	v_mul_f64 v[47:48], v[3:4], v[3:4]
	v_add_f64 v[49:50], v[49:50], v[41:42]
	v_div_scale_f64 v[51:52], s[80:81], v[49:50], v[49:50], v[47:48]
	v_div_scale_f64 v[71:72], vcc, v[47:48], v[49:50], v[47:48]
	v_rcp_f64_e32 v[67:68], v[51:52]
	v_fma_f64 v[69:70], -v[51:52], v[67:68], 1.0
	v_fma_f64 v[67:68], v[67:68], v[69:70], v[67:68]
	v_fma_f64 v[69:70], -v[51:52], v[67:68], 1.0
	v_fma_f64 v[67:68], v[67:68], v[69:70], v[67:68]
	v_mul_f64 v[69:70], v[71:72], v[67:68]
	v_fma_f64 v[51:52], -v[51:52], v[69:70], v[71:72]
	v_div_fmas_f64 v[51:52], v[51:52], v[67:68], v[69:70]
	v_div_fixup_f64 v[47:48], v[51:52], v[49:50], v[47:48]
.LBB42_325:                             ;   in Loop: Header=BB42_5 Depth=1
	s_or_b64 exec, exec, s[78:79]
	s_mov_b32 s80, 0xb5e68a13
	s_mov_b32 s81, 0x3eeba404
                                        ; implicit-def: $vgpr49_vgpr50
.LBB42_326:                             ;   in Loop: Header=BB42_5 Depth=1
	s_andn2_saveexec_b64 s[8:9], s[8:9]
; %bb.327:                              ;   in Loop: Header=BB42_5 Depth=1
	v_add_f64 v[47:48], v[41:42], -v[49:50]
; %bb.328:                              ;   in Loop: Header=BB42_5 Depth=1
	s_or_b64 exec, exec, s[8:9]
	v_mul_f64 v[47:48], v[47:48], 0.5
	s_mov_b32 s8, 0
	s_brev_b32 s9, 8
	s_mov_b32 s29, s69
	v_fma_f64 v[11:12], v[11:12], 0.5, v[47:48]
	v_add_f64 v[47:48], v[39:40], 1.0
	v_mul_f64 v[47:48], v[47:48], v[11:12]
	v_cmp_gt_f64_e32 vcc, s[8:9], v[47:48]
	v_cndmask_b32_e32 v49, 0, v58, vcc
	v_ldexp_f64 v[47:48], v[47:48], v49
	v_rsq_f64_e32 v[49:50], v[47:48]
	v_mul_f64 v[51:52], v[47:48], v[49:50]
	v_mul_f64 v[49:50], v[49:50], 0.5
	v_fma_f64 v[67:68], -v[49:50], v[51:52], 0.5
	v_fma_f64 v[51:52], v[51:52], v[67:68], v[51:52]
	v_fma_f64 v[49:50], v[49:50], v[67:68], v[49:50]
	v_fma_f64 v[69:70], -v[51:52], v[51:52], v[47:48]
	v_fma_f64 v[51:52], v[69:70], v[49:50], v[51:52]
	v_fma_f64 v[67:68], -v[51:52], v[51:52], v[47:48]
	v_fma_f64 v[49:50], v[67:68], v[49:50], v[51:52]
	v_cndmask_b32_e32 v51, 0, v59, vcc
	v_cmp_class_f64_e32 vcc, v[47:48], v55
	v_ldexp_f64 v[49:50], v[49:50], v51
	v_cndmask_b32_e32 v48, v50, v48, vcc
	v_cndmask_b32_e32 v47, v49, v47, vcc
	v_add_f64 v[47:48], v[11:12], v[47:48]
	v_add_f64 v[11:12], v[47:48], 1.0
	v_cmp_ngt_f64_e64 s[8:9], -1.0, v[47:48]
	v_add_f64 v[49:50], v[11:12], -1.0
	v_frexp_exp_i32_f64_e32 v67, v[11:12]
	v_add_f64 v[51:52], v[49:50], -v[11:12]
	v_add_f64 v[49:50], v[47:48], -v[49:50]
	v_add_f64 v[51:52], v[51:52], 1.0
	v_add_f64 v[49:50], v[49:50], v[51:52]
	v_frexp_mant_f64_e32 v[51:52], v[11:12]
	v_cmp_gt_f64_e32 vcc, s[68:69], v[51:52]
	v_subbrev_co_u32_e32 v81, vcc, 0, v67, vcc
	v_sub_u32_e32 v51, 0, v81
	v_ldexp_f64 v[11:12], v[11:12], v51
	v_ldexp_f64 v[49:50], v[49:50], v51
	v_cmp_neq_f64_e32 vcc, s[66:67], v[47:48]
	v_add_f64 v[51:52], v[11:12], -1.0
	v_add_f64 v[67:68], v[51:52], 1.0
	v_add_f64 v[67:68], v[11:12], -v[67:68]
	v_add_f64 v[67:68], v[49:50], v[67:68]
	v_add_f64 v[69:70], v[51:52], v[67:68]
	v_add_f64 v[51:52], v[69:70], -v[51:52]
	v_add_f64 v[51:52], v[67:68], -v[51:52]
	v_add_f64 v[67:68], v[11:12], 1.0
	v_add_f64 v[71:72], v[67:68], -1.0
	v_add_f64 v[11:12], v[11:12], -v[71:72]
	v_add_f64 v[11:12], v[49:50], v[11:12]
	v_add_f64 v[49:50], v[67:68], v[11:12]
	v_add_f64 v[67:68], v[49:50], -v[67:68]
	v_add_f64 v[11:12], v[11:12], -v[67:68]
	v_rcp_f64_e32 v[67:68], v[49:50]
	v_fma_f64 v[71:72], -v[49:50], v[67:68], 1.0
	v_fma_f64 v[67:68], v[71:72], v[67:68], v[67:68]
	v_fma_f64 v[71:72], -v[49:50], v[67:68], 1.0
	v_fma_f64 v[67:68], v[71:72], v[67:68], v[67:68]
	v_mul_f64 v[71:72], v[69:70], v[67:68]
	v_mul_f64 v[73:74], v[49:50], v[71:72]
	v_fma_f64 v[75:76], v[71:72], v[49:50], -v[73:74]
	v_fma_f64 v[75:76], v[71:72], v[11:12], v[75:76]
	v_add_f64 v[77:78], v[73:74], v[75:76]
	v_add_f64 v[79:80], v[69:70], -v[77:78]
	v_add_f64 v[73:74], v[77:78], -v[73:74]
	;; [unrolled: 1-line block ×4, first 2 shown]
	v_add_f64 v[51:52], v[51:52], v[69:70]
	v_add_f64 v[69:70], v[73:74], -v[75:76]
	v_add_f64 v[51:52], v[69:70], v[51:52]
	v_add_f64 v[69:70], v[79:80], v[51:52]
	v_add_f64 v[73:74], v[79:80], -v[69:70]
	v_add_f64 v[51:52], v[51:52], v[73:74]
	v_mul_f64 v[73:74], v[67:68], v[69:70]
	v_mul_f64 v[75:76], v[49:50], v[73:74]
	v_fma_f64 v[49:50], v[73:74], v[49:50], -v[75:76]
	v_fma_f64 v[11:12], v[73:74], v[11:12], v[49:50]
	v_add_f64 v[49:50], v[75:76], v[11:12]
	v_add_f64 v[77:78], v[69:70], -v[49:50]
	v_add_f64 v[75:76], v[49:50], -v[75:76]
	;; [unrolled: 1-line block ×5, first 2 shown]
	v_cvt_f64_i32_e32 v[69:70], v81
	v_add_f64 v[49:50], v[51:52], v[49:50]
	v_add_f64 v[11:12], v[11:12], v[49:50]
	;; [unrolled: 1-line block ×4, first 2 shown]
	v_add_f64 v[51:52], v[49:50], -v[71:72]
	v_mul_f64 v[71:72], v[69:70], s[42:43]
	v_mul_f64 v[11:12], v[67:68], v[11:12]
	v_add_f64 v[51:52], v[73:74], -v[51:52]
	v_fma_f64 v[73:74], v[69:70], s[42:43], -v[71:72]
	v_add_f64 v[11:12], v[51:52], v[11:12]
	v_fma_f64 v[69:70], v[69:70], s[44:45], v[73:74]
	v_add_f64 v[51:52], v[49:50], v[11:12]
	v_add_f64 v[73:74], v[71:72], v[69:70]
	v_add_f64 v[49:50], v[51:52], -v[49:50]
	v_add_f64 v[71:72], v[73:74], -v[71:72]
	;; [unrolled: 1-line block ×3, first 2 shown]
	v_mul_f64 v[49:50], v[51:52], v[51:52]
	v_add_f64 v[69:70], v[69:70], -v[71:72]
	v_ldexp_f64 v[71:72], v[51:52], 1
	v_ldexp_f64 v[11:12], v[11:12], 1
	v_fma_f64 v[67:68], v[49:50], s[30:31], v[25:26]
	v_fma_f64 v[67:68], v[49:50], v[67:68], s[34:35]
	;; [unrolled: 1-line block ×6, first 2 shown]
	v_mul_f64 v[49:50], v[51:52], v[49:50]
	v_mul_f64 v[49:50], v[49:50], v[67:68]
	v_add_f64 v[51:52], v[71:72], v[49:50]
	v_add_f64 v[67:68], v[51:52], -v[71:72]
	v_add_f64 v[49:50], v[49:50], -v[67:68]
	v_add_f64 v[11:12], v[11:12], v[49:50]
	v_add_f64 v[49:50], v[51:52], v[11:12]
	v_add_f64 v[51:52], v[49:50], -v[51:52]
	v_add_f64 v[11:12], v[11:12], -v[51:52]
	v_add_f64 v[51:52], v[73:74], v[49:50]
	v_add_f64 v[67:68], v[51:52], -v[73:74]
	v_add_f64 v[71:72], v[51:52], -v[67:68]
	;; [unrolled: 1-line block ×3, first 2 shown]
	v_add_f64 v[67:68], v[69:70], v[11:12]
	v_add_f64 v[71:72], v[73:74], -v[71:72]
	v_add_f64 v[49:50], v[49:50], v[71:72]
	v_add_f64 v[71:72], v[67:68], -v[69:70]
	;; [unrolled: 2-line block ×3, first 2 shown]
	v_add_f64 v[11:12], v[11:12], -v[71:72]
	v_add_f64 v[67:68], v[51:52], v[49:50]
	v_add_f64 v[69:70], v[69:70], -v[73:74]
	v_add_f64 v[51:52], v[67:68], -v[51:52]
	v_add_f64 v[11:12], v[11:12], v[69:70]
	v_add_f64 v[49:50], v[49:50], -v[51:52]
	v_add_f64 v[11:12], v[11:12], v[49:50]
	v_add_f64 v[11:12], v[67:68], v[11:12]
	v_cndmask_b32_e32 v12, v56, v12, vcc
	v_cndmask_b32_e64 v12, v61, v12, s[8:9]
	v_cmp_nge_f64_e64 s[8:9], -1.0, v[47:48]
	s_and_b64 vcc, s[8:9], vcc
	v_cndmask_b32_e32 v11, 0, v11, vcc
	v_cmp_neq_f64_e32 vcc, -1.0, v[47:48]
	v_cndmask_b32_e32 v12, v60, v12, vcc
.LBB42_329:                             ;   in Loop: Header=BB42_5 Depth=1
	s_andn2_saveexec_b64 s[76:77], s[76:77]
	s_cbranch_execz .LBB42_335
; %bb.330:                              ;   in Loop: Header=BB42_5 Depth=1
	v_cmp_nlt_f64_e64 s[8:9], |v[1:2]|, 1.0
                                        ; implicit-def: $vgpr11_vgpr12
	s_and_saveexec_b64 s[78:79], s[8:9]
	s_xor_b64 s[78:79], exec, s[78:79]
	s_cbranch_execz .LBB42_332
; %bb.331:                              ;   in Loop: Header=BB42_5 Depth=1
	v_mul_f64 v[11:12], v[9:10], v[37:38]
	s_mov_b32 s8, 0
	s_brev_b32 s9, 8
	s_mov_b32 s29, s69
	v_cmp_gt_f64_e32 vcc, s[8:9], v[11:12]
	v_cndmask_b32_e32 v47, 0, v58, vcc
	v_ldexp_f64 v[11:12], v[11:12], v47
	v_rsq_f64_e32 v[47:48], v[11:12]
	v_mul_f64 v[49:50], v[11:12], v[47:48]
	v_mul_f64 v[47:48], v[47:48], 0.5
	v_fma_f64 v[51:52], -v[47:48], v[49:50], 0.5
	v_fma_f64 v[49:50], v[49:50], v[51:52], v[49:50]
	v_fma_f64 v[47:48], v[47:48], v[51:52], v[47:48]
	v_fma_f64 v[67:68], -v[49:50], v[49:50], v[11:12]
	v_fma_f64 v[49:50], v[67:68], v[47:48], v[49:50]
	v_fma_f64 v[51:52], -v[49:50], v[49:50], v[11:12]
	v_fma_f64 v[47:48], v[51:52], v[47:48], v[49:50]
	v_cndmask_b32_e32 v49, 0, v59, vcc
	v_cmp_class_f64_e32 vcc, v[11:12], v55
	v_ldexp_f64 v[47:48], v[47:48], v49
	v_cndmask_b32_e32 v12, v48, v12, vcc
	v_cndmask_b32_e32 v11, v47, v11, vcc
	v_add_f64 v[47:48], v[9:10], v[11:12]
	v_add_f64 v[11:12], v[47:48], 1.0
	v_cmp_ngt_f64_e64 s[8:9], -1.0, v[47:48]
	v_add_f64 v[49:50], v[11:12], -1.0
	v_frexp_exp_i32_f64_e32 v67, v[11:12]
	v_add_f64 v[51:52], v[49:50], -v[11:12]
	v_add_f64 v[49:50], v[47:48], -v[49:50]
	v_add_f64 v[51:52], v[51:52], 1.0
	v_add_f64 v[49:50], v[49:50], v[51:52]
	v_frexp_mant_f64_e32 v[51:52], v[11:12]
	v_cmp_gt_f64_e32 vcc, s[68:69], v[51:52]
	v_subbrev_co_u32_e32 v81, vcc, 0, v67, vcc
	v_sub_u32_e32 v51, 0, v81
	v_ldexp_f64 v[11:12], v[11:12], v51
	v_ldexp_f64 v[49:50], v[49:50], v51
	v_cmp_neq_f64_e32 vcc, s[66:67], v[47:48]
	v_add_f64 v[51:52], v[11:12], -1.0
	v_add_f64 v[67:68], v[51:52], 1.0
	v_add_f64 v[67:68], v[11:12], -v[67:68]
	v_add_f64 v[67:68], v[49:50], v[67:68]
	v_add_f64 v[69:70], v[51:52], v[67:68]
	v_add_f64 v[51:52], v[69:70], -v[51:52]
	v_add_f64 v[51:52], v[67:68], -v[51:52]
	v_add_f64 v[67:68], v[11:12], 1.0
	v_add_f64 v[71:72], v[67:68], -1.0
	v_add_f64 v[11:12], v[11:12], -v[71:72]
	v_add_f64 v[11:12], v[49:50], v[11:12]
	v_add_f64 v[49:50], v[67:68], v[11:12]
	v_add_f64 v[67:68], v[49:50], -v[67:68]
	v_add_f64 v[11:12], v[11:12], -v[67:68]
	v_rcp_f64_e32 v[67:68], v[49:50]
	v_fma_f64 v[71:72], -v[49:50], v[67:68], 1.0
	v_fma_f64 v[67:68], v[71:72], v[67:68], v[67:68]
	v_fma_f64 v[71:72], -v[49:50], v[67:68], 1.0
	v_fma_f64 v[67:68], v[71:72], v[67:68], v[67:68]
	v_mul_f64 v[71:72], v[69:70], v[67:68]
	v_mul_f64 v[73:74], v[49:50], v[71:72]
	v_fma_f64 v[75:76], v[71:72], v[49:50], -v[73:74]
	v_fma_f64 v[75:76], v[71:72], v[11:12], v[75:76]
	v_add_f64 v[77:78], v[73:74], v[75:76]
	v_add_f64 v[79:80], v[69:70], -v[77:78]
	v_add_f64 v[73:74], v[77:78], -v[73:74]
	;; [unrolled: 1-line block ×4, first 2 shown]
	v_add_f64 v[51:52], v[51:52], v[69:70]
	v_add_f64 v[69:70], v[73:74], -v[75:76]
	v_add_f64 v[51:52], v[69:70], v[51:52]
	v_add_f64 v[69:70], v[79:80], v[51:52]
	v_add_f64 v[73:74], v[79:80], -v[69:70]
	v_add_f64 v[51:52], v[51:52], v[73:74]
	v_mul_f64 v[73:74], v[67:68], v[69:70]
	v_mul_f64 v[75:76], v[49:50], v[73:74]
	v_fma_f64 v[49:50], v[73:74], v[49:50], -v[75:76]
	v_fma_f64 v[11:12], v[73:74], v[11:12], v[49:50]
	v_add_f64 v[49:50], v[75:76], v[11:12]
	v_add_f64 v[77:78], v[69:70], -v[49:50]
	v_add_f64 v[75:76], v[49:50], -v[75:76]
	;; [unrolled: 1-line block ×5, first 2 shown]
	v_cvt_f64_i32_e32 v[69:70], v81
	v_add_f64 v[49:50], v[51:52], v[49:50]
	v_add_f64 v[11:12], v[11:12], v[49:50]
	;; [unrolled: 1-line block ×4, first 2 shown]
	v_add_f64 v[51:52], v[49:50], -v[71:72]
	v_mul_f64 v[71:72], v[69:70], s[42:43]
	v_mul_f64 v[11:12], v[67:68], v[11:12]
	v_add_f64 v[51:52], v[73:74], -v[51:52]
	v_fma_f64 v[73:74], v[69:70], s[42:43], -v[71:72]
	v_add_f64 v[11:12], v[51:52], v[11:12]
	v_fma_f64 v[69:70], v[69:70], s[44:45], v[73:74]
	v_add_f64 v[51:52], v[49:50], v[11:12]
	v_add_f64 v[73:74], v[71:72], v[69:70]
	v_add_f64 v[49:50], v[51:52], -v[49:50]
	v_add_f64 v[71:72], v[73:74], -v[71:72]
	;; [unrolled: 1-line block ×3, first 2 shown]
	v_mul_f64 v[49:50], v[51:52], v[51:52]
	v_add_f64 v[69:70], v[69:70], -v[71:72]
	v_ldexp_f64 v[71:72], v[51:52], 1
	v_ldexp_f64 v[11:12], v[11:12], 1
	v_fma_f64 v[67:68], v[49:50], s[30:31], v[25:26]
	v_fma_f64 v[67:68], v[49:50], v[67:68], s[34:35]
	;; [unrolled: 1-line block ×6, first 2 shown]
	v_mul_f64 v[49:50], v[51:52], v[49:50]
	v_mul_f64 v[49:50], v[49:50], v[67:68]
	v_add_f64 v[51:52], v[71:72], v[49:50]
	v_add_f64 v[67:68], v[51:52], -v[71:72]
	v_add_f64 v[49:50], v[49:50], -v[67:68]
	v_add_f64 v[11:12], v[11:12], v[49:50]
	v_add_f64 v[49:50], v[51:52], v[11:12]
	v_add_f64 v[51:52], v[49:50], -v[51:52]
	v_add_f64 v[11:12], v[11:12], -v[51:52]
	v_add_f64 v[51:52], v[73:74], v[49:50]
	v_add_f64 v[67:68], v[51:52], -v[73:74]
	v_add_f64 v[71:72], v[51:52], -v[67:68]
	;; [unrolled: 1-line block ×3, first 2 shown]
	v_add_f64 v[67:68], v[69:70], v[11:12]
	v_add_f64 v[71:72], v[73:74], -v[71:72]
	v_add_f64 v[49:50], v[49:50], v[71:72]
	v_add_f64 v[71:72], v[67:68], -v[69:70]
	;; [unrolled: 2-line block ×3, first 2 shown]
	v_add_f64 v[11:12], v[11:12], -v[71:72]
	v_add_f64 v[67:68], v[51:52], v[49:50]
	v_add_f64 v[69:70], v[69:70], -v[73:74]
	v_add_f64 v[51:52], v[67:68], -v[51:52]
	v_add_f64 v[11:12], v[11:12], v[69:70]
	v_add_f64 v[49:50], v[49:50], -v[51:52]
	v_add_f64 v[11:12], v[11:12], v[49:50]
	v_add_f64 v[11:12], v[67:68], v[11:12]
	v_cndmask_b32_e32 v12, v56, v12, vcc
	v_cndmask_b32_e64 v12, v61, v12, s[8:9]
	v_cmp_nge_f64_e64 s[8:9], -1.0, v[47:48]
	s_and_b64 vcc, s[8:9], vcc
	v_cndmask_b32_e32 v11, 0, v11, vcc
	v_cmp_neq_f64_e32 vcc, -1.0, v[47:48]
	v_cndmask_b32_e32 v12, v60, v12, vcc
.LBB42_332:                             ;   in Loop: Header=BB42_5 Depth=1
	s_andn2_saveexec_b64 s[8:9], s[78:79]
	s_cbranch_execz .LBB42_334
; %bb.333:                              ;   in Loop: Header=BB42_5 Depth=1
	v_add_f64 v[11:12], -|v[1:2]|, 1.0
	s_mov_b32 s78, 0
	s_brev_b32 s79, 8
	v_mul_f64 v[11:12], v[11:12], v[37:38]
	v_cmp_gt_f64_e32 vcc, s[78:79], v[11:12]
	v_cndmask_b32_e32 v47, 0, v58, vcc
	v_ldexp_f64 v[11:12], v[11:12], v47
	v_rsq_f64_e32 v[47:48], v[11:12]
	v_mul_f64 v[49:50], v[11:12], v[47:48]
	v_mul_f64 v[47:48], v[47:48], 0.5
	v_fma_f64 v[51:52], -v[47:48], v[49:50], 0.5
	v_fma_f64 v[49:50], v[49:50], v[51:52], v[49:50]
	v_fma_f64 v[47:48], v[47:48], v[51:52], v[47:48]
	v_fma_f64 v[51:52], -v[49:50], v[49:50], v[11:12]
	v_fma_f64 v[49:50], v[51:52], v[47:48], v[49:50]
	v_fma_f64 v[51:52], -v[49:50], v[49:50], v[11:12]
	v_fma_f64 v[47:48], v[51:52], v[47:48], v[49:50]
	v_cndmask_b32_e32 v49, 0, v59, vcc
	v_cmp_class_f64_e32 vcc, v[11:12], v55
	v_mov_b32_e32 v50, v46
	v_ldexp_f64 v[47:48], v[47:48], v49
	v_mov_b32_e32 v49, v3
	v_cndmask_b32_e32 v12, v48, v12, vcc
	v_cndmask_b32_e32 v11, v47, v11, vcc
	v_div_scale_f64 v[47:48], s[78:79], v[11:12], v[11:12], v[49:50]
	v_div_scale_f64 v[49:50], vcc, v[49:50], v[11:12], v[49:50]
	v_rcp_f64_e32 v[51:52], v[47:48]
	v_fma_f64 v[67:68], -v[47:48], v[51:52], 1.0
	v_fma_f64 v[51:52], v[51:52], v[67:68], v[51:52]
	v_fma_f64 v[67:68], -v[47:48], v[51:52], 1.0
	v_fma_f64 v[51:52], v[51:52], v[67:68], v[51:52]
	v_mul_f64 v[67:68], v[49:50], v[51:52]
	v_fma_f64 v[47:48], -v[47:48], v[67:68], v[49:50]
	v_div_fmas_f64 v[47:48], v[47:48], v[51:52], v[67:68]
	v_div_fixup_f64 v[11:12], v[47:48], v[11:12], |v[3:4]|
.LBB42_334:                             ;   in Loop: Header=BB42_5 Depth=1
	s_or_b64 exec, exec, s[8:9]
.LBB42_335:                             ;   in Loop: Header=BB42_5 Depth=1
	s_or_b64 exec, exec, s[76:77]
.LBB42_336:                             ;   in Loop: Header=BB42_5 Depth=1
	s_andn2_saveexec_b64 s[8:9], s[74:75]
	s_cbranch_execz .LBB42_338
; %bb.337:                              ;   in Loop: Header=BB42_5 Depth=1
	s_mov_b32 s74, 0
	s_brev_b32 s75, 8
	v_cmp_lt_f64_e64 vcc, |v[3:4]|, s[74:75]
	v_cndmask_b32_e32 v11, 0, v58, vcc
	v_ldexp_f64 v[11:12], |v[3:4]|, v11
	v_rsq_f64_e32 v[47:48], v[11:12]
	v_mul_f64 v[49:50], v[11:12], v[47:48]
	v_mul_f64 v[47:48], v[47:48], 0.5
	v_fma_f64 v[51:52], -v[47:48], v[49:50], 0.5
	v_fma_f64 v[49:50], v[49:50], v[51:52], v[49:50]
	v_fma_f64 v[47:48], v[47:48], v[51:52], v[47:48]
	v_fma_f64 v[51:52], -v[49:50], v[49:50], v[11:12]
	v_fma_f64 v[49:50], v[51:52], v[47:48], v[49:50]
	v_fma_f64 v[51:52], -v[49:50], v[49:50], v[11:12]
	v_fma_f64 v[47:48], v[51:52], v[47:48], v[49:50]
	v_cndmask_b32_e32 v49, 0, v59, vcc
	v_cmp_class_f64_e32 vcc, v[11:12], v55
	v_ldexp_f64 v[47:48], v[47:48], v49
	v_cndmask_b32_e32 v12, v48, v12, vcc
	v_cndmask_b32_e32 v11, v47, v11, vcc
.LBB42_338:                             ;   in Loop: Header=BB42_5 Depth=1
	s_or_b64 exec, exec, s[8:9]
.LBB42_339:                             ;   in Loop: Header=BB42_5 Depth=1
	s_or_b64 exec, exec, s[10:11]
	s_mov_b32 s8, 0
	s_mov_b32 s9, 0x20200000
	v_cmp_nlt_f64_e64 s[10:11], |v[1:2]|, s[8:9]
                                        ; implicit-def: $sgpr8_sgpr9
                                        ; implicit-def: $vgpr47_vgpr48
                                        ; implicit-def: $vgpr51_vgpr52
                                        ; implicit-def: $vgpr49_vgpr50
	s_and_saveexec_b64 s[74:75], s[10:11]
	s_xor_b64 s[10:11], exec, s[74:75]
	s_cbranch_execz .LBB42_363
; %bb.340:                              ;   in Loop: Header=BB42_5 Depth=1
	v_and_b32_e32 v50, 0x7fffffff, v2
	v_mov_b32_e32 v49, v1
	v_div_scale_f64 v[47:48], s[8:9], v[39:40], v[39:40], v[49:50]
	v_div_scale_f64 v[69:70], vcc, v[49:50], v[39:40], v[49:50]
	s_mov_b32 s8, 0x703afb7f
	s_mov_b32 s9, 0x3fe488ce
	v_rcp_f64_e32 v[51:52], v[47:48]
	v_fma_f64 v[67:68], -v[47:48], v[51:52], 1.0
	v_fma_f64 v[51:52], v[51:52], v[67:68], v[51:52]
	v_fma_f64 v[67:68], -v[47:48], v[51:52], 1.0
	v_fma_f64 v[51:52], v[51:52], v[67:68], v[51:52]
	v_mul_f64 v[67:68], v[69:70], v[51:52]
	v_fma_f64 v[47:48], -v[47:48], v[67:68], v[69:70]
	v_div_fmas_f64 v[47:48], v[47:48], v[51:52], v[67:68]
                                        ; implicit-def: $vgpr51_vgpr52
	v_div_fixup_f64 v[47:48], v[47:48], v[39:40], |v[1:2]|
	v_cmp_lt_f64_e32 vcc, s[8:9], v[47:48]
	s_mov_b64 s[8:9], 0
	s_and_saveexec_b64 s[74:75], vcc
	s_cbranch_execz .LBB42_362
; %bb.341:                              ;   in Loop: Header=BB42_5 Depth=1
	s_mov_b32 s76, 0
	s_mov_b32 s77, 0x3c400000
	v_cmp_neq_f64_e64 s[8:9], |v[1:2]|, 1.0
	v_cmp_nlt_f64_e64 s[76:77], |v[3:4]|, s[76:77]
                                        ; implicit-def: $vgpr51_vgpr52
	s_or_b64 s[8:9], s[8:9], s[76:77]
	s_and_saveexec_b64 s[76:77], s[8:9]
	s_xor_b64 s[8:9], exec, s[76:77]
	s_cbranch_execz .LBB42_359
; %bb.342:                              ;   in Loop: Header=BB42_5 Depth=1
	v_ldexp_f64 v[51:52], |v[9:10]|, s87
	v_cmp_ge_f64_e64 s[76:77], |v[3:4]|, v[51:52]
                                        ; implicit-def: $vgpr51_vgpr52
	s_and_saveexec_b64 s[78:79], s[76:77]
	s_xor_b64 s[76:77], exec, s[78:79]
	s_cbranch_execz .LBB42_352
; %bb.343:                              ;   in Loop: Header=BB42_5 Depth=1
	v_cmp_neq_f64_e32 vcc, 0, v[37:38]
	v_mov_b32_e32 v52, v46
	v_mov_b32_e32 v51, v45
	s_and_saveexec_b64 s[78:79], vcc
	s_cbranch_execz .LBB42_345
; %bb.344:                              ;   in Loop: Header=BB42_5 Depth=1
	v_mul_f64 v[51:52], v[3:4], v[3:4]
	v_add_f64 v[37:38], v[37:38], v[43:44]
	v_div_scale_f64 v[43:44], s[80:81], v[37:38], v[37:38], v[51:52]
	v_div_scale_f64 v[71:72], vcc, v[51:52], v[37:38], v[51:52]
	v_rcp_f64_e32 v[67:68], v[43:44]
	v_fma_f64 v[69:70], -v[43:44], v[67:68], 1.0
	v_fma_f64 v[67:68], v[67:68], v[69:70], v[67:68]
	v_fma_f64 v[69:70], -v[43:44], v[67:68], 1.0
	v_fma_f64 v[67:68], v[67:68], v[69:70], v[67:68]
	v_mul_f64 v[69:70], v[71:72], v[67:68]
	v_fma_f64 v[43:44], -v[43:44], v[69:70], v[71:72]
	v_div_fmas_f64 v[43:44], v[43:44], v[67:68], v[69:70]
	v_div_fixup_f64 v[51:52], v[43:44], v[37:38], v[51:52]
.LBB42_345:                             ;   in Loop: Header=BB42_5 Depth=1
	s_or_b64 exec, exec, s[78:79]
	v_cmp_ngt_f64_e32 vcc, 0, v[9:10]
	s_and_saveexec_b64 s[78:79], vcc
	s_xor_b64 s[78:79], exec, s[78:79]
	s_cbranch_execz .LBB42_349
; %bb.346:                              ;   in Loop: Header=BB42_5 Depth=1
	v_cmp_neq_f64_e32 vcc, 0, v[9:10]
	s_and_saveexec_b64 s[80:81], vcc
	s_cbranch_execz .LBB42_348
; %bb.347:                              ;   in Loop: Header=BB42_5 Depth=1
	v_mul_f64 v[3:4], v[3:4], v[3:4]
	v_add_f64 v[9:10], v[9:10], v[41:42]
	v_div_scale_f64 v[37:38], vcc, v[9:10], v[9:10], v[3:4]
	v_div_scale_f64 v[45:46], vcc, v[3:4], v[9:10], v[3:4]
	v_rcp_f64_e32 v[41:42], v[37:38]
	v_fma_f64 v[43:44], -v[37:38], v[41:42], 1.0
	v_fma_f64 v[41:42], v[41:42], v[43:44], v[41:42]
	v_fma_f64 v[43:44], -v[37:38], v[41:42], 1.0
	v_fma_f64 v[41:42], v[41:42], v[43:44], v[41:42]
	v_mul_f64 v[43:44], v[45:46], v[41:42]
	v_fma_f64 v[37:38], -v[37:38], v[43:44], v[45:46]
	v_div_fmas_f64 v[37:38], v[37:38], v[41:42], v[43:44]
	v_div_fixup_f64 v[45:46], v[37:38], v[9:10], v[3:4]
.LBB42_348:                             ;   in Loop: Header=BB42_5 Depth=1
	s_or_b64 exec, exec, s[80:81]
                                        ; implicit-def: $vgpr41_vgpr42
                                        ; implicit-def: $vgpr9_vgpr10
.LBB42_349:                             ;   in Loop: Header=BB42_5 Depth=1
	s_andn2_saveexec_b64 s[78:79], s[78:79]
; %bb.350:                              ;   in Loop: Header=BB42_5 Depth=1
	v_add_f64 v[45:46], v[41:42], -v[9:10]
; %bb.351:                              ;   in Loop: Header=BB42_5 Depth=1
	s_or_b64 exec, exec, s[78:79]
	v_mul_f64 v[3:4], v[45:46], 0.5
	v_add_f64 v[9:10], |v[1:2]|, v[39:40]
	s_mov_b32 s78, 0
	s_brev_b32 s79, 8
	v_fma_f64 v[3:4], v[51:52], 0.5, v[3:4]
	v_mul_f64 v[3:4], v[9:10], v[3:4]
	v_cmp_gt_f64_e32 vcc, s[78:79], v[3:4]
	v_cndmask_b32_e32 v9, 0, v58, vcc
	v_ldexp_f64 v[3:4], v[3:4], v9
	v_rsq_f64_e32 v[9:10], v[3:4]
	v_mul_f64 v[37:38], v[3:4], v[9:10]
	v_mul_f64 v[9:10], v[9:10], 0.5
	v_fma_f64 v[39:40], -v[9:10], v[37:38], 0.5
	v_fma_f64 v[37:38], v[37:38], v[39:40], v[37:38]
	v_fma_f64 v[9:10], v[9:10], v[39:40], v[9:10]
	v_fma_f64 v[39:40], -v[37:38], v[37:38], v[3:4]
	v_fma_f64 v[37:38], v[39:40], v[9:10], v[37:38]
	v_fma_f64 v[39:40], -v[37:38], v[37:38], v[3:4]
	v_fma_f64 v[9:10], v[39:40], v[9:10], v[37:38]
	v_cndmask_b32_e32 v37, 0, v59, vcc
	v_cmp_class_f64_e32 vcc, v[3:4], v55
	v_ldexp_f64 v[9:10], v[9:10], v37
                                        ; implicit-def: $vgpr37_vgpr38
	v_cndmask_b32_e32 v52, v10, v4, vcc
	v_cndmask_b32_e32 v51, v9, v3, vcc
                                        ; implicit-def: $vgpr9_vgpr10
.LBB42_352:                             ;   in Loop: Header=BB42_5 Depth=1
	s_andn2_saveexec_b64 s[76:77], s[76:77]
	s_cbranch_execz .LBB42_358
; %bb.353:                              ;   in Loop: Header=BB42_5 Depth=1
	v_cmp_ngt_f64_e64 s[78:79], |v[1:2]|, 1.0
                                        ; implicit-def: $vgpr51_vgpr52
	s_and_saveexec_b64 s[80:81], s[78:79]
	s_xor_b64 s[78:79], exec, s[80:81]
	s_cbranch_execz .LBB42_355
; %bb.354:                              ;   in Loop: Header=BB42_5 Depth=1
	v_add_f64 v[3:4], -|v[1:2]|, 1.0
	s_mov_b32 s80, 0
	s_brev_b32 s81, 8
	v_mul_f64 v[3:4], v[3:4], v[37:38]
	v_cmp_gt_f64_e32 vcc, s[80:81], v[3:4]
	v_cndmask_b32_e32 v9, 0, v58, vcc
	v_ldexp_f64 v[3:4], v[3:4], v9
	v_rsq_f64_e32 v[9:10], v[3:4]
	v_mul_f64 v[37:38], v[3:4], v[9:10]
	v_mul_f64 v[9:10], v[9:10], 0.5
	v_fma_f64 v[39:40], -v[9:10], v[37:38], 0.5
	v_fma_f64 v[37:38], v[37:38], v[39:40], v[37:38]
	v_fma_f64 v[9:10], v[9:10], v[39:40], v[9:10]
	v_fma_f64 v[39:40], -v[37:38], v[37:38], v[3:4]
	v_fma_f64 v[37:38], v[39:40], v[9:10], v[37:38]
	v_fma_f64 v[39:40], -v[37:38], v[37:38], v[3:4]
	v_fma_f64 v[9:10], v[39:40], v[9:10], v[37:38]
	v_cndmask_b32_e32 v37, 0, v59, vcc
	v_cmp_class_f64_e32 vcc, v[3:4], v55
	v_ldexp_f64 v[9:10], v[9:10], v37
                                        ; implicit-def: $vgpr37_vgpr38
	v_cndmask_b32_e32 v52, v10, v4, vcc
	v_cndmask_b32_e32 v51, v9, v3, vcc
                                        ; implicit-def: $vgpr9_vgpr10
.LBB42_355:                             ;   in Loop: Header=BB42_5 Depth=1
	s_andn2_saveexec_b64 s[78:79], s[78:79]
	s_cbranch_execz .LBB42_357
; %bb.356:                              ;   in Loop: Header=BB42_5 Depth=1
	v_mul_f64 v[9:10], v[37:38], v[9:10]
	s_mov_b32 s80, 0
	s_brev_b32 s81, 8
	s_movk_i32 s29, 0x6a
	v_ldexp_f64 v[3:4], |v[3:4]|, s29
	v_ldexp_f64 v[49:50], |v[1:2]|, s29
	v_cmp_gt_f64_e32 vcc, s[80:81], v[9:10]
	v_mul_f64 v[3:4], |v[1:2]|, v[3:4]
	v_cndmask_b32_e32 v37, 0, v58, vcc
	v_ldexp_f64 v[9:10], v[9:10], v37
	v_rsq_f64_e32 v[37:38], v[9:10]
	v_mul_f64 v[39:40], v[9:10], v[37:38]
	v_mul_f64 v[37:38], v[37:38], 0.5
	v_fma_f64 v[41:42], -v[37:38], v[39:40], 0.5
	v_fma_f64 v[39:40], v[39:40], v[41:42], v[39:40]
	v_fma_f64 v[37:38], v[37:38], v[41:42], v[37:38]
	v_fma_f64 v[41:42], -v[39:40], v[39:40], v[9:10]
	v_fma_f64 v[39:40], v[41:42], v[37:38], v[39:40]
	v_fma_f64 v[41:42], -v[39:40], v[39:40], v[9:10]
	v_fma_f64 v[37:38], v[41:42], v[37:38], v[39:40]
	v_cndmask_b32_e32 v39, 0, v59, vcc
	v_cmp_class_f64_e32 vcc, v[9:10], v55
	v_ldexp_f64 v[37:38], v[37:38], v39
	v_cndmask_b32_e32 v10, v38, v10, vcc
	v_cndmask_b32_e32 v9, v37, v9, vcc
	v_div_scale_f64 v[37:38], s[80:81], v[9:10], v[9:10], v[3:4]
	v_rcp_f64_e32 v[39:40], v[37:38]
	v_fma_f64 v[41:42], -v[37:38], v[39:40], 1.0
	v_fma_f64 v[39:40], v[39:40], v[41:42], v[39:40]
	v_div_scale_f64 v[41:42], vcc, v[3:4], v[9:10], v[3:4]
	v_fma_f64 v[43:44], -v[37:38], v[39:40], 1.0
	v_fma_f64 v[39:40], v[39:40], v[43:44], v[39:40]
	v_mul_f64 v[43:44], v[41:42], v[39:40]
	v_fma_f64 v[37:38], -v[37:38], v[43:44], v[41:42]
	v_div_fmas_f64 v[37:38], v[37:38], v[39:40], v[43:44]
	v_div_fixup_f64 v[51:52], v[37:38], v[9:10], v[3:4]
.LBB42_357:                             ;   in Loop: Header=BB42_5 Depth=1
	s_or_b64 exec, exec, s[78:79]
.LBB42_358:                             ;   in Loop: Header=BB42_5 Depth=1
	s_or_b64 exec, exec, s[76:77]
	s_mov_b32 s80, 0xb5e68a13
	s_mov_b32 s81, 0x3eeba404
                                        ; implicit-def: $vgpr39_vgpr40
.LBB42_359:                             ;   in Loop: Header=BB42_5 Depth=1
	s_andn2_saveexec_b64 s[76:77], s[8:9]
	s_cbranch_execz .LBB42_361
; %bb.360:                              ;   in Loop: Header=BB42_5 Depth=1
	v_add_f64 v[9:10], v[39:40], 1.0
	s_mov_b32 s8, 0
	s_brev_b32 s9, 8
	v_cmp_lt_f64_e64 vcc, |v[3:4]|, s[8:9]
	v_mul_f64 v[9:10], v[9:10], 0.5
	v_cndmask_b32_e32 v37, 0, v58, vcc
	v_ldexp_f64 v[3:4], |v[3:4]|, v37
	v_cmp_gt_f64_e64 s[8:9], s[8:9], v[9:10]
	v_cndmask_b32_e64 v37, 0, v58, s[8:9]
	v_ldexp_f64 v[9:10], v[9:10], v37
	v_rsq_f64_e32 v[37:38], v[3:4]
	v_rsq_f64_e32 v[39:40], v[9:10]
	v_mul_f64 v[41:42], v[3:4], v[37:38]
	v_mul_f64 v[37:38], v[37:38], 0.5
	v_mul_f64 v[43:44], v[9:10], v[39:40]
	v_mul_f64 v[39:40], v[39:40], 0.5
	v_fma_f64 v[45:46], -v[37:38], v[41:42], 0.5
	v_fma_f64 v[49:50], -v[39:40], v[43:44], 0.5
	v_fma_f64 v[41:42], v[41:42], v[45:46], v[41:42]
	v_fma_f64 v[37:38], v[37:38], v[45:46], v[37:38]
	;; [unrolled: 1-line block ×3, first 2 shown]
	v_fma_f64 v[45:46], -v[41:42], v[41:42], v[3:4]
	v_fma_f64 v[39:40], v[39:40], v[49:50], v[39:40]
	v_fma_f64 v[49:50], -v[43:44], v[43:44], v[9:10]
	v_fma_f64 v[41:42], v[45:46], v[37:38], v[41:42]
	v_fma_f64 v[43:44], v[49:50], v[39:40], v[43:44]
	v_fma_f64 v[45:46], -v[41:42], v[41:42], v[3:4]
	v_fma_f64 v[49:50], -v[43:44], v[43:44], v[9:10]
	v_fma_f64 v[37:38], v[45:46], v[37:38], v[41:42]
	v_cndmask_b32_e32 v41, 0, v59, vcc
	v_cndmask_b32_e64 v42, 0, v59, s[8:9]
	v_cmp_class_f64_e32 vcc, v[3:4], v55
	v_cmp_class_f64_e64 s[8:9], v[9:10], v55
	v_fma_f64 v[39:40], v[49:50], v[39:40], v[43:44]
	v_ldexp_f64 v[37:38], v[37:38], v41
	v_mov_b32_e32 v49, 0
	v_mov_b32_e32 v50, 0x3ff00000
	v_ldexp_f64 v[39:40], v[39:40], v42
	v_cndmask_b32_e32 v4, v38, v4, vcc
	v_cndmask_b32_e32 v3, v37, v3, vcc
	v_cndmask_b32_e64 v10, v40, v10, s[8:9]
	v_cndmask_b32_e64 v9, v39, v9, s[8:9]
	v_mul_f64 v[51:52], v[3:4], v[9:10]
.LBB42_361:                             ;   in Loop: Header=BB42_5 Depth=1
	s_or_b64 exec, exec, s[76:77]
	s_mov_b64 s[8:9], exec
.LBB42_362:                             ;   in Loop: Header=BB42_5 Depth=1
	s_or_b64 exec, exec, s[74:75]
                                        ; implicit-def: $vgpr39_vgpr40
.LBB42_363:                             ;   in Loop: Header=BB42_5 Depth=1
	s_andn2_saveexec_b64 s[10:11], s[10:11]
	s_cbranch_execz .LBB42_365
; %bb.364:                              ;   in Loop: Header=BB42_5 Depth=1
	v_ldexp_f64 v[51:52], v[39:40], 53
	v_ldexp_f64 v[49:50], |v[1:2]|, 53
	s_or_b64 s[8:9], s[8:9], exec
                                        ; implicit-def: $vgpr47_vgpr48
.LBB42_365:                             ;   in Loop: Header=BB42_5 Depth=1
	s_or_b64 exec, exec, s[10:11]
	v_cmp_lt_i64_e32 vcc, -1, v[1:2]
	s_xor_b64 s[8:9], s[8:9], -1
	s_and_saveexec_b64 s[10:11], s[8:9]
	s_xor_b64 s[10:11], exec, s[10:11]
	s_cbranch_execz .LBB42_375
; %bb.366:                              ;   in Loop: Header=BB42_5 Depth=1
	s_and_saveexec_b64 s[8:9], vcc
	s_xor_b64 s[74:75], exec, s[8:9]
	s_cbranch_execz .LBB42_370
; %bb.367:                              ;   in Loop: Header=BB42_5 Depth=1
	v_fma_f64 v[1:2], |v[47:48]|, -0.5, 0.5
	v_mul_f64 v[3:4], v[47:48], v[47:48]
	v_cmp_ge_f64_e64 s[8:9], |v[47:48]|, 0.5
	s_mov_b32 s76, 0x9fea6a70
	s_mov_b32 s77, 0x3fa05985
	v_cndmask_b32_e64 v4, v4, v2, s[8:9]
	v_cndmask_b32_e64 v3, v3, v1, s[8:9]
	v_fma_f64 v[9:10], v[3:4], s[76:77], v[27:28]
	s_mov_b32 s76, 0x37024d6a
	s_mov_b32 s77, 0x3f940521
	v_fma_f64 v[9:10], v[3:4], v[9:10], s[76:77]
	s_mov_b32 s76, 0x98a70509
	s_mov_b32 s77, 0x3f7ab3a0
	;; [unrolled: 3-line block ×11, first 2 shown]
	v_mul_f64 v[3:4], v[3:4], v[9:10]
	v_fma_f64 v[9:10], v[47:48], v[3:4], v[47:48]
	v_fma_f64 v[9:10], s[76:77], v[29:30], -v[9:10]
	s_and_saveexec_b64 s[76:77], s[8:9]
	s_cbranch_execz .LBB42_369
; %bb.368:                              ;   in Loop: Header=BB42_5 Depth=1
	v_rsq_f64_e32 v[9:10], v[1:2]
	v_cmp_eq_f64_e64 s[8:9], 0, v[1:2]
	v_mul_f64 v[37:38], v[1:2], v[9:10]
	v_mul_f64 v[9:10], v[9:10], 0.5
	v_fma_f64 v[39:40], -v[9:10], v[37:38], 0.5
	v_fma_f64 v[37:38], v[37:38], v[39:40], v[37:38]
	v_fma_f64 v[9:10], v[9:10], v[39:40], v[9:10]
	v_fma_f64 v[39:40], -v[37:38], v[37:38], v[1:2]
	v_fma_f64 v[9:10], v[39:40], v[9:10], v[37:38]
	v_cndmask_b32_e64 v10, v10, v2, s[8:9]
	v_cndmask_b32_e64 v9, v9, v1, s[8:9]
	v_add_f64 v[37:38], v[9:10], v[9:10]
	v_mul_f64 v[39:40], v[9:10], v[9:10]
	v_rcp_f64_e32 v[41:42], v[37:38]
	v_add_f64 v[43:44], v[1:2], -v[39:40]
	v_fma_f64 v[49:50], v[9:10], v[9:10], -v[39:40]
	v_add_f64 v[1:2], v[1:2], -v[43:44]
	v_fma_f64 v[45:46], -v[37:38], v[41:42], 1.0
	v_add_f64 v[1:2], v[1:2], -v[39:40]
	v_fma_f64 v[39:40], v[45:46], v[41:42], v[41:42]
	v_add_f64 v[1:2], v[1:2], -v[49:50]
	v_fma_f64 v[41:42], -v[37:38], v[39:40], 1.0
	v_add_f64 v[1:2], v[43:44], v[1:2]
	v_fma_f64 v[39:40], v[41:42], v[39:40], v[39:40]
	v_mul_f64 v[41:42], v[1:2], v[39:40]
	v_fma_f64 v[1:2], -v[37:38], v[41:42], v[1:2]
	v_fma_f64 v[1:2], v[1:2], v[39:40], v[41:42]
	v_cndmask_b32_e64 v2, v2, 0, s[8:9]
	v_cndmask_b32_e64 v1, v1, 0, s[8:9]
	v_add_f64 v[37:38], v[9:10], v[1:2]
	v_cmp_neq_f64_e64 s[8:9], 1.0, v[47:48]
	v_add_f64 v[9:10], v[37:38], -v[9:10]
	v_add_f64 v[1:2], v[1:2], -v[9:10]
	v_fma_f64 v[1:2], v[37:38], v[3:4], v[1:2]
	v_add_f64 v[1:2], v[37:38], v[1:2]
	v_add_f64 v[1:2], v[1:2], v[1:2]
	v_cndmask_b32_e64 v10, 0, v2, s[8:9]
	v_cndmask_b32_e64 v9, 0, v1, s[8:9]
.LBB42_369:                             ;   in Loop: Header=BB42_5 Depth=1
	s_or_b64 exec, exec, s[76:77]
                                        ; implicit-def: $vgpr47_vgpr48
.LBB42_370:                             ;   in Loop: Header=BB42_5 Depth=1
	s_andn2_saveexec_b64 s[74:75], s[74:75]
	s_cbranch_execz .LBB42_374
; %bb.371:                              ;   in Loop: Header=BB42_5 Depth=1
	v_fma_f64 v[1:2], |v[47:48]|, -0.5, 0.5
	v_mul_f64 v[3:4], v[47:48], v[47:48]
	v_cmp_ge_f64_e64 s[8:9], |v[47:48]|, 0.5
	s_mov_b32 s76, 0x9fea6a70
	s_mov_b32 s77, 0x3fa05985
	v_cndmask_b32_e64 v4, v4, v2, s[8:9]
	v_cndmask_b32_e64 v3, v3, v1, s[8:9]
	v_fma_f64 v[9:10], v[3:4], s[76:77], v[27:28]
	s_mov_b32 s76, 0x37024d6a
	s_mov_b32 s77, 0x3f940521
	v_fma_f64 v[9:10], v[3:4], v[9:10], s[76:77]
	s_mov_b32 s76, 0x98a70509
	s_mov_b32 s77, 0x3f7ab3a0
	v_fma_f64 v[9:10], v[3:4], v[9:10], s[76:77]
	s_mov_b32 s76, 0xa300c8d2
	s_mov_b32 s77, 0x3f88ed60
	v_fma_f64 v[9:10], v[3:4], v[9:10], s[76:77]
	s_mov_b32 s76, 0x4b77012b
	s_mov_b32 s77, 0x3f8c6fa8
	v_fma_f64 v[9:10], v[3:4], v[9:10], s[76:77]
	s_mov_b32 s76, 0x11dccb70
	s_mov_b32 s77, 0x3f91c6c1
	v_fma_f64 v[9:10], v[3:4], v[9:10], s[76:77]
	s_mov_b32 s76, 0xa0adacf
	s_mov_b32 s77, 0x3f96e89f
	v_fma_f64 v[9:10], v[3:4], v[9:10], s[76:77]
	s_mov_b32 s76, 0xc668963f
	s_mov_b32 s77, 0x3f9f1c72
	v_fma_f64 v[9:10], v[3:4], v[9:10], s[76:77]
	s_mov_b32 s76, 0xb41ce4bd
	s_mov_b32 s77, 0x3fa6db6d
	v_fma_f64 v[9:10], v[3:4], v[9:10], s[76:77]
	s_mov_b32 s76, 0x3336fd5b
	s_mov_b32 s77, 0x3fb33333
	v_fma_f64 v[9:10], v[3:4], v[9:10], s[76:77]
	s_mov_b32 s76, 0x55555380
	s_mov_b32 s77, 0x3fc55555
	v_fma_f64 v[9:10], v[3:4], v[9:10], s[76:77]
	s_mov_b32 s76, 0x336a0500
	s_mov_b32 s77, 0x3fedd9ad
	v_mul_f64 v[3:4], v[3:4], v[9:10]
	v_fma_f64 v[9:10], -v[47:48], v[3:4], -v[47:48]
	v_fma_f64 v[9:10], s[76:77], v[29:30], -v[9:10]
	s_and_saveexec_b64 s[76:77], s[8:9]
	s_cbranch_execz .LBB42_373
; %bb.372:                              ;   in Loop: Header=BB42_5 Depth=1
	v_rsq_f64_e32 v[9:10], v[1:2]
	v_cmp_eq_f64_e64 s[8:9], 0, v[1:2]
	v_readlane_b32 s78, v83, 2
	v_readlane_b32 s79, v83, 3
	s_mov_b32 s29, s79
	v_writelane_b32 v83, s28, 2
	v_writelane_b32 v83, s29, 3
	v_mul_f64 v[37:38], v[1:2], v[9:10]
	v_mul_f64 v[9:10], v[9:10], 0.5
	v_fma_f64 v[39:40], -v[9:10], v[37:38], 0.5
	v_fma_f64 v[37:38], v[37:38], v[39:40], v[37:38]
	v_fma_f64 v[9:10], v[9:10], v[39:40], v[9:10]
	v_fma_f64 v[39:40], -v[37:38], v[37:38], v[1:2]
	v_fma_f64 v[9:10], v[39:40], v[9:10], v[37:38]
	v_cndmask_b32_e64 v10, v10, v2, s[8:9]
	v_cndmask_b32_e64 v9, v9, v1, s[8:9]
	v_add_f64 v[37:38], v[9:10], v[9:10]
	v_mul_f64 v[39:40], v[9:10], v[9:10]
	v_rcp_f64_e32 v[41:42], v[37:38]
	v_add_f64 v[43:44], v[1:2], -v[39:40]
	v_fma_f64 v[49:50], v[9:10], v[9:10], -v[39:40]
	v_add_f64 v[1:2], v[1:2], -v[43:44]
	v_fma_f64 v[45:46], -v[37:38], v[41:42], 1.0
	v_add_f64 v[1:2], v[1:2], -v[39:40]
	v_fma_f64 v[39:40], v[45:46], v[41:42], v[41:42]
	v_add_f64 v[1:2], v[1:2], -v[49:50]
	v_fma_f64 v[41:42], -v[37:38], v[39:40], 1.0
	v_add_f64 v[1:2], v[43:44], v[1:2]
	v_fma_f64 v[39:40], v[41:42], v[39:40], v[39:40]
	v_mul_f64 v[41:42], v[1:2], v[39:40]
	v_fma_f64 v[1:2], -v[37:38], v[41:42], v[1:2]
	v_fma_f64 v[1:2], v[1:2], v[39:40], v[41:42]
	v_cndmask_b32_e64 v2, v2, 0, s[8:9]
	v_cndmask_b32_e64 v1, v1, 0, s[8:9]
	v_add_f64 v[37:38], v[9:10], v[1:2]
	s_mov_b32 s8, 0x336a0500
	s_mov_b32 s9, 0x3fedd9ad
	;; [unrolled: 1-line block ×3, first 2 shown]
	v_add_f64 v[9:10], v[37:38], -v[9:10]
	v_add_f64 v[1:2], v[1:2], -v[9:10]
	v_fma_f64 v[9:10], v[37:38], v[3:4], v[37:38]
	v_fma_f64 v[1:2], v[37:38], v[3:4], v[1:2]
	v_mul_f64 v[3:4], v[9:10], -2.0
	v_add_f64 v[1:2], v[37:38], v[1:2]
	v_fma_f64 v[3:4], s[8:9], v[29:30], v[3:4]
	v_cmp_lt_f64_e64 s[8:9], 0, v[47:48]
	v_add_f64 v[1:2], v[1:2], v[1:2]
	v_cndmask_b32_e64 v1, v1, v3, s[8:9]
	v_cndmask_b32_e64 v2, v2, v4, s[8:9]
	v_cmp_neq_f64_e64 s[8:9], 1.0, v[47:48]
	v_cndmask_b32_e64 v10, v62, v2, s[8:9]
	v_cndmask_b32_e64 v9, v63, v1, s[8:9]
.LBB42_373:                             ;   in Loop: Header=BB42_5 Depth=1
	s_or_b64 exec, exec, s[76:77]
.LBB42_374:                             ;   in Loop: Header=BB42_5 Depth=1
	s_or_b64 exec, exec, s[74:75]
                                        ; implicit-def: $vgpr49_vgpr50
                                        ; implicit-def: $vgpr51_vgpr52
.LBB42_375:                             ;   in Loop: Header=BB42_5 Depth=1
	s_andn2_saveexec_b64 s[74:75], s[10:11]
	s_cbranch_execz .LBB42_381
; %bb.376:                              ;   in Loop: Header=BB42_5 Depth=1
	s_and_saveexec_b64 s[8:9], vcc
	s_xor_b64 s[76:77], exec, s[8:9]
	s_cbranch_execz .LBB42_378
; %bb.377:                              ;   in Loop: Header=BB42_5 Depth=1
	v_max_f64 v[1:2], |v[51:52]|, |v[51:52]|
	v_max_f64 v[3:4], v[49:50], v[49:50]
	s_mov_b32 s56, s70
	v_cmp_class_f64_e64 s[78:79], v[51:52], s86
	v_cmp_eq_f64_e64 s[10:11], s[66:67], v[49:50]
	v_max_f64 v[9:10], v[3:4], v[1:2]
	v_min_f64 v[1:2], v[3:4], v[1:2]
	v_div_scale_f64 v[3:4], s[8:9], v[9:10], v[9:10], v[1:2]
	s_mov_b32 s8, 0x69efb384
	s_mov_b32 s9, 0x3f4b2bb0
	v_rcp_f64_e32 v[37:38], v[3:4]
	v_fma_f64 v[39:40], -v[3:4], v[37:38], 1.0
	v_fma_f64 v[37:38], v[37:38], v[39:40], v[37:38]
	v_div_scale_f64 v[39:40], vcc, v[1:2], v[9:10], v[1:2]
	v_fma_f64 v[41:42], -v[3:4], v[37:38], 1.0
	v_fma_f64 v[37:38], v[37:38], v[41:42], v[37:38]
	v_mul_f64 v[41:42], v[39:40], v[37:38]
	v_fma_f64 v[3:4], -v[3:4], v[41:42], v[39:40]
	v_div_fmas_f64 v[3:4], v[3:4], v[37:38], v[41:42]
	v_cmp_lt_f64_e64 vcc, v[49:50], |v[51:52]|
	v_div_fixup_f64 v[1:2], v[3:4], v[9:10], v[1:2]
	v_mul_f64 v[3:4], v[1:2], v[1:2]
	v_fma_f64 v[9:10], v[3:4], s[80:81], v[31:32]
	v_fma_f64 v[9:10], v[3:4], v[9:10], s[8:9]
	s_mov_b32 s8, 0xaf56de9b
	s_mov_b32 s9, 0xbf67952d
	v_fma_f64 v[9:10], v[3:4], v[9:10], s[8:9]
	s_mov_b32 s8, 0xa595c56f
	s_mov_b32 s9, 0x3f7d6d43
	;; [unrolled: 3-line block ×6, first 2 shown]
	v_fma_f64 v[9:10], v[3:4], v[9:10], s[8:9]
	v_cmp_eq_f64_e64 s[8:9], 0, v[51:52]
	v_fma_f64 v[9:10], v[3:4], v[9:10], s[82:83]
	v_fma_f64 v[9:10], v[3:4], v[9:10], s[84:85]
	;; [unrolled: 1-line block ×11, first 2 shown]
	v_mul_f64 v[3:4], v[3:4], v[9:10]
	v_ashrrev_i32_e32 v9, 31, v50
	v_and_b32_e32 v37, 0x54442d18, v9
	v_and_b32_e32 v9, 0x400921fb, v9
	v_fma_f64 v[1:2], v[1:2], v[3:4], v[1:2]
	v_add_f64 v[3:4], -v[1:2], s[70:71]
	v_cndmask_b32_e32 v2, v2, v4, vcc
	v_cndmask_b32_e32 v1, v1, v3, vcc
	v_add_f64 v[3:4], -v[1:2], s[56:57]
	v_cmp_gt_i32_e32 vcc, 0, v50
	v_cndmask_b32_e32 v10, v63, v64, vcc
                                        ; implicit-def: $vgpr49_vgpr50
	v_cndmask_b32_e32 v1, v1, v3, vcc
	v_cndmask_b32_e32 v2, v2, v4, vcc
	;; [unrolled: 1-line block ×3, first 2 shown]
	v_cndmask_b32_e64 v1, v1, v37, s[8:9]
	v_cndmask_b32_e64 v2, v2, v9, s[8:9]
	s_and_b64 vcc, s[10:11], s[78:79]
	v_cndmask_b32_e32 v2, v2, v3, vcc
	v_cndmask_b32_e32 v1, v1, v10, vcc
	v_cmp_o_f64_e32 vcc, v[51:52], v[51:52]
	v_cndmask_b32_e32 v9, 0, v1, vcc
	v_cndmask_b32_e32 v1, v61, v2, vcc
	v_bfi_b32 v10, s91, v1, v52
                                        ; implicit-def: $vgpr51_vgpr52
.LBB42_378:                             ;   in Loop: Header=BB42_5 Depth=1
	s_andn2_saveexec_b64 s[76:77], s[76:77]
	s_cbranch_execz .LBB42_380
; %bb.379:                              ;   in Loop: Header=BB42_5 Depth=1
	v_max_f64 v[1:2], |v[51:52]|, |v[51:52]|
	v_max_f64 v[3:4], v[49:50], v[49:50]
	s_mov_b32 s56, s70
	v_cmp_class_f64_e64 s[78:79], v[51:52], s86
	v_cmp_eq_f64_e64 s[10:11], s[66:67], v[49:50]
	v_max_f64 v[9:10], v[3:4], v[1:2]
	v_min_f64 v[1:2], v[3:4], v[1:2]
	v_div_scale_f64 v[3:4], s[8:9], v[9:10], v[9:10], v[1:2]
	s_mov_b32 s8, 0x69efb384
	s_mov_b32 s9, 0x3f4b2bb0
	v_rcp_f64_e32 v[37:38], v[3:4]
	v_fma_f64 v[39:40], -v[3:4], v[37:38], 1.0
	v_fma_f64 v[37:38], v[37:38], v[39:40], v[37:38]
	v_div_scale_f64 v[39:40], vcc, v[1:2], v[9:10], v[1:2]
	v_fma_f64 v[41:42], -v[3:4], v[37:38], 1.0
	v_fma_f64 v[37:38], v[37:38], v[41:42], v[37:38]
	v_mul_f64 v[41:42], v[39:40], v[37:38]
	v_fma_f64 v[3:4], -v[3:4], v[41:42], v[39:40]
	v_div_fmas_f64 v[3:4], v[3:4], v[37:38], v[41:42]
	v_cmp_lt_f64_e64 vcc, v[49:50], |v[51:52]|
	v_div_fixup_f64 v[1:2], v[3:4], v[9:10], v[1:2]
	v_mul_f64 v[3:4], v[1:2], v[1:2]
	v_fma_f64 v[9:10], v[3:4], s[80:81], v[31:32]
	v_fma_f64 v[9:10], v[3:4], v[9:10], s[8:9]
	s_mov_b32 s8, 0xaf56de9b
	s_mov_b32 s9, 0xbf67952d
	v_fma_f64 v[9:10], v[3:4], v[9:10], s[8:9]
	s_mov_b32 s8, 0xa595c56f
	s_mov_b32 s9, 0x3f7d6d43
	;; [unrolled: 3-line block ×6, first 2 shown]
	v_fma_f64 v[9:10], v[3:4], v[9:10], s[8:9]
	v_cmp_eq_f64_e64 s[8:9], 0, v[51:52]
	v_fma_f64 v[9:10], v[3:4], v[9:10], s[82:83]
	v_fma_f64 v[9:10], v[3:4], v[9:10], s[84:85]
	;; [unrolled: 1-line block ×11, first 2 shown]
	v_mul_f64 v[3:4], v[3:4], v[9:10]
	v_xor_b32_e32 v9, 0x80000000, v50
	v_ashrrev_i32_e32 v10, 31, v9
	v_and_b32_e32 v37, 0x54442d18, v10
	v_and_b32_e32 v10, 0x400921fb, v10
	v_fma_f64 v[1:2], v[1:2], v[3:4], v[1:2]
	v_add_f64 v[3:4], -v[1:2], s[70:71]
	v_cndmask_b32_e32 v2, v2, v4, vcc
	v_cndmask_b32_e32 v1, v1, v3, vcc
	v_add_f64 v[3:4], -v[1:2], s[56:57]
	v_cmp_gt_i32_e32 vcc, 0, v9
	v_cndmask_b32_e32 v9, v63, v64, vcc
	v_cndmask_b32_e32 v1, v1, v3, vcc
	;; [unrolled: 1-line block ×4, first 2 shown]
	v_cndmask_b32_e64 v1, v1, v37, s[8:9]
	v_cndmask_b32_e64 v2, v2, v10, s[8:9]
	s_and_b64 vcc, s[10:11], s[78:79]
	v_cndmask_b32_e32 v2, v2, v3, vcc
	v_cndmask_b32_e32 v1, v1, v9, vcc
	v_cmp_o_f64_e32 vcc, v[51:52], v[51:52]
	v_cndmask_b32_e32 v9, 0, v1, vcc
	v_cndmask_b32_e32 v1, v61, v2, vcc
	v_bfi_b32 v10, s91, v1, v52
.LBB42_380:                             ;   in Loop: Header=BB42_5 Depth=1
	s_or_b64 exec, exec, s[76:77]
.LBB42_381:                             ;   in Loop: Header=BB42_5 Depth=1
	s_or_b64 exec, exec, s[74:75]
	v_xor_b32_e32 v1, 0x80000000, v12
	v_cndmask_b32_e64 v12, v1, v12, s[6:7]
                                        ; implicit-def: $vgpr1_vgpr2
.LBB42_382:                             ;   in Loop: Header=BB42_5 Depth=1
	s_andn2_saveexec_b64 s[8:9], s[72:73]
	s_cbranch_execz .LBB42_384
; %bb.383:                              ;   in Loop: Header=BB42_5 Depth=1
	v_mov_b32_e32 v3, s18
	v_mov_b32_e32 v4, s19
	flat_load_dwordx2 v[3:4], v[3:4] glc
	s_waitcnt vmcnt(0) lgkmcnt(0)
	v_add_f64 v[1:2], v[3:4], -v[1:2]
	v_add_f64 v[9:10], v[1:2], s[70:71]
.LBB42_384:                             ;   in Loop: Header=BB42_5 Depth=1
	s_or_b64 exec, exec, s[8:9]
.LBB42_385:                             ;   in Loop: Header=BB42_5 Depth=1
	s_andn2_saveexec_b64 s[8:9], s[58:59]
	s_cbranch_execz .LBB42_387
; %bb.386:                              ;   in Loop: Header=BB42_5 Depth=1
	s_waitcnt lgkmcnt(0)
	v_mov_b32_e32 v9, 0
	v_mov_b32_e32 v10, 0
.LBB42_387:                             ;   in Loop: Header=BB42_5 Depth=1
	s_or_b64 exec, exec, s[8:9]
                                        ; implicit-def: $vgpr1_vgpr2
                                        ; implicit-def: $vgpr41_vgpr42
                                        ; implicit-def: $vgpr39_vgpr40
                                        ; implicit-def: $vgpr37_vgpr38
.LBB42_388:                             ;   in Loop: Header=BB42_5 Depth=1
	s_andn2_saveexec_b64 s[26:27], s[26:27]
	s_cbranch_execz .LBB42_398
; %bb.389:                              ;   in Loop: Header=BB42_5 Depth=1
	v_cmp_lt_f64_e64 s[8:9], |v[1:2]|, |v[3:4]|
	v_and_b32_e32 v45, 0x7fffffff, v2
	v_and_b32_e32 v46, 0x7fffffff, v4
	s_mov_b32 s10, -1
	s_mov_b32 s11, 0x7fdfffff
                                        ; implicit-def: $sgpr58_sgpr59
                                        ; implicit-def: $vgpr43_vgpr44
                                        ; implicit-def: $vgpr11_vgpr12
	v_cndmask_b32_e64 v10, v45, v46, s[8:9]
	s_waitcnt lgkmcnt(0)
	v_cndmask_b32_e64 v9, v1, v3, s[8:9]
	v_cmp_nlt_f64_e32 vcc, s[10:11], v[9:10]
	s_and_saveexec_b64 s[10:11], vcc
	s_xor_b64 s[72:73], exec, s[10:11]
	s_cbranch_execz .LBB42_395
; %bb.390:                              ;   in Loop: Header=BB42_5 Depth=1
	s_mov_b32 s10, 0
	s_mov_b32 s11, 0x20200000
	v_cmp_nlt_f64_e32 vcc, s[10:11], v[9:10]
	s_mov_b32 s10, 0
	v_cndmask_b32_e64 v46, v46, v45, s[8:9]
	v_cndmask_b32_e64 v45, v3, v1, s[8:9]
	s_brev_b32 s11, 4
	v_cmp_ngt_f64_e64 s[10:11], s[10:11], v[45:46]
                                        ; implicit-def: $sgpr58_sgpr59
                                        ; implicit-def: $vgpr43_vgpr44
                                        ; implicit-def: $vgpr11_vgpr12
	s_and_b64 s[10:11], vcc, s[10:11]
	s_and_saveexec_b64 s[74:75], s[10:11]
	s_xor_b64 s[74:75], exec, s[74:75]
	s_cbranch_execz .LBB42_392
; %bb.391:                              ;   in Loop: Header=BB42_5 Depth=1
	v_mul_f64 v[11:12], v[45:46], v[45:46]
	v_min_f64 v[39:40], v[41:42], v[39:40]
	s_mov_b32 s29, s69
	v_fma_f64 v[9:10], v[9:10], v[9:10], v[11:12]
	v_frexp_mant_f64_e32 v[11:12], v[9:10]
	v_cmp_gt_f64_e64 s[10:11], s[68:69], v[11:12]
	v_cndmask_b32_e64 v43, 0, 1, s[10:11]
	v_ldexp_f64 v[11:12], v[11:12], v43
	v_add_f64 v[43:44], v[11:12], 1.0
	v_add_f64 v[49:50], v[11:12], -1.0
	v_rcp_f64_e32 v[45:46], v[43:44]
	v_add_f64 v[51:52], v[43:44], -1.0
	v_add_f64 v[11:12], v[11:12], -v[51:52]
	v_fma_f64 v[47:48], -v[43:44], v[45:46], 1.0
	v_fma_f64 v[45:46], v[47:48], v[45:46], v[45:46]
	v_fma_f64 v[47:48], -v[43:44], v[45:46], 1.0
	v_fma_f64 v[45:46], v[47:48], v[45:46], v[45:46]
	v_mul_f64 v[47:48], v[49:50], v[45:46]
	v_mul_f64 v[67:68], v[43:44], v[47:48]
	v_fma_f64 v[41:42], v[47:48], v[43:44], -v[67:68]
	v_div_scale_f64 v[43:44], s[58:59], v[37:38], v[37:38], v[39:40]
	s_mov_b32 s58, 0x69efb384
	s_mov_b32 s59, 0x3f4b2bb0
	v_fma_f64 v[11:12], v[47:48], v[11:12], v[41:42]
	v_add_f64 v[41:42], v[67:68], v[11:12]
	v_rcp_f64_e32 v[51:52], v[43:44]
	v_add_f64 v[69:70], v[49:50], -v[41:42]
	v_add_f64 v[67:68], v[41:42], -v[67:68]
	;; [unrolled: 1-line block ×3, first 2 shown]
	v_fma_f64 v[71:72], -v[43:44], v[51:52], 1.0
	v_add_f64 v[11:12], v[67:68], -v[11:12]
	v_frexp_exp_i32_f64_e32 v67, v[9:10]
	v_add_f64 v[41:42], v[49:50], -v[41:42]
	v_fma_f64 v[49:50], v[51:52], v[71:72], v[51:52]
	v_add_f64 v[11:12], v[11:12], v[41:42]
	v_div_scale_f64 v[41:42], vcc, v[39:40], v[37:38], v[39:40]
	v_fma_f64 v[51:52], -v[43:44], v[49:50], 1.0
	v_add_f64 v[11:12], v[69:70], v[11:12]
	v_fma_f64 v[49:50], v[49:50], v[51:52], v[49:50]
	v_mul_f64 v[11:12], v[45:46], v[11:12]
	v_mul_f64 v[45:46], v[41:42], v[49:50]
	v_add_f64 v[51:52], v[47:48], v[11:12]
	v_fma_f64 v[41:42], -v[43:44], v[45:46], v[41:42]
	v_mul_f64 v[43:44], v[51:52], v[51:52]
	v_add_f64 v[47:48], v[51:52], -v[47:48]
	v_div_fmas_f64 v[41:42], v[41:42], v[49:50], v[45:46]
	v_fma_f64 v[45:46], v[43:44], s[30:31], v[25:26]
	v_mul_f64 v[49:50], v[51:52], v[43:44]
	v_add_f64 v[11:12], v[11:12], -v[47:48]
	v_fma_f64 v[45:46], v[43:44], v[45:46], s[34:35]
	v_ldexp_f64 v[11:12], v[11:12], 1
	v_div_fixup_f64 v[37:38], v[41:42], v[37:38], v[39:40]
	v_fma_f64 v[39:40], v[43:44], v[45:46], s[36:37]
	v_mul_f64 v[41:42], v[37:38], v[37:38]
	v_fma_f64 v[39:40], v[43:44], v[39:40], s[38:39]
	v_fma_f64 v[45:46], v[41:42], s[80:81], v[31:32]
	;; [unrolled: 1-line block ×4, first 2 shown]
	s_mov_b32 s58, 0xaf56de9b
	s_mov_b32 s59, 0xbf67952d
	v_fma_f64 v[39:40], v[43:44], v[39:40], s[28:29]
	v_fma_f64 v[43:44], v[41:42], v[45:46], s[58:59]
	v_ldexp_f64 v[45:46], v[51:52], 1
	s_mov_b32 s58, 0xa595c56f
	s_mov_b32 s59, 0x3f7d6d43
	v_subbrev_co_u32_e64 v51, vcc, 0, v67, s[10:11]
	v_mul_f64 v[39:40], v[49:50], v[39:40]
	s_mov_b32 s10, 0xa57d9582
	v_fma_f64 v[43:44], v[41:42], v[43:44], s[58:59]
	s_mov_b32 s11, 0xbf8c6ea4
	v_cvt_f64_i32_e32 v[51:52], v51
	v_cmp_class_f64_e64 vcc, v[9:10], s86
	v_cmp_class_f64_e64 s[58:59], v[1:2], s86
	v_add_f64 v[49:50], v[45:46], v[39:40]
	v_mul_f64 v[67:68], v[51:52], s[42:43]
	v_fma_f64 v[43:44], v[41:42], v[43:44], s[10:11]
	s_mov_b32 s10, 0x5f08b19f
	s_mov_b32 s11, 0x3f967e29
	v_add_f64 v[45:46], v[49:50], -v[45:46]
	v_fma_f64 v[47:48], v[51:52], s[42:43], -v[67:68]
	v_fma_f64 v[43:44], v[41:42], v[43:44], s[10:11]
	s_mov_b32 s10, 0xfc27006a
	s_mov_b32 s11, 0xbf9e9ae6
	v_add_f64 v[39:40], v[39:40], -v[45:46]
	v_fma_f64 v[45:46], v[51:52], s[44:45], v[47:48]
	v_fma_f64 v[43:44], v[41:42], v[43:44], s[10:11]
	s_mov_b32 s10, 0x5711927a
	s_mov_b32 s11, 0x3fa2c15b
	v_add_f64 v[11:12], v[11:12], v[39:40]
	v_fma_f64 v[39:40], v[41:42], v[43:44], s[10:11]
	v_add_f64 v[43:44], v[67:68], v[45:46]
	v_cmp_class_f64_e64 s[10:11], v[3:4], s86
	v_add_f64 v[47:48], v[49:50], v[11:12]
	v_fma_f64 v[39:40], v[41:42], v[39:40], s[82:83]
	v_add_f64 v[67:68], v[43:44], -v[67:68]
	s_and_b64 s[58:59], s[58:59], s[10:11]
	v_add_f64 v[51:52], v[43:44], v[47:48]
	v_add_f64 v[49:50], v[47:48], -v[49:50]
	v_fma_f64 v[39:40], v[41:42], v[39:40], s[84:85]
	v_add_f64 v[45:46], v[45:46], -v[67:68]
	v_add_f64 v[69:70], v[51:52], -v[43:44]
	;; [unrolled: 1-line block ×3, first 2 shown]
	v_fma_f64 v[39:40], v[41:42], v[39:40], s[92:93]
	v_add_f64 v[71:72], v[51:52], -v[69:70]
	v_add_f64 v[47:48], v[47:48], -v[69:70]
	v_fma_f64 v[39:40], v[41:42], v[39:40], s[94:95]
	v_add_f64 v[49:50], v[45:46], v[11:12]
	v_add_f64 v[43:44], v[43:44], -v[71:72]
	v_fma_f64 v[39:40], v[41:42], v[39:40], s[96:97]
	v_add_f64 v[43:44], v[47:48], v[43:44]
	;; [unrolled: 3-line block ×3, first 2 shown]
	v_add_f64 v[49:50], v[49:50], -v[47:48]
	v_fma_f64 v[39:40], v[41:42], v[39:40], s[46:47]
	v_add_f64 v[11:12], v[11:12], -v[47:48]
	v_add_f64 v[67:68], v[51:52], v[43:44]
	v_add_f64 v[45:46], v[45:46], -v[49:50]
	v_fma_f64 v[39:40], v[41:42], v[39:40], s[48:49]
	v_add_f64 v[47:48], v[67:68], -v[51:52]
	v_add_f64 v[11:12], v[11:12], v[45:46]
	v_fma_f64 v[39:40], v[41:42], v[39:40], s[50:51]
	v_add_f64 v[43:44], v[43:44], -v[47:48]
	v_fma_f64 v[39:40], v[41:42], v[39:40], s[52:53]
	v_add_f64 v[11:12], v[11:12], v[43:44]
	v_fma_f64 v[39:40], v[41:42], v[39:40], s[54:55]
	v_add_f64 v[11:12], v[67:68], v[11:12]
	v_mul_f64 v[39:40], v[41:42], v[39:40]
	v_cndmask_b32_e32 v12, v12, v10, vcc
	v_cndmask_b32_e32 v11, v11, v9, vcc
	v_mul_f64 v[41:42], v[11:12], 0.5
	v_cmp_neq_f64_e32 vcc, 0, v[9:10]
	v_fma_f64 v[11:12], v[37:38], v[39:40], v[37:38]
                                        ; implicit-def: $vgpr37_vgpr38
                                        ; implicit-def: $vgpr39_vgpr40
	v_cndmask_b32_e32 v44, v60, v42, vcc
	v_cndmask_b32_e32 v43, 0, v41, vcc
                                        ; implicit-def: $vgpr41_vgpr42
.LBB42_392:                             ;   in Loop: Header=BB42_5 Depth=1
	s_andn2_saveexec_b64 s[74:75], s[74:75]
	s_cbranch_execz .LBB42_394
; %bb.393:                              ;   in Loop: Header=BB42_5 Depth=1
	v_frexp_exp_i32_f64_e32 v47, v[37:38]
	v_cmp_class_f64_e64 s[76:77], v[1:2], s86
	v_cmp_class_f64_e64 s[78:79], v[3:4], s86
	v_min_f64 v[39:40], v[41:42], v[39:40]
	s_mov_b32 s29, s69
	v_sub_u32_e32 v11, 0, v47
	v_ldexp_f64 v[9:10], |v[3:4]|, v11
	v_ldexp_f64 v[11:12], |v[1:2]|, v11
	v_div_scale_f64 v[67:68], s[80:81], v[37:38], v[37:38], v[39:40]
	s_mov_b32 s80, 0xb5e68a13
	s_mov_b32 s81, 0x3eeba404
	v_mul_f64 v[9:10], v[9:10], v[9:10]
	v_fma_f64 v[9:10], v[11:12], v[11:12], v[9:10]
	v_rsq_f64_e32 v[11:12], v[9:10]
	v_cmp_eq_f64_e32 vcc, 0, v[9:10]
	v_mul_f64 v[43:44], v[9:10], v[11:12]
	v_mul_f64 v[11:12], v[11:12], 0.5
	v_fma_f64 v[45:46], -v[11:12], v[43:44], 0.5
	v_fma_f64 v[43:44], v[43:44], v[45:46], v[43:44]
	v_fma_f64 v[11:12], v[11:12], v[45:46], v[11:12]
	v_fma_f64 v[45:46], -v[43:44], v[43:44], v[9:10]
	v_fma_f64 v[11:12], v[45:46], v[11:12], v[43:44]
	v_cndmask_b32_e32 v10, v12, v10, vcc
	v_cndmask_b32_e32 v9, v11, v9, vcc
	v_ldexp_f64 v[9:10], v[9:10], v47
	s_or_b64 vcc, s[76:77], s[78:79]
	v_cndmask_b32_e32 v10, v10, v56, vcc
	v_cndmask_b32_e64 v9, v9, 0, vcc
	v_frexp_mant_f64_e32 v[11:12], v[9:10]
	v_cmp_gt_f64_e64 s[10:11], s[68:69], v[11:12]
	v_cndmask_b32_e64 v43, 0, 1, s[10:11]
	v_ldexp_f64 v[11:12], v[11:12], v43
	v_add_f64 v[43:44], v[11:12], 1.0
	v_add_f64 v[49:50], v[11:12], -1.0
	v_rcp_f64_e32 v[45:46], v[43:44]
	v_add_f64 v[41:42], v[43:44], -1.0
	v_add_f64 v[11:12], v[11:12], -v[41:42]
	v_fma_f64 v[47:48], -v[43:44], v[45:46], 1.0
	v_fma_f64 v[45:46], v[47:48], v[45:46], v[45:46]
	v_fma_f64 v[47:48], -v[43:44], v[45:46], 1.0
	v_fma_f64 v[45:46], v[47:48], v[45:46], v[45:46]
	v_mul_f64 v[47:48], v[49:50], v[45:46]
	v_mul_f64 v[51:52], v[43:44], v[47:48]
	v_fma_f64 v[41:42], v[47:48], v[43:44], -v[51:52]
	v_fma_f64 v[11:12], v[47:48], v[11:12], v[41:42]
	v_rcp_f64_e32 v[41:42], v[67:68]
	v_add_f64 v[43:44], v[51:52], v[11:12]
	v_add_f64 v[69:70], v[49:50], -v[43:44]
	v_fma_f64 v[71:72], -v[67:68], v[41:42], 1.0
	v_add_f64 v[51:52], v[43:44], -v[51:52]
	v_add_f64 v[49:50], v[49:50], -v[69:70]
	v_fma_f64 v[41:42], v[41:42], v[71:72], v[41:42]
	v_add_f64 v[11:12], v[51:52], -v[11:12]
	v_add_f64 v[43:44], v[49:50], -v[43:44]
	v_div_scale_f64 v[49:50], vcc, v[39:40], v[37:38], v[39:40]
	v_fma_f64 v[51:52], -v[67:68], v[41:42], 1.0
	v_add_f64 v[11:12], v[11:12], v[43:44]
	v_fma_f64 v[41:42], v[41:42], v[51:52], v[41:42]
	v_add_f64 v[11:12], v[69:70], v[11:12]
	v_mul_f64 v[43:44], v[49:50], v[41:42]
	v_mul_f64 v[11:12], v[45:46], v[11:12]
	v_fma_f64 v[45:46], -v[67:68], v[43:44], v[49:50]
	v_add_f64 v[49:50], v[47:48], v[11:12]
	v_div_fmas_f64 v[41:42], v[45:46], v[41:42], v[43:44]
	s_mov_b32 vcc_lo, 0x69efb384
	s_mov_b32 vcc_hi, 0x3f4b2bb0
	v_mul_f64 v[43:44], v[49:50], v[49:50]
	v_add_f64 v[47:48], v[49:50], -v[47:48]
	v_fma_f64 v[45:46], v[43:44], s[30:31], v[25:26]
	v_mul_f64 v[51:52], v[49:50], v[43:44]
	v_add_f64 v[11:12], v[11:12], -v[47:48]
	v_div_fixup_f64 v[37:38], v[41:42], v[37:38], v[39:40]
	v_fma_f64 v[39:40], v[43:44], v[45:46], s[34:35]
	v_ldexp_f64 v[11:12], v[11:12], 1
	v_mul_f64 v[41:42], v[37:38], v[37:38]
	v_fma_f64 v[39:40], v[43:44], v[39:40], s[36:37]
	v_fma_f64 v[45:46], v[41:42], s[80:81], v[31:32]
	;; [unrolled: 1-line block ×3, first 2 shown]
	v_fma_f64 v[45:46], v[41:42], v[45:46], vcc
	s_mov_b32 vcc_lo, 0xaf56de9b
	s_mov_b32 vcc_hi, 0xbf67952d
	v_fma_f64 v[39:40], v[43:44], v[39:40], s[40:41]
	v_fma_f64 v[45:46], v[41:42], v[45:46], vcc
	s_mov_b32 vcc_lo, 0xa595c56f
	s_mov_b32 vcc_hi, 0x3f7d6d43
	v_fma_f64 v[39:40], v[43:44], v[39:40], s[28:29]
	v_fma_f64 v[43:44], v[41:42], v[45:46], vcc
	v_ldexp_f64 v[45:46], v[49:50], 1
	s_mov_b32 vcc_lo, 0xa57d9582
	s_mov_b32 vcc_hi, 0xbf8c6ea4
	v_mul_f64 v[39:40], v[51:52], v[39:40]
	v_frexp_exp_i32_f64_e32 v51, v[9:10]
	v_fma_f64 v[43:44], v[41:42], v[43:44], vcc
	v_add_f64 v[49:50], v[45:46], v[39:40]
	v_subbrev_co_u32_e64 v51, vcc, 0, v51, s[10:11]
	v_cvt_f64_i32_e32 v[51:52], v51
	s_mov_b32 s10, 0x5f08b19f
	s_mov_b32 s11, 0x3f967e29
	v_fma_f64 v[43:44], v[41:42], v[43:44], s[10:11]
	v_mul_f64 v[67:68], v[51:52], s[42:43]
	v_add_f64 v[45:46], v[49:50], -v[45:46]
	s_mov_b32 s10, 0xfc27006a
	s_mov_b32 s11, 0xbf9e9ae6
	v_cmp_class_f64_e64 vcc, v[9:10], s86
	v_fma_f64 v[43:44], v[41:42], v[43:44], s[10:11]
	v_fma_f64 v[47:48], v[51:52], s[42:43], -v[67:68]
	v_add_f64 v[39:40], v[39:40], -v[45:46]
	s_mov_b32 s10, 0x5711927a
	s_mov_b32 s11, 0x3fa2c15b
	v_fma_f64 v[43:44], v[41:42], v[43:44], s[10:11]
	v_fma_f64 v[45:46], v[51:52], s[44:45], v[47:48]
	v_add_f64 v[11:12], v[11:12], v[39:40]
	s_andn2_b64 s[10:11], s[58:59], exec
	s_and_b64 s[58:59], s[76:77], s[78:79]
	s_and_b64 s[58:59], s[58:59], exec
	s_or_b64 s[58:59], s[10:11], s[58:59]
	v_fma_f64 v[39:40], v[41:42], v[43:44], s[82:83]
	v_add_f64 v[43:44], v[67:68], v[45:46]
	v_add_f64 v[47:48], v[49:50], v[11:12]
	v_fma_f64 v[39:40], v[41:42], v[39:40], s[84:85]
	v_add_f64 v[67:68], v[43:44], -v[67:68]
	v_add_f64 v[51:52], v[43:44], v[47:48]
	v_add_f64 v[49:50], v[47:48], -v[49:50]
	v_fma_f64 v[39:40], v[41:42], v[39:40], s[92:93]
	v_add_f64 v[45:46], v[45:46], -v[67:68]
	v_add_f64 v[69:70], v[51:52], -v[43:44]
	v_add_f64 v[11:12], v[11:12], -v[49:50]
	v_fma_f64 v[39:40], v[41:42], v[39:40], s[94:95]
	v_add_f64 v[71:72], v[51:52], -v[69:70]
	v_add_f64 v[47:48], v[47:48], -v[69:70]
	v_add_f64 v[49:50], v[45:46], v[11:12]
	v_fma_f64 v[39:40], v[41:42], v[39:40], s[96:97]
	v_add_f64 v[43:44], v[43:44], -v[71:72]
	v_fma_f64 v[39:40], v[41:42], v[39:40], s[98:99]
	v_add_f64 v[43:44], v[47:48], v[43:44]
	v_add_f64 v[47:48], v[49:50], -v[45:46]
	v_fma_f64 v[39:40], v[41:42], v[39:40], s[46:47]
	v_add_f64 v[43:44], v[49:50], v[43:44]
	v_add_f64 v[49:50], v[49:50], -v[47:48]
	v_add_f64 v[11:12], v[11:12], -v[47:48]
	v_fma_f64 v[39:40], v[41:42], v[39:40], s[48:49]
	v_add_f64 v[67:68], v[51:52], v[43:44]
	v_add_f64 v[45:46], v[45:46], -v[49:50]
	v_fma_f64 v[39:40], v[41:42], v[39:40], s[50:51]
	v_add_f64 v[47:48], v[67:68], -v[51:52]
	v_add_f64 v[11:12], v[11:12], v[45:46]
	v_fma_f64 v[39:40], v[41:42], v[39:40], s[52:53]
	v_add_f64 v[43:44], v[43:44], -v[47:48]
	v_fma_f64 v[39:40], v[41:42], v[39:40], s[54:55]
	v_add_f64 v[11:12], v[11:12], v[43:44]
	v_mul_f64 v[39:40], v[41:42], v[39:40]
	v_add_f64 v[41:42], v[67:68], v[11:12]
	v_fma_f64 v[11:12], v[37:38], v[39:40], v[37:38]
	v_cndmask_b32_e32 v37, v41, v9, vcc
	v_cndmask_b32_e32 v38, v42, v10, vcc
	v_cmp_ngt_f64_e32 vcc, 0, v[9:10]
	v_cndmask_b32_e32 v38, v61, v38, vcc
	v_cmp_nge_f64_e32 vcc, 0, v[9:10]
	v_cndmask_b32_e32 v43, 0, v37, vcc
	v_cmp_neq_f64_e32 vcc, 0, v[9:10]
	v_cndmask_b32_e32 v44, v60, v38, vcc
.LBB42_394:                             ;   in Loop: Header=BB42_5 Depth=1
	s_or_b64 exec, exec, s[74:75]
                                        ; implicit-def: $vgpr41_vgpr42
                                        ; implicit-def: $vgpr39_vgpr40
                                        ; implicit-def: $vgpr37_vgpr38
.LBB42_395:                             ;   in Loop: Header=BB42_5 Depth=1
	s_andn2_saveexec_b64 s[72:73], s[72:73]
	s_cbranch_execz .LBB42_397
; %bb.396:                              ;   in Loop: Header=BB42_5 Depth=1
	v_div_scale_f64 v[9:10], s[10:11], s[60:61], s[60:61], v[1:2]
	v_div_scale_f64 v[11:12], s[10:11], s[60:61], s[60:61], v[3:4]
	;; [unrolled: 1-line block ×3, first 2 shown]
	v_min_f64 v[39:40], v[41:42], v[39:40]
	s_mov_b32 s29, s69
	s_andn2_b64 s[58:59], s[58:59], exec
	v_rcp_f64_e32 v[43:44], v[9:10]
	v_rcp_f64_e32 v[45:46], v[11:12]
	v_fma_f64 v[47:48], -v[9:10], v[43:44], 1.0
	v_fma_f64 v[49:50], -v[11:12], v[45:46], 1.0
	v_fma_f64 v[43:44], v[43:44], v[47:48], v[43:44]
	v_div_scale_f64 v[47:48], vcc, v[1:2], s[60:61], v[1:2]
	v_fma_f64 v[45:46], v[45:46], v[49:50], v[45:46]
	v_fma_f64 v[49:50], -v[9:10], v[43:44], 1.0
	v_fma_f64 v[67:68], -v[11:12], v[45:46], 1.0
	v_fma_f64 v[43:44], v[43:44], v[49:50], v[43:44]
	v_fma_f64 v[45:46], v[45:46], v[67:68], v[45:46]
	v_mul_f64 v[49:50], v[47:48], v[43:44]
	v_mul_f64 v[67:68], v[51:52], v[45:46]
	v_fma_f64 v[9:10], -v[9:10], v[49:50], v[47:48]
	v_fma_f64 v[11:12], -v[11:12], v[67:68], v[51:52]
	v_div_fmas_f64 v[9:10], v[9:10], v[43:44], v[49:50]
	s_mov_b64 vcc, s[10:11]
	v_div_fmas_f64 v[11:12], v[11:12], v[45:46], v[67:68]
	v_div_fixup_f64 v[9:10], v[9:10], s[60:61], v[1:2]
	v_div_fixup_f64 v[11:12], v[11:12], s[60:61], v[3:4]
	v_cmp_class_f64_e64 s[10:11], v[9:10], s86
	v_max_f64 v[43:44], |v[9:10]|, |v[11:12]|
	v_cmp_class_f64_e64 s[74:75], v[11:12], s86
	v_frexp_exp_i32_f64_e32 v51, v[43:44]
	v_sub_u32_e32 v45, 0, v51
	v_ldexp_f64 v[43:44], |v[11:12]|, v45
	v_ldexp_f64 v[45:46], |v[9:10]|, v45
	v_mul_f64 v[43:44], v[43:44], v[43:44]
	v_fma_f64 v[43:44], v[45:46], v[45:46], v[43:44]
	v_rsq_f64_e32 v[45:46], v[43:44]
	v_cmp_eq_f64_e32 vcc, 0, v[43:44]
	v_mul_f64 v[47:48], v[43:44], v[45:46]
	v_mul_f64 v[45:46], v[45:46], 0.5
	v_fma_f64 v[49:50], -v[45:46], v[47:48], 0.5
	v_fma_f64 v[47:48], v[47:48], v[49:50], v[47:48]
	v_fma_f64 v[45:46], v[45:46], v[49:50], v[45:46]
	v_fma_f64 v[49:50], -v[47:48], v[47:48], v[43:44]
	v_fma_f64 v[45:46], v[49:50], v[45:46], v[47:48]
	v_cndmask_b32_e32 v10, v46, v44, vcc
	v_cndmask_b32_e32 v9, v45, v43, vcc
	v_ldexp_f64 v[9:10], v[9:10], v51
	s_or_b64 vcc, s[10:11], s[74:75]
	v_cndmask_b32_e32 v10, v10, v56, vcc
	v_cndmask_b32_e64 v9, v9, 0, vcc
	v_frexp_mant_f64_e32 v[11:12], v[9:10]
	v_cmp_gt_f64_e64 s[10:11], s[68:69], v[11:12]
	v_cndmask_b32_e64 v43, 0, 1, s[10:11]
	v_ldexp_f64 v[11:12], v[11:12], v43
	v_add_f64 v[43:44], v[11:12], 1.0
	v_add_f64 v[49:50], v[11:12], -1.0
	v_rcp_f64_e32 v[45:46], v[43:44]
	v_add_f64 v[51:52], v[43:44], -1.0
	v_add_f64 v[11:12], v[11:12], -v[51:52]
	v_fma_f64 v[47:48], -v[43:44], v[45:46], 1.0
	v_fma_f64 v[45:46], v[47:48], v[45:46], v[45:46]
	v_fma_f64 v[47:48], -v[43:44], v[45:46], 1.0
	v_fma_f64 v[45:46], v[47:48], v[45:46], v[45:46]
	v_mul_f64 v[47:48], v[49:50], v[45:46]
	v_mul_f64 v[67:68], v[43:44], v[47:48]
	v_fma_f64 v[41:42], v[47:48], v[43:44], -v[67:68]
	v_div_scale_f64 v[43:44], s[74:75], v[37:38], v[37:38], v[39:40]
	s_mov_b32 s74, 0x69efb384
	s_mov_b32 s75, 0x3f4b2bb0
	v_fma_f64 v[11:12], v[47:48], v[11:12], v[41:42]
	v_add_f64 v[41:42], v[67:68], v[11:12]
	v_rcp_f64_e32 v[51:52], v[43:44]
	v_add_f64 v[69:70], v[49:50], -v[41:42]
	v_add_f64 v[67:68], v[41:42], -v[67:68]
	;; [unrolled: 1-line block ×3, first 2 shown]
	v_fma_f64 v[71:72], -v[43:44], v[51:52], 1.0
	v_add_f64 v[11:12], v[67:68], -v[11:12]
	v_frexp_exp_i32_f64_e32 v67, v[9:10]
	v_add_f64 v[41:42], v[49:50], -v[41:42]
	v_fma_f64 v[49:50], v[51:52], v[71:72], v[51:52]
	v_add_f64 v[11:12], v[11:12], v[41:42]
	v_div_scale_f64 v[41:42], vcc, v[39:40], v[37:38], v[39:40]
	v_fma_f64 v[51:52], -v[43:44], v[49:50], 1.0
	v_add_f64 v[11:12], v[69:70], v[11:12]
	v_fma_f64 v[49:50], v[49:50], v[51:52], v[49:50]
	v_mul_f64 v[11:12], v[45:46], v[11:12]
	v_mul_f64 v[45:46], v[41:42], v[49:50]
	v_add_f64 v[51:52], v[47:48], v[11:12]
	v_fma_f64 v[41:42], -v[43:44], v[45:46], v[41:42]
	v_mul_f64 v[43:44], v[51:52], v[51:52]
	v_add_f64 v[47:48], v[51:52], -v[47:48]
	v_div_fmas_f64 v[41:42], v[41:42], v[49:50], v[45:46]
	v_fma_f64 v[45:46], v[43:44], s[30:31], v[25:26]
	v_mul_f64 v[49:50], v[51:52], v[43:44]
	v_add_f64 v[11:12], v[11:12], -v[47:48]
	v_fma_f64 v[45:46], v[43:44], v[45:46], s[34:35]
	v_ldexp_f64 v[11:12], v[11:12], 1
	v_div_fixup_f64 v[37:38], v[41:42], v[37:38], v[39:40]
	v_fma_f64 v[39:40], v[43:44], v[45:46], s[36:37]
	v_mul_f64 v[41:42], v[37:38], v[37:38]
	v_fma_f64 v[39:40], v[43:44], v[39:40], s[38:39]
	v_fma_f64 v[45:46], v[41:42], s[80:81], v[31:32]
	;; [unrolled: 1-line block ×4, first 2 shown]
	s_mov_b32 s74, 0xaf56de9b
	s_mov_b32 s75, 0xbf67952d
	v_fma_f64 v[39:40], v[43:44], v[39:40], s[28:29]
	v_fma_f64 v[43:44], v[41:42], v[45:46], s[74:75]
	v_ldexp_f64 v[45:46], v[51:52], 1
	s_mov_b32 s74, 0xa595c56f
	s_mov_b32 s75, 0x3f7d6d43
	v_subbrev_co_u32_e64 v51, vcc, 0, v67, s[10:11]
	v_mul_f64 v[39:40], v[49:50], v[39:40]
	v_cvt_f64_i32_e32 v[51:52], v51
	v_fma_f64 v[43:44], v[41:42], v[43:44], s[74:75]
	s_mov_b32 s10, 0xa57d9582
	s_mov_b32 s11, 0xbf8c6ea4
	v_mul_f64 v[67:68], v[51:52], s[42:43]
	v_cmp_class_f64_e64 vcc, v[9:10], s86
	v_cmp_class_f64_e64 s[74:75], v[1:2], s86
	v_add_f64 v[49:50], v[45:46], v[39:40]
	v_fma_f64 v[43:44], v[41:42], v[43:44], s[10:11]
	s_mov_b32 s10, 0x5f08b19f
	s_mov_b32 s11, 0x3f967e29
	v_fma_f64 v[47:48], v[51:52], s[42:43], -v[67:68]
	v_add_f64 v[45:46], v[49:50], -v[45:46]
	v_fma_f64 v[43:44], v[41:42], v[43:44], s[10:11]
	s_mov_b32 s10, 0xfc27006a
	s_mov_b32 s11, 0xbf9e9ae6
	v_add_f64 v[39:40], v[39:40], -v[45:46]
	v_fma_f64 v[45:46], v[51:52], s[44:45], v[47:48]
	v_fma_f64 v[43:44], v[41:42], v[43:44], s[10:11]
	s_mov_b32 s10, 0x5711927a
	s_mov_b32 s11, 0x3fa2c15b
	v_add_f64 v[11:12], v[11:12], v[39:40]
	v_fma_f64 v[39:40], v[41:42], v[43:44], s[10:11]
	v_add_f64 v[43:44], v[67:68], v[45:46]
	v_cmp_class_f64_e64 s[10:11], v[3:4], s86
	v_add_f64 v[47:48], v[49:50], v[11:12]
	v_fma_f64 v[39:40], v[41:42], v[39:40], s[82:83]
	v_add_f64 v[67:68], v[43:44], -v[67:68]
	s_and_b64 s[10:11], s[74:75], s[10:11]
	s_and_b64 s[10:11], s[10:11], exec
	s_or_b64 s[58:59], s[58:59], s[10:11]
	v_add_f64 v[51:52], v[43:44], v[47:48]
	v_add_f64 v[49:50], v[47:48], -v[49:50]
	v_fma_f64 v[39:40], v[41:42], v[39:40], s[84:85]
	v_add_f64 v[45:46], v[45:46], -v[67:68]
	v_add_f64 v[69:70], v[51:52], -v[43:44]
	;; [unrolled: 1-line block ×3, first 2 shown]
	v_fma_f64 v[39:40], v[41:42], v[39:40], s[92:93]
	v_add_f64 v[71:72], v[51:52], -v[69:70]
	v_add_f64 v[47:48], v[47:48], -v[69:70]
	v_fma_f64 v[39:40], v[41:42], v[39:40], s[94:95]
	v_add_f64 v[49:50], v[45:46], v[11:12]
	v_add_f64 v[43:44], v[43:44], -v[71:72]
	v_fma_f64 v[39:40], v[41:42], v[39:40], s[96:97]
	v_add_f64 v[43:44], v[47:48], v[43:44]
	;; [unrolled: 3-line block ×3, first 2 shown]
	v_add_f64 v[49:50], v[49:50], -v[47:48]
	v_fma_f64 v[39:40], v[41:42], v[39:40], s[46:47]
	v_add_f64 v[11:12], v[11:12], -v[47:48]
	v_add_f64 v[67:68], v[51:52], v[43:44]
	v_add_f64 v[45:46], v[45:46], -v[49:50]
	v_fma_f64 v[39:40], v[41:42], v[39:40], s[48:49]
	v_add_f64 v[47:48], v[67:68], -v[51:52]
	v_add_f64 v[11:12], v[11:12], v[45:46]
	v_fma_f64 v[39:40], v[41:42], v[39:40], s[50:51]
	v_add_f64 v[43:44], v[43:44], -v[47:48]
	v_fma_f64 v[39:40], v[41:42], v[39:40], s[52:53]
	v_add_f64 v[11:12], v[11:12], v[43:44]
	v_fma_f64 v[39:40], v[41:42], v[39:40], s[54:55]
	v_add_f64 v[11:12], v[67:68], v[11:12]
	v_mul_f64 v[39:40], v[41:42], v[39:40]
	v_cndmask_b32_e32 v12, v12, v10, vcc
	v_cndmask_b32_e32 v11, v11, v9, vcc
	v_add_f64 v[41:42], v[11:12], 1.0
	v_cmp_ngt_f64_e32 vcc, 0, v[9:10]
	v_fma_f64 v[11:12], v[37:38], v[39:40], v[37:38]
	v_cndmask_b32_e32 v1, v61, v42, vcc
	v_cmp_nge_f64_e32 vcc, 0, v[9:10]
	v_cndmask_b32_e32 v43, 0, v41, vcc
	v_cmp_neq_f64_e32 vcc, 0, v[9:10]
	v_cndmask_b32_e32 v44, v60, v1, vcc
.LBB42_397:                             ;   in Loop: Header=BB42_5 Depth=1
	s_or_b64 exec, exec, s[72:73]
	v_add_f64 v[9:10], -v[11:12], s[70:71]
	s_mov_b32 s56, s70
	v_ashrrev_i32_e32 v1, 31, v2
	v_cmp_gt_i32_e32 vcc, 0, v2
	v_and_b32_e32 v39, 0x54442d18, v1
	v_and_b32_e32 v1, 0x400921fb, v1
	v_cndmask_b32_e32 v2, v63, v64, vcc
	v_cndmask_b32_e64 v10, v12, v10, s[8:9]
	v_cndmask_b32_e64 v9, v11, v9, s[8:9]
	v_add_f64 v[37:38], -v[9:10], s[56:57]
	v_cmp_eq_f64_e64 s[8:9], 0, v[3:4]
	v_add_f64 v[11:12], v[43:44], s[42:43]
	v_cndmask_b32_e32 v3, v65, v66, vcc
	v_bfi_b32 v3, s91, v3, v4
	v_cndmask_b32_e32 v10, v10, v38, vcc
	v_cndmask_b32_e32 v9, v9, v37, vcc
	v_cndmask_b32_e64 v1, v10, v1, s[8:9]
	v_xor_b32_e32 v4, 0x80000000, v12
	v_cndmask_b32_e64 v9, v9, v39, s[8:9]
	v_cndmask_b32_e64 v1, v1, v3, s[58:59]
	v_cndmask_b32_e64 v9, v9, v2, s[58:59]
	v_and_b32_e32 v10, 0x7fffffff, v1
	v_cndmask_b32_e64 v12, v4, v12, s[6:7]
.LBB42_398:                             ;   in Loop: Header=BB42_5 Depth=1
	s_or_b64 exec, exec, s[26:27]
                                        ; implicit-def: $vgpr3_vgpr4
.LBB42_399:                             ;   in Loop: Header=BB42_5 Depth=1
	s_andn2_saveexec_b64 s[6:7], s[16:17]
	s_cbranch_execz .LBB42_4
; %bb.400:                              ;   in Loop: Header=BB42_5 Depth=1
	v_cmp_neq_f64_e64 s[8:9], |v[1:2]|, s[66:67]
                                        ; implicit-def: $vgpr11_vgpr12
	s_and_saveexec_b64 s[10:11], s[8:9]
	s_xor_b64 s[8:9], exec, s[10:11]
	s_cbranch_execz .LBB42_410
; %bb.401:                              ;   in Loop: Header=BB42_5 Depth=1
	v_cmp_neq_f64_e64 s[10:11], |v[3:4]|, s[66:67]
	s_waitcnt lgkmcnt(0)
	v_xor_b32_e32 v12, 0x80000000, v4
	v_mov_b32_e32 v11, v3
	s_and_saveexec_b64 s[16:17], s[10:11]
	s_xor_b64 s[10:11], exec, s[16:17]
	s_cbranch_execz .LBB42_407
; %bb.402:                              ;   in Loop: Header=BB42_5 Depth=1
	v_cmp_neq_f64_e32 vcc, 0, v[1:2]
                                        ; implicit-def: $vgpr11_vgpr12
	s_and_saveexec_b64 s[16:17], vcc
	s_xor_b64 s[16:17], exec, s[16:17]
	s_cbranch_execz .LBB42_404
; %bb.403:                              ;   in Loop: Header=BB42_5 Depth=1
	v_add_f64 v[3:4], v[3:4], 0
	v_add_f64 v[11:12], v[1:2], v[3:4]
                                        ; implicit-def: $vgpr3_vgpr4
.LBB42_404:                             ;   in Loop: Header=BB42_5 Depth=1
	s_or_saveexec_b64 s[16:17], s[16:17]
	v_mov_b32_e32 v9, v11
	v_mov_b32_e32 v10, v12
	s_xor_b64 exec, exec, s[16:17]
	s_cbranch_execz .LBB42_406
; %bb.405:                              ;   in Loop: Header=BB42_5 Depth=1
	v_mov_b32_e32 v1, s18
	v_mov_b32_e32 v2, s19
	flat_load_dwordx2 v[1:2], v[1:2] glc
	s_waitcnt vmcnt(0)
	v_add_f64 v[11:12], v[3:4], v[3:4]
	s_waitcnt lgkmcnt(0)
	v_add_f64 v[9:10], v[1:2], s[70:71]
.LBB42_406:                             ;   in Loop: Header=BB42_5 Depth=1
	s_or_b64 exec, exec, s[16:17]
                                        ; implicit-def: $vgpr1_vgpr2
.LBB42_407:                             ;   in Loop: Header=BB42_5 Depth=1
	s_andn2_saveexec_b64 s[10:11], s[10:11]
; %bb.408:                              ;   in Loop: Header=BB42_5 Depth=1
	v_add_f64 v[9:10], v[1:2], v[1:2]
; %bb.409:                              ;   in Loop: Header=BB42_5 Depth=1
	s_or_b64 exec, exec, s[10:11]
                                        ; implicit-def: $vgpr3_vgpr4
.LBB42_410:                             ;   in Loop: Header=BB42_5 Depth=1
	s_andn2_saveexec_b64 s[8:9], s[8:9]
	s_cbranch_execz .LBB42_3
; %bb.411:                              ;   in Loop: Header=BB42_5 Depth=1
	s_waitcnt lgkmcnt(0)
	v_add_f64 v[9:10], v[3:4], v[3:4]
	v_mov_b32_e32 v11, 0
	v_mov_b32_e32 v12, 0xfff00000
	s_branch .LBB42_3
.LBB42_412:
	v_readlane_b32 s6, v83, 0
	v_readlane_b32 s7, v83, 1
	s_or_b64 exec, exec, s[6:7]
	s_mov_b64 s[6:7], 0
.LBB42_413:
	s_andn2_b64 vcc, exec, s[6:7]
	s_cbranch_vccnz .LBB42_841
; %bb.414:
	v_cmp_lt_i64_e64 s[6:7], s[12:13], 1
	s_and_b64 vcc, exec, s[6:7]
	s_cbranch_vccnz .LBB42_841
; %bb.415:
	v_mov_b32_e32 v1, 0x10000
	s_load_dword s6, s[4:5], 0xc5c
	v_mov_b32_e32 v2, 0
	v_cmp_lt_i64_e32 vcc, s[12:13], v[1:2]
	s_mov_b64 s[18:19], src_private_base
	s_and_b64 s[4:5], vcc, exec
	v_cmp_lt_u64_e32 vcc, s[12:13], v[1:2]
	s_cselect_b32 s21, s13, 0
	s_cselect_b32 s20, s12, 0x10000
	s_waitcnt lgkmcnt(0)
	s_and_b32 s91, s6, 0xffff
	s_and_b64 s[4:5], vcc, exec
	s_mov_b32 s86, 0x1409212f
	s_mov_b32 s72, 0x55555555
	;; [unrolled: 1-line block ×22, first 2 shown]
	s_cselect_b32 s23, s13, 0
	s_cselect_b32 s22, s12, 0x10000
	s_mov_b32 s18, 8
	s_mov_b32 s24, 0
	;; [unrolled: 1-line block ×5, first 2 shown]
	v_mov_b32_e32 v55, 0xd800000
	s_mov_b32 s87, 0x3e43988e
	v_mov_b32_e32 v56, 0x260
	s_mov_b32 s73, 0x3fe55555
	s_mov_b32 s35, 0x3fc3ab76
	;; [unrolled: 1-line block ×18, first 2 shown]
	v_mov_b32_e32 v21, 0x33145c07
	v_mov_b32_e32 v22, 0x3c91a626
	;; [unrolled: 1-line block ×21, first 2 shown]
	s_lshl_b32 s92, s91, 1
	s_lshl_b32 s93, s91, 2
	s_brev_b32 s94, -2
	s_movk_i32 s95, 0x204
	s_mov_b64 s[66:67], 0
	s_mov_b32 s69, 0x43300000
	s_mov_b32 s71, 0x7ff00000
	s_mov_b32 s30, 0x55555780
	v_writelane_b32 v83, s4, 0
	s_mov_b32 s61, 0x400921fb
	v_writelane_b32 v83, s5, 1
	s_branch .LBB42_417
.LBB42_416:                             ;   in Loop: Header=BB42_417 Depth=1
	s_or_b64 exec, exec, s[4:5]
	s_add_u32 s66, s66, s93
	v_mov_b32_e32 v1, s20
	s_addc_u32 s67, s67, 0
	v_mov_b32_e32 v2, s21
	v_cmp_ge_i64_e32 vcc, s[66:67], v[1:2]
	s_cbranch_vccnz .LBB42_841
.LBB42_417:                             ; =>This Inner Loop Header: Depth=1
	v_mov_b32_e32 v1, s67
	v_add_co_u32_e32 v31, vcc, s66, v0
	v_addc_co_u32_e32 v32, vcc, 0, v1, vcc
	v_cmp_gt_u64_e64 s[4:5], s[22:23], v[31:32]
	v_mov_b32_e32 v19, 0
	v_mov_b32_e32 v15, 0
	s_waitcnt lgkmcnt(0)
	v_mov_b32_e32 v13, 0
	v_mov_b32_e32 v20, 0
	v_mov_b32_e32 v16, 0
	v_mov_b32_e32 v14, 0
	s_and_saveexec_b64 s[6:7], s[4:5]
	s_cbranch_execz .LBB42_419
; %bb.418:                              ;   in Loop: Header=BB42_417 Depth=1
	v_lshlrev_b64 v[1:2], 4, v[31:32]
	v_mov_b32_e32 v3, s88
	v_add_co_u32_e32 v1, vcc, s33, v1
	v_addc_co_u32_e32 v2, vcc, v3, v2, vcc
	global_load_dwordx4 v[13:16], v[1:2], off
.LBB42_419:                             ;   in Loop: Header=BB42_417 Depth=1
	s_or_b64 exec, exec, s[6:7]
	v_add_co_u32_e32 v33, vcc, s91, v31
	v_addc_co_u32_e32 v34, vcc, 0, v32, vcc
	v_cmp_gt_u64_e64 s[6:7], s[22:23], v[33:34]
	v_mov_b32_e32 v17, 0
	v_mov_b32_e32 v18, 0
	s_and_saveexec_b64 s[8:9], s[6:7]
	s_cbranch_execz .LBB42_421
; %bb.420:                              ;   in Loop: Header=BB42_417 Depth=1
	v_lshlrev_b64 v[1:2], 4, v[33:34]
	v_mov_b32_e32 v3, s88
	v_add_co_u32_e32 v1, vcc, s33, v1
	v_addc_co_u32_e32 v2, vcc, v3, v2, vcc
	global_load_dwordx4 v[17:20], v[1:2], off
.LBB42_421:                             ;   in Loop: Header=BB42_417 Depth=1
	s_or_b64 exec, exec, s[8:9]
	v_add_co_u32_e32 v35, vcc, s92, v31
	v_addc_co_u32_e32 v36, vcc, 0, v32, vcc
	v_cmp_gt_u64_e64 s[8:9], s[22:23], v[35:36]
	v_mov_b32_e32 v3, 0
	v_mov_b32_e32 v11, 0
	;; [unrolled: 1-line block ×6, first 2 shown]
	s_and_saveexec_b64 s[10:11], s[8:9]
	s_cbranch_execz .LBB42_423
; %bb.422:                              ;   in Loop: Header=BB42_417 Depth=1
	v_lshlrev_b64 v[1:2], 4, v[35:36]
	v_mov_b32_e32 v5, s88
	v_add_co_u32_e32 v1, vcc, s33, v1
	v_addc_co_u32_e32 v2, vcc, v5, v2, vcc
	global_load_dwordx4 v[9:12], v[1:2], off
.LBB42_423:                             ;   in Loop: Header=BB42_417 Depth=1
	s_or_b64 exec, exec, s[10:11]
	s_mul_i32 s10, s91, 3
	v_add_co_u32_e32 v37, vcc, s10, v31
	v_addc_co_u32_e32 v38, vcc, 0, v32, vcc
	v_cmp_gt_u64_e64 s[10:11], s[22:23], v[37:38]
	v_mov_b32_e32 v1, 0
	v_mov_b32_e32 v2, 0
	s_and_saveexec_b64 s[12:13], s[10:11]
	s_cbranch_execz .LBB42_425
; %bb.424:                              ;   in Loop: Header=BB42_417 Depth=1
	v_lshlrev_b64 v[1:2], 4, v[37:38]
	v_mov_b32_e32 v3, s88
	v_add_co_u32_e32 v1, vcc, s33, v1
	v_addc_co_u32_e32 v2, vcc, v3, v2, vcc
	global_load_dwordx4 v[1:4], v[1:2], off
.LBB42_425:                             ;   in Loop: Header=BB42_417 Depth=1
	s_or_b64 exec, exec, s[12:13]
	s_waitcnt vmcnt(0)
	v_cmp_o_f64_e32 vcc, v[13:14], v[15:16]
	v_mov_b32_e32 v5, s18
	v_mov_b32_e32 v6, s19
	flat_store_dwordx2 v[5:6], v[21:22]
	s_waitcnt vmcnt(0)
                                        ; implicit-def: $vgpr7_vgpr8
	s_and_saveexec_b64 s[12:13], vcc
	s_xor_b64 s[62:63], exec, s[12:13]
	s_cbranch_execz .LBB42_513
; %bb.426:                              ;   in Loop: Header=BB42_417 Depth=1
	v_max_f64 v[41:42], |v[13:14]|, |v[13:14]|
	v_max_f64 v[43:44], |v[15:16]|, |v[15:16]|
	v_cmp_gt_i64_e64 s[12:13], 0, v[15:16]
                                        ; implicit-def: $vgpr7_vgpr8
	v_max_f64 v[39:40], v[43:44], v[41:42]
	v_cmp_nlt_f64_e32 vcc, s[68:69], v[39:40]
	s_and_saveexec_b64 s[14:15], vcc
	s_xor_b64 s[74:75], exec, s[14:15]
	s_cbranch_execz .LBB42_502
; %bb.427:                              ;   in Loop: Header=BB42_417 Depth=1
	v_cmp_neq_f64_e32 vcc, 1.0, v[13:14]
	v_cmp_neq_f64_e64 s[14:15], 0, v[15:16]
	v_xor_b32_e32 v8, 0x80000000, v16
	v_mov_b32_e32 v7, v15
	s_or_b64 s[14:15], s[14:15], vcc
	s_and_saveexec_b64 s[16:17], s[14:15]
	s_xor_b64 s[76:77], exec, s[16:17]
	s_cbranch_execz .LBB42_499
; %bb.428:                              ;   in Loop: Header=BB42_417 Depth=1
	v_mov_b32_e32 v5, s24
	v_mov_b32_e32 v6, s25
	flat_store_dword v[5:6], v55
	s_waitcnt vmcnt(0)
	flat_load_dword v5, v[5:6] glc
	s_waitcnt vmcnt(0)
	v_cmp_nlt_f64_e64 s[14:15], |v[13:14]|, s[86:87]
	v_cmp_nlt_f64_e64 s[16:17], |v[15:16]|, s[86:87]
	s_or_b64 s[14:15], s[16:17], s[14:15]
	s_waitcnt lgkmcnt(0)
	v_add_f32_e32 v7, 1.0, v5
	v_mov_b32_e32 v5, s26
	v_mov_b32_e32 v6, s27
	flat_store_dword v[5:6], v7
	s_waitcnt vmcnt(0)
	flat_load_dword v5, v[5:6] glc
	s_waitcnt vmcnt(0)
	v_mov_b32_e32 v7, v15
	s_and_saveexec_b64 s[16:17], s[14:15]
	s_xor_b64 s[78:79], exec, s[16:17]
	s_cbranch_execz .LBB42_496
; %bb.429:                              ;   in Loop: Header=BB42_417 Depth=1
	v_add_f64 v[41:42], |v[13:14]|, 1.0
	v_add_f64 v[39:40], |v[13:14]|, -1.0
	s_waitcnt lgkmcnt(0)
	v_max_f64 v[5:6], v[43:44], v[41:42]
	v_max_f64 v[7:8], v[43:44], |v[39:40]|
	v_frexp_exp_i32_f64_e32 v68, v[5:6]
	v_frexp_exp_i32_f64_e32 v69, v[7:8]
	v_sub_u32_e32 v43, 0, v68
	v_sub_u32_e32 v45, 0, v69
	v_ldexp_f64 v[5:6], v[41:42], v43
	v_ldexp_f64 v[7:8], |v[39:40]|, v45
	v_ldexp_f64 v[43:44], |v[15:16]|, v43
	;; [unrolled: 1-line block ×3, first 2 shown]
	v_mul_f64 v[5:6], v[5:6], v[5:6]
	v_mul_f64 v[7:8], v[7:8], v[7:8]
	v_fma_f64 v[5:6], v[43:44], v[43:44], v[5:6]
	v_fma_f64 v[7:8], v[45:46], v[45:46], v[7:8]
	v_rsq_f64_e32 v[43:44], v[5:6]
	v_rsq_f64_e32 v[45:46], v[7:8]
	v_cmp_eq_f64_e32 vcc, 0, v[5:6]
	v_cmp_eq_f64_e64 s[14:15], 0, v[7:8]
	v_mul_f64 v[47:48], v[5:6], v[43:44]
	v_mul_f64 v[43:44], v[43:44], 0.5
	v_mul_f64 v[49:50], v[7:8], v[45:46]
	v_mul_f64 v[45:46], v[45:46], 0.5
	v_fma_f64 v[51:52], -v[43:44], v[47:48], 0.5
	v_fma_f64 v[53:54], -v[45:46], v[49:50], 0.5
	v_fma_f64 v[47:48], v[47:48], v[51:52], v[47:48]
	v_fma_f64 v[43:44], v[43:44], v[51:52], v[43:44]
	;; [unrolled: 1-line block ×4, first 2 shown]
	v_fma_f64 v[51:52], -v[47:48], v[47:48], v[5:6]
	v_fma_f64 v[53:54], -v[49:50], v[49:50], v[7:8]
	v_fma_f64 v[43:44], v[51:52], v[43:44], v[47:48]
	v_fma_f64 v[45:46], v[53:54], v[45:46], v[49:50]
	v_cndmask_b32_e32 v6, v44, v6, vcc
	v_cndmask_b32_e32 v5, v43, v5, vcc
	v_cndmask_b32_e64 v8, v46, v8, s[14:15]
	v_cndmask_b32_e64 v7, v45, v7, s[14:15]
	v_ldexp_f64 v[5:6], v[5:6], v68
	v_cmp_neq_f64_e32 vcc, s[70:71], v[41:42]
	v_ldexp_f64 v[7:8], v[7:8], v69
	v_cmp_neq_f64_e64 s[14:15], |v[39:40]|, s[70:71]
	v_cndmask_b32_e32 v46, v57, v6, vcc
	v_cndmask_b32_e32 v45, 0, v5, vcc
	v_cndmask_b32_e64 v44, v57, v8, s[14:15]
	v_cndmask_b32_e64 v43, 0, v7, s[14:15]
	v_add_f64 v[5:6], v[45:46], v[43:44]
	s_mov_b32 s14, 0
	s_mov_b32 s15, 0x40240000
                                        ; implicit-def: $vgpr7_vgpr8
	v_mul_f64 v[5:6], v[5:6], 0.5
	v_cmp_ngt_f64_e32 vcc, 1.0, v[5:6]
	v_cndmask_b32_e32 v6, v58, v6, vcc
	v_cndmask_b32_e32 v5, 0, v5, vcc
	v_cmp_ngt_f64_e32 vcc, s[14:15], v[5:6]
	s_and_saveexec_b64 s[14:15], vcc
	s_xor_b64 s[14:15], exec, s[14:15]
	s_cbranch_execz .LBB42_431
; %bb.430:                              ;   in Loop: Header=BB42_417 Depth=1
	v_fma_f64 v[7:8], v[5:6], v[5:6], -1.0
	s_mov_b32 s16, 0
	s_brev_b32 s17, 8
	s_mov_b32 s31, s73
	v_cmp_gt_f64_e32 vcc, s[16:17], v[7:8]
	v_cndmask_b32_e32 v47, 0, v59, vcc
	v_ldexp_f64 v[7:8], v[7:8], v47
	v_rsq_f64_e32 v[47:48], v[7:8]
	v_mul_f64 v[49:50], v[7:8], v[47:48]
	v_mul_f64 v[47:48], v[47:48], 0.5
	v_fma_f64 v[51:52], -v[47:48], v[49:50], 0.5
	v_fma_f64 v[49:50], v[49:50], v[51:52], v[49:50]
	v_fma_f64 v[47:48], v[47:48], v[51:52], v[47:48]
	v_fma_f64 v[53:54], -v[49:50], v[49:50], v[7:8]
	v_fma_f64 v[49:50], v[53:54], v[47:48], v[49:50]
	v_fma_f64 v[51:52], -v[49:50], v[49:50], v[7:8]
	v_fma_f64 v[47:48], v[51:52], v[47:48], v[49:50]
	v_cndmask_b32_e32 v49, 0, v60, vcc
	v_cmp_class_f64_e32 vcc, v[7:8], v56
	v_ldexp_f64 v[47:48], v[47:48], v49
	v_cndmask_b32_e32 v8, v48, v8, vcc
	v_cndmask_b32_e32 v7, v47, v7, vcc
	v_add_f64 v[7:8], v[5:6], v[7:8]
	v_frexp_mant_f64_e32 v[47:48], v[7:8]
	v_frexp_exp_i32_f64_e32 v49, v[7:8]
	v_cmp_gt_f64_e32 vcc, s[72:73], v[47:48]
	v_cndmask_b32_e64 v50, 0, 1, vcc
	v_ldexp_f64 v[47:48], v[47:48], v50
	v_subbrev_co_u32_e32 v74, vcc, 0, v49, vcc
	v_cmp_class_f64_e64 vcc, v[7:8], s95
	v_add_f64 v[51:52], v[47:48], 1.0
	v_add_f64 v[49:50], v[47:48], -1.0
	v_add_f64 v[53:54], v[51:52], -1.0
	v_add_f64 v[47:48], v[47:48], -v[53:54]
	v_rcp_f64_e32 v[53:54], v[51:52]
	v_fma_f64 v[68:69], -v[51:52], v[53:54], 1.0
	v_fma_f64 v[53:54], v[68:69], v[53:54], v[53:54]
	v_fma_f64 v[68:69], -v[51:52], v[53:54], 1.0
	v_fma_f64 v[53:54], v[68:69], v[53:54], v[53:54]
	v_mul_f64 v[68:69], v[49:50], v[53:54]
	v_mul_f64 v[70:71], v[51:52], v[68:69]
	v_fma_f64 v[51:52], v[68:69], v[51:52], -v[70:71]
	v_fma_f64 v[47:48], v[68:69], v[47:48], v[51:52]
	v_add_f64 v[51:52], v[70:71], v[47:48]
	v_add_f64 v[72:73], v[49:50], -v[51:52]
	v_add_f64 v[70:71], v[51:52], -v[70:71]
	;; [unrolled: 1-line block ×5, first 2 shown]
	v_add_f64 v[47:48], v[47:48], v[49:50]
	v_add_f64 v[47:48], v[72:73], v[47:48]
	v_mul_f64 v[47:48], v[53:54], v[47:48]
	v_add_f64 v[49:50], v[68:69], v[47:48]
	v_add_f64 v[51:52], v[49:50], -v[68:69]
	v_ldexp_f64 v[68:69], v[49:50], 1
	v_add_f64 v[47:48], v[47:48], -v[51:52]
	v_mul_f64 v[51:52], v[49:50], v[49:50]
	v_ldexp_f64 v[47:48], v[47:48], 1
	v_fma_f64 v[53:54], v[51:52], s[34:35], v[23:24]
	v_mul_f64 v[49:50], v[49:50], v[51:52]
	v_fma_f64 v[53:54], v[51:52], v[53:54], s[36:37]
	v_fma_f64 v[53:54], v[51:52], v[53:54], s[38:39]
	;; [unrolled: 1-line block ×5, first 2 shown]
	v_mul_f64 v[49:50], v[49:50], v[53:54]
	v_add_f64 v[51:52], v[68:69], v[49:50]
	v_add_f64 v[53:54], v[51:52], -v[68:69]
	v_add_f64 v[49:50], v[49:50], -v[53:54]
	v_add_f64 v[47:48], v[47:48], v[49:50]
	v_add_f64 v[49:50], v[51:52], v[47:48]
	v_add_f64 v[51:52], v[49:50], -v[51:52]
	v_add_f64 v[47:48], v[47:48], -v[51:52]
	v_cvt_f64_i32_e32 v[51:52], v74
	v_mul_f64 v[53:54], v[51:52], s[44:45]
	v_fma_f64 v[68:69], v[51:52], s[44:45], -v[53:54]
	v_fma_f64 v[51:52], v[51:52], s[46:47], v[68:69]
	v_add_f64 v[68:69], v[53:54], v[51:52]
	v_add_f64 v[53:54], v[68:69], -v[53:54]
	v_add_f64 v[51:52], v[51:52], -v[53:54]
	v_add_f64 v[53:54], v[68:69], v[49:50]
	v_add_f64 v[70:71], v[53:54], -v[68:69]
	v_add_f64 v[72:73], v[53:54], -v[70:71]
	;; [unrolled: 1-line block ×4, first 2 shown]
	v_add_f64 v[49:50], v[49:50], v[68:69]
	v_add_f64 v[68:69], v[51:52], v[47:48]
	v_add_f64 v[70:71], v[68:69], -v[51:52]
	v_add_f64 v[49:50], v[68:69], v[49:50]
	v_add_f64 v[72:73], v[68:69], -v[70:71]
	v_add_f64 v[47:48], v[47:48], -v[70:71]
	;; [unrolled: 1-line block ×3, first 2 shown]
	v_add_f64 v[47:48], v[47:48], v[51:52]
	v_add_f64 v[51:52], v[53:54], v[49:50]
	v_add_f64 v[53:54], v[51:52], -v[53:54]
	v_add_f64 v[49:50], v[49:50], -v[53:54]
	v_add_f64 v[47:48], v[47:48], v[49:50]
	v_add_f64 v[47:48], v[51:52], v[47:48]
	v_cndmask_b32_e32 v47, v47, v7, vcc
	v_cndmask_b32_e32 v48, v48, v8, vcc
	v_cmp_neq_f64_e32 vcc, 0, v[7:8]
	v_cndmask_b32_e32 v8, v61, v48, vcc
	v_cndmask_b32_e32 v7, 0, v47, vcc
.LBB42_431:                             ;   in Loop: Header=BB42_417 Depth=1
	s_or_saveexec_b64 s[16:17], s[14:15]
	v_and_b32_e32 v48, 0x7fffffff, v16
	v_mov_b32_e32 v47, v15
	s_xor_b64 exec, exec, s[16:17]
	s_cbranch_execz .LBB42_453
; %bb.432:                              ;   in Loop: Header=BB42_417 Depth=1
	s_mov_b32 s80, 0
	s_mov_b32 s81, 0x39000000
	v_cmp_neq_f64_e64 s[14:15], |v[13:14]|, 1.0
	v_cmp_nlt_f64_e64 s[80:81], |v[15:16]|, s[80:81]
                                        ; implicit-def: $vgpr7_vgpr8
	s_or_b64 s[14:15], s[80:81], s[14:15]
	s_and_saveexec_b64 s[80:81], s[14:15]
	s_xor_b64 s[80:81], exec, s[80:81]
	s_cbranch_execz .LBB42_450
; %bb.433:                              ;   in Loop: Header=BB42_417 Depth=1
	s_movk_i32 s14, 0xffcc
	v_ldexp_f64 v[7:8], |v[39:40]|, s14
	v_cmp_ge_f64_e64 s[14:15], |v[15:16]|, v[7:8]
                                        ; implicit-def: $vgpr7_vgpr8
	s_and_saveexec_b64 s[82:83], s[14:15]
	s_xor_b64 s[82:83], exec, s[82:83]
	s_cbranch_execz .LBB42_443
; %bb.434:                              ;   in Loop: Header=BB42_417 Depth=1
	v_cmp_neq_f64_e32 vcc, 0, v[41:42]
	v_mov_b32_e32 v7, v47
	v_mov_b32_e32 v8, v48
	s_and_saveexec_b64 s[14:15], vcc
	s_cbranch_execz .LBB42_436
; %bb.435:                              ;   in Loop: Header=BB42_417 Depth=1
	v_mul_f64 v[7:8], v[15:16], v[15:16]
	v_add_f64 v[49:50], v[41:42], v[45:46]
	v_div_scale_f64 v[51:52], s[84:85], v[49:50], v[49:50], v[7:8]
	v_div_scale_f64 v[70:71], vcc, v[7:8], v[49:50], v[7:8]
	v_rcp_f64_e32 v[53:54], v[51:52]
	v_fma_f64 v[68:69], -v[51:52], v[53:54], 1.0
	v_fma_f64 v[53:54], v[53:54], v[68:69], v[53:54]
	v_fma_f64 v[68:69], -v[51:52], v[53:54], 1.0
	v_fma_f64 v[53:54], v[53:54], v[68:69], v[53:54]
	v_mul_f64 v[68:69], v[70:71], v[53:54]
	v_fma_f64 v[51:52], -v[51:52], v[68:69], v[70:71]
	v_div_fmas_f64 v[51:52], v[51:52], v[53:54], v[68:69]
	v_div_fixup_f64 v[7:8], v[51:52], v[49:50], v[7:8]
.LBB42_436:                             ;   in Loop: Header=BB42_417 Depth=1
	s_or_b64 exec, exec, s[14:15]
	v_add_f64 v[51:52], -|v[13:14]|, 1.0
                                        ; implicit-def: $vgpr49_vgpr50
	v_cmp_ngt_f64_e32 vcc, 0, v[51:52]
	s_and_saveexec_b64 s[14:15], vcc
	s_xor_b64 s[14:15], exec, s[14:15]
	s_cbranch_execz .LBB42_440
; %bb.437:                              ;   in Loop: Header=BB42_417 Depth=1
	v_cmp_neq_f64_e32 vcc, 0, v[51:52]
	v_mov_b32_e32 v50, v48
	v_mov_b32_e32 v49, v47
	s_and_saveexec_b64 s[84:85], vcc
	s_cbranch_execz .LBB42_439
; %bb.438:                              ;   in Loop: Header=BB42_417 Depth=1
	v_mul_f64 v[49:50], v[15:16], v[15:16]
	v_add_f64 v[51:52], v[51:52], v[43:44]
	v_div_scale_f64 v[53:54], s[86:87], v[51:52], v[51:52], v[49:50]
	v_div_scale_f64 v[72:73], vcc, v[49:50], v[51:52], v[49:50]
	v_rcp_f64_e32 v[68:69], v[53:54]
	v_fma_f64 v[70:71], -v[53:54], v[68:69], 1.0
	v_fma_f64 v[68:69], v[68:69], v[70:71], v[68:69]
	v_fma_f64 v[70:71], -v[53:54], v[68:69], 1.0
	v_fma_f64 v[68:69], v[68:69], v[70:71], v[68:69]
	v_mul_f64 v[70:71], v[72:73], v[68:69]
	v_fma_f64 v[53:54], -v[53:54], v[70:71], v[72:73]
	v_div_fmas_f64 v[53:54], v[53:54], v[68:69], v[70:71]
	v_div_fixup_f64 v[49:50], v[53:54], v[51:52], v[49:50]
.LBB42_439:                             ;   in Loop: Header=BB42_417 Depth=1
	s_or_b64 exec, exec, s[84:85]
	s_mov_b32 s86, 0x1409212f
                                        ; implicit-def: $vgpr51_vgpr52
	s_mov_b32 s87, 0x3e43988e
.LBB42_440:                             ;   in Loop: Header=BB42_417 Depth=1
	s_andn2_saveexec_b64 s[14:15], s[14:15]
; %bb.441:                              ;   in Loop: Header=BB42_417 Depth=1
	v_add_f64 v[49:50], v[43:44], -v[51:52]
; %bb.442:                              ;   in Loop: Header=BB42_417 Depth=1
	s_or_b64 exec, exec, s[14:15]
	v_mul_f64 v[49:50], v[49:50], 0.5
	s_mov_b32 s14, 0
	s_brev_b32 s15, 8
	s_mov_b32 s31, s73
	v_fma_f64 v[7:8], v[7:8], 0.5, v[49:50]
	v_add_f64 v[49:50], v[5:6], 1.0
	v_mul_f64 v[49:50], v[49:50], v[7:8]
	v_cmp_gt_f64_e32 vcc, s[14:15], v[49:50]
	v_cndmask_b32_e32 v51, 0, v59, vcc
	v_ldexp_f64 v[49:50], v[49:50], v51
	v_rsq_f64_e32 v[51:52], v[49:50]
	v_mul_f64 v[53:54], v[49:50], v[51:52]
	v_mul_f64 v[51:52], v[51:52], 0.5
	v_fma_f64 v[68:69], -v[51:52], v[53:54], 0.5
	v_fma_f64 v[53:54], v[53:54], v[68:69], v[53:54]
	v_fma_f64 v[51:52], v[51:52], v[68:69], v[51:52]
	v_fma_f64 v[70:71], -v[53:54], v[53:54], v[49:50]
	v_fma_f64 v[53:54], v[70:71], v[51:52], v[53:54]
	v_fma_f64 v[68:69], -v[53:54], v[53:54], v[49:50]
	v_fma_f64 v[51:52], v[68:69], v[51:52], v[53:54]
	v_cndmask_b32_e32 v53, 0, v60, vcc
	v_cmp_class_f64_e32 vcc, v[49:50], v56
	v_ldexp_f64 v[51:52], v[51:52], v53
	v_cndmask_b32_e32 v50, v52, v50, vcc
	v_cndmask_b32_e32 v49, v51, v49, vcc
	v_add_f64 v[49:50], v[7:8], v[49:50]
	v_add_f64 v[7:8], v[49:50], 1.0
	v_cmp_ngt_f64_e64 s[14:15], -1.0, v[49:50]
	v_add_f64 v[51:52], v[7:8], -1.0
	v_frexp_exp_i32_f64_e32 v68, v[7:8]
	v_add_f64 v[53:54], v[51:52], -v[7:8]
	v_add_f64 v[51:52], v[49:50], -v[51:52]
	v_add_f64 v[53:54], v[53:54], 1.0
	v_add_f64 v[51:52], v[51:52], v[53:54]
	v_frexp_mant_f64_e32 v[53:54], v[7:8]
	v_cmp_gt_f64_e32 vcc, s[72:73], v[53:54]
	v_subbrev_co_u32_e32 v82, vcc, 0, v68, vcc
	v_sub_u32_e32 v53, 0, v82
	v_ldexp_f64 v[7:8], v[7:8], v53
	v_ldexp_f64 v[51:52], v[51:52], v53
	v_cmp_neq_f64_e32 vcc, s[70:71], v[49:50]
	v_add_f64 v[53:54], v[7:8], -1.0
	v_add_f64 v[68:69], v[53:54], 1.0
	v_add_f64 v[68:69], v[7:8], -v[68:69]
	v_add_f64 v[68:69], v[51:52], v[68:69]
	v_add_f64 v[70:71], v[53:54], v[68:69]
	v_add_f64 v[53:54], v[70:71], -v[53:54]
	v_add_f64 v[53:54], v[68:69], -v[53:54]
	v_add_f64 v[68:69], v[7:8], 1.0
	v_add_f64 v[72:73], v[68:69], -1.0
	v_add_f64 v[7:8], v[7:8], -v[72:73]
	v_add_f64 v[7:8], v[51:52], v[7:8]
	v_add_f64 v[51:52], v[68:69], v[7:8]
	v_add_f64 v[68:69], v[51:52], -v[68:69]
	v_add_f64 v[7:8], v[7:8], -v[68:69]
	v_rcp_f64_e32 v[68:69], v[51:52]
	v_fma_f64 v[72:73], -v[51:52], v[68:69], 1.0
	v_fma_f64 v[68:69], v[72:73], v[68:69], v[68:69]
	v_fma_f64 v[72:73], -v[51:52], v[68:69], 1.0
	v_fma_f64 v[68:69], v[72:73], v[68:69], v[68:69]
	v_mul_f64 v[72:73], v[70:71], v[68:69]
	v_mul_f64 v[74:75], v[51:52], v[72:73]
	v_fma_f64 v[76:77], v[72:73], v[51:52], -v[74:75]
	v_fma_f64 v[76:77], v[72:73], v[7:8], v[76:77]
	v_add_f64 v[78:79], v[74:75], v[76:77]
	v_add_f64 v[80:81], v[70:71], -v[78:79]
	v_add_f64 v[74:75], v[78:79], -v[74:75]
	;; [unrolled: 1-line block ×4, first 2 shown]
	v_add_f64 v[53:54], v[53:54], v[70:71]
	v_add_f64 v[70:71], v[74:75], -v[76:77]
	v_add_f64 v[53:54], v[70:71], v[53:54]
	v_add_f64 v[70:71], v[80:81], v[53:54]
	v_add_f64 v[74:75], v[80:81], -v[70:71]
	v_add_f64 v[53:54], v[53:54], v[74:75]
	v_mul_f64 v[74:75], v[68:69], v[70:71]
	v_mul_f64 v[76:77], v[51:52], v[74:75]
	v_fma_f64 v[51:52], v[74:75], v[51:52], -v[76:77]
	v_fma_f64 v[7:8], v[74:75], v[7:8], v[51:52]
	v_add_f64 v[51:52], v[76:77], v[7:8]
	v_add_f64 v[78:79], v[70:71], -v[51:52]
	v_add_f64 v[76:77], v[51:52], -v[76:77]
	;; [unrolled: 1-line block ×5, first 2 shown]
	v_cvt_f64_i32_e32 v[70:71], v82
	v_add_f64 v[51:52], v[53:54], v[51:52]
	v_add_f64 v[7:8], v[7:8], v[51:52]
	;; [unrolled: 1-line block ×4, first 2 shown]
	v_add_f64 v[53:54], v[51:52], -v[72:73]
	v_mul_f64 v[72:73], v[70:71], s[44:45]
	v_mul_f64 v[7:8], v[68:69], v[7:8]
	v_add_f64 v[53:54], v[74:75], -v[53:54]
	v_fma_f64 v[74:75], v[70:71], s[44:45], -v[72:73]
	v_add_f64 v[7:8], v[53:54], v[7:8]
	v_fma_f64 v[70:71], v[70:71], s[46:47], v[74:75]
	v_add_f64 v[53:54], v[51:52], v[7:8]
	v_add_f64 v[74:75], v[72:73], v[70:71]
	v_add_f64 v[51:52], v[53:54], -v[51:52]
	v_add_f64 v[72:73], v[74:75], -v[72:73]
	;; [unrolled: 1-line block ×3, first 2 shown]
	v_mul_f64 v[51:52], v[53:54], v[53:54]
	v_add_f64 v[70:71], v[70:71], -v[72:73]
	v_ldexp_f64 v[72:73], v[53:54], 1
	v_ldexp_f64 v[7:8], v[7:8], 1
	v_fma_f64 v[68:69], v[51:52], s[34:35], v[23:24]
	v_fma_f64 v[68:69], v[51:52], v[68:69], s[36:37]
	;; [unrolled: 1-line block ×6, first 2 shown]
	v_mul_f64 v[51:52], v[53:54], v[51:52]
	v_mul_f64 v[51:52], v[51:52], v[68:69]
	v_add_f64 v[53:54], v[72:73], v[51:52]
	v_add_f64 v[68:69], v[53:54], -v[72:73]
	v_add_f64 v[51:52], v[51:52], -v[68:69]
	v_add_f64 v[7:8], v[7:8], v[51:52]
	v_add_f64 v[51:52], v[53:54], v[7:8]
	v_add_f64 v[53:54], v[51:52], -v[53:54]
	v_add_f64 v[7:8], v[7:8], -v[53:54]
	v_add_f64 v[53:54], v[74:75], v[51:52]
	v_add_f64 v[68:69], v[53:54], -v[74:75]
	v_add_f64 v[72:73], v[53:54], -v[68:69]
	;; [unrolled: 1-line block ×3, first 2 shown]
	v_add_f64 v[68:69], v[70:71], v[7:8]
	v_add_f64 v[72:73], v[74:75], -v[72:73]
	v_add_f64 v[51:52], v[51:52], v[72:73]
	v_add_f64 v[72:73], v[68:69], -v[70:71]
	;; [unrolled: 2-line block ×3, first 2 shown]
	v_add_f64 v[7:8], v[7:8], -v[72:73]
	v_add_f64 v[68:69], v[53:54], v[51:52]
	v_add_f64 v[70:71], v[70:71], -v[74:75]
	v_add_f64 v[53:54], v[68:69], -v[53:54]
	v_add_f64 v[7:8], v[7:8], v[70:71]
	v_add_f64 v[51:52], v[51:52], -v[53:54]
	v_add_f64 v[7:8], v[7:8], v[51:52]
	v_add_f64 v[7:8], v[68:69], v[7:8]
	v_cndmask_b32_e32 v8, v57, v8, vcc
	v_cndmask_b32_e64 v8, v62, v8, s[14:15]
	v_cmp_nge_f64_e64 s[14:15], -1.0, v[49:50]
	s_and_b64 vcc, s[14:15], vcc
	v_cndmask_b32_e32 v7, 0, v7, vcc
	v_cmp_neq_f64_e32 vcc, -1.0, v[49:50]
	v_cndmask_b32_e32 v8, v61, v8, vcc
.LBB42_443:                             ;   in Loop: Header=BB42_417 Depth=1
	s_andn2_saveexec_b64 s[82:83], s[82:83]
	s_cbranch_execz .LBB42_449
; %bb.444:                              ;   in Loop: Header=BB42_417 Depth=1
	v_cmp_nlt_f64_e64 s[14:15], |v[13:14]|, 1.0
                                        ; implicit-def: $vgpr7_vgpr8
	s_and_saveexec_b64 s[84:85], s[14:15]
	s_xor_b64 s[84:85], exec, s[84:85]
	s_cbranch_execz .LBB42_446
; %bb.445:                              ;   in Loop: Header=BB42_417 Depth=1
	v_mul_f64 v[7:8], v[39:40], v[41:42]
	s_mov_b32 s14, 0
	s_brev_b32 s15, 8
	s_mov_b32 s31, s73
	v_cmp_gt_f64_e32 vcc, s[14:15], v[7:8]
	v_cndmask_b32_e32 v49, 0, v59, vcc
	v_ldexp_f64 v[7:8], v[7:8], v49
	v_rsq_f64_e32 v[49:50], v[7:8]
	v_mul_f64 v[51:52], v[7:8], v[49:50]
	v_mul_f64 v[49:50], v[49:50], 0.5
	v_fma_f64 v[53:54], -v[49:50], v[51:52], 0.5
	v_fma_f64 v[51:52], v[51:52], v[53:54], v[51:52]
	v_fma_f64 v[49:50], v[49:50], v[53:54], v[49:50]
	v_fma_f64 v[68:69], -v[51:52], v[51:52], v[7:8]
	v_fma_f64 v[51:52], v[68:69], v[49:50], v[51:52]
	v_fma_f64 v[53:54], -v[51:52], v[51:52], v[7:8]
	v_fma_f64 v[49:50], v[53:54], v[49:50], v[51:52]
	v_cndmask_b32_e32 v51, 0, v60, vcc
	v_cmp_class_f64_e32 vcc, v[7:8], v56
	v_ldexp_f64 v[49:50], v[49:50], v51
	v_cndmask_b32_e32 v8, v50, v8, vcc
	v_cndmask_b32_e32 v7, v49, v7, vcc
	v_add_f64 v[49:50], v[39:40], v[7:8]
	v_add_f64 v[7:8], v[49:50], 1.0
	v_cmp_ngt_f64_e64 s[14:15], -1.0, v[49:50]
	v_add_f64 v[51:52], v[7:8], -1.0
	v_frexp_exp_i32_f64_e32 v68, v[7:8]
	v_add_f64 v[53:54], v[51:52], -v[7:8]
	v_add_f64 v[51:52], v[49:50], -v[51:52]
	v_add_f64 v[53:54], v[53:54], 1.0
	v_add_f64 v[51:52], v[51:52], v[53:54]
	v_frexp_mant_f64_e32 v[53:54], v[7:8]
	v_cmp_gt_f64_e32 vcc, s[72:73], v[53:54]
	v_subbrev_co_u32_e32 v82, vcc, 0, v68, vcc
	v_sub_u32_e32 v53, 0, v82
	v_ldexp_f64 v[7:8], v[7:8], v53
	v_ldexp_f64 v[51:52], v[51:52], v53
	v_cmp_neq_f64_e32 vcc, s[70:71], v[49:50]
	v_add_f64 v[53:54], v[7:8], -1.0
	v_add_f64 v[68:69], v[53:54], 1.0
	v_add_f64 v[68:69], v[7:8], -v[68:69]
	v_add_f64 v[68:69], v[51:52], v[68:69]
	v_add_f64 v[70:71], v[53:54], v[68:69]
	v_add_f64 v[53:54], v[70:71], -v[53:54]
	v_add_f64 v[53:54], v[68:69], -v[53:54]
	v_add_f64 v[68:69], v[7:8], 1.0
	v_add_f64 v[72:73], v[68:69], -1.0
	v_add_f64 v[7:8], v[7:8], -v[72:73]
	v_add_f64 v[7:8], v[51:52], v[7:8]
	v_add_f64 v[51:52], v[68:69], v[7:8]
	v_add_f64 v[68:69], v[51:52], -v[68:69]
	v_add_f64 v[7:8], v[7:8], -v[68:69]
	v_rcp_f64_e32 v[68:69], v[51:52]
	v_fma_f64 v[72:73], -v[51:52], v[68:69], 1.0
	v_fma_f64 v[68:69], v[72:73], v[68:69], v[68:69]
	v_fma_f64 v[72:73], -v[51:52], v[68:69], 1.0
	v_fma_f64 v[68:69], v[72:73], v[68:69], v[68:69]
	v_mul_f64 v[72:73], v[70:71], v[68:69]
	v_mul_f64 v[74:75], v[51:52], v[72:73]
	v_fma_f64 v[76:77], v[72:73], v[51:52], -v[74:75]
	v_fma_f64 v[76:77], v[72:73], v[7:8], v[76:77]
	v_add_f64 v[78:79], v[74:75], v[76:77]
	v_add_f64 v[80:81], v[70:71], -v[78:79]
	v_add_f64 v[74:75], v[78:79], -v[74:75]
	;; [unrolled: 1-line block ×4, first 2 shown]
	v_add_f64 v[53:54], v[53:54], v[70:71]
	v_add_f64 v[70:71], v[74:75], -v[76:77]
	v_add_f64 v[53:54], v[70:71], v[53:54]
	v_add_f64 v[70:71], v[80:81], v[53:54]
	v_add_f64 v[74:75], v[80:81], -v[70:71]
	v_add_f64 v[53:54], v[53:54], v[74:75]
	v_mul_f64 v[74:75], v[68:69], v[70:71]
	v_mul_f64 v[76:77], v[51:52], v[74:75]
	v_fma_f64 v[51:52], v[74:75], v[51:52], -v[76:77]
	v_fma_f64 v[7:8], v[74:75], v[7:8], v[51:52]
	v_add_f64 v[51:52], v[76:77], v[7:8]
	v_add_f64 v[78:79], v[70:71], -v[51:52]
	v_add_f64 v[76:77], v[51:52], -v[76:77]
	;; [unrolled: 1-line block ×5, first 2 shown]
	v_cvt_f64_i32_e32 v[70:71], v82
	v_add_f64 v[51:52], v[53:54], v[51:52]
	v_add_f64 v[7:8], v[7:8], v[51:52]
	;; [unrolled: 1-line block ×4, first 2 shown]
	v_add_f64 v[53:54], v[51:52], -v[72:73]
	v_mul_f64 v[72:73], v[70:71], s[44:45]
	v_mul_f64 v[7:8], v[68:69], v[7:8]
	v_add_f64 v[53:54], v[74:75], -v[53:54]
	v_fma_f64 v[74:75], v[70:71], s[44:45], -v[72:73]
	v_add_f64 v[7:8], v[53:54], v[7:8]
	v_fma_f64 v[70:71], v[70:71], s[46:47], v[74:75]
	v_add_f64 v[53:54], v[51:52], v[7:8]
	v_add_f64 v[74:75], v[72:73], v[70:71]
	v_add_f64 v[51:52], v[53:54], -v[51:52]
	v_add_f64 v[72:73], v[74:75], -v[72:73]
	;; [unrolled: 1-line block ×3, first 2 shown]
	v_mul_f64 v[51:52], v[53:54], v[53:54]
	v_add_f64 v[70:71], v[70:71], -v[72:73]
	v_ldexp_f64 v[72:73], v[53:54], 1
	v_ldexp_f64 v[7:8], v[7:8], 1
	v_fma_f64 v[68:69], v[51:52], s[34:35], v[23:24]
	v_fma_f64 v[68:69], v[51:52], v[68:69], s[36:37]
	;; [unrolled: 1-line block ×6, first 2 shown]
	v_mul_f64 v[51:52], v[53:54], v[51:52]
	v_mul_f64 v[51:52], v[51:52], v[68:69]
	v_add_f64 v[53:54], v[72:73], v[51:52]
	v_add_f64 v[68:69], v[53:54], -v[72:73]
	v_add_f64 v[51:52], v[51:52], -v[68:69]
	v_add_f64 v[7:8], v[7:8], v[51:52]
	v_add_f64 v[51:52], v[53:54], v[7:8]
	v_add_f64 v[53:54], v[51:52], -v[53:54]
	v_add_f64 v[7:8], v[7:8], -v[53:54]
	v_add_f64 v[53:54], v[74:75], v[51:52]
	v_add_f64 v[68:69], v[53:54], -v[74:75]
	v_add_f64 v[72:73], v[53:54], -v[68:69]
	;; [unrolled: 1-line block ×3, first 2 shown]
	v_add_f64 v[68:69], v[70:71], v[7:8]
	v_add_f64 v[72:73], v[74:75], -v[72:73]
	v_add_f64 v[51:52], v[51:52], v[72:73]
	v_add_f64 v[72:73], v[68:69], -v[70:71]
	;; [unrolled: 2-line block ×3, first 2 shown]
	v_add_f64 v[7:8], v[7:8], -v[72:73]
	v_add_f64 v[68:69], v[53:54], v[51:52]
	v_add_f64 v[70:71], v[70:71], -v[74:75]
	v_add_f64 v[53:54], v[68:69], -v[53:54]
	v_add_f64 v[7:8], v[7:8], v[70:71]
	v_add_f64 v[51:52], v[51:52], -v[53:54]
	v_add_f64 v[7:8], v[7:8], v[51:52]
	v_add_f64 v[7:8], v[68:69], v[7:8]
	v_cndmask_b32_e32 v8, v57, v8, vcc
	v_cndmask_b32_e64 v8, v62, v8, s[14:15]
	v_cmp_nge_f64_e64 s[14:15], -1.0, v[49:50]
	s_and_b64 vcc, s[14:15], vcc
	v_cndmask_b32_e32 v7, 0, v7, vcc
	v_cmp_neq_f64_e32 vcc, -1.0, v[49:50]
	v_cndmask_b32_e32 v8, v61, v8, vcc
.LBB42_446:                             ;   in Loop: Header=BB42_417 Depth=1
	s_andn2_saveexec_b64 s[14:15], s[84:85]
	s_cbranch_execz .LBB42_448
; %bb.447:                              ;   in Loop: Header=BB42_417 Depth=1
	v_add_f64 v[7:8], -|v[13:14]|, 1.0
	s_mov_b32 s84, 0
	s_brev_b32 s85, 8
	v_mul_f64 v[7:8], v[7:8], v[41:42]
	v_cmp_gt_f64_e32 vcc, s[84:85], v[7:8]
	v_cndmask_b32_e32 v49, 0, v59, vcc
	v_ldexp_f64 v[7:8], v[7:8], v49
	v_rsq_f64_e32 v[49:50], v[7:8]
	v_mul_f64 v[51:52], v[7:8], v[49:50]
	v_mul_f64 v[49:50], v[49:50], 0.5
	v_fma_f64 v[53:54], -v[49:50], v[51:52], 0.5
	v_fma_f64 v[51:52], v[51:52], v[53:54], v[51:52]
	v_fma_f64 v[49:50], v[49:50], v[53:54], v[49:50]
	v_fma_f64 v[53:54], -v[51:52], v[51:52], v[7:8]
	v_fma_f64 v[51:52], v[53:54], v[49:50], v[51:52]
	v_fma_f64 v[53:54], -v[51:52], v[51:52], v[7:8]
	v_fma_f64 v[49:50], v[53:54], v[49:50], v[51:52]
	v_cndmask_b32_e32 v51, 0, v60, vcc
	v_cmp_class_f64_e32 vcc, v[7:8], v56
	v_mov_b32_e32 v52, v48
	v_ldexp_f64 v[49:50], v[49:50], v51
	v_mov_b32_e32 v51, v15
	v_cndmask_b32_e32 v8, v50, v8, vcc
	v_cndmask_b32_e32 v7, v49, v7, vcc
	v_div_scale_f64 v[49:50], s[84:85], v[7:8], v[7:8], v[51:52]
	v_div_scale_f64 v[51:52], vcc, v[51:52], v[7:8], v[51:52]
	v_rcp_f64_e32 v[53:54], v[49:50]
	v_fma_f64 v[68:69], -v[49:50], v[53:54], 1.0
	v_fma_f64 v[53:54], v[53:54], v[68:69], v[53:54]
	v_fma_f64 v[68:69], -v[49:50], v[53:54], 1.0
	v_fma_f64 v[53:54], v[53:54], v[68:69], v[53:54]
	v_mul_f64 v[68:69], v[51:52], v[53:54]
	v_fma_f64 v[49:50], -v[49:50], v[68:69], v[51:52]
	v_div_fmas_f64 v[49:50], v[49:50], v[53:54], v[68:69]
	v_div_fixup_f64 v[7:8], v[49:50], v[7:8], |v[15:16]|
.LBB42_448:                             ;   in Loop: Header=BB42_417 Depth=1
	s_or_b64 exec, exec, s[14:15]
.LBB42_449:                             ;   in Loop: Header=BB42_417 Depth=1
	s_or_b64 exec, exec, s[82:83]
.LBB42_450:                             ;   in Loop: Header=BB42_417 Depth=1
	s_andn2_saveexec_b64 s[14:15], s[80:81]
	s_cbranch_execz .LBB42_452
; %bb.451:                              ;   in Loop: Header=BB42_417 Depth=1
	s_mov_b32 s80, 0
	s_brev_b32 s81, 8
	v_cmp_lt_f64_e64 vcc, |v[15:16]|, s[80:81]
	v_cndmask_b32_e32 v7, 0, v59, vcc
	v_ldexp_f64 v[7:8], |v[15:16]|, v7
	v_rsq_f64_e32 v[49:50], v[7:8]
	v_mul_f64 v[51:52], v[7:8], v[49:50]
	v_mul_f64 v[49:50], v[49:50], 0.5
	v_fma_f64 v[53:54], -v[49:50], v[51:52], 0.5
	v_fma_f64 v[51:52], v[51:52], v[53:54], v[51:52]
	v_fma_f64 v[49:50], v[49:50], v[53:54], v[49:50]
	v_fma_f64 v[53:54], -v[51:52], v[51:52], v[7:8]
	v_fma_f64 v[51:52], v[53:54], v[49:50], v[51:52]
	v_fma_f64 v[53:54], -v[51:52], v[51:52], v[7:8]
	v_fma_f64 v[49:50], v[53:54], v[49:50], v[51:52]
	v_cndmask_b32_e32 v51, 0, v60, vcc
	v_cmp_class_f64_e32 vcc, v[7:8], v56
	v_ldexp_f64 v[49:50], v[49:50], v51
	v_cndmask_b32_e32 v8, v50, v8, vcc
	v_cndmask_b32_e32 v7, v49, v7, vcc
.LBB42_452:                             ;   in Loop: Header=BB42_417 Depth=1
	s_or_b64 exec, exec, s[14:15]
.LBB42_453:                             ;   in Loop: Header=BB42_417 Depth=1
	s_or_b64 exec, exec, s[16:17]
	s_mov_b32 s14, 0
	s_mov_b32 s15, 0x20200000
	v_cmp_nlt_f64_e64 s[14:15], |v[13:14]|, s[14:15]
                                        ; implicit-def: $sgpr80_sgpr81
                                        ; implicit-def: $vgpr49_vgpr50
                                        ; implicit-def: $vgpr53_vgpr54
                                        ; implicit-def: $vgpr51_vgpr52
	s_and_saveexec_b64 s[16:17], s[14:15]
	s_xor_b64 s[14:15], exec, s[16:17]
	s_cbranch_execz .LBB42_477
; %bb.454:                              ;   in Loop: Header=BB42_417 Depth=1
	v_and_b32_e32 v52, 0x7fffffff, v14
	v_mov_b32_e32 v51, v13
	v_div_scale_f64 v[49:50], s[16:17], v[5:6], v[5:6], v[51:52]
	v_div_scale_f64 v[70:71], vcc, v[51:52], v[5:6], v[51:52]
	s_mov_b32 s16, 0x703afb7f
	s_mov_b32 s17, 0x3fe488ce
	s_mov_b64 s[80:81], 0
	v_rcp_f64_e32 v[53:54], v[49:50]
	v_fma_f64 v[68:69], -v[49:50], v[53:54], 1.0
	v_fma_f64 v[53:54], v[53:54], v[68:69], v[53:54]
	v_fma_f64 v[68:69], -v[49:50], v[53:54], 1.0
	v_fma_f64 v[53:54], v[53:54], v[68:69], v[53:54]
	v_mul_f64 v[68:69], v[70:71], v[53:54]
	v_fma_f64 v[49:50], -v[49:50], v[68:69], v[70:71]
	v_div_fmas_f64 v[49:50], v[49:50], v[53:54], v[68:69]
                                        ; implicit-def: $vgpr53_vgpr54
	v_div_fixup_f64 v[49:50], v[49:50], v[5:6], |v[13:14]|
	v_cmp_lt_f64_e32 vcc, s[16:17], v[49:50]
	s_and_saveexec_b64 s[16:17], vcc
	s_cbranch_execz .LBB42_476
; %bb.455:                              ;   in Loop: Header=BB42_417 Depth=1
	s_mov_b32 s82, 0
	s_mov_b32 s83, 0x3c400000
	v_cmp_neq_f64_e64 s[80:81], |v[13:14]|, 1.0
	v_cmp_nlt_f64_e64 s[82:83], |v[15:16]|, s[82:83]
                                        ; implicit-def: $vgpr53_vgpr54
	s_or_b64 s[80:81], s[82:83], s[80:81]
	s_and_saveexec_b64 s[82:83], s[80:81]
	s_xor_b64 s[80:81], exec, s[82:83]
	s_cbranch_execz .LBB42_473
; %bb.456:                              ;   in Loop: Header=BB42_417 Depth=1
	s_movk_i32 s31, 0xffcc
	v_ldexp_f64 v[53:54], |v[39:40]|, s31
	v_cmp_ge_f64_e64 s[82:83], |v[15:16]|, v[53:54]
                                        ; implicit-def: $vgpr53_vgpr54
	s_and_saveexec_b64 s[84:85], s[82:83]
	s_xor_b64 s[82:83], exec, s[84:85]
	s_cbranch_execz .LBB42_466
; %bb.457:                              ;   in Loop: Header=BB42_417 Depth=1
	v_cmp_neq_f64_e32 vcc, 0, v[41:42]
	v_mov_b32_e32 v54, v48
	v_mov_b32_e32 v53, v47
	s_and_saveexec_b64 s[84:85], vcc
	s_cbranch_execz .LBB42_459
; %bb.458:                              ;   in Loop: Header=BB42_417 Depth=1
	v_mul_f64 v[53:54], v[15:16], v[15:16]
	v_add_f64 v[41:42], v[41:42], v[45:46]
	v_div_scale_f64 v[45:46], s[86:87], v[41:42], v[41:42], v[53:54]
	v_div_scale_f64 v[72:73], vcc, v[53:54], v[41:42], v[53:54]
	v_rcp_f64_e32 v[68:69], v[45:46]
	v_fma_f64 v[70:71], -v[45:46], v[68:69], 1.0
	v_fma_f64 v[68:69], v[68:69], v[70:71], v[68:69]
	v_fma_f64 v[70:71], -v[45:46], v[68:69], 1.0
	v_fma_f64 v[68:69], v[68:69], v[70:71], v[68:69]
	v_mul_f64 v[70:71], v[72:73], v[68:69]
	v_fma_f64 v[45:46], -v[45:46], v[70:71], v[72:73]
	v_div_fmas_f64 v[45:46], v[45:46], v[68:69], v[70:71]
	v_div_fixup_f64 v[53:54], v[45:46], v[41:42], v[53:54]
.LBB42_459:                             ;   in Loop: Header=BB42_417 Depth=1
	s_or_b64 exec, exec, s[84:85]
	v_cmp_ngt_f64_e32 vcc, 0, v[39:40]
	s_and_saveexec_b64 s[84:85], vcc
	s_xor_b64 s[84:85], exec, s[84:85]
	s_cbranch_execz .LBB42_463
; %bb.460:                              ;   in Loop: Header=BB42_417 Depth=1
	v_cmp_neq_f64_e32 vcc, 0, v[39:40]
	s_and_saveexec_b64 s[86:87], vcc
	s_cbranch_execz .LBB42_462
; %bb.461:                              ;   in Loop: Header=BB42_417 Depth=1
	v_mul_f64 v[15:16], v[15:16], v[15:16]
	v_add_f64 v[39:40], v[39:40], v[43:44]
	v_div_scale_f64 v[41:42], vcc, v[39:40], v[39:40], v[15:16]
	v_div_scale_f64 v[47:48], vcc, v[15:16], v[39:40], v[15:16]
	v_rcp_f64_e32 v[43:44], v[41:42]
	v_fma_f64 v[45:46], -v[41:42], v[43:44], 1.0
	v_fma_f64 v[43:44], v[43:44], v[45:46], v[43:44]
	v_fma_f64 v[45:46], -v[41:42], v[43:44], 1.0
	v_fma_f64 v[43:44], v[43:44], v[45:46], v[43:44]
	v_mul_f64 v[45:46], v[47:48], v[43:44]
	v_fma_f64 v[41:42], -v[41:42], v[45:46], v[47:48]
	v_div_fmas_f64 v[41:42], v[41:42], v[43:44], v[45:46]
	v_div_fixup_f64 v[47:48], v[41:42], v[39:40], v[15:16]
.LBB42_462:                             ;   in Loop: Header=BB42_417 Depth=1
	s_or_b64 exec, exec, s[86:87]
                                        ; implicit-def: $vgpr43_vgpr44
                                        ; implicit-def: $vgpr39_vgpr40
.LBB42_463:                             ;   in Loop: Header=BB42_417 Depth=1
	s_andn2_saveexec_b64 s[84:85], s[84:85]
; %bb.464:                              ;   in Loop: Header=BB42_417 Depth=1
	v_add_f64 v[47:48], v[43:44], -v[39:40]
; %bb.465:                              ;   in Loop: Header=BB42_417 Depth=1
	s_or_b64 exec, exec, s[84:85]
	v_mul_f64 v[15:16], v[47:48], 0.5
	v_add_f64 v[5:6], |v[13:14]|, v[5:6]
	s_mov_b32 s84, 0
	s_brev_b32 s85, 8
	v_fma_f64 v[15:16], v[53:54], 0.5, v[15:16]
	v_mul_f64 v[5:6], v[5:6], v[15:16]
	v_cmp_gt_f64_e32 vcc, s[84:85], v[5:6]
	v_cndmask_b32_e32 v15, 0, v59, vcc
	v_ldexp_f64 v[5:6], v[5:6], v15
	v_rsq_f64_e32 v[15:16], v[5:6]
	v_mul_f64 v[39:40], v[5:6], v[15:16]
	v_mul_f64 v[15:16], v[15:16], 0.5
	v_fma_f64 v[41:42], -v[15:16], v[39:40], 0.5
	v_fma_f64 v[39:40], v[39:40], v[41:42], v[39:40]
	v_fma_f64 v[15:16], v[15:16], v[41:42], v[15:16]
	v_fma_f64 v[41:42], -v[39:40], v[39:40], v[5:6]
	v_fma_f64 v[39:40], v[41:42], v[15:16], v[39:40]
	v_fma_f64 v[41:42], -v[39:40], v[39:40], v[5:6]
	v_fma_f64 v[15:16], v[41:42], v[15:16], v[39:40]
	v_cndmask_b32_e32 v39, 0, v60, vcc
	v_cmp_class_f64_e32 vcc, v[5:6], v56
                                        ; implicit-def: $vgpr41_vgpr42
	v_ldexp_f64 v[15:16], v[15:16], v39
                                        ; implicit-def: $vgpr39_vgpr40
	v_cndmask_b32_e32 v54, v16, v6, vcc
	v_cndmask_b32_e32 v53, v15, v5, vcc
.LBB42_466:                             ;   in Loop: Header=BB42_417 Depth=1
	s_andn2_saveexec_b64 s[82:83], s[82:83]
	s_cbranch_execz .LBB42_472
; %bb.467:                              ;   in Loop: Header=BB42_417 Depth=1
	v_cmp_ngt_f64_e64 s[84:85], |v[13:14]|, 1.0
                                        ; implicit-def: $vgpr53_vgpr54
	s_and_saveexec_b64 s[86:87], s[84:85]
	s_xor_b64 s[84:85], exec, s[86:87]
	s_cbranch_execz .LBB42_469
; %bb.468:                              ;   in Loop: Header=BB42_417 Depth=1
	v_add_f64 v[5:6], -|v[13:14]|, 1.0
	s_mov_b32 s86, 0
	s_brev_b32 s87, 8
	v_mul_f64 v[5:6], v[5:6], v[41:42]
	v_cmp_gt_f64_e32 vcc, s[86:87], v[5:6]
	v_cndmask_b32_e32 v15, 0, v59, vcc
	v_ldexp_f64 v[5:6], v[5:6], v15
	v_rsq_f64_e32 v[15:16], v[5:6]
	v_mul_f64 v[39:40], v[5:6], v[15:16]
	v_mul_f64 v[15:16], v[15:16], 0.5
	v_fma_f64 v[41:42], -v[15:16], v[39:40], 0.5
	v_fma_f64 v[39:40], v[39:40], v[41:42], v[39:40]
	v_fma_f64 v[15:16], v[15:16], v[41:42], v[15:16]
	v_fma_f64 v[41:42], -v[39:40], v[39:40], v[5:6]
	v_fma_f64 v[39:40], v[41:42], v[15:16], v[39:40]
	v_fma_f64 v[41:42], -v[39:40], v[39:40], v[5:6]
	v_fma_f64 v[15:16], v[41:42], v[15:16], v[39:40]
	v_cndmask_b32_e32 v39, 0, v60, vcc
	v_cmp_class_f64_e32 vcc, v[5:6], v56
                                        ; implicit-def: $vgpr41_vgpr42
	v_ldexp_f64 v[15:16], v[15:16], v39
                                        ; implicit-def: $vgpr39_vgpr40
	v_cndmask_b32_e32 v54, v16, v6, vcc
	v_cndmask_b32_e32 v53, v15, v5, vcc
.LBB42_469:                             ;   in Loop: Header=BB42_417 Depth=1
	s_andn2_saveexec_b64 s[84:85], s[84:85]
	s_cbranch_execz .LBB42_471
; %bb.470:                              ;   in Loop: Header=BB42_417 Depth=1
	v_mul_f64 v[5:6], v[41:42], v[39:40]
	s_mov_b32 s86, 0
	s_brev_b32 s87, 8
	s_movk_i32 s31, 0x6a
	v_ldexp_f64 v[15:16], |v[15:16]|, s31
	v_ldexp_f64 v[51:52], |v[13:14]|, s31
	v_cmp_gt_f64_e32 vcc, s[86:87], v[5:6]
	v_mul_f64 v[15:16], |v[13:14]|, v[15:16]
	v_cndmask_b32_e32 v39, 0, v59, vcc
	v_ldexp_f64 v[5:6], v[5:6], v39
	v_rsq_f64_e32 v[39:40], v[5:6]
	v_mul_f64 v[41:42], v[5:6], v[39:40]
	v_mul_f64 v[39:40], v[39:40], 0.5
	v_fma_f64 v[43:44], -v[39:40], v[41:42], 0.5
	v_fma_f64 v[41:42], v[41:42], v[43:44], v[41:42]
	v_fma_f64 v[39:40], v[39:40], v[43:44], v[39:40]
	v_fma_f64 v[43:44], -v[41:42], v[41:42], v[5:6]
	v_fma_f64 v[41:42], v[43:44], v[39:40], v[41:42]
	v_fma_f64 v[43:44], -v[41:42], v[41:42], v[5:6]
	v_fma_f64 v[39:40], v[43:44], v[39:40], v[41:42]
	v_cndmask_b32_e32 v41, 0, v60, vcc
	v_cmp_class_f64_e32 vcc, v[5:6], v56
	v_ldexp_f64 v[39:40], v[39:40], v41
	v_cndmask_b32_e32 v6, v40, v6, vcc
	v_cndmask_b32_e32 v5, v39, v5, vcc
	v_div_scale_f64 v[39:40], s[86:87], v[5:6], v[5:6], v[15:16]
	v_rcp_f64_e32 v[41:42], v[39:40]
	v_fma_f64 v[43:44], -v[39:40], v[41:42], 1.0
	v_fma_f64 v[41:42], v[41:42], v[43:44], v[41:42]
	v_div_scale_f64 v[43:44], vcc, v[15:16], v[5:6], v[15:16]
	v_fma_f64 v[45:46], -v[39:40], v[41:42], 1.0
	v_fma_f64 v[41:42], v[41:42], v[45:46], v[41:42]
	v_mul_f64 v[45:46], v[43:44], v[41:42]
	v_fma_f64 v[39:40], -v[39:40], v[45:46], v[43:44]
	v_div_fmas_f64 v[39:40], v[39:40], v[41:42], v[45:46]
	v_div_fixup_f64 v[53:54], v[39:40], v[5:6], v[15:16]
.LBB42_471:                             ;   in Loop: Header=BB42_417 Depth=1
	s_or_b64 exec, exec, s[84:85]
.LBB42_472:                             ;   in Loop: Header=BB42_417 Depth=1
	s_or_b64 exec, exec, s[82:83]
	s_mov_b32 s86, 0x1409212f
                                        ; implicit-def: $vgpr5_vgpr6
	s_mov_b32 s87, 0x3e43988e
.LBB42_473:                             ;   in Loop: Header=BB42_417 Depth=1
	s_andn2_saveexec_b64 s[80:81], s[80:81]
	s_cbranch_execz .LBB42_475
; %bb.474:                              ;   in Loop: Header=BB42_417 Depth=1
	s_mov_b32 s82, 0
	s_brev_b32 s83, 8
	v_cmp_lt_f64_e64 vcc, |v[15:16]|, s[82:83]
	v_add_f64 v[5:6], v[5:6], 1.0
	v_mov_b32_e32 v51, 0
	v_mov_b32_e32 v52, 0x3ff00000
	v_cndmask_b32_e32 v39, 0, v59, vcc
	v_ldexp_f64 v[15:16], |v[15:16]|, v39
	v_mul_f64 v[5:6], v[5:6], 0.5
	v_rsq_f64_e32 v[39:40], v[15:16]
	v_mul_f64 v[41:42], v[15:16], v[39:40]
	v_mul_f64 v[39:40], v[39:40], 0.5
	v_fma_f64 v[43:44], -v[39:40], v[41:42], 0.5
	v_fma_f64 v[41:42], v[41:42], v[43:44], v[41:42]
	v_fma_f64 v[39:40], v[39:40], v[43:44], v[39:40]
	v_fma_f64 v[45:46], -v[41:42], v[41:42], v[15:16]
	v_fma_f64 v[41:42], v[45:46], v[39:40], v[41:42]
	v_fma_f64 v[43:44], -v[41:42], v[41:42], v[15:16]
	v_fma_f64 v[39:40], v[43:44], v[39:40], v[41:42]
	v_cndmask_b32_e32 v41, 0, v60, vcc
	v_cmp_class_f64_e32 vcc, v[15:16], v56
	v_ldexp_f64 v[39:40], v[39:40], v41
	v_cndmask_b32_e32 v16, v40, v16, vcc
	v_cndmask_b32_e32 v15, v39, v15, vcc
	v_cmp_gt_f64_e32 vcc, s[82:83], v[5:6]
	v_cndmask_b32_e32 v39, 0, v59, vcc
	v_ldexp_f64 v[5:6], v[5:6], v39
	v_rsq_f64_e32 v[39:40], v[5:6]
	v_mul_f64 v[41:42], v[5:6], v[39:40]
	v_mul_f64 v[39:40], v[39:40], 0.5
	v_fma_f64 v[43:44], -v[39:40], v[41:42], 0.5
	v_fma_f64 v[41:42], v[41:42], v[43:44], v[41:42]
	v_fma_f64 v[39:40], v[39:40], v[43:44], v[39:40]
	v_fma_f64 v[45:46], -v[41:42], v[41:42], v[5:6]
	v_fma_f64 v[41:42], v[45:46], v[39:40], v[41:42]
	v_fma_f64 v[43:44], -v[41:42], v[41:42], v[5:6]
	v_fma_f64 v[39:40], v[43:44], v[39:40], v[41:42]
	v_cndmask_b32_e32 v41, 0, v60, vcc
	v_cmp_class_f64_e32 vcc, v[5:6], v56
	v_ldexp_f64 v[39:40], v[39:40], v41
	v_cndmask_b32_e32 v6, v40, v6, vcc
	v_cndmask_b32_e32 v5, v39, v5, vcc
	v_mul_f64 v[53:54], v[15:16], v[5:6]
.LBB42_475:                             ;   in Loop: Header=BB42_417 Depth=1
	s_or_b64 exec, exec, s[80:81]
	s_mov_b64 s[80:81], exec
.LBB42_476:                             ;   in Loop: Header=BB42_417 Depth=1
	s_or_b64 exec, exec, s[16:17]
                                        ; implicit-def: $vgpr5_vgpr6
.LBB42_477:                             ;   in Loop: Header=BB42_417 Depth=1
	s_andn2_saveexec_b64 s[14:15], s[14:15]
	s_cbranch_execz .LBB42_479
; %bb.478:                              ;   in Loop: Header=BB42_417 Depth=1
	v_ldexp_f64 v[53:54], v[5:6], 53
	v_ldexp_f64 v[51:52], |v[13:14]|, 53
	s_or_b64 s[80:81], s[80:81], exec
                                        ; implicit-def: $vgpr49_vgpr50
.LBB42_479:                             ;   in Loop: Header=BB42_417 Depth=1
	s_or_b64 exec, exec, s[14:15]
	v_cmp_lt_i64_e32 vcc, -1, v[13:14]
	s_xor_b64 s[14:15], s[80:81], -1
	s_and_saveexec_b64 s[16:17], s[14:15]
	s_xor_b64 s[16:17], exec, s[16:17]
	s_cbranch_execz .LBB42_489
; %bb.480:                              ;   in Loop: Header=BB42_417 Depth=1
	s_and_saveexec_b64 s[14:15], vcc
	s_xor_b64 s[80:81], exec, s[14:15]
	s_cbranch_execz .LBB42_484
; %bb.481:                              ;   in Loop: Header=BB42_417 Depth=1
	v_fma_f64 v[15:16], |v[49:50]|, -0.5, 0.5
	v_mul_f64 v[5:6], v[49:50], v[49:50]
	v_cmp_ge_f64_e64 s[14:15], |v[49:50]|, 0.5
	s_mov_b32 s82, 0x9fea6a70
	s_mov_b32 s83, 0x3fa05985
	v_cndmask_b32_e64 v6, v6, v16, s[14:15]
	v_cndmask_b32_e64 v5, v5, v15, s[14:15]
	v_fma_f64 v[13:14], v[5:6], s[82:83], v[25:26]
	s_mov_b32 s82, 0x37024d6a
	s_mov_b32 s83, 0x3f940521
	v_fma_f64 v[13:14], v[5:6], v[13:14], s[82:83]
	s_mov_b32 s82, 0x98a70509
	s_mov_b32 s83, 0x3f7ab3a0
	;; [unrolled: 3-line block ×11, first 2 shown]
	v_mul_f64 v[13:14], v[5:6], v[13:14]
	v_fma_f64 v[5:6], v[49:50], v[13:14], v[49:50]
	v_fma_f64 v[5:6], s[82:83], v[27:28], -v[5:6]
	s_and_saveexec_b64 s[82:83], s[14:15]
	s_cbranch_execz .LBB42_483
; %bb.482:                              ;   in Loop: Header=BB42_417 Depth=1
	v_rsq_f64_e32 v[5:6], v[15:16]
	v_cmp_eq_f64_e64 s[14:15], 0, v[15:16]
	v_mul_f64 v[39:40], v[15:16], v[5:6]
	v_mul_f64 v[5:6], v[5:6], 0.5
	v_fma_f64 v[41:42], -v[5:6], v[39:40], 0.5
	v_fma_f64 v[39:40], v[39:40], v[41:42], v[39:40]
	v_fma_f64 v[5:6], v[5:6], v[41:42], v[5:6]
	v_fma_f64 v[41:42], -v[39:40], v[39:40], v[15:16]
	v_fma_f64 v[5:6], v[41:42], v[5:6], v[39:40]
	v_cndmask_b32_e64 v6, v6, v16, s[14:15]
	v_cndmask_b32_e64 v5, v5, v15, s[14:15]
	v_mul_f64 v[39:40], v[5:6], v[5:6]
	v_add_f64 v[43:44], v[15:16], -v[39:40]
	v_fma_f64 v[41:42], v[5:6], v[5:6], -v[39:40]
	v_add_f64 v[15:16], v[15:16], -v[43:44]
	v_add_f64 v[15:16], v[15:16], -v[39:40]
	v_add_f64 v[39:40], v[5:6], v[5:6]
	v_add_f64 v[15:16], v[15:16], -v[41:42]
	v_rcp_f64_e32 v[41:42], v[39:40]
	v_add_f64 v[15:16], v[43:44], v[15:16]
	v_fma_f64 v[43:44], -v[39:40], v[41:42], 1.0
	v_fma_f64 v[41:42], v[43:44], v[41:42], v[41:42]
	v_fma_f64 v[43:44], -v[39:40], v[41:42], 1.0
	v_fma_f64 v[41:42], v[43:44], v[41:42], v[41:42]
	v_mul_f64 v[43:44], v[15:16], v[41:42]
	v_fma_f64 v[15:16], -v[39:40], v[43:44], v[15:16]
	v_fma_f64 v[15:16], v[15:16], v[41:42], v[43:44]
	v_cndmask_b32_e64 v16, v16, 0, s[14:15]
	v_cndmask_b32_e64 v15, v15, 0, s[14:15]
	v_add_f64 v[39:40], v[5:6], v[15:16]
	v_cmp_neq_f64_e64 s[14:15], 1.0, v[49:50]
	v_add_f64 v[5:6], v[39:40], -v[5:6]
	v_add_f64 v[5:6], v[15:16], -v[5:6]
	v_fma_f64 v[5:6], v[39:40], v[13:14], v[5:6]
	v_add_f64 v[5:6], v[39:40], v[5:6]
	v_add_f64 v[5:6], v[5:6], v[5:6]
	v_cndmask_b32_e64 v6, 0, v6, s[14:15]
	v_cndmask_b32_e64 v5, 0, v5, s[14:15]
.LBB42_483:                             ;   in Loop: Header=BB42_417 Depth=1
	s_or_b64 exec, exec, s[82:83]
                                        ; implicit-def: $vgpr49_vgpr50
.LBB42_484:                             ;   in Loop: Header=BB42_417 Depth=1
	s_andn2_saveexec_b64 s[80:81], s[80:81]
	s_cbranch_execz .LBB42_488
; %bb.485:                              ;   in Loop: Header=BB42_417 Depth=1
	v_fma_f64 v[15:16], |v[49:50]|, -0.5, 0.5
	v_mul_f64 v[5:6], v[49:50], v[49:50]
	v_cmp_ge_f64_e64 s[14:15], |v[49:50]|, 0.5
	s_mov_b32 s82, 0x9fea6a70
	s_mov_b32 s83, 0x3fa05985
	v_cndmask_b32_e64 v6, v6, v16, s[14:15]
	v_cndmask_b32_e64 v5, v5, v15, s[14:15]
	v_fma_f64 v[13:14], v[5:6], s[82:83], v[25:26]
	s_mov_b32 s82, 0x37024d6a
	s_mov_b32 s83, 0x3f940521
	v_fma_f64 v[13:14], v[5:6], v[13:14], s[82:83]
	s_mov_b32 s82, 0x98a70509
	s_mov_b32 s83, 0x3f7ab3a0
	;; [unrolled: 3-line block ×11, first 2 shown]
	v_mul_f64 v[13:14], v[5:6], v[13:14]
	v_fma_f64 v[5:6], -v[49:50], v[13:14], -v[49:50]
	v_fma_f64 v[5:6], s[82:83], v[27:28], -v[5:6]
	s_and_saveexec_b64 s[82:83], s[14:15]
	s_cbranch_execz .LBB42_487
; %bb.486:                              ;   in Loop: Header=BB42_417 Depth=1
	v_rsq_f64_e32 v[5:6], v[15:16]
	v_cmp_eq_f64_e64 s[14:15], 0, v[15:16]
	v_readlane_b32 s84, v83, 0
	v_readlane_b32 s85, v83, 1
	s_mov_b32 s31, s85
	v_writelane_b32 v83, s30, 0
	v_writelane_b32 v83, s31, 1
	v_mul_f64 v[39:40], v[15:16], v[5:6]
	v_mul_f64 v[5:6], v[5:6], 0.5
	v_fma_f64 v[41:42], -v[5:6], v[39:40], 0.5
	v_fma_f64 v[39:40], v[39:40], v[41:42], v[39:40]
	v_fma_f64 v[5:6], v[5:6], v[41:42], v[5:6]
	v_fma_f64 v[41:42], -v[39:40], v[39:40], v[15:16]
	v_fma_f64 v[5:6], v[41:42], v[5:6], v[39:40]
	v_cndmask_b32_e64 v6, v6, v16, s[14:15]
	v_cndmask_b32_e64 v5, v5, v15, s[14:15]
	v_mul_f64 v[39:40], v[5:6], v[5:6]
	v_add_f64 v[43:44], v[15:16], -v[39:40]
	v_fma_f64 v[41:42], v[5:6], v[5:6], -v[39:40]
	v_add_f64 v[15:16], v[15:16], -v[43:44]
	v_add_f64 v[15:16], v[15:16], -v[39:40]
	v_add_f64 v[39:40], v[5:6], v[5:6]
	v_add_f64 v[15:16], v[15:16], -v[41:42]
	v_rcp_f64_e32 v[41:42], v[39:40]
	v_add_f64 v[15:16], v[43:44], v[15:16]
	v_fma_f64 v[43:44], -v[39:40], v[41:42], 1.0
	v_fma_f64 v[41:42], v[43:44], v[41:42], v[41:42]
	v_fma_f64 v[43:44], -v[39:40], v[41:42], 1.0
	v_fma_f64 v[41:42], v[43:44], v[41:42], v[41:42]
	v_mul_f64 v[43:44], v[15:16], v[41:42]
	v_fma_f64 v[15:16], -v[39:40], v[43:44], v[15:16]
	v_fma_f64 v[15:16], v[15:16], v[41:42], v[43:44]
	v_cndmask_b32_e64 v16, v16, 0, s[14:15]
	v_cndmask_b32_e64 v15, v15, 0, s[14:15]
	v_add_f64 v[39:40], v[5:6], v[15:16]
	s_mov_b32 s14, 0x336a0500
	s_mov_b32 s15, 0x3fedd9ad
	;; [unrolled: 1-line block ×3, first 2 shown]
	v_add_f64 v[5:6], v[39:40], -v[5:6]
	v_add_f64 v[5:6], v[15:16], -v[5:6]
	v_fma_f64 v[15:16], v[39:40], v[13:14], v[39:40]
	v_fma_f64 v[5:6], v[39:40], v[13:14], v[5:6]
	v_mul_f64 v[15:16], v[15:16], -2.0
	v_add_f64 v[5:6], v[39:40], v[5:6]
	v_fma_f64 v[15:16], s[14:15], v[27:28], v[15:16]
	v_cmp_lt_f64_e64 s[14:15], 0, v[49:50]
	v_add_f64 v[5:6], v[5:6], v[5:6]
	v_cndmask_b32_e64 v5, v5, v15, s[14:15]
	v_cndmask_b32_e64 v6, v6, v16, s[14:15]
	v_cmp_neq_f64_e64 s[14:15], 1.0, v[49:50]
	v_cndmask_b32_e64 v6, v63, v6, s[14:15]
	v_cndmask_b32_e64 v5, v64, v5, s[14:15]
.LBB42_487:                             ;   in Loop: Header=BB42_417 Depth=1
	s_or_b64 exec, exec, s[82:83]
.LBB42_488:                             ;   in Loop: Header=BB42_417 Depth=1
	s_or_b64 exec, exec, s[80:81]
                                        ; implicit-def: $vgpr51_vgpr52
                                        ; implicit-def: $vgpr53_vgpr54
.LBB42_489:                             ;   in Loop: Header=BB42_417 Depth=1
	s_andn2_saveexec_b64 s[80:81], s[16:17]
	s_cbranch_execz .LBB42_495
; %bb.490:                              ;   in Loop: Header=BB42_417 Depth=1
	s_and_saveexec_b64 s[14:15], vcc
	s_xor_b64 s[82:83], exec, s[14:15]
	s_cbranch_execz .LBB42_492
; %bb.491:                              ;   in Loop: Header=BB42_417 Depth=1
	v_max_f64 v[5:6], |v[53:54]|, |v[53:54]|
	v_max_f64 v[13:14], v[51:52], v[51:52]
	s_mov_b32 s60, s28
	v_cmp_class_f64_e64 s[84:85], v[53:54], s95
	v_cmp_eq_f64_e64 s[16:17], s[70:71], v[51:52]
	v_max_f64 v[15:16], v[13:14], v[5:6]
	v_min_f64 v[5:6], v[13:14], v[5:6]
	v_div_scale_f64 v[13:14], s[14:15], v[15:16], v[15:16], v[5:6]
	s_mov_b32 s14, 0xb5e68a13
	s_mov_b32 s15, 0x3eeba404
	v_rcp_f64_e32 v[39:40], v[13:14]
	v_fma_f64 v[41:42], -v[13:14], v[39:40], 1.0
	v_fma_f64 v[39:40], v[39:40], v[41:42], v[39:40]
	v_div_scale_f64 v[41:42], vcc, v[5:6], v[15:16], v[5:6]
	v_fma_f64 v[43:44], -v[13:14], v[39:40], 1.0
	v_fma_f64 v[39:40], v[39:40], v[43:44], v[39:40]
	v_mul_f64 v[43:44], v[41:42], v[39:40]
	v_fma_f64 v[13:14], -v[13:14], v[43:44], v[41:42]
	v_div_fmas_f64 v[13:14], v[13:14], v[39:40], v[43:44]
	v_cmp_lt_f64_e64 vcc, v[51:52], |v[53:54]|
	v_div_fixup_f64 v[5:6], v[13:14], v[15:16], v[5:6]
	v_mul_f64 v[13:14], v[5:6], v[5:6]
	v_fma_f64 v[15:16], v[13:14], s[14:15], v[29:30]
	s_mov_b32 s14, 0x69efb384
	s_mov_b32 s15, 0x3f4b2bb0
	v_fma_f64 v[15:16], v[13:14], v[15:16], s[14:15]
	s_mov_b32 s14, 0xaf56de9b
	s_mov_b32 s15, 0xbf67952d
	;; [unrolled: 3-line block ×10, first 2 shown]
	v_fma_f64 v[15:16], v[13:14], v[15:16], s[14:15]
	v_cmp_eq_f64_e64 s[14:15], 0, v[53:54]
	v_fma_f64 v[15:16], v[13:14], v[15:16], s[96:97]
	v_fma_f64 v[15:16], v[13:14], v[15:16], s[98:99]
	;; [unrolled: 1-line block ×8, first 2 shown]
	v_mul_f64 v[13:14], v[13:14], v[15:16]
	v_ashrrev_i32_e32 v16, 31, v52
	v_and_b32_e32 v39, 0x54442d18, v16
	v_and_b32_e32 v16, 0x400921fb, v16
	v_fma_f64 v[5:6], v[5:6], v[13:14], v[5:6]
	v_add_f64 v[13:14], -v[5:6], s[28:29]
	v_cndmask_b32_e32 v6, v6, v14, vcc
	v_cndmask_b32_e32 v5, v5, v13, vcc
	v_add_f64 v[13:14], -v[5:6], s[60:61]
	v_cmp_gt_i32_e32 vcc, 0, v52
	v_cndmask_b32_e32 v15, v64, v65, vcc
                                        ; implicit-def: $vgpr51_vgpr52
	v_cndmask_b32_e32 v5, v5, v13, vcc
	v_cndmask_b32_e32 v6, v6, v14, vcc
	;; [unrolled: 1-line block ×3, first 2 shown]
	v_cndmask_b32_e64 v5, v5, v39, s[14:15]
	v_cndmask_b32_e64 v6, v6, v16, s[14:15]
	s_and_b64 vcc, s[16:17], s[84:85]
	v_cndmask_b32_e32 v6, v6, v13, vcc
	v_cndmask_b32_e32 v5, v5, v15, vcc
	v_cmp_o_f64_e32 vcc, v[53:54], v[53:54]
	v_cndmask_b32_e32 v6, v62, v6, vcc
	v_cndmask_b32_e32 v5, 0, v5, vcc
	v_bfi_b32 v6, s94, v6, v54
                                        ; implicit-def: $vgpr53_vgpr54
.LBB42_492:                             ;   in Loop: Header=BB42_417 Depth=1
	s_andn2_saveexec_b64 s[82:83], s[82:83]
	s_cbranch_execz .LBB42_494
; %bb.493:                              ;   in Loop: Header=BB42_417 Depth=1
	v_max_f64 v[5:6], |v[53:54]|, |v[53:54]|
	v_max_f64 v[13:14], v[51:52], v[51:52]
	s_mov_b32 s60, s28
	v_cmp_class_f64_e64 s[84:85], v[53:54], s95
	v_cmp_eq_f64_e64 s[16:17], s[70:71], v[51:52]
	v_max_f64 v[15:16], v[13:14], v[5:6]
	v_min_f64 v[5:6], v[13:14], v[5:6]
	v_div_scale_f64 v[13:14], s[14:15], v[15:16], v[15:16], v[5:6]
	s_mov_b32 s14, 0xb5e68a13
	s_mov_b32 s15, 0x3eeba404
	v_rcp_f64_e32 v[39:40], v[13:14]
	v_fma_f64 v[41:42], -v[13:14], v[39:40], 1.0
	v_fma_f64 v[39:40], v[39:40], v[41:42], v[39:40]
	v_div_scale_f64 v[41:42], vcc, v[5:6], v[15:16], v[5:6]
	v_fma_f64 v[43:44], -v[13:14], v[39:40], 1.0
	v_fma_f64 v[39:40], v[39:40], v[43:44], v[39:40]
	v_mul_f64 v[43:44], v[41:42], v[39:40]
	v_fma_f64 v[13:14], -v[13:14], v[43:44], v[41:42]
	v_div_fmas_f64 v[13:14], v[13:14], v[39:40], v[43:44]
	v_cmp_lt_f64_e64 vcc, v[51:52], |v[53:54]|
	v_div_fixup_f64 v[5:6], v[13:14], v[15:16], v[5:6]
	v_mul_f64 v[13:14], v[5:6], v[5:6]
	v_fma_f64 v[15:16], v[13:14], s[14:15], v[29:30]
	s_mov_b32 s14, 0x69efb384
	s_mov_b32 s15, 0x3f4b2bb0
	v_fma_f64 v[15:16], v[13:14], v[15:16], s[14:15]
	s_mov_b32 s14, 0xaf56de9b
	s_mov_b32 s15, 0xbf67952d
	v_fma_f64 v[15:16], v[13:14], v[15:16], s[14:15]
	s_mov_b32 s14, 0xa595c56f
	s_mov_b32 s15, 0x3f7d6d43
	v_fma_f64 v[15:16], v[13:14], v[15:16], s[14:15]
	s_mov_b32 s14, 0xa57d9582
	s_mov_b32 s15, 0xbf8c6ea4
	v_fma_f64 v[15:16], v[13:14], v[15:16], s[14:15]
	s_mov_b32 s14, 0x5f08b19f
	s_mov_b32 s15, 0x3f967e29
	v_fma_f64 v[15:16], v[13:14], v[15:16], s[14:15]
	s_mov_b32 s14, 0xfc27006a
	s_mov_b32 s15, 0xbf9e9ae6
	v_fma_f64 v[15:16], v[13:14], v[15:16], s[14:15]
	s_mov_b32 s14, 0x5711927a
	s_mov_b32 s15, 0x3fa2c15b
	v_fma_f64 v[15:16], v[13:14], v[15:16], s[14:15]
	s_mov_b32 s14, 0xe82d3ff0
	s_mov_b32 s15, 0xbfa59976
	v_fma_f64 v[15:16], v[13:14], v[15:16], s[14:15]
	s_mov_b32 s14, 0x6ef28734
	s_mov_b32 s15, 0x3fa82d5d
	v_fma_f64 v[15:16], v[13:14], v[15:16], s[14:15]
	s_mov_b32 s14, 0x6a214619
	s_mov_b32 s15, 0xbfaae5ce
	v_fma_f64 v[15:16], v[13:14], v[15:16], s[14:15]
	v_cmp_eq_f64_e64 s[14:15], 0, v[53:54]
	v_fma_f64 v[15:16], v[13:14], v[15:16], s[96:97]
	v_fma_f64 v[15:16], v[13:14], v[15:16], s[98:99]
	;; [unrolled: 1-line block ×8, first 2 shown]
	v_mul_f64 v[13:14], v[13:14], v[15:16]
	v_xor_b32_e32 v15, 0x80000000, v52
	v_fma_f64 v[5:6], v[5:6], v[13:14], v[5:6]
	v_add_f64 v[13:14], -v[5:6], s[28:29]
	v_cndmask_b32_e32 v6, v6, v14, vcc
	v_cndmask_b32_e32 v5, v5, v13, vcc
	v_add_f64 v[13:14], -v[5:6], s[60:61]
	v_cmp_gt_i32_e32 vcc, 0, v15
	v_ashrrev_i32_e32 v15, 31, v15
	v_and_b32_e32 v39, 0x54442d18, v15
	v_and_b32_e32 v15, 0x400921fb, v15
	v_cndmask_b32_e32 v16, v64, v65, vcc
	v_cndmask_b32_e32 v5, v5, v13, vcc
	;; [unrolled: 1-line block ×4, first 2 shown]
	v_cndmask_b32_e64 v5, v5, v39, s[14:15]
	v_cndmask_b32_e64 v6, v6, v15, s[14:15]
	s_and_b64 vcc, s[16:17], s[84:85]
	v_cndmask_b32_e32 v6, v6, v13, vcc
	v_cndmask_b32_e32 v5, v5, v16, vcc
	v_cmp_o_f64_e32 vcc, v[53:54], v[53:54]
	v_cndmask_b32_e32 v6, v62, v6, vcc
	v_cndmask_b32_e32 v5, 0, v5, vcc
	v_bfi_b32 v6, s94, v6, v54
.LBB42_494:                             ;   in Loop: Header=BB42_417 Depth=1
	s_or_b64 exec, exec, s[82:83]
.LBB42_495:                             ;   in Loop: Header=BB42_417 Depth=1
	s_or_b64 exec, exec, s[80:81]
	v_xor_b32_e32 v13, 0x80000000, v8
	v_cndmask_b32_e64 v8, v13, v8, s[12:13]
                                        ; implicit-def: $vgpr13_vgpr14
.LBB42_496:                             ;   in Loop: Header=BB42_417 Depth=1
	s_andn2_saveexec_b64 s[14:15], s[78:79]
	s_cbranch_execz .LBB42_498
; %bb.497:                              ;   in Loop: Header=BB42_417 Depth=1
	s_waitcnt lgkmcnt(0)
	v_mov_b32_e32 v5, s18
	v_mov_b32_e32 v6, s19
	flat_load_dwordx2 v[5:6], v[5:6] glc
	s_waitcnt vmcnt(0) lgkmcnt(0)
	v_add_f64 v[5:6], v[5:6], -v[13:14]
	v_add_f64 v[5:6], v[5:6], s[28:29]
.LBB42_498:                             ;   in Loop: Header=BB42_417 Depth=1
	s_or_b64 exec, exec, s[14:15]
.LBB42_499:                             ;   in Loop: Header=BB42_417 Depth=1
	s_andn2_saveexec_b64 s[14:15], s[76:77]
	s_cbranch_execz .LBB42_501
; %bb.500:                              ;   in Loop: Header=BB42_417 Depth=1
	s_waitcnt lgkmcnt(0)
	v_mov_b32_e32 v5, 0
	v_mov_b32_e32 v6, 0
.LBB42_501:                             ;   in Loop: Header=BB42_417 Depth=1
	s_or_b64 exec, exec, s[14:15]
                                        ; implicit-def: $vgpr13_vgpr14
                                        ; implicit-def: $vgpr41_vgpr42
                                        ; implicit-def: $vgpr43_vgpr44
                                        ; implicit-def: $vgpr39_vgpr40
.LBB42_502:                             ;   in Loop: Header=BB42_417 Depth=1
	s_andn2_saveexec_b64 s[74:75], s[74:75]
	s_cbranch_execz .LBB42_512
; %bb.503:                              ;   in Loop: Header=BB42_417 Depth=1
	v_cmp_lt_f64_e64 s[14:15], |v[13:14]|, |v[15:16]|
	v_and_b32_e32 v47, 0x7fffffff, v14
	v_and_b32_e32 v48, 0x7fffffff, v16
	s_mov_b32 s16, -1
	s_mov_b32 s17, 0x7fdfffff
                                        ; implicit-def: $sgpr76_sgpr77
                                        ; implicit-def: $vgpr45_vgpr46
                                        ; implicit-def: $vgpr7_vgpr8
	v_cndmask_b32_e64 v6, v47, v48, s[14:15]
	s_waitcnt lgkmcnt(0)
	v_cndmask_b32_e64 v5, v13, v15, s[14:15]
	v_cmp_nlt_f64_e32 vcc, s[16:17], v[5:6]
	s_and_saveexec_b64 s[16:17], vcc
	s_xor_b64 s[78:79], exec, s[16:17]
	s_cbranch_execz .LBB42_509
; %bb.504:                              ;   in Loop: Header=BB42_417 Depth=1
	s_mov_b32 s16, 0
	s_mov_b32 s17, 0x20200000
	v_cmp_nlt_f64_e32 vcc, s[16:17], v[5:6]
	s_mov_b32 s16, 0
	v_cndmask_b32_e64 v48, v48, v47, s[14:15]
	v_cndmask_b32_e64 v47, v15, v13, s[14:15]
	s_brev_b32 s17, 4
	v_cmp_ngt_f64_e64 s[16:17], s[16:17], v[47:48]
                                        ; implicit-def: $sgpr76_sgpr77
                                        ; implicit-def: $vgpr45_vgpr46
                                        ; implicit-def: $vgpr7_vgpr8
	s_and_b64 s[16:17], vcc, s[16:17]
	s_and_saveexec_b64 s[80:81], s[16:17]
	s_xor_b64 s[80:81], exec, s[80:81]
	s_cbranch_execz .LBB42_506
; %bb.505:                              ;   in Loop: Header=BB42_417 Depth=1
	v_mul_f64 v[7:8], v[47:48], v[47:48]
	v_min_f64 v[41:42], v[41:42], v[43:44]
	s_mov_b32 s31, s73
	v_fma_f64 v[5:6], v[5:6], v[5:6], v[7:8]
	v_frexp_mant_f64_e32 v[7:8], v[5:6]
	v_cmp_gt_f64_e64 s[16:17], s[72:73], v[7:8]
	v_cndmask_b32_e64 v45, 0, 1, s[16:17]
	v_ldexp_f64 v[7:8], v[7:8], v45
	v_add_f64 v[45:46], v[7:8], 1.0
	v_add_f64 v[51:52], v[7:8], -1.0
	v_rcp_f64_e32 v[47:48], v[45:46]
	v_add_f64 v[53:54], v[45:46], -1.0
	v_add_f64 v[7:8], v[7:8], -v[53:54]
	v_fma_f64 v[49:50], -v[45:46], v[47:48], 1.0
	v_fma_f64 v[47:48], v[49:50], v[47:48], v[47:48]
	v_fma_f64 v[49:50], -v[45:46], v[47:48], 1.0
	v_fma_f64 v[47:48], v[49:50], v[47:48], v[47:48]
	v_mul_f64 v[49:50], v[51:52], v[47:48]
	v_mul_f64 v[68:69], v[45:46], v[49:50]
	v_fma_f64 v[43:44], v[49:50], v[45:46], -v[68:69]
	v_div_scale_f64 v[45:46], s[76:77], v[39:40], v[39:40], v[41:42]
	s_mov_b32 s76, 0xb5e68a13
	s_mov_b32 s77, 0x3eeba404
	v_fma_f64 v[7:8], v[49:50], v[7:8], v[43:44]
	v_add_f64 v[43:44], v[68:69], v[7:8]
	v_rcp_f64_e32 v[53:54], v[45:46]
	v_add_f64 v[70:71], v[51:52], -v[43:44]
	v_add_f64 v[68:69], v[43:44], -v[68:69]
	;; [unrolled: 1-line block ×3, first 2 shown]
	v_fma_f64 v[72:73], -v[45:46], v[53:54], 1.0
	v_add_f64 v[7:8], v[68:69], -v[7:8]
	v_frexp_exp_i32_f64_e32 v68, v[5:6]
	v_add_f64 v[43:44], v[51:52], -v[43:44]
	v_fma_f64 v[51:52], v[53:54], v[72:73], v[53:54]
	v_add_f64 v[7:8], v[7:8], v[43:44]
	v_div_scale_f64 v[43:44], vcc, v[41:42], v[39:40], v[41:42]
	v_fma_f64 v[53:54], -v[45:46], v[51:52], 1.0
	v_add_f64 v[7:8], v[70:71], v[7:8]
	v_fma_f64 v[51:52], v[51:52], v[53:54], v[51:52]
	v_mul_f64 v[7:8], v[47:48], v[7:8]
	v_mul_f64 v[47:48], v[43:44], v[51:52]
	v_add_f64 v[53:54], v[49:50], v[7:8]
	v_fma_f64 v[43:44], -v[45:46], v[47:48], v[43:44]
	v_mul_f64 v[45:46], v[53:54], v[53:54]
	v_add_f64 v[49:50], v[53:54], -v[49:50]
	v_div_fmas_f64 v[43:44], v[43:44], v[51:52], v[47:48]
	v_fma_f64 v[47:48], v[45:46], s[34:35], v[23:24]
	v_mul_f64 v[51:52], v[53:54], v[45:46]
	v_add_f64 v[7:8], v[7:8], -v[49:50]
	v_fma_f64 v[47:48], v[45:46], v[47:48], s[36:37]
	v_ldexp_f64 v[7:8], v[7:8], 1
	v_div_fixup_f64 v[39:40], v[43:44], v[39:40], v[41:42]
	v_fma_f64 v[41:42], v[45:46], v[47:48], s[38:39]
	v_mul_f64 v[43:44], v[39:40], v[39:40]
	v_fma_f64 v[41:42], v[45:46], v[41:42], s[40:41]
	v_fma_f64 v[47:48], v[43:44], s[76:77], v[29:30]
	s_mov_b32 s76, 0x69efb384
	s_mov_b32 s77, 0x3f4b2bb0
	v_fma_f64 v[41:42], v[45:46], v[41:42], s[42:43]
	v_fma_f64 v[47:48], v[43:44], v[47:48], s[76:77]
	s_mov_b32 s76, 0xaf56de9b
	s_mov_b32 s77, 0xbf67952d
	v_fma_f64 v[41:42], v[45:46], v[41:42], s[30:31]
	v_fma_f64 v[45:46], v[43:44], v[47:48], s[76:77]
	v_ldexp_f64 v[47:48], v[53:54], 1
	s_mov_b32 s76, 0xa595c56f
	s_mov_b32 s77, 0x3f7d6d43
	v_subbrev_co_u32_e64 v53, vcc, 0, v68, s[16:17]
	v_mul_f64 v[41:42], v[51:52], v[41:42]
	v_cvt_f64_i32_e32 v[53:54], v53
	v_fma_f64 v[45:46], v[43:44], v[45:46], s[76:77]
	s_mov_b32 s16, 0xa57d9582
	s_mov_b32 s17, 0xbf8c6ea4
	v_mul_f64 v[68:69], v[53:54], s[44:45]
	v_cmp_class_f64_e64 vcc, v[5:6], s95
	v_cmp_class_f64_e64 s[76:77], v[13:14], s95
	v_add_f64 v[51:52], v[47:48], v[41:42]
	v_fma_f64 v[45:46], v[43:44], v[45:46], s[16:17]
	s_mov_b32 s16, 0x5f08b19f
	s_mov_b32 s17, 0x3f967e29
	v_fma_f64 v[49:50], v[53:54], s[44:45], -v[68:69]
	v_add_f64 v[47:48], v[51:52], -v[47:48]
	v_fma_f64 v[45:46], v[43:44], v[45:46], s[16:17]
	s_mov_b32 s16, 0xfc27006a
	s_mov_b32 s17, 0xbf9e9ae6
	v_add_f64 v[41:42], v[41:42], -v[47:48]
	v_fma_f64 v[47:48], v[53:54], s[46:47], v[49:50]
	v_fma_f64 v[45:46], v[43:44], v[45:46], s[16:17]
	s_mov_b32 s16, 0x5711927a
	s_mov_b32 s17, 0x3fa2c15b
	v_add_f64 v[7:8], v[7:8], v[41:42]
	v_fma_f64 v[41:42], v[43:44], v[45:46], s[16:17]
	v_add_f64 v[45:46], v[68:69], v[47:48]
	s_mov_b32 s16, 0xe82d3ff0
	s_mov_b32 s17, 0xbfa59976
	v_add_f64 v[49:50], v[51:52], v[7:8]
	v_fma_f64 v[41:42], v[43:44], v[41:42], s[16:17]
	s_mov_b32 s16, 0x6ef28734
	s_mov_b32 s17, 0x3fa82d5d
	v_add_f64 v[68:69], v[45:46], -v[68:69]
	v_add_f64 v[53:54], v[45:46], v[49:50]
	v_add_f64 v[51:52], v[49:50], -v[51:52]
	v_fma_f64 v[41:42], v[43:44], v[41:42], s[16:17]
	s_mov_b32 s16, 0x6a214619
	s_mov_b32 s17, 0xbfaae5ce
	v_add_f64 v[47:48], v[47:48], -v[68:69]
	v_add_f64 v[70:71], v[53:54], -v[45:46]
	;; [unrolled: 1-line block ×3, first 2 shown]
	v_fma_f64 v[41:42], v[43:44], v[41:42], s[16:17]
	v_cmp_class_f64_e64 s[16:17], v[15:16], s95
	v_add_f64 v[72:73], v[53:54], -v[70:71]
	v_add_f64 v[49:50], v[49:50], -v[70:71]
	v_fma_f64 v[41:42], v[43:44], v[41:42], s[96:97]
	v_add_f64 v[51:52], v[47:48], v[7:8]
	s_and_b64 s[76:77], s[16:17], s[76:77]
	v_add_f64 v[45:46], v[45:46], -v[72:73]
	v_fma_f64 v[41:42], v[43:44], v[41:42], s[98:99]
	v_add_f64 v[45:46], v[49:50], v[45:46]
	v_add_f64 v[49:50], v[51:52], -v[47:48]
	v_fma_f64 v[41:42], v[43:44], v[41:42], s[48:49]
	v_add_f64 v[45:46], v[51:52], v[45:46]
	v_add_f64 v[51:52], v[51:52], -v[49:50]
	v_fma_f64 v[41:42], v[43:44], v[41:42], s[50:51]
	v_add_f64 v[7:8], v[7:8], -v[49:50]
	v_add_f64 v[68:69], v[53:54], v[45:46]
	v_add_f64 v[47:48], v[47:48], -v[51:52]
	v_fma_f64 v[41:42], v[43:44], v[41:42], s[52:53]
	v_add_f64 v[49:50], v[68:69], -v[53:54]
	v_add_f64 v[7:8], v[7:8], v[47:48]
	v_fma_f64 v[41:42], v[43:44], v[41:42], s[54:55]
	v_add_f64 v[45:46], v[45:46], -v[49:50]
	v_fma_f64 v[41:42], v[43:44], v[41:42], s[56:57]
	v_add_f64 v[7:8], v[7:8], v[45:46]
	v_fma_f64 v[41:42], v[43:44], v[41:42], s[58:59]
	v_add_f64 v[7:8], v[68:69], v[7:8]
	v_mul_f64 v[41:42], v[43:44], v[41:42]
	v_cndmask_b32_e32 v8, v8, v6, vcc
	v_cndmask_b32_e32 v7, v7, v5, vcc
	v_mul_f64 v[43:44], v[7:8], 0.5
	v_cmp_neq_f64_e32 vcc, 0, v[5:6]
	v_fma_f64 v[7:8], v[39:40], v[41:42], v[39:40]
                                        ; implicit-def: $vgpr39_vgpr40
                                        ; implicit-def: $vgpr41_vgpr42
	v_cndmask_b32_e32 v46, v61, v44, vcc
	v_cndmask_b32_e32 v45, 0, v43, vcc
                                        ; implicit-def: $vgpr43_vgpr44
.LBB42_506:                             ;   in Loop: Header=BB42_417 Depth=1
	s_andn2_saveexec_b64 s[80:81], s[80:81]
	s_cbranch_execz .LBB42_508
; %bb.507:                              ;   in Loop: Header=BB42_417 Depth=1
	v_frexp_exp_i32_f64_e32 v49, v[39:40]
	v_cmp_class_f64_e64 s[82:83], v[13:14], s95
	v_cmp_class_f64_e64 s[84:85], v[15:16], s95
	v_min_f64 v[41:42], v[41:42], v[43:44]
	s_mov_b32 s31, s73
	v_sub_u32_e32 v7, 0, v49
	v_ldexp_f64 v[5:6], |v[15:16]|, v7
	v_ldexp_f64 v[7:8], |v[13:14]|, v7
	v_div_scale_f64 v[68:69], s[86:87], v[39:40], v[39:40], v[41:42]
	s_mov_b32 s86, 0x1409212f
	s_mov_b32 s87, 0x3e43988e
	v_mul_f64 v[5:6], v[5:6], v[5:6]
	v_fma_f64 v[5:6], v[7:8], v[7:8], v[5:6]
	v_rsq_f64_e32 v[7:8], v[5:6]
	v_cmp_eq_f64_e32 vcc, 0, v[5:6]
	v_mul_f64 v[45:46], v[5:6], v[7:8]
	v_mul_f64 v[7:8], v[7:8], 0.5
	v_fma_f64 v[47:48], -v[7:8], v[45:46], 0.5
	v_fma_f64 v[45:46], v[45:46], v[47:48], v[45:46]
	v_fma_f64 v[7:8], v[7:8], v[47:48], v[7:8]
	v_fma_f64 v[47:48], -v[45:46], v[45:46], v[5:6]
	v_fma_f64 v[7:8], v[47:48], v[7:8], v[45:46]
	v_cndmask_b32_e32 v6, v8, v6, vcc
	v_cndmask_b32_e32 v5, v7, v5, vcc
	v_ldexp_f64 v[5:6], v[5:6], v49
	s_or_b64 vcc, s[84:85], s[82:83]
	v_cndmask_b32_e32 v6, v6, v57, vcc
	v_cndmask_b32_e64 v5, v5, 0, vcc
	v_frexp_mant_f64_e32 v[7:8], v[5:6]
	v_cmp_gt_f64_e64 s[16:17], s[72:73], v[7:8]
	v_cndmask_b32_e64 v45, 0, 1, s[16:17]
	v_ldexp_f64 v[7:8], v[7:8], v45
	v_add_f64 v[45:46], v[7:8], 1.0
	v_add_f64 v[51:52], v[7:8], -1.0
	v_rcp_f64_e32 v[47:48], v[45:46]
	v_add_f64 v[43:44], v[45:46], -1.0
	v_add_f64 v[7:8], v[7:8], -v[43:44]
	v_fma_f64 v[49:50], -v[45:46], v[47:48], 1.0
	v_fma_f64 v[47:48], v[49:50], v[47:48], v[47:48]
	v_fma_f64 v[49:50], -v[45:46], v[47:48], 1.0
	v_fma_f64 v[47:48], v[49:50], v[47:48], v[47:48]
	v_mul_f64 v[49:50], v[51:52], v[47:48]
	v_mul_f64 v[53:54], v[45:46], v[49:50]
	v_fma_f64 v[43:44], v[49:50], v[45:46], -v[53:54]
	v_fma_f64 v[7:8], v[49:50], v[7:8], v[43:44]
	v_rcp_f64_e32 v[43:44], v[68:69]
	v_add_f64 v[45:46], v[53:54], v[7:8]
	v_add_f64 v[70:71], v[51:52], -v[45:46]
	v_fma_f64 v[72:73], -v[68:69], v[43:44], 1.0
	v_add_f64 v[53:54], v[45:46], -v[53:54]
	v_add_f64 v[51:52], v[51:52], -v[70:71]
	v_fma_f64 v[43:44], v[43:44], v[72:73], v[43:44]
	v_add_f64 v[7:8], v[53:54], -v[7:8]
	v_add_f64 v[45:46], v[51:52], -v[45:46]
	v_div_scale_f64 v[51:52], vcc, v[41:42], v[39:40], v[41:42]
	v_fma_f64 v[53:54], -v[68:69], v[43:44], 1.0
	v_add_f64 v[7:8], v[7:8], v[45:46]
	v_fma_f64 v[43:44], v[43:44], v[53:54], v[43:44]
	v_add_f64 v[7:8], v[70:71], v[7:8]
	v_mul_f64 v[45:46], v[51:52], v[43:44]
	v_mul_f64 v[7:8], v[47:48], v[7:8]
	v_fma_f64 v[47:48], -v[68:69], v[45:46], v[51:52]
	v_add_f64 v[51:52], v[49:50], v[7:8]
	v_div_fmas_f64 v[43:44], v[47:48], v[43:44], v[45:46]
	s_mov_b32 vcc_lo, 0xb5e68a13
	s_mov_b32 vcc_hi, 0x3eeba404
	v_mul_f64 v[45:46], v[51:52], v[51:52]
	v_add_f64 v[49:50], v[51:52], -v[49:50]
	v_fma_f64 v[47:48], v[45:46], s[34:35], v[23:24]
	v_mul_f64 v[53:54], v[51:52], v[45:46]
	v_add_f64 v[7:8], v[7:8], -v[49:50]
	v_div_fixup_f64 v[39:40], v[43:44], v[39:40], v[41:42]
	v_fma_f64 v[41:42], v[45:46], v[47:48], s[36:37]
	v_ldexp_f64 v[7:8], v[7:8], 1
	v_mul_f64 v[43:44], v[39:40], v[39:40]
	v_fma_f64 v[41:42], v[45:46], v[41:42], s[38:39]
	v_fma_f64 v[47:48], v[43:44], vcc, v[29:30]
	s_mov_b32 vcc_lo, 0x69efb384
	s_mov_b32 vcc_hi, 0x3f4b2bb0
	v_fma_f64 v[41:42], v[45:46], v[41:42], s[40:41]
	v_fma_f64 v[47:48], v[43:44], v[47:48], vcc
	s_mov_b32 vcc_lo, 0xaf56de9b
	s_mov_b32 vcc_hi, 0xbf67952d
	v_fma_f64 v[41:42], v[45:46], v[41:42], s[42:43]
	v_fma_f64 v[47:48], v[43:44], v[47:48], vcc
	;; [unrolled: 4-line block ×3, first 2 shown]
	v_ldexp_f64 v[47:48], v[51:52], 1
	s_mov_b32 vcc_lo, 0xa57d9582
	s_mov_b32 vcc_hi, 0xbf8c6ea4
	v_mul_f64 v[41:42], v[53:54], v[41:42]
	v_frexp_exp_i32_f64_e32 v53, v[5:6]
	v_fma_f64 v[45:46], v[43:44], v[45:46], vcc
	v_add_f64 v[51:52], v[47:48], v[41:42]
	v_subbrev_co_u32_e64 v53, vcc, 0, v53, s[16:17]
	v_cvt_f64_i32_e32 v[53:54], v53
	s_mov_b32 s16, 0x5f08b19f
	s_mov_b32 s17, 0x3f967e29
	v_fma_f64 v[45:46], v[43:44], v[45:46], s[16:17]
	v_mul_f64 v[68:69], v[53:54], s[44:45]
	v_add_f64 v[47:48], v[51:52], -v[47:48]
	s_mov_b32 s16, 0xfc27006a
	s_mov_b32 s17, 0xbf9e9ae6
	v_cmp_class_f64_e64 vcc, v[5:6], s95
	v_fma_f64 v[45:46], v[43:44], v[45:46], s[16:17]
	v_fma_f64 v[49:50], v[53:54], s[44:45], -v[68:69]
	v_add_f64 v[41:42], v[41:42], -v[47:48]
	s_mov_b32 s16, 0x5711927a
	s_mov_b32 s17, 0x3fa2c15b
	v_fma_f64 v[45:46], v[43:44], v[45:46], s[16:17]
	v_fma_f64 v[47:48], v[53:54], s[46:47], v[49:50]
	v_add_f64 v[7:8], v[7:8], v[41:42]
	s_mov_b32 s16, 0xe82d3ff0
	s_mov_b32 s17, 0xbfa59976
	v_fma_f64 v[41:42], v[43:44], v[45:46], s[16:17]
	v_add_f64 v[45:46], v[68:69], v[47:48]
	v_add_f64 v[49:50], v[51:52], v[7:8]
	s_mov_b32 s16, 0x6ef28734
	s_mov_b32 s17, 0x3fa82d5d
	v_fma_f64 v[41:42], v[43:44], v[41:42], s[16:17]
	s_mov_b32 s16, 0x6a214619
	v_add_f64 v[53:54], v[45:46], v[49:50]
	s_mov_b32 s17, 0xbfaae5ce
	v_add_f64 v[68:69], v[45:46], -v[68:69]
	v_add_f64 v[51:52], v[49:50], -v[51:52]
	v_fma_f64 v[41:42], v[43:44], v[41:42], s[16:17]
	s_andn2_b64 s[16:17], s[76:77], exec
	v_add_f64 v[70:71], v[53:54], -v[45:46]
	s_and_b64 s[76:77], s[84:85], s[82:83]
	v_add_f64 v[47:48], v[47:48], -v[68:69]
	v_add_f64 v[7:8], v[7:8], -v[51:52]
	s_and_b64 s[76:77], s[76:77], exec
	s_or_b64 s[76:77], s[16:17], s[76:77]
	v_fma_f64 v[41:42], v[43:44], v[41:42], s[96:97]
	v_add_f64 v[72:73], v[53:54], -v[70:71]
	v_add_f64 v[49:50], v[49:50], -v[70:71]
	v_add_f64 v[51:52], v[47:48], v[7:8]
	v_fma_f64 v[41:42], v[43:44], v[41:42], s[98:99]
	v_add_f64 v[45:46], v[45:46], -v[72:73]
	v_fma_f64 v[41:42], v[43:44], v[41:42], s[48:49]
	v_add_f64 v[45:46], v[49:50], v[45:46]
	v_add_f64 v[49:50], v[51:52], -v[47:48]
	v_fma_f64 v[41:42], v[43:44], v[41:42], s[50:51]
	v_add_f64 v[45:46], v[51:52], v[45:46]
	v_add_f64 v[51:52], v[51:52], -v[49:50]
	v_add_f64 v[7:8], v[7:8], -v[49:50]
	v_fma_f64 v[41:42], v[43:44], v[41:42], s[52:53]
	v_add_f64 v[68:69], v[53:54], v[45:46]
	v_add_f64 v[47:48], v[47:48], -v[51:52]
	v_fma_f64 v[41:42], v[43:44], v[41:42], s[54:55]
	v_add_f64 v[49:50], v[68:69], -v[53:54]
	v_add_f64 v[7:8], v[7:8], v[47:48]
	v_fma_f64 v[41:42], v[43:44], v[41:42], s[56:57]
	v_add_f64 v[45:46], v[45:46], -v[49:50]
	v_fma_f64 v[41:42], v[43:44], v[41:42], s[58:59]
	v_add_f64 v[7:8], v[7:8], v[45:46]
	v_mul_f64 v[41:42], v[43:44], v[41:42]
	v_add_f64 v[43:44], v[68:69], v[7:8]
	v_fma_f64 v[7:8], v[39:40], v[41:42], v[39:40]
	v_cndmask_b32_e32 v39, v43, v5, vcc
	v_cndmask_b32_e32 v40, v44, v6, vcc
	v_cmp_ngt_f64_e32 vcc, 0, v[5:6]
	v_cndmask_b32_e32 v40, v62, v40, vcc
	v_cmp_nge_f64_e32 vcc, 0, v[5:6]
	v_cndmask_b32_e32 v45, 0, v39, vcc
	v_cmp_neq_f64_e32 vcc, 0, v[5:6]
	v_cndmask_b32_e32 v46, v61, v40, vcc
.LBB42_508:                             ;   in Loop: Header=BB42_417 Depth=1
	s_or_b64 exec, exec, s[80:81]
                                        ; implicit-def: $vgpr41_vgpr42
                                        ; implicit-def: $vgpr43_vgpr44
                                        ; implicit-def: $vgpr39_vgpr40
.LBB42_509:                             ;   in Loop: Header=BB42_417 Depth=1
	s_andn2_saveexec_b64 s[78:79], s[78:79]
	s_cbranch_execz .LBB42_511
; %bb.510:                              ;   in Loop: Header=BB42_417 Depth=1
	v_div_scale_f64 v[5:6], s[16:17], s[64:65], s[64:65], v[13:14]
	v_div_scale_f64 v[7:8], s[16:17], s[64:65], s[64:65], v[15:16]
	;; [unrolled: 1-line block ×3, first 2 shown]
	v_min_f64 v[41:42], v[41:42], v[43:44]
	s_mov_b32 s31, s73
	s_andn2_b64 s[76:77], s[76:77], exec
	v_rcp_f64_e32 v[45:46], v[5:6]
	v_rcp_f64_e32 v[47:48], v[7:8]
	v_fma_f64 v[49:50], -v[5:6], v[45:46], 1.0
	v_fma_f64 v[51:52], -v[7:8], v[47:48], 1.0
	v_fma_f64 v[45:46], v[45:46], v[49:50], v[45:46]
	v_div_scale_f64 v[49:50], vcc, v[13:14], s[64:65], v[13:14]
	v_fma_f64 v[47:48], v[47:48], v[51:52], v[47:48]
	v_fma_f64 v[51:52], -v[5:6], v[45:46], 1.0
	v_fma_f64 v[68:69], -v[7:8], v[47:48], 1.0
	v_fma_f64 v[45:46], v[45:46], v[51:52], v[45:46]
	v_fma_f64 v[47:48], v[47:48], v[68:69], v[47:48]
	v_mul_f64 v[51:52], v[49:50], v[45:46]
	v_mul_f64 v[68:69], v[53:54], v[47:48]
	v_fma_f64 v[5:6], -v[5:6], v[51:52], v[49:50]
	v_fma_f64 v[7:8], -v[7:8], v[68:69], v[53:54]
	v_div_fmas_f64 v[5:6], v[5:6], v[45:46], v[51:52]
	s_mov_b64 vcc, s[16:17]
	v_div_fmas_f64 v[7:8], v[7:8], v[47:48], v[68:69]
	v_div_fixup_f64 v[5:6], v[5:6], s[64:65], v[13:14]
	v_div_fixup_f64 v[7:8], v[7:8], s[64:65], v[15:16]
	v_cmp_class_f64_e64 s[16:17], v[5:6], s95
	v_max_f64 v[45:46], |v[5:6]|, |v[7:8]|
	v_cmp_class_f64_e64 s[80:81], v[7:8], s95
	v_frexp_exp_i32_f64_e32 v53, v[45:46]
	v_sub_u32_e32 v47, 0, v53
	v_ldexp_f64 v[45:46], |v[7:8]|, v47
	v_ldexp_f64 v[47:48], |v[5:6]|, v47
	v_mul_f64 v[45:46], v[45:46], v[45:46]
	v_fma_f64 v[45:46], v[47:48], v[47:48], v[45:46]
	v_rsq_f64_e32 v[47:48], v[45:46]
	v_cmp_eq_f64_e32 vcc, 0, v[45:46]
	v_mul_f64 v[49:50], v[45:46], v[47:48]
	v_mul_f64 v[47:48], v[47:48], 0.5
	v_fma_f64 v[51:52], -v[47:48], v[49:50], 0.5
	v_fma_f64 v[49:50], v[49:50], v[51:52], v[49:50]
	v_fma_f64 v[47:48], v[47:48], v[51:52], v[47:48]
	v_fma_f64 v[51:52], -v[49:50], v[49:50], v[45:46]
	v_fma_f64 v[47:48], v[51:52], v[47:48], v[49:50]
	v_cndmask_b32_e32 v6, v48, v46, vcc
	v_cndmask_b32_e32 v5, v47, v45, vcc
	v_ldexp_f64 v[5:6], v[5:6], v53
	s_or_b64 vcc, s[80:81], s[16:17]
	v_cndmask_b32_e32 v6, v6, v57, vcc
	v_cndmask_b32_e64 v5, v5, 0, vcc
	v_frexp_mant_f64_e32 v[7:8], v[5:6]
	v_cmp_gt_f64_e64 s[16:17], s[72:73], v[7:8]
	v_cndmask_b32_e64 v45, 0, 1, s[16:17]
	v_ldexp_f64 v[7:8], v[7:8], v45
	v_add_f64 v[45:46], v[7:8], 1.0
	v_add_f64 v[51:52], v[7:8], -1.0
	v_rcp_f64_e32 v[47:48], v[45:46]
	v_add_f64 v[53:54], v[45:46], -1.0
	v_add_f64 v[7:8], v[7:8], -v[53:54]
	v_fma_f64 v[49:50], -v[45:46], v[47:48], 1.0
	v_fma_f64 v[47:48], v[49:50], v[47:48], v[47:48]
	v_fma_f64 v[49:50], -v[45:46], v[47:48], 1.0
	v_fma_f64 v[47:48], v[49:50], v[47:48], v[47:48]
	v_mul_f64 v[49:50], v[51:52], v[47:48]
	v_mul_f64 v[68:69], v[45:46], v[49:50]
	v_fma_f64 v[43:44], v[49:50], v[45:46], -v[68:69]
	v_div_scale_f64 v[45:46], s[80:81], v[39:40], v[39:40], v[41:42]
	s_mov_b32 s80, 0xb5e68a13
	s_mov_b32 s81, 0x3eeba404
	v_fma_f64 v[7:8], v[49:50], v[7:8], v[43:44]
	v_add_f64 v[43:44], v[68:69], v[7:8]
	v_rcp_f64_e32 v[53:54], v[45:46]
	v_add_f64 v[70:71], v[51:52], -v[43:44]
	v_add_f64 v[68:69], v[43:44], -v[68:69]
	v_add_f64 v[51:52], v[51:52], -v[70:71]
	v_fma_f64 v[72:73], -v[45:46], v[53:54], 1.0
	v_add_f64 v[7:8], v[68:69], -v[7:8]
	v_frexp_exp_i32_f64_e32 v68, v[5:6]
	v_add_f64 v[43:44], v[51:52], -v[43:44]
	v_fma_f64 v[51:52], v[53:54], v[72:73], v[53:54]
	v_add_f64 v[7:8], v[7:8], v[43:44]
	v_div_scale_f64 v[43:44], vcc, v[41:42], v[39:40], v[41:42]
	v_fma_f64 v[53:54], -v[45:46], v[51:52], 1.0
	v_add_f64 v[7:8], v[70:71], v[7:8]
	v_fma_f64 v[51:52], v[51:52], v[53:54], v[51:52]
	v_mul_f64 v[7:8], v[47:48], v[7:8]
	v_mul_f64 v[47:48], v[43:44], v[51:52]
	v_add_f64 v[53:54], v[49:50], v[7:8]
	v_fma_f64 v[43:44], -v[45:46], v[47:48], v[43:44]
	v_mul_f64 v[45:46], v[53:54], v[53:54]
	v_add_f64 v[49:50], v[53:54], -v[49:50]
	v_div_fmas_f64 v[43:44], v[43:44], v[51:52], v[47:48]
	v_fma_f64 v[47:48], v[45:46], s[34:35], v[23:24]
	v_mul_f64 v[51:52], v[53:54], v[45:46]
	v_add_f64 v[7:8], v[7:8], -v[49:50]
	v_fma_f64 v[47:48], v[45:46], v[47:48], s[36:37]
	v_ldexp_f64 v[7:8], v[7:8], 1
	v_div_fixup_f64 v[39:40], v[43:44], v[39:40], v[41:42]
	v_fma_f64 v[41:42], v[45:46], v[47:48], s[38:39]
	v_mul_f64 v[43:44], v[39:40], v[39:40]
	v_fma_f64 v[41:42], v[45:46], v[41:42], s[40:41]
	v_fma_f64 v[47:48], v[43:44], s[80:81], v[29:30]
	s_mov_b32 s80, 0x69efb384
	s_mov_b32 s81, 0x3f4b2bb0
	v_fma_f64 v[41:42], v[45:46], v[41:42], s[42:43]
	v_fma_f64 v[47:48], v[43:44], v[47:48], s[80:81]
	s_mov_b32 s80, 0xaf56de9b
	s_mov_b32 s81, 0xbf67952d
	v_fma_f64 v[41:42], v[45:46], v[41:42], s[30:31]
	v_fma_f64 v[45:46], v[43:44], v[47:48], s[80:81]
	v_ldexp_f64 v[47:48], v[53:54], 1
	s_mov_b32 s80, 0xa595c56f
	s_mov_b32 s81, 0x3f7d6d43
	v_subbrev_co_u32_e64 v53, vcc, 0, v68, s[16:17]
	v_mul_f64 v[41:42], v[51:52], v[41:42]
	v_cvt_f64_i32_e32 v[53:54], v53
	v_fma_f64 v[45:46], v[43:44], v[45:46], s[80:81]
	s_mov_b32 s16, 0xa57d9582
	s_mov_b32 s17, 0xbf8c6ea4
	v_mul_f64 v[68:69], v[53:54], s[44:45]
	v_cmp_class_f64_e64 vcc, v[5:6], s95
	v_cmp_class_f64_e64 s[80:81], v[13:14], s95
	v_add_f64 v[51:52], v[47:48], v[41:42]
	v_fma_f64 v[45:46], v[43:44], v[45:46], s[16:17]
	s_mov_b32 s16, 0x5f08b19f
	s_mov_b32 s17, 0x3f967e29
	v_fma_f64 v[49:50], v[53:54], s[44:45], -v[68:69]
	v_add_f64 v[47:48], v[51:52], -v[47:48]
	v_fma_f64 v[45:46], v[43:44], v[45:46], s[16:17]
	s_mov_b32 s16, 0xfc27006a
	s_mov_b32 s17, 0xbf9e9ae6
	v_add_f64 v[41:42], v[41:42], -v[47:48]
	v_fma_f64 v[47:48], v[53:54], s[46:47], v[49:50]
	v_fma_f64 v[45:46], v[43:44], v[45:46], s[16:17]
	s_mov_b32 s16, 0x5711927a
	s_mov_b32 s17, 0x3fa2c15b
	v_add_f64 v[7:8], v[7:8], v[41:42]
	v_fma_f64 v[41:42], v[43:44], v[45:46], s[16:17]
	v_add_f64 v[45:46], v[68:69], v[47:48]
	s_mov_b32 s16, 0xe82d3ff0
	s_mov_b32 s17, 0xbfa59976
	v_add_f64 v[49:50], v[51:52], v[7:8]
	v_fma_f64 v[41:42], v[43:44], v[41:42], s[16:17]
	s_mov_b32 s16, 0x6ef28734
	s_mov_b32 s17, 0x3fa82d5d
	v_add_f64 v[68:69], v[45:46], -v[68:69]
	v_add_f64 v[53:54], v[45:46], v[49:50]
	v_add_f64 v[51:52], v[49:50], -v[51:52]
	v_fma_f64 v[41:42], v[43:44], v[41:42], s[16:17]
	s_mov_b32 s16, 0x6a214619
	s_mov_b32 s17, 0xbfaae5ce
	v_add_f64 v[47:48], v[47:48], -v[68:69]
	v_add_f64 v[70:71], v[53:54], -v[45:46]
	v_add_f64 v[7:8], v[7:8], -v[51:52]
	v_fma_f64 v[41:42], v[43:44], v[41:42], s[16:17]
	v_cmp_class_f64_e64 s[16:17], v[15:16], s95
	v_add_f64 v[72:73], v[53:54], -v[70:71]
	v_add_f64 v[49:50], v[49:50], -v[70:71]
	v_fma_f64 v[41:42], v[43:44], v[41:42], s[96:97]
	v_add_f64 v[51:52], v[47:48], v[7:8]
	s_and_b64 s[16:17], s[16:17], s[80:81]
	s_and_b64 s[16:17], s[16:17], exec
	s_or_b64 s[76:77], s[76:77], s[16:17]
	v_add_f64 v[45:46], v[45:46], -v[72:73]
	v_fma_f64 v[41:42], v[43:44], v[41:42], s[98:99]
	v_add_f64 v[45:46], v[49:50], v[45:46]
	v_add_f64 v[49:50], v[51:52], -v[47:48]
	v_fma_f64 v[41:42], v[43:44], v[41:42], s[48:49]
	v_add_f64 v[45:46], v[51:52], v[45:46]
	v_add_f64 v[51:52], v[51:52], -v[49:50]
	v_fma_f64 v[41:42], v[43:44], v[41:42], s[50:51]
	v_add_f64 v[7:8], v[7:8], -v[49:50]
	v_add_f64 v[68:69], v[53:54], v[45:46]
	v_add_f64 v[47:48], v[47:48], -v[51:52]
	v_fma_f64 v[41:42], v[43:44], v[41:42], s[52:53]
	v_add_f64 v[49:50], v[68:69], -v[53:54]
	v_add_f64 v[7:8], v[7:8], v[47:48]
	v_fma_f64 v[41:42], v[43:44], v[41:42], s[54:55]
	v_add_f64 v[45:46], v[45:46], -v[49:50]
	v_fma_f64 v[41:42], v[43:44], v[41:42], s[56:57]
	v_add_f64 v[7:8], v[7:8], v[45:46]
	v_fma_f64 v[41:42], v[43:44], v[41:42], s[58:59]
	v_add_f64 v[7:8], v[68:69], v[7:8]
	v_mul_f64 v[41:42], v[43:44], v[41:42]
	v_cndmask_b32_e32 v8, v8, v6, vcc
	v_cndmask_b32_e32 v7, v7, v5, vcc
	v_add_f64 v[43:44], v[7:8], 1.0
	v_cmp_ngt_f64_e32 vcc, 0, v[5:6]
	v_fma_f64 v[7:8], v[39:40], v[41:42], v[39:40]
	v_cndmask_b32_e32 v13, v62, v44, vcc
	v_cmp_nge_f64_e32 vcc, 0, v[5:6]
	v_cndmask_b32_e32 v45, 0, v43, vcc
	v_cmp_neq_f64_e32 vcc, 0, v[5:6]
	v_cndmask_b32_e32 v46, v61, v13, vcc
.LBB42_511:                             ;   in Loop: Header=BB42_417 Depth=1
	s_or_b64 exec, exec, s[78:79]
	v_add_f64 v[5:6], -v[7:8], s[28:29]
	s_mov_b32 s60, s28
	v_ashrrev_i32_e32 v13, 31, v14
	v_cmp_gt_i32_e32 vcc, 0, v14
	v_and_b32_e32 v41, 0x54442d18, v13
	v_and_b32_e32 v13, 0x400921fb, v13
	v_cndmask_b32_e32 v14, v64, v65, vcc
	v_cndmask_b32_e64 v6, v8, v6, s[14:15]
	v_cndmask_b32_e64 v5, v7, v5, s[14:15]
	v_add_f64 v[39:40], -v[5:6], s[60:61]
	v_cmp_eq_f64_e64 s[14:15], 0, v[15:16]
	v_add_f64 v[7:8], v[45:46], s[44:45]
	v_cndmask_b32_e32 v15, v66, v67, vcc
	v_bfi_b32 v15, s94, v15, v16
	v_cndmask_b32_e32 v6, v6, v40, vcc
	v_cndmask_b32_e32 v5, v5, v39, vcc
	v_cndmask_b32_e64 v6, v6, v13, s[14:15]
	v_xor_b32_e32 v16, 0x80000000, v8
	v_cndmask_b32_e64 v5, v5, v41, s[14:15]
	v_cndmask_b32_e64 v6, v6, v15, s[76:77]
	;; [unrolled: 1-line block ×3, first 2 shown]
	v_and_b32_e32 v6, 0x7fffffff, v6
	v_cndmask_b32_e64 v8, v16, v8, s[12:13]
.LBB42_512:                             ;   in Loop: Header=BB42_417 Depth=1
	s_or_b64 exec, exec, s[74:75]
                                        ; implicit-def: $vgpr15_vgpr16
.LBB42_513:                             ;   in Loop: Header=BB42_417 Depth=1
	s_andn2_saveexec_b64 s[12:13], s[62:63]
	s_cbranch_execz .LBB42_527
; %bb.514:                              ;   in Loop: Header=BB42_417 Depth=1
	v_cmp_neq_f64_e64 s[14:15], |v[13:14]|, s[70:71]
                                        ; implicit-def: $vgpr7_vgpr8
	s_and_saveexec_b64 s[16:17], s[14:15]
	s_xor_b64 s[14:15], exec, s[16:17]
	s_cbranch_execz .LBB42_524
; %bb.515:                              ;   in Loop: Header=BB42_417 Depth=1
	v_cmp_neq_f64_e64 s[16:17], |v[15:16]|, s[70:71]
	s_waitcnt lgkmcnt(0)
	v_xor_b32_e32 v8, 0x80000000, v16
	v_mov_b32_e32 v7, v15
	s_and_saveexec_b64 s[62:63], s[16:17]
	s_xor_b64 s[16:17], exec, s[62:63]
	s_cbranch_execz .LBB42_521
; %bb.516:                              ;   in Loop: Header=BB42_417 Depth=1
	v_cmp_neq_f64_e32 vcc, 0, v[13:14]
                                        ; implicit-def: $vgpr7_vgpr8
	s_and_saveexec_b64 s[62:63], vcc
	s_xor_b64 s[62:63], exec, s[62:63]
	s_cbranch_execz .LBB42_518
; %bb.517:                              ;   in Loop: Header=BB42_417 Depth=1
	v_add_f64 v[5:6], v[15:16], 0
                                        ; implicit-def: $vgpr15_vgpr16
	v_add_f64 v[7:8], v[13:14], v[5:6]
.LBB42_518:                             ;   in Loop: Header=BB42_417 Depth=1
	s_or_saveexec_b64 s[62:63], s[62:63]
	v_mov_b32_e32 v5, v7
	v_mov_b32_e32 v6, v8
	s_xor_b64 exec, exec, s[62:63]
	s_cbranch_execz .LBB42_520
; %bb.519:                              ;   in Loop: Header=BB42_417 Depth=1
	v_mov_b32_e32 v5, s18
	v_mov_b32_e32 v6, s19
	flat_load_dwordx2 v[5:6], v[5:6] glc
	s_waitcnt vmcnt(0)
	v_add_f64 v[7:8], v[15:16], v[15:16]
	s_waitcnt lgkmcnt(0)
	v_add_f64 v[5:6], v[5:6], s[28:29]
.LBB42_520:                             ;   in Loop: Header=BB42_417 Depth=1
	s_or_b64 exec, exec, s[62:63]
                                        ; implicit-def: $vgpr13_vgpr14
.LBB42_521:                             ;   in Loop: Header=BB42_417 Depth=1
	s_andn2_saveexec_b64 s[16:17], s[16:17]
; %bb.522:                              ;   in Loop: Header=BB42_417 Depth=1
	v_add_f64 v[5:6], v[13:14], v[13:14]
; %bb.523:                              ;   in Loop: Header=BB42_417 Depth=1
	s_or_b64 exec, exec, s[16:17]
                                        ; implicit-def: $vgpr15_vgpr16
.LBB42_524:                             ;   in Loop: Header=BB42_417 Depth=1
	s_andn2_saveexec_b64 s[14:15], s[14:15]
	s_cbranch_execz .LBB42_526
; %bb.525:                              ;   in Loop: Header=BB42_417 Depth=1
	s_waitcnt lgkmcnt(0)
	v_add_f64 v[5:6], v[15:16], v[15:16]
	v_mov_b32_e32 v7, 0
	v_mov_b32_e32 v8, 0xfff00000
.LBB42_526:                             ;   in Loop: Header=BB42_417 Depth=1
	s_or_b64 exec, exec, s[14:15]
.LBB42_527:                             ;   in Loop: Header=BB42_417 Depth=1
	s_or_b64 exec, exec, s[12:13]
	v_cmp_o_f64_e32 vcc, v[17:18], v[19:20]
	v_mov_b32_e32 v13, s18
	v_mov_b32_e32 v14, s19
	flat_store_dwordx2 v[13:14], v[21:22]
	s_waitcnt vmcnt(0)
                                        ; implicit-def: $vgpr15_vgpr16
	s_and_saveexec_b64 s[12:13], vcc
	s_xor_b64 s[62:63], exec, s[12:13]
	s_cbranch_execz .LBB42_615
; %bb.528:                              ;   in Loop: Header=BB42_417 Depth=1
	v_max_f64 v[41:42], |v[17:18]|, |v[17:18]|
	v_max_f64 v[43:44], |v[19:20]|, |v[19:20]|
	v_cmp_gt_i64_e64 s[12:13], 0, v[19:20]
                                        ; implicit-def: $vgpr15_vgpr16
	v_max_f64 v[39:40], v[43:44], v[41:42]
	v_cmp_nlt_f64_e32 vcc, s[68:69], v[39:40]
	s_and_saveexec_b64 s[14:15], vcc
	s_xor_b64 s[74:75], exec, s[14:15]
	s_cbranch_execz .LBB42_604
; %bb.529:                              ;   in Loop: Header=BB42_417 Depth=1
	v_cmp_neq_f64_e32 vcc, 1.0, v[17:18]
	v_cmp_neq_f64_e64 s[14:15], 0, v[19:20]
	v_xor_b32_e32 v16, 0x80000000, v20
	v_mov_b32_e32 v15, v19
	s_or_b64 s[14:15], s[14:15], vcc
	s_and_saveexec_b64 s[16:17], s[14:15]
	s_xor_b64 s[76:77], exec, s[16:17]
	s_cbranch_execz .LBB42_601
; %bb.530:                              ;   in Loop: Header=BB42_417 Depth=1
	v_mov_b32_e32 v13, s24
	v_mov_b32_e32 v14, s25
	flat_store_dword v[13:14], v55
	s_waitcnt vmcnt(0)
	flat_load_dword v13, v[13:14] glc
	s_waitcnt vmcnt(0)
	v_cmp_nlt_f64_e64 s[14:15], |v[17:18]|, s[86:87]
	v_cmp_nlt_f64_e64 s[16:17], |v[19:20]|, s[86:87]
	s_or_b64 s[14:15], s[16:17], s[14:15]
	s_waitcnt lgkmcnt(0)
	v_add_f32_e32 v15, 1.0, v13
	v_mov_b32_e32 v13, s26
	v_mov_b32_e32 v14, s27
	flat_store_dword v[13:14], v15
	s_waitcnt vmcnt(0)
	flat_load_dword v13, v[13:14] glc
	s_waitcnt vmcnt(0)
	v_mov_b32_e32 v15, v19
	s_and_saveexec_b64 s[16:17], s[14:15]
	s_xor_b64 s[78:79], exec, s[16:17]
	s_cbranch_execz .LBB42_598
; %bb.531:                              ;   in Loop: Header=BB42_417 Depth=1
	s_waitcnt lgkmcnt(0)
	v_add_f64 v[13:14], |v[17:18]|, 1.0
	s_mov_b32 s14, 0
	s_mov_b32 s15, 0x40240000
	v_max_f64 v[15:16], v[43:44], v[13:14]
	v_frexp_exp_i32_f64_e32 v47, v[15:16]
	v_sub_u32_e32 v39, 0, v47
	v_ldexp_f64 v[15:16], |v[19:20]|, v39
	v_ldexp_f64 v[39:40], v[13:14], v39
	v_mul_f64 v[39:40], v[39:40], v[39:40]
	v_fma_f64 v[15:16], v[15:16], v[15:16], v[39:40]
	v_rsq_f64_e32 v[39:40], v[15:16]
	v_cmp_eq_f64_e32 vcc, 0, v[15:16]
	v_mul_f64 v[41:42], v[15:16], v[39:40]
	v_mul_f64 v[39:40], v[39:40], 0.5
	v_fma_f64 v[45:46], -v[39:40], v[41:42], 0.5
	v_fma_f64 v[41:42], v[41:42], v[45:46], v[41:42]
	v_fma_f64 v[39:40], v[39:40], v[45:46], v[39:40]
	v_fma_f64 v[45:46], -v[41:42], v[41:42], v[15:16]
	v_fma_f64 v[39:40], v[45:46], v[39:40], v[41:42]
	v_add_f64 v[41:42], |v[17:18]|, -1.0
	v_cndmask_b32_e32 v16, v40, v16, vcc
	v_cndmask_b32_e32 v15, v39, v15, vcc
	v_ldexp_f64 v[15:16], v[15:16], v47
	v_cmp_neq_f64_e32 vcc, s[70:71], v[13:14]
	v_cndmask_b32_e32 v40, v57, v16, vcc
	v_cndmask_b32_e32 v39, 0, v15, vcc
	v_max_f64 v[15:16], v[43:44], |v[41:42]|
	v_frexp_exp_i32_f64_e32 v49, v[15:16]
	v_sub_u32_e32 v43, 0, v49
	v_ldexp_f64 v[15:16], |v[19:20]|, v43
	v_ldexp_f64 v[43:44], |v[41:42]|, v43
	v_mul_f64 v[43:44], v[43:44], v[43:44]
	v_fma_f64 v[15:16], v[15:16], v[15:16], v[43:44]
	v_rsq_f64_e32 v[43:44], v[15:16]
	v_cmp_eq_f64_e32 vcc, 0, v[15:16]
	v_mul_f64 v[45:46], v[15:16], v[43:44]
	v_mul_f64 v[43:44], v[43:44], 0.5
	v_fma_f64 v[47:48], -v[43:44], v[45:46], 0.5
	v_fma_f64 v[45:46], v[45:46], v[47:48], v[45:46]
	v_fma_f64 v[43:44], v[43:44], v[47:48], v[43:44]
	v_fma_f64 v[47:48], -v[45:46], v[45:46], v[15:16]
	v_fma_f64 v[43:44], v[47:48], v[43:44], v[45:46]
	v_cndmask_b32_e32 v16, v44, v16, vcc
	v_cndmask_b32_e32 v15, v43, v15, vcc
	v_ldexp_f64 v[15:16], v[15:16], v49
	v_cmp_neq_f64_e64 vcc, |v[41:42]|, s[70:71]
	v_cndmask_b32_e32 v46, v57, v16, vcc
	v_cndmask_b32_e32 v45, 0, v15, vcc
	v_add_f64 v[15:16], v[39:40], v[45:46]
	v_mul_f64 v[15:16], v[15:16], 0.5
	v_cmp_ngt_f64_e32 vcc, 1.0, v[15:16]
	v_cndmask_b32_e32 v44, v58, v16, vcc
	v_cndmask_b32_e32 v43, 0, v15, vcc
	v_cmp_ngt_f64_e32 vcc, s[14:15], v[43:44]
                                        ; implicit-def: $vgpr15_vgpr16
	s_and_saveexec_b64 s[14:15], vcc
	s_xor_b64 s[14:15], exec, s[14:15]
	s_cbranch_execz .LBB42_533
; %bb.532:                              ;   in Loop: Header=BB42_417 Depth=1
	v_fma_f64 v[15:16], v[43:44], v[43:44], -1.0
	s_mov_b32 s16, 0
	s_brev_b32 s17, 8
	s_mov_b32 s31, s73
	v_cmp_gt_f64_e32 vcc, s[16:17], v[15:16]
	v_cndmask_b32_e32 v47, 0, v59, vcc
	v_ldexp_f64 v[15:16], v[15:16], v47
	v_rsq_f64_e32 v[47:48], v[15:16]
	v_mul_f64 v[49:50], v[15:16], v[47:48]
	v_mul_f64 v[47:48], v[47:48], 0.5
	v_fma_f64 v[51:52], -v[47:48], v[49:50], 0.5
	v_fma_f64 v[49:50], v[49:50], v[51:52], v[49:50]
	v_fma_f64 v[47:48], v[47:48], v[51:52], v[47:48]
	v_fma_f64 v[53:54], -v[49:50], v[49:50], v[15:16]
	v_fma_f64 v[49:50], v[53:54], v[47:48], v[49:50]
	v_fma_f64 v[51:52], -v[49:50], v[49:50], v[15:16]
	v_fma_f64 v[47:48], v[51:52], v[47:48], v[49:50]
	v_cndmask_b32_e32 v49, 0, v60, vcc
	v_cmp_class_f64_e32 vcc, v[15:16], v56
	v_ldexp_f64 v[47:48], v[47:48], v49
	v_cndmask_b32_e32 v16, v48, v16, vcc
	v_cndmask_b32_e32 v15, v47, v15, vcc
	v_add_f64 v[15:16], v[43:44], v[15:16]
	v_frexp_mant_f64_e32 v[47:48], v[15:16]
	v_frexp_exp_i32_f64_e32 v49, v[15:16]
	v_cmp_gt_f64_e32 vcc, s[72:73], v[47:48]
	v_cndmask_b32_e64 v50, 0, 1, vcc
	v_ldexp_f64 v[47:48], v[47:48], v50
	v_subbrev_co_u32_e32 v74, vcc, 0, v49, vcc
	v_cmp_class_f64_e64 vcc, v[15:16], s95
	v_add_f64 v[51:52], v[47:48], 1.0
	v_add_f64 v[49:50], v[47:48], -1.0
	v_add_f64 v[53:54], v[51:52], -1.0
	v_add_f64 v[47:48], v[47:48], -v[53:54]
	v_rcp_f64_e32 v[53:54], v[51:52]
	v_fma_f64 v[68:69], -v[51:52], v[53:54], 1.0
	v_fma_f64 v[53:54], v[68:69], v[53:54], v[53:54]
	v_fma_f64 v[68:69], -v[51:52], v[53:54], 1.0
	v_fma_f64 v[53:54], v[68:69], v[53:54], v[53:54]
	v_mul_f64 v[68:69], v[49:50], v[53:54]
	v_mul_f64 v[70:71], v[51:52], v[68:69]
	v_fma_f64 v[51:52], v[68:69], v[51:52], -v[70:71]
	v_fma_f64 v[47:48], v[68:69], v[47:48], v[51:52]
	v_add_f64 v[51:52], v[70:71], v[47:48]
	v_add_f64 v[72:73], v[49:50], -v[51:52]
	v_add_f64 v[70:71], v[51:52], -v[70:71]
	;; [unrolled: 1-line block ×5, first 2 shown]
	v_add_f64 v[47:48], v[47:48], v[49:50]
	v_add_f64 v[47:48], v[72:73], v[47:48]
	v_mul_f64 v[47:48], v[53:54], v[47:48]
	v_add_f64 v[49:50], v[68:69], v[47:48]
	v_add_f64 v[51:52], v[49:50], -v[68:69]
	v_ldexp_f64 v[68:69], v[49:50], 1
	v_add_f64 v[47:48], v[47:48], -v[51:52]
	v_mul_f64 v[51:52], v[49:50], v[49:50]
	v_ldexp_f64 v[47:48], v[47:48], 1
	v_fma_f64 v[53:54], v[51:52], s[34:35], v[23:24]
	v_mul_f64 v[49:50], v[49:50], v[51:52]
	v_fma_f64 v[53:54], v[51:52], v[53:54], s[36:37]
	v_fma_f64 v[53:54], v[51:52], v[53:54], s[38:39]
	;; [unrolled: 1-line block ×5, first 2 shown]
	v_mul_f64 v[49:50], v[49:50], v[53:54]
	v_add_f64 v[51:52], v[68:69], v[49:50]
	v_add_f64 v[53:54], v[51:52], -v[68:69]
	v_add_f64 v[49:50], v[49:50], -v[53:54]
	v_add_f64 v[47:48], v[47:48], v[49:50]
	v_add_f64 v[49:50], v[51:52], v[47:48]
	v_add_f64 v[51:52], v[49:50], -v[51:52]
	v_add_f64 v[47:48], v[47:48], -v[51:52]
	v_cvt_f64_i32_e32 v[51:52], v74
	v_mul_f64 v[53:54], v[51:52], s[44:45]
	v_fma_f64 v[68:69], v[51:52], s[44:45], -v[53:54]
	v_fma_f64 v[51:52], v[51:52], s[46:47], v[68:69]
	v_add_f64 v[68:69], v[53:54], v[51:52]
	v_add_f64 v[53:54], v[68:69], -v[53:54]
	v_add_f64 v[51:52], v[51:52], -v[53:54]
	v_add_f64 v[53:54], v[68:69], v[49:50]
	v_add_f64 v[70:71], v[53:54], -v[68:69]
	v_add_f64 v[72:73], v[53:54], -v[70:71]
	;; [unrolled: 1-line block ×4, first 2 shown]
	v_add_f64 v[49:50], v[49:50], v[68:69]
	v_add_f64 v[68:69], v[51:52], v[47:48]
	v_add_f64 v[70:71], v[68:69], -v[51:52]
	v_add_f64 v[49:50], v[68:69], v[49:50]
	v_add_f64 v[72:73], v[68:69], -v[70:71]
	v_add_f64 v[47:48], v[47:48], -v[70:71]
	;; [unrolled: 1-line block ×3, first 2 shown]
	v_add_f64 v[47:48], v[47:48], v[51:52]
	v_add_f64 v[51:52], v[53:54], v[49:50]
	v_add_f64 v[53:54], v[51:52], -v[53:54]
	v_add_f64 v[49:50], v[49:50], -v[53:54]
	v_add_f64 v[47:48], v[47:48], v[49:50]
	v_add_f64 v[47:48], v[51:52], v[47:48]
	v_cndmask_b32_e32 v47, v47, v15, vcc
	v_cndmask_b32_e32 v48, v48, v16, vcc
	v_cmp_neq_f64_e32 vcc, 0, v[15:16]
	v_cndmask_b32_e32 v16, v61, v48, vcc
	v_cndmask_b32_e32 v15, 0, v47, vcc
.LBB42_533:                             ;   in Loop: Header=BB42_417 Depth=1
	s_or_saveexec_b64 s[16:17], s[14:15]
	v_and_b32_e32 v48, 0x7fffffff, v20
	v_mov_b32_e32 v47, v19
	s_xor_b64 exec, exec, s[16:17]
	s_cbranch_execz .LBB42_555
; %bb.534:                              ;   in Loop: Header=BB42_417 Depth=1
	s_mov_b32 s80, 0
	s_mov_b32 s81, 0x39000000
	v_cmp_neq_f64_e64 s[14:15], |v[17:18]|, 1.0
	v_cmp_nlt_f64_e64 s[80:81], |v[19:20]|, s[80:81]
                                        ; implicit-def: $vgpr15_vgpr16
	s_or_b64 s[14:15], s[80:81], s[14:15]
	s_and_saveexec_b64 s[80:81], s[14:15]
	s_xor_b64 s[80:81], exec, s[80:81]
	s_cbranch_execz .LBB42_552
; %bb.535:                              ;   in Loop: Header=BB42_417 Depth=1
	s_movk_i32 s14, 0xffcc
	v_ldexp_f64 v[15:16], |v[41:42]|, s14
	v_cmp_ge_f64_e64 s[14:15], |v[19:20]|, v[15:16]
                                        ; implicit-def: $vgpr15_vgpr16
	s_and_saveexec_b64 s[82:83], s[14:15]
	s_xor_b64 s[82:83], exec, s[82:83]
	s_cbranch_execz .LBB42_545
; %bb.536:                              ;   in Loop: Header=BB42_417 Depth=1
	v_cmp_neq_f64_e32 vcc, 0, v[13:14]
	v_mov_b32_e32 v15, v47
	v_mov_b32_e32 v16, v48
	s_and_saveexec_b64 s[14:15], vcc
	s_cbranch_execz .LBB42_538
; %bb.537:                              ;   in Loop: Header=BB42_417 Depth=1
	v_mul_f64 v[15:16], v[19:20], v[19:20]
	v_add_f64 v[49:50], v[13:14], v[39:40]
	v_div_scale_f64 v[51:52], s[84:85], v[49:50], v[49:50], v[15:16]
	v_div_scale_f64 v[70:71], vcc, v[15:16], v[49:50], v[15:16]
	v_rcp_f64_e32 v[53:54], v[51:52]
	v_fma_f64 v[68:69], -v[51:52], v[53:54], 1.0
	v_fma_f64 v[53:54], v[53:54], v[68:69], v[53:54]
	v_fma_f64 v[68:69], -v[51:52], v[53:54], 1.0
	v_fma_f64 v[53:54], v[53:54], v[68:69], v[53:54]
	v_mul_f64 v[68:69], v[70:71], v[53:54]
	v_fma_f64 v[51:52], -v[51:52], v[68:69], v[70:71]
	v_div_fmas_f64 v[51:52], v[51:52], v[53:54], v[68:69]
	v_div_fixup_f64 v[15:16], v[51:52], v[49:50], v[15:16]
.LBB42_538:                             ;   in Loop: Header=BB42_417 Depth=1
	s_or_b64 exec, exec, s[14:15]
	v_add_f64 v[51:52], -|v[17:18]|, 1.0
                                        ; implicit-def: $vgpr49_vgpr50
	v_cmp_ngt_f64_e32 vcc, 0, v[51:52]
	s_and_saveexec_b64 s[14:15], vcc
	s_xor_b64 s[14:15], exec, s[14:15]
	s_cbranch_execz .LBB42_542
; %bb.539:                              ;   in Loop: Header=BB42_417 Depth=1
	v_cmp_neq_f64_e32 vcc, 0, v[51:52]
	v_mov_b32_e32 v50, v48
	v_mov_b32_e32 v49, v47
	s_and_saveexec_b64 s[84:85], vcc
	s_cbranch_execz .LBB42_541
; %bb.540:                              ;   in Loop: Header=BB42_417 Depth=1
	v_mul_f64 v[49:50], v[19:20], v[19:20]
	v_add_f64 v[51:52], v[51:52], v[45:46]
	v_div_scale_f64 v[53:54], s[86:87], v[51:52], v[51:52], v[49:50]
	v_div_scale_f64 v[72:73], vcc, v[49:50], v[51:52], v[49:50]
	v_rcp_f64_e32 v[68:69], v[53:54]
	v_fma_f64 v[70:71], -v[53:54], v[68:69], 1.0
	v_fma_f64 v[68:69], v[68:69], v[70:71], v[68:69]
	v_fma_f64 v[70:71], -v[53:54], v[68:69], 1.0
	v_fma_f64 v[68:69], v[68:69], v[70:71], v[68:69]
	v_mul_f64 v[70:71], v[72:73], v[68:69]
	v_fma_f64 v[53:54], -v[53:54], v[70:71], v[72:73]
	v_div_fmas_f64 v[53:54], v[53:54], v[68:69], v[70:71]
	v_div_fixup_f64 v[49:50], v[53:54], v[51:52], v[49:50]
.LBB42_541:                             ;   in Loop: Header=BB42_417 Depth=1
	s_or_b64 exec, exec, s[84:85]
	s_mov_b32 s86, 0x1409212f
	s_mov_b32 s87, 0x3e43988e
                                        ; implicit-def: $vgpr51_vgpr52
.LBB42_542:                             ;   in Loop: Header=BB42_417 Depth=1
	s_andn2_saveexec_b64 s[14:15], s[14:15]
; %bb.543:                              ;   in Loop: Header=BB42_417 Depth=1
	v_add_f64 v[49:50], v[45:46], -v[51:52]
; %bb.544:                              ;   in Loop: Header=BB42_417 Depth=1
	s_or_b64 exec, exec, s[14:15]
	v_mul_f64 v[49:50], v[49:50], 0.5
	s_mov_b32 s14, 0
	s_brev_b32 s15, 8
	s_mov_b32 s31, s73
	v_fma_f64 v[15:16], v[15:16], 0.5, v[49:50]
	v_add_f64 v[49:50], v[43:44], 1.0
	v_mul_f64 v[49:50], v[49:50], v[15:16]
	v_cmp_gt_f64_e32 vcc, s[14:15], v[49:50]
	v_cndmask_b32_e32 v51, 0, v59, vcc
	v_ldexp_f64 v[49:50], v[49:50], v51
	v_rsq_f64_e32 v[51:52], v[49:50]
	v_mul_f64 v[53:54], v[49:50], v[51:52]
	v_mul_f64 v[51:52], v[51:52], 0.5
	v_fma_f64 v[68:69], -v[51:52], v[53:54], 0.5
	v_fma_f64 v[53:54], v[53:54], v[68:69], v[53:54]
	v_fma_f64 v[51:52], v[51:52], v[68:69], v[51:52]
	v_fma_f64 v[70:71], -v[53:54], v[53:54], v[49:50]
	v_fma_f64 v[53:54], v[70:71], v[51:52], v[53:54]
	v_fma_f64 v[68:69], -v[53:54], v[53:54], v[49:50]
	v_fma_f64 v[51:52], v[68:69], v[51:52], v[53:54]
	v_cndmask_b32_e32 v53, 0, v60, vcc
	v_cmp_class_f64_e32 vcc, v[49:50], v56
	v_ldexp_f64 v[51:52], v[51:52], v53
	v_cndmask_b32_e32 v50, v52, v50, vcc
	v_cndmask_b32_e32 v49, v51, v49, vcc
	v_add_f64 v[49:50], v[15:16], v[49:50]
	v_add_f64 v[15:16], v[49:50], 1.0
	v_cmp_ngt_f64_e64 s[14:15], -1.0, v[49:50]
	v_add_f64 v[51:52], v[15:16], -1.0
	v_frexp_exp_i32_f64_e32 v68, v[15:16]
	v_add_f64 v[53:54], v[51:52], -v[15:16]
	v_add_f64 v[51:52], v[49:50], -v[51:52]
	v_add_f64 v[53:54], v[53:54], 1.0
	v_add_f64 v[51:52], v[51:52], v[53:54]
	v_frexp_mant_f64_e32 v[53:54], v[15:16]
	v_cmp_gt_f64_e32 vcc, s[72:73], v[53:54]
	v_subbrev_co_u32_e32 v82, vcc, 0, v68, vcc
	v_sub_u32_e32 v53, 0, v82
	v_ldexp_f64 v[15:16], v[15:16], v53
	v_ldexp_f64 v[51:52], v[51:52], v53
	v_cmp_neq_f64_e32 vcc, s[70:71], v[49:50]
	v_add_f64 v[53:54], v[15:16], -1.0
	v_add_f64 v[68:69], v[53:54], 1.0
	v_add_f64 v[68:69], v[15:16], -v[68:69]
	v_add_f64 v[68:69], v[51:52], v[68:69]
	v_add_f64 v[70:71], v[53:54], v[68:69]
	v_add_f64 v[53:54], v[70:71], -v[53:54]
	v_add_f64 v[53:54], v[68:69], -v[53:54]
	v_add_f64 v[68:69], v[15:16], 1.0
	v_add_f64 v[72:73], v[68:69], -1.0
	v_add_f64 v[15:16], v[15:16], -v[72:73]
	v_add_f64 v[15:16], v[51:52], v[15:16]
	v_add_f64 v[51:52], v[68:69], v[15:16]
	v_add_f64 v[68:69], v[51:52], -v[68:69]
	v_add_f64 v[15:16], v[15:16], -v[68:69]
	v_rcp_f64_e32 v[68:69], v[51:52]
	v_fma_f64 v[72:73], -v[51:52], v[68:69], 1.0
	v_fma_f64 v[68:69], v[72:73], v[68:69], v[68:69]
	v_fma_f64 v[72:73], -v[51:52], v[68:69], 1.0
	v_fma_f64 v[68:69], v[72:73], v[68:69], v[68:69]
	v_mul_f64 v[72:73], v[70:71], v[68:69]
	v_mul_f64 v[74:75], v[51:52], v[72:73]
	v_fma_f64 v[76:77], v[72:73], v[51:52], -v[74:75]
	v_fma_f64 v[76:77], v[72:73], v[15:16], v[76:77]
	v_add_f64 v[78:79], v[74:75], v[76:77]
	v_add_f64 v[80:81], v[70:71], -v[78:79]
	v_add_f64 v[74:75], v[78:79], -v[74:75]
	;; [unrolled: 1-line block ×4, first 2 shown]
	v_add_f64 v[53:54], v[53:54], v[70:71]
	v_add_f64 v[70:71], v[74:75], -v[76:77]
	v_add_f64 v[53:54], v[70:71], v[53:54]
	v_add_f64 v[70:71], v[80:81], v[53:54]
	v_add_f64 v[74:75], v[80:81], -v[70:71]
	v_add_f64 v[53:54], v[53:54], v[74:75]
	v_mul_f64 v[74:75], v[68:69], v[70:71]
	v_mul_f64 v[76:77], v[51:52], v[74:75]
	v_fma_f64 v[51:52], v[74:75], v[51:52], -v[76:77]
	v_fma_f64 v[15:16], v[74:75], v[15:16], v[51:52]
	v_add_f64 v[51:52], v[76:77], v[15:16]
	v_add_f64 v[78:79], v[70:71], -v[51:52]
	v_add_f64 v[76:77], v[51:52], -v[76:77]
	;; [unrolled: 1-line block ×5, first 2 shown]
	v_cvt_f64_i32_e32 v[70:71], v82
	v_add_f64 v[51:52], v[53:54], v[51:52]
	v_add_f64 v[15:16], v[15:16], v[51:52]
	;; [unrolled: 1-line block ×4, first 2 shown]
	v_add_f64 v[53:54], v[51:52], -v[72:73]
	v_mul_f64 v[72:73], v[70:71], s[44:45]
	v_mul_f64 v[15:16], v[68:69], v[15:16]
	v_add_f64 v[53:54], v[74:75], -v[53:54]
	v_fma_f64 v[74:75], v[70:71], s[44:45], -v[72:73]
	v_add_f64 v[15:16], v[53:54], v[15:16]
	v_fma_f64 v[70:71], v[70:71], s[46:47], v[74:75]
	v_add_f64 v[53:54], v[51:52], v[15:16]
	v_add_f64 v[74:75], v[72:73], v[70:71]
	v_add_f64 v[51:52], v[53:54], -v[51:52]
	v_add_f64 v[72:73], v[74:75], -v[72:73]
	;; [unrolled: 1-line block ×3, first 2 shown]
	v_mul_f64 v[51:52], v[53:54], v[53:54]
	v_add_f64 v[70:71], v[70:71], -v[72:73]
	v_ldexp_f64 v[72:73], v[53:54], 1
	v_ldexp_f64 v[15:16], v[15:16], 1
	v_fma_f64 v[68:69], v[51:52], s[34:35], v[23:24]
	v_fma_f64 v[68:69], v[51:52], v[68:69], s[36:37]
	;; [unrolled: 1-line block ×6, first 2 shown]
	v_mul_f64 v[51:52], v[53:54], v[51:52]
	v_mul_f64 v[51:52], v[51:52], v[68:69]
	v_add_f64 v[53:54], v[72:73], v[51:52]
	v_add_f64 v[68:69], v[53:54], -v[72:73]
	v_add_f64 v[51:52], v[51:52], -v[68:69]
	v_add_f64 v[15:16], v[15:16], v[51:52]
	v_add_f64 v[51:52], v[53:54], v[15:16]
	v_add_f64 v[53:54], v[51:52], -v[53:54]
	v_add_f64 v[15:16], v[15:16], -v[53:54]
	v_add_f64 v[53:54], v[74:75], v[51:52]
	v_add_f64 v[68:69], v[53:54], -v[74:75]
	v_add_f64 v[72:73], v[53:54], -v[68:69]
	;; [unrolled: 1-line block ×3, first 2 shown]
	v_add_f64 v[68:69], v[70:71], v[15:16]
	v_add_f64 v[72:73], v[74:75], -v[72:73]
	v_add_f64 v[51:52], v[51:52], v[72:73]
	v_add_f64 v[72:73], v[68:69], -v[70:71]
	;; [unrolled: 2-line block ×3, first 2 shown]
	v_add_f64 v[15:16], v[15:16], -v[72:73]
	v_add_f64 v[68:69], v[53:54], v[51:52]
	v_add_f64 v[70:71], v[70:71], -v[74:75]
	v_add_f64 v[53:54], v[68:69], -v[53:54]
	v_add_f64 v[15:16], v[15:16], v[70:71]
	v_add_f64 v[51:52], v[51:52], -v[53:54]
	v_add_f64 v[15:16], v[15:16], v[51:52]
	v_add_f64 v[15:16], v[68:69], v[15:16]
	v_cndmask_b32_e32 v16, v57, v16, vcc
	v_cndmask_b32_e64 v16, v62, v16, s[14:15]
	v_cmp_nge_f64_e64 s[14:15], -1.0, v[49:50]
	s_and_b64 vcc, s[14:15], vcc
	v_cndmask_b32_e32 v15, 0, v15, vcc
	v_cmp_neq_f64_e32 vcc, -1.0, v[49:50]
	v_cndmask_b32_e32 v16, v61, v16, vcc
.LBB42_545:                             ;   in Loop: Header=BB42_417 Depth=1
	s_andn2_saveexec_b64 s[82:83], s[82:83]
	s_cbranch_execz .LBB42_551
; %bb.546:                              ;   in Loop: Header=BB42_417 Depth=1
	v_cmp_nlt_f64_e64 s[14:15], |v[17:18]|, 1.0
                                        ; implicit-def: $vgpr15_vgpr16
	s_and_saveexec_b64 s[84:85], s[14:15]
	s_xor_b64 s[84:85], exec, s[84:85]
	s_cbranch_execz .LBB42_548
; %bb.547:                              ;   in Loop: Header=BB42_417 Depth=1
	v_mul_f64 v[15:16], v[41:42], v[13:14]
	s_mov_b32 s14, 0
	s_brev_b32 s15, 8
	s_mov_b32 s31, s73
	v_cmp_gt_f64_e32 vcc, s[14:15], v[15:16]
	v_cndmask_b32_e32 v49, 0, v59, vcc
	v_ldexp_f64 v[15:16], v[15:16], v49
	v_rsq_f64_e32 v[49:50], v[15:16]
	v_mul_f64 v[51:52], v[15:16], v[49:50]
	v_mul_f64 v[49:50], v[49:50], 0.5
	v_fma_f64 v[53:54], -v[49:50], v[51:52], 0.5
	v_fma_f64 v[51:52], v[51:52], v[53:54], v[51:52]
	v_fma_f64 v[49:50], v[49:50], v[53:54], v[49:50]
	v_fma_f64 v[68:69], -v[51:52], v[51:52], v[15:16]
	v_fma_f64 v[51:52], v[68:69], v[49:50], v[51:52]
	v_fma_f64 v[53:54], -v[51:52], v[51:52], v[15:16]
	v_fma_f64 v[49:50], v[53:54], v[49:50], v[51:52]
	v_cndmask_b32_e32 v51, 0, v60, vcc
	v_cmp_class_f64_e32 vcc, v[15:16], v56
	v_ldexp_f64 v[49:50], v[49:50], v51
	v_cndmask_b32_e32 v16, v50, v16, vcc
	v_cndmask_b32_e32 v15, v49, v15, vcc
	v_add_f64 v[49:50], v[41:42], v[15:16]
	v_add_f64 v[15:16], v[49:50], 1.0
	v_cmp_ngt_f64_e64 s[14:15], -1.0, v[49:50]
	v_add_f64 v[51:52], v[15:16], -1.0
	v_frexp_exp_i32_f64_e32 v68, v[15:16]
	v_add_f64 v[53:54], v[51:52], -v[15:16]
	v_add_f64 v[51:52], v[49:50], -v[51:52]
	v_add_f64 v[53:54], v[53:54], 1.0
	v_add_f64 v[51:52], v[51:52], v[53:54]
	v_frexp_mant_f64_e32 v[53:54], v[15:16]
	v_cmp_gt_f64_e32 vcc, s[72:73], v[53:54]
	v_subbrev_co_u32_e32 v82, vcc, 0, v68, vcc
	v_sub_u32_e32 v53, 0, v82
	v_ldexp_f64 v[15:16], v[15:16], v53
	v_ldexp_f64 v[51:52], v[51:52], v53
	v_cmp_neq_f64_e32 vcc, s[70:71], v[49:50]
	v_add_f64 v[53:54], v[15:16], -1.0
	v_add_f64 v[68:69], v[53:54], 1.0
	v_add_f64 v[68:69], v[15:16], -v[68:69]
	v_add_f64 v[68:69], v[51:52], v[68:69]
	v_add_f64 v[70:71], v[53:54], v[68:69]
	v_add_f64 v[53:54], v[70:71], -v[53:54]
	v_add_f64 v[53:54], v[68:69], -v[53:54]
	v_add_f64 v[68:69], v[15:16], 1.0
	v_add_f64 v[72:73], v[68:69], -1.0
	v_add_f64 v[15:16], v[15:16], -v[72:73]
	v_add_f64 v[15:16], v[51:52], v[15:16]
	v_add_f64 v[51:52], v[68:69], v[15:16]
	v_add_f64 v[68:69], v[51:52], -v[68:69]
	v_add_f64 v[15:16], v[15:16], -v[68:69]
	v_rcp_f64_e32 v[68:69], v[51:52]
	v_fma_f64 v[72:73], -v[51:52], v[68:69], 1.0
	v_fma_f64 v[68:69], v[72:73], v[68:69], v[68:69]
	v_fma_f64 v[72:73], -v[51:52], v[68:69], 1.0
	v_fma_f64 v[68:69], v[72:73], v[68:69], v[68:69]
	v_mul_f64 v[72:73], v[70:71], v[68:69]
	v_mul_f64 v[74:75], v[51:52], v[72:73]
	v_fma_f64 v[76:77], v[72:73], v[51:52], -v[74:75]
	v_fma_f64 v[76:77], v[72:73], v[15:16], v[76:77]
	v_add_f64 v[78:79], v[74:75], v[76:77]
	v_add_f64 v[80:81], v[70:71], -v[78:79]
	v_add_f64 v[74:75], v[78:79], -v[74:75]
	;; [unrolled: 1-line block ×4, first 2 shown]
	v_add_f64 v[53:54], v[53:54], v[70:71]
	v_add_f64 v[70:71], v[74:75], -v[76:77]
	v_add_f64 v[53:54], v[70:71], v[53:54]
	v_add_f64 v[70:71], v[80:81], v[53:54]
	v_add_f64 v[74:75], v[80:81], -v[70:71]
	v_add_f64 v[53:54], v[53:54], v[74:75]
	v_mul_f64 v[74:75], v[68:69], v[70:71]
	v_mul_f64 v[76:77], v[51:52], v[74:75]
	v_fma_f64 v[51:52], v[74:75], v[51:52], -v[76:77]
	v_fma_f64 v[15:16], v[74:75], v[15:16], v[51:52]
	v_add_f64 v[51:52], v[76:77], v[15:16]
	v_add_f64 v[78:79], v[70:71], -v[51:52]
	v_add_f64 v[76:77], v[51:52], -v[76:77]
	;; [unrolled: 1-line block ×5, first 2 shown]
	v_cvt_f64_i32_e32 v[70:71], v82
	v_add_f64 v[51:52], v[53:54], v[51:52]
	v_add_f64 v[15:16], v[15:16], v[51:52]
	;; [unrolled: 1-line block ×4, first 2 shown]
	v_add_f64 v[53:54], v[51:52], -v[72:73]
	v_mul_f64 v[72:73], v[70:71], s[44:45]
	v_mul_f64 v[15:16], v[68:69], v[15:16]
	v_add_f64 v[53:54], v[74:75], -v[53:54]
	v_fma_f64 v[74:75], v[70:71], s[44:45], -v[72:73]
	v_add_f64 v[15:16], v[53:54], v[15:16]
	v_fma_f64 v[70:71], v[70:71], s[46:47], v[74:75]
	v_add_f64 v[53:54], v[51:52], v[15:16]
	v_add_f64 v[74:75], v[72:73], v[70:71]
	v_add_f64 v[51:52], v[53:54], -v[51:52]
	v_add_f64 v[72:73], v[74:75], -v[72:73]
	;; [unrolled: 1-line block ×3, first 2 shown]
	v_mul_f64 v[51:52], v[53:54], v[53:54]
	v_add_f64 v[70:71], v[70:71], -v[72:73]
	v_ldexp_f64 v[72:73], v[53:54], 1
	v_ldexp_f64 v[15:16], v[15:16], 1
	v_fma_f64 v[68:69], v[51:52], s[34:35], v[23:24]
	v_fma_f64 v[68:69], v[51:52], v[68:69], s[36:37]
	;; [unrolled: 1-line block ×6, first 2 shown]
	v_mul_f64 v[51:52], v[53:54], v[51:52]
	v_mul_f64 v[51:52], v[51:52], v[68:69]
	v_add_f64 v[53:54], v[72:73], v[51:52]
	v_add_f64 v[68:69], v[53:54], -v[72:73]
	v_add_f64 v[51:52], v[51:52], -v[68:69]
	v_add_f64 v[15:16], v[15:16], v[51:52]
	v_add_f64 v[51:52], v[53:54], v[15:16]
	v_add_f64 v[53:54], v[51:52], -v[53:54]
	v_add_f64 v[15:16], v[15:16], -v[53:54]
	v_add_f64 v[53:54], v[74:75], v[51:52]
	v_add_f64 v[68:69], v[53:54], -v[74:75]
	v_add_f64 v[72:73], v[53:54], -v[68:69]
	;; [unrolled: 1-line block ×3, first 2 shown]
	v_add_f64 v[68:69], v[70:71], v[15:16]
	v_add_f64 v[72:73], v[74:75], -v[72:73]
	v_add_f64 v[51:52], v[51:52], v[72:73]
	v_add_f64 v[72:73], v[68:69], -v[70:71]
	v_add_f64 v[51:52], v[68:69], v[51:52]
	v_add_f64 v[74:75], v[68:69], -v[72:73]
	v_add_f64 v[15:16], v[15:16], -v[72:73]
	v_add_f64 v[68:69], v[53:54], v[51:52]
	v_add_f64 v[70:71], v[70:71], -v[74:75]
	v_add_f64 v[53:54], v[68:69], -v[53:54]
	v_add_f64 v[15:16], v[15:16], v[70:71]
	v_add_f64 v[51:52], v[51:52], -v[53:54]
	v_add_f64 v[15:16], v[15:16], v[51:52]
	v_add_f64 v[15:16], v[68:69], v[15:16]
	v_cndmask_b32_e32 v16, v57, v16, vcc
	v_cndmask_b32_e64 v16, v62, v16, s[14:15]
	v_cmp_nge_f64_e64 s[14:15], -1.0, v[49:50]
	s_and_b64 vcc, s[14:15], vcc
	v_cndmask_b32_e32 v15, 0, v15, vcc
	v_cmp_neq_f64_e32 vcc, -1.0, v[49:50]
	v_cndmask_b32_e32 v16, v61, v16, vcc
.LBB42_548:                             ;   in Loop: Header=BB42_417 Depth=1
	s_andn2_saveexec_b64 s[14:15], s[84:85]
	s_cbranch_execz .LBB42_550
; %bb.549:                              ;   in Loop: Header=BB42_417 Depth=1
	v_add_f64 v[15:16], -|v[17:18]|, 1.0
	s_mov_b32 s84, 0
	s_brev_b32 s85, 8
	v_mul_f64 v[15:16], v[15:16], v[13:14]
	v_cmp_gt_f64_e32 vcc, s[84:85], v[15:16]
	v_cndmask_b32_e32 v49, 0, v59, vcc
	v_ldexp_f64 v[15:16], v[15:16], v49
	v_rsq_f64_e32 v[49:50], v[15:16]
	v_mul_f64 v[51:52], v[15:16], v[49:50]
	v_mul_f64 v[49:50], v[49:50], 0.5
	v_fma_f64 v[53:54], -v[49:50], v[51:52], 0.5
	v_fma_f64 v[51:52], v[51:52], v[53:54], v[51:52]
	v_fma_f64 v[49:50], v[49:50], v[53:54], v[49:50]
	v_fma_f64 v[53:54], -v[51:52], v[51:52], v[15:16]
	v_fma_f64 v[51:52], v[53:54], v[49:50], v[51:52]
	v_fma_f64 v[53:54], -v[51:52], v[51:52], v[15:16]
	v_fma_f64 v[49:50], v[53:54], v[49:50], v[51:52]
	v_cndmask_b32_e32 v51, 0, v60, vcc
	v_cmp_class_f64_e32 vcc, v[15:16], v56
	v_mov_b32_e32 v52, v48
	v_ldexp_f64 v[49:50], v[49:50], v51
	v_mov_b32_e32 v51, v19
	v_cndmask_b32_e32 v16, v50, v16, vcc
	v_cndmask_b32_e32 v15, v49, v15, vcc
	v_div_scale_f64 v[49:50], s[84:85], v[15:16], v[15:16], v[51:52]
	v_div_scale_f64 v[51:52], vcc, v[51:52], v[15:16], v[51:52]
	v_rcp_f64_e32 v[53:54], v[49:50]
	v_fma_f64 v[68:69], -v[49:50], v[53:54], 1.0
	v_fma_f64 v[53:54], v[53:54], v[68:69], v[53:54]
	v_fma_f64 v[68:69], -v[49:50], v[53:54], 1.0
	v_fma_f64 v[53:54], v[53:54], v[68:69], v[53:54]
	v_mul_f64 v[68:69], v[51:52], v[53:54]
	v_fma_f64 v[49:50], -v[49:50], v[68:69], v[51:52]
	v_div_fmas_f64 v[49:50], v[49:50], v[53:54], v[68:69]
	v_div_fixup_f64 v[15:16], v[49:50], v[15:16], |v[19:20]|
.LBB42_550:                             ;   in Loop: Header=BB42_417 Depth=1
	s_or_b64 exec, exec, s[14:15]
.LBB42_551:                             ;   in Loop: Header=BB42_417 Depth=1
	s_or_b64 exec, exec, s[82:83]
.LBB42_552:                             ;   in Loop: Header=BB42_417 Depth=1
	s_andn2_saveexec_b64 s[14:15], s[80:81]
	s_cbranch_execz .LBB42_554
; %bb.553:                              ;   in Loop: Header=BB42_417 Depth=1
	s_mov_b32 s80, 0
	s_brev_b32 s81, 8
	v_cmp_lt_f64_e64 vcc, |v[19:20]|, s[80:81]
	v_cndmask_b32_e32 v15, 0, v59, vcc
	v_ldexp_f64 v[15:16], |v[19:20]|, v15
	v_rsq_f64_e32 v[49:50], v[15:16]
	v_mul_f64 v[51:52], v[15:16], v[49:50]
	v_mul_f64 v[49:50], v[49:50], 0.5
	v_fma_f64 v[53:54], -v[49:50], v[51:52], 0.5
	v_fma_f64 v[51:52], v[51:52], v[53:54], v[51:52]
	v_fma_f64 v[49:50], v[49:50], v[53:54], v[49:50]
	v_fma_f64 v[53:54], -v[51:52], v[51:52], v[15:16]
	v_fma_f64 v[51:52], v[53:54], v[49:50], v[51:52]
	v_fma_f64 v[53:54], -v[51:52], v[51:52], v[15:16]
	v_fma_f64 v[49:50], v[53:54], v[49:50], v[51:52]
	v_cndmask_b32_e32 v51, 0, v60, vcc
	v_cmp_class_f64_e32 vcc, v[15:16], v56
	v_ldexp_f64 v[49:50], v[49:50], v51
	v_cndmask_b32_e32 v16, v50, v16, vcc
	v_cndmask_b32_e32 v15, v49, v15, vcc
.LBB42_554:                             ;   in Loop: Header=BB42_417 Depth=1
	s_or_b64 exec, exec, s[14:15]
.LBB42_555:                             ;   in Loop: Header=BB42_417 Depth=1
	s_or_b64 exec, exec, s[16:17]
	s_mov_b32 s14, 0
	s_mov_b32 s15, 0x20200000
	v_cmp_nlt_f64_e64 s[14:15], |v[17:18]|, s[14:15]
                                        ; implicit-def: $sgpr80_sgpr81
                                        ; implicit-def: $vgpr49_vgpr50
                                        ; implicit-def: $vgpr53_vgpr54
                                        ; implicit-def: $vgpr51_vgpr52
	s_and_saveexec_b64 s[16:17], s[14:15]
	s_xor_b64 s[14:15], exec, s[16:17]
	s_cbranch_execz .LBB42_579
; %bb.556:                              ;   in Loop: Header=BB42_417 Depth=1
	v_and_b32_e32 v52, 0x7fffffff, v18
	v_mov_b32_e32 v51, v17
	v_div_scale_f64 v[49:50], s[16:17], v[43:44], v[43:44], v[51:52]
	v_div_scale_f64 v[70:71], vcc, v[51:52], v[43:44], v[51:52]
	s_mov_b32 s16, 0x703afb7f
	s_mov_b32 s17, 0x3fe488ce
	s_mov_b64 s[80:81], 0
	v_rcp_f64_e32 v[53:54], v[49:50]
	v_fma_f64 v[68:69], -v[49:50], v[53:54], 1.0
	v_fma_f64 v[53:54], v[53:54], v[68:69], v[53:54]
	v_fma_f64 v[68:69], -v[49:50], v[53:54], 1.0
	v_fma_f64 v[53:54], v[53:54], v[68:69], v[53:54]
	v_mul_f64 v[68:69], v[70:71], v[53:54]
	v_fma_f64 v[49:50], -v[49:50], v[68:69], v[70:71]
	v_div_fmas_f64 v[49:50], v[49:50], v[53:54], v[68:69]
                                        ; implicit-def: $vgpr53_vgpr54
	v_div_fixup_f64 v[49:50], v[49:50], v[43:44], |v[17:18]|
	v_cmp_lt_f64_e32 vcc, s[16:17], v[49:50]
	s_and_saveexec_b64 s[16:17], vcc
	s_cbranch_execz .LBB42_578
; %bb.557:                              ;   in Loop: Header=BB42_417 Depth=1
	s_mov_b32 s82, 0
	s_mov_b32 s83, 0x3c400000
	v_cmp_neq_f64_e64 s[80:81], |v[17:18]|, 1.0
	v_cmp_nlt_f64_e64 s[82:83], |v[19:20]|, s[82:83]
                                        ; implicit-def: $vgpr53_vgpr54
	s_or_b64 s[80:81], s[82:83], s[80:81]
	s_and_saveexec_b64 s[82:83], s[80:81]
	s_xor_b64 s[80:81], exec, s[82:83]
	s_cbranch_execz .LBB42_575
; %bb.558:                              ;   in Loop: Header=BB42_417 Depth=1
	s_movk_i32 s31, 0xffcc
	v_ldexp_f64 v[53:54], |v[41:42]|, s31
	v_cmp_ge_f64_e64 s[82:83], |v[19:20]|, v[53:54]
                                        ; implicit-def: $vgpr53_vgpr54
	s_and_saveexec_b64 s[84:85], s[82:83]
	s_xor_b64 s[82:83], exec, s[84:85]
	s_cbranch_execz .LBB42_568
; %bb.559:                              ;   in Loop: Header=BB42_417 Depth=1
	v_cmp_neq_f64_e32 vcc, 0, v[13:14]
	v_mov_b32_e32 v54, v48
	v_mov_b32_e32 v53, v47
	s_and_saveexec_b64 s[84:85], vcc
	s_cbranch_execz .LBB42_561
; %bb.560:                              ;   in Loop: Header=BB42_417 Depth=1
	v_mul_f64 v[53:54], v[19:20], v[19:20]
	v_add_f64 v[13:14], v[13:14], v[39:40]
	v_div_scale_f64 v[39:40], s[86:87], v[13:14], v[13:14], v[53:54]
	v_div_scale_f64 v[72:73], vcc, v[53:54], v[13:14], v[53:54]
	v_rcp_f64_e32 v[68:69], v[39:40]
	v_fma_f64 v[70:71], -v[39:40], v[68:69], 1.0
	v_fma_f64 v[68:69], v[68:69], v[70:71], v[68:69]
	v_fma_f64 v[70:71], -v[39:40], v[68:69], 1.0
	v_fma_f64 v[68:69], v[68:69], v[70:71], v[68:69]
	v_mul_f64 v[70:71], v[72:73], v[68:69]
	v_fma_f64 v[39:40], -v[39:40], v[70:71], v[72:73]
	v_div_fmas_f64 v[39:40], v[39:40], v[68:69], v[70:71]
	v_div_fixup_f64 v[53:54], v[39:40], v[13:14], v[53:54]
.LBB42_561:                             ;   in Loop: Header=BB42_417 Depth=1
	s_or_b64 exec, exec, s[84:85]
	v_cmp_ngt_f64_e32 vcc, 0, v[41:42]
	s_and_saveexec_b64 s[84:85], vcc
	s_xor_b64 s[84:85], exec, s[84:85]
	s_cbranch_execz .LBB42_565
; %bb.562:                              ;   in Loop: Header=BB42_417 Depth=1
	v_cmp_neq_f64_e32 vcc, 0, v[41:42]
	s_and_saveexec_b64 s[86:87], vcc
	s_cbranch_execz .LBB42_564
; %bb.563:                              ;   in Loop: Header=BB42_417 Depth=1
	v_mul_f64 v[13:14], v[19:20], v[19:20]
	v_add_f64 v[19:20], v[41:42], v[45:46]
	v_div_scale_f64 v[39:40], vcc, v[19:20], v[19:20], v[13:14]
	v_div_scale_f64 v[47:48], vcc, v[13:14], v[19:20], v[13:14]
	v_rcp_f64_e32 v[41:42], v[39:40]
	v_fma_f64 v[45:46], -v[39:40], v[41:42], 1.0
	v_fma_f64 v[41:42], v[41:42], v[45:46], v[41:42]
	v_fma_f64 v[45:46], -v[39:40], v[41:42], 1.0
	v_fma_f64 v[41:42], v[41:42], v[45:46], v[41:42]
	v_mul_f64 v[45:46], v[47:48], v[41:42]
	v_fma_f64 v[39:40], -v[39:40], v[45:46], v[47:48]
	v_div_fmas_f64 v[39:40], v[39:40], v[41:42], v[45:46]
	v_div_fixup_f64 v[47:48], v[39:40], v[19:20], v[13:14]
.LBB42_564:                             ;   in Loop: Header=BB42_417 Depth=1
	s_or_b64 exec, exec, s[86:87]
                                        ; implicit-def: $vgpr45_vgpr46
                                        ; implicit-def: $vgpr41_vgpr42
.LBB42_565:                             ;   in Loop: Header=BB42_417 Depth=1
	s_andn2_saveexec_b64 s[84:85], s[84:85]
; %bb.566:                              ;   in Loop: Header=BB42_417 Depth=1
	v_add_f64 v[47:48], v[45:46], -v[41:42]
; %bb.567:                              ;   in Loop: Header=BB42_417 Depth=1
	s_or_b64 exec, exec, s[84:85]
	v_mul_f64 v[13:14], v[47:48], 0.5
	v_add_f64 v[19:20], |v[17:18]|, v[43:44]
	s_mov_b32 s84, 0
	s_brev_b32 s85, 8
	v_fma_f64 v[13:14], v[53:54], 0.5, v[13:14]
	v_mul_f64 v[13:14], v[19:20], v[13:14]
	v_cmp_gt_f64_e32 vcc, s[84:85], v[13:14]
	v_cndmask_b32_e32 v19, 0, v59, vcc
	v_ldexp_f64 v[13:14], v[13:14], v19
	v_rsq_f64_e32 v[19:20], v[13:14]
	v_mul_f64 v[39:40], v[13:14], v[19:20]
	v_mul_f64 v[19:20], v[19:20], 0.5
	v_fma_f64 v[41:42], -v[19:20], v[39:40], 0.5
	v_fma_f64 v[39:40], v[39:40], v[41:42], v[39:40]
	v_fma_f64 v[19:20], v[19:20], v[41:42], v[19:20]
	v_fma_f64 v[41:42], -v[39:40], v[39:40], v[13:14]
	v_fma_f64 v[39:40], v[41:42], v[19:20], v[39:40]
	v_fma_f64 v[41:42], -v[39:40], v[39:40], v[13:14]
	v_fma_f64 v[19:20], v[41:42], v[19:20], v[39:40]
	v_cndmask_b32_e32 v39, 0, v60, vcc
	v_cmp_class_f64_e32 vcc, v[13:14], v56
                                        ; implicit-def: $vgpr41_vgpr42
	v_ldexp_f64 v[19:20], v[19:20], v39
	v_cndmask_b32_e32 v54, v20, v14, vcc
	v_cndmask_b32_e32 v53, v19, v13, vcc
                                        ; implicit-def: $vgpr13_vgpr14
.LBB42_568:                             ;   in Loop: Header=BB42_417 Depth=1
	s_andn2_saveexec_b64 s[82:83], s[82:83]
	s_cbranch_execz .LBB42_574
; %bb.569:                              ;   in Loop: Header=BB42_417 Depth=1
	v_cmp_ngt_f64_e64 s[84:85], |v[17:18]|, 1.0
                                        ; implicit-def: $vgpr53_vgpr54
	s_and_saveexec_b64 s[86:87], s[84:85]
	s_xor_b64 s[84:85], exec, s[86:87]
	s_cbranch_execz .LBB42_571
; %bb.570:                              ;   in Loop: Header=BB42_417 Depth=1
	v_add_f64 v[19:20], -|v[17:18]|, 1.0
	s_mov_b32 s86, 0
	s_brev_b32 s87, 8
	v_mul_f64 v[13:14], v[19:20], v[13:14]
	v_cmp_gt_f64_e32 vcc, s[86:87], v[13:14]
	v_cndmask_b32_e32 v19, 0, v59, vcc
	v_ldexp_f64 v[13:14], v[13:14], v19
	v_rsq_f64_e32 v[19:20], v[13:14]
	v_mul_f64 v[39:40], v[13:14], v[19:20]
	v_mul_f64 v[19:20], v[19:20], 0.5
	v_fma_f64 v[41:42], -v[19:20], v[39:40], 0.5
	v_fma_f64 v[39:40], v[39:40], v[41:42], v[39:40]
	v_fma_f64 v[19:20], v[19:20], v[41:42], v[19:20]
	v_fma_f64 v[41:42], -v[39:40], v[39:40], v[13:14]
	v_fma_f64 v[39:40], v[41:42], v[19:20], v[39:40]
	v_fma_f64 v[41:42], -v[39:40], v[39:40], v[13:14]
	v_fma_f64 v[19:20], v[41:42], v[19:20], v[39:40]
	v_cndmask_b32_e32 v39, 0, v60, vcc
	v_cmp_class_f64_e32 vcc, v[13:14], v56
                                        ; implicit-def: $vgpr41_vgpr42
	v_ldexp_f64 v[19:20], v[19:20], v39
	v_cndmask_b32_e32 v54, v20, v14, vcc
	v_cndmask_b32_e32 v53, v19, v13, vcc
                                        ; implicit-def: $vgpr13_vgpr14
.LBB42_571:                             ;   in Loop: Header=BB42_417 Depth=1
	s_andn2_saveexec_b64 s[84:85], s[84:85]
	s_cbranch_execz .LBB42_573
; %bb.572:                              ;   in Loop: Header=BB42_417 Depth=1
	v_mul_f64 v[13:14], v[13:14], v[41:42]
	s_mov_b32 s86, 0
	s_brev_b32 s87, 8
	s_movk_i32 s31, 0x6a
	v_ldexp_f64 v[19:20], |v[19:20]|, s31
	v_ldexp_f64 v[51:52], |v[17:18]|, s31
	v_cmp_gt_f64_e32 vcc, s[86:87], v[13:14]
	v_mul_f64 v[19:20], |v[17:18]|, v[19:20]
	v_cndmask_b32_e32 v39, 0, v59, vcc
	v_ldexp_f64 v[13:14], v[13:14], v39
	v_rsq_f64_e32 v[39:40], v[13:14]
	v_mul_f64 v[41:42], v[13:14], v[39:40]
	v_mul_f64 v[39:40], v[39:40], 0.5
	v_fma_f64 v[43:44], -v[39:40], v[41:42], 0.5
	v_fma_f64 v[41:42], v[41:42], v[43:44], v[41:42]
	v_fma_f64 v[39:40], v[39:40], v[43:44], v[39:40]
	v_fma_f64 v[43:44], -v[41:42], v[41:42], v[13:14]
	v_fma_f64 v[41:42], v[43:44], v[39:40], v[41:42]
	v_fma_f64 v[43:44], -v[41:42], v[41:42], v[13:14]
	v_fma_f64 v[39:40], v[43:44], v[39:40], v[41:42]
	v_cndmask_b32_e32 v41, 0, v60, vcc
	v_cmp_class_f64_e32 vcc, v[13:14], v56
	v_ldexp_f64 v[39:40], v[39:40], v41
	v_cndmask_b32_e32 v14, v40, v14, vcc
	v_cndmask_b32_e32 v13, v39, v13, vcc
	v_div_scale_f64 v[39:40], s[86:87], v[13:14], v[13:14], v[19:20]
	v_rcp_f64_e32 v[41:42], v[39:40]
	v_fma_f64 v[43:44], -v[39:40], v[41:42], 1.0
	v_fma_f64 v[41:42], v[41:42], v[43:44], v[41:42]
	v_div_scale_f64 v[43:44], vcc, v[19:20], v[13:14], v[19:20]
	v_fma_f64 v[45:46], -v[39:40], v[41:42], 1.0
	v_fma_f64 v[41:42], v[41:42], v[45:46], v[41:42]
	v_mul_f64 v[45:46], v[43:44], v[41:42]
	v_fma_f64 v[39:40], -v[39:40], v[45:46], v[43:44]
	v_div_fmas_f64 v[39:40], v[39:40], v[41:42], v[45:46]
	v_div_fixup_f64 v[53:54], v[39:40], v[13:14], v[19:20]
.LBB42_573:                             ;   in Loop: Header=BB42_417 Depth=1
	s_or_b64 exec, exec, s[84:85]
.LBB42_574:                             ;   in Loop: Header=BB42_417 Depth=1
	s_or_b64 exec, exec, s[82:83]
	s_mov_b32 s86, 0x1409212f
	s_mov_b32 s87, 0x3e43988e
                                        ; implicit-def: $vgpr43_vgpr44
.LBB42_575:                             ;   in Loop: Header=BB42_417 Depth=1
	s_andn2_saveexec_b64 s[80:81], s[80:81]
	s_cbranch_execz .LBB42_577
; %bb.576:                              ;   in Loop: Header=BB42_417 Depth=1
	s_mov_b32 s82, 0
	s_brev_b32 s83, 8
	v_cmp_lt_f64_e64 vcc, |v[19:20]|, s[82:83]
	v_mov_b32_e32 v51, 0
	v_mov_b32_e32 v52, 0x3ff00000
	v_cndmask_b32_e32 v13, 0, v59, vcc
	v_ldexp_f64 v[13:14], |v[19:20]|, v13
	v_rsq_f64_e32 v[19:20], v[13:14]
	v_mul_f64 v[39:40], v[13:14], v[19:20]
	v_mul_f64 v[19:20], v[19:20], 0.5
	v_fma_f64 v[41:42], -v[19:20], v[39:40], 0.5
	v_fma_f64 v[39:40], v[39:40], v[41:42], v[39:40]
	v_fma_f64 v[19:20], v[19:20], v[41:42], v[19:20]
	v_fma_f64 v[45:46], -v[39:40], v[39:40], v[13:14]
	v_fma_f64 v[39:40], v[45:46], v[19:20], v[39:40]
	v_fma_f64 v[41:42], -v[39:40], v[39:40], v[13:14]
	v_fma_f64 v[19:20], v[41:42], v[19:20], v[39:40]
	v_cndmask_b32_e32 v39, 0, v60, vcc
	v_cmp_class_f64_e32 vcc, v[13:14], v56
	v_ldexp_f64 v[19:20], v[19:20], v39
	v_cndmask_b32_e32 v14, v20, v14, vcc
	v_cndmask_b32_e32 v13, v19, v13, vcc
	v_add_f64 v[19:20], v[43:44], 1.0
	v_mul_f64 v[19:20], v[19:20], 0.5
	v_cmp_gt_f64_e32 vcc, s[82:83], v[19:20]
	v_cndmask_b32_e32 v39, 0, v59, vcc
	v_ldexp_f64 v[19:20], v[19:20], v39
	v_rsq_f64_e32 v[39:40], v[19:20]
	v_mul_f64 v[41:42], v[19:20], v[39:40]
	v_mul_f64 v[39:40], v[39:40], 0.5
	v_fma_f64 v[43:44], -v[39:40], v[41:42], 0.5
	v_fma_f64 v[41:42], v[41:42], v[43:44], v[41:42]
	v_fma_f64 v[39:40], v[39:40], v[43:44], v[39:40]
	v_fma_f64 v[45:46], -v[41:42], v[41:42], v[19:20]
	v_fma_f64 v[41:42], v[45:46], v[39:40], v[41:42]
	v_fma_f64 v[43:44], -v[41:42], v[41:42], v[19:20]
	v_fma_f64 v[39:40], v[43:44], v[39:40], v[41:42]
	v_cndmask_b32_e32 v41, 0, v60, vcc
	v_cmp_class_f64_e32 vcc, v[19:20], v56
	v_ldexp_f64 v[39:40], v[39:40], v41
	v_cndmask_b32_e32 v20, v40, v20, vcc
	v_cndmask_b32_e32 v19, v39, v19, vcc
	v_mul_f64 v[53:54], v[13:14], v[19:20]
.LBB42_577:                             ;   in Loop: Header=BB42_417 Depth=1
	s_or_b64 exec, exec, s[80:81]
	s_mov_b64 s[80:81], exec
.LBB42_578:                             ;   in Loop: Header=BB42_417 Depth=1
	s_or_b64 exec, exec, s[16:17]
                                        ; implicit-def: $vgpr43_vgpr44
.LBB42_579:                             ;   in Loop: Header=BB42_417 Depth=1
	s_andn2_saveexec_b64 s[14:15], s[14:15]
	s_cbranch_execz .LBB42_581
; %bb.580:                              ;   in Loop: Header=BB42_417 Depth=1
	v_ldexp_f64 v[53:54], v[43:44], 53
	v_ldexp_f64 v[51:52], |v[17:18]|, 53
	s_or_b64 s[80:81], s[80:81], exec
                                        ; implicit-def: $vgpr49_vgpr50
.LBB42_581:                             ;   in Loop: Header=BB42_417 Depth=1
	s_or_b64 exec, exec, s[14:15]
	v_cmp_lt_i64_e32 vcc, -1, v[17:18]
	s_xor_b64 s[14:15], s[80:81], -1
	s_and_saveexec_b64 s[16:17], s[14:15]
	s_xor_b64 s[16:17], exec, s[16:17]
	s_cbranch_execz .LBB42_591
; %bb.582:                              ;   in Loop: Header=BB42_417 Depth=1
	s_and_saveexec_b64 s[14:15], vcc
	s_xor_b64 s[80:81], exec, s[14:15]
	s_cbranch_execz .LBB42_586
; %bb.583:                              ;   in Loop: Header=BB42_417 Depth=1
	v_fma_f64 v[19:20], |v[49:50]|, -0.5, 0.5
	v_mul_f64 v[13:14], v[49:50], v[49:50]
	v_cmp_ge_f64_e64 s[14:15], |v[49:50]|, 0.5
	s_mov_b32 s82, 0x9fea6a70
	s_mov_b32 s83, 0x3fa05985
	v_cndmask_b32_e64 v14, v14, v20, s[14:15]
	v_cndmask_b32_e64 v13, v13, v19, s[14:15]
	v_fma_f64 v[17:18], v[13:14], s[82:83], v[25:26]
	s_mov_b32 s82, 0x37024d6a
	s_mov_b32 s83, 0x3f940521
	v_fma_f64 v[17:18], v[13:14], v[17:18], s[82:83]
	s_mov_b32 s82, 0x98a70509
	s_mov_b32 s83, 0x3f7ab3a0
	;; [unrolled: 3-line block ×11, first 2 shown]
	v_mul_f64 v[17:18], v[13:14], v[17:18]
	v_fma_f64 v[13:14], v[49:50], v[17:18], v[49:50]
	v_fma_f64 v[13:14], s[82:83], v[27:28], -v[13:14]
	s_and_saveexec_b64 s[82:83], s[14:15]
	s_cbranch_execz .LBB42_585
; %bb.584:                              ;   in Loop: Header=BB42_417 Depth=1
	v_rsq_f64_e32 v[13:14], v[19:20]
	v_cmp_eq_f64_e64 s[14:15], 0, v[19:20]
	v_mul_f64 v[39:40], v[19:20], v[13:14]
	v_mul_f64 v[13:14], v[13:14], 0.5
	v_fma_f64 v[41:42], -v[13:14], v[39:40], 0.5
	v_fma_f64 v[39:40], v[39:40], v[41:42], v[39:40]
	v_fma_f64 v[13:14], v[13:14], v[41:42], v[13:14]
	v_fma_f64 v[41:42], -v[39:40], v[39:40], v[19:20]
	v_fma_f64 v[13:14], v[41:42], v[13:14], v[39:40]
	v_cndmask_b32_e64 v14, v14, v20, s[14:15]
	v_cndmask_b32_e64 v13, v13, v19, s[14:15]
	v_mul_f64 v[39:40], v[13:14], v[13:14]
	v_add_f64 v[43:44], v[19:20], -v[39:40]
	v_fma_f64 v[41:42], v[13:14], v[13:14], -v[39:40]
	v_add_f64 v[19:20], v[19:20], -v[43:44]
	v_add_f64 v[19:20], v[19:20], -v[39:40]
	v_add_f64 v[39:40], v[13:14], v[13:14]
	v_add_f64 v[19:20], v[19:20], -v[41:42]
	v_rcp_f64_e32 v[41:42], v[39:40]
	v_add_f64 v[19:20], v[43:44], v[19:20]
	v_fma_f64 v[43:44], -v[39:40], v[41:42], 1.0
	v_fma_f64 v[41:42], v[43:44], v[41:42], v[41:42]
	v_fma_f64 v[43:44], -v[39:40], v[41:42], 1.0
	v_fma_f64 v[41:42], v[43:44], v[41:42], v[41:42]
	v_mul_f64 v[43:44], v[19:20], v[41:42]
	v_fma_f64 v[19:20], -v[39:40], v[43:44], v[19:20]
	v_fma_f64 v[19:20], v[19:20], v[41:42], v[43:44]
	v_cndmask_b32_e64 v20, v20, 0, s[14:15]
	v_cndmask_b32_e64 v19, v19, 0, s[14:15]
	v_add_f64 v[39:40], v[13:14], v[19:20]
	v_cmp_neq_f64_e64 s[14:15], 1.0, v[49:50]
	v_add_f64 v[13:14], v[39:40], -v[13:14]
	v_add_f64 v[13:14], v[19:20], -v[13:14]
	v_fma_f64 v[13:14], v[39:40], v[17:18], v[13:14]
	v_add_f64 v[13:14], v[39:40], v[13:14]
	v_add_f64 v[13:14], v[13:14], v[13:14]
	v_cndmask_b32_e64 v14, 0, v14, s[14:15]
	v_cndmask_b32_e64 v13, 0, v13, s[14:15]
.LBB42_585:                             ;   in Loop: Header=BB42_417 Depth=1
	s_or_b64 exec, exec, s[82:83]
                                        ; implicit-def: $vgpr49_vgpr50
.LBB42_586:                             ;   in Loop: Header=BB42_417 Depth=1
	s_andn2_saveexec_b64 s[80:81], s[80:81]
	s_cbranch_execz .LBB42_590
; %bb.587:                              ;   in Loop: Header=BB42_417 Depth=1
	v_fma_f64 v[19:20], |v[49:50]|, -0.5, 0.5
	v_mul_f64 v[13:14], v[49:50], v[49:50]
	v_cmp_ge_f64_e64 s[14:15], |v[49:50]|, 0.5
	s_mov_b32 s82, 0x9fea6a70
	s_mov_b32 s83, 0x3fa05985
	v_cndmask_b32_e64 v14, v14, v20, s[14:15]
	v_cndmask_b32_e64 v13, v13, v19, s[14:15]
	v_fma_f64 v[17:18], v[13:14], s[82:83], v[25:26]
	s_mov_b32 s82, 0x37024d6a
	s_mov_b32 s83, 0x3f940521
	v_fma_f64 v[17:18], v[13:14], v[17:18], s[82:83]
	s_mov_b32 s82, 0x98a70509
	s_mov_b32 s83, 0x3f7ab3a0
	;; [unrolled: 3-line block ×11, first 2 shown]
	v_mul_f64 v[17:18], v[13:14], v[17:18]
	v_fma_f64 v[13:14], -v[49:50], v[17:18], -v[49:50]
	v_fma_f64 v[13:14], s[82:83], v[27:28], -v[13:14]
	s_and_saveexec_b64 s[82:83], s[14:15]
	s_cbranch_execz .LBB42_589
; %bb.588:                              ;   in Loop: Header=BB42_417 Depth=1
	v_rsq_f64_e32 v[13:14], v[19:20]
	v_cmp_eq_f64_e64 s[14:15], 0, v[19:20]
	v_readlane_b32 s84, v83, 0
	v_readlane_b32 s85, v83, 1
	s_mov_b32 s31, s85
	v_writelane_b32 v83, s30, 0
	v_writelane_b32 v83, s31, 1
	v_mul_f64 v[39:40], v[19:20], v[13:14]
	v_mul_f64 v[13:14], v[13:14], 0.5
	v_fma_f64 v[41:42], -v[13:14], v[39:40], 0.5
	v_fma_f64 v[39:40], v[39:40], v[41:42], v[39:40]
	v_fma_f64 v[13:14], v[13:14], v[41:42], v[13:14]
	v_fma_f64 v[41:42], -v[39:40], v[39:40], v[19:20]
	v_fma_f64 v[13:14], v[41:42], v[13:14], v[39:40]
	v_cndmask_b32_e64 v14, v14, v20, s[14:15]
	v_cndmask_b32_e64 v13, v13, v19, s[14:15]
	v_mul_f64 v[39:40], v[13:14], v[13:14]
	v_add_f64 v[43:44], v[19:20], -v[39:40]
	v_fma_f64 v[41:42], v[13:14], v[13:14], -v[39:40]
	v_add_f64 v[19:20], v[19:20], -v[43:44]
	v_add_f64 v[19:20], v[19:20], -v[39:40]
	v_add_f64 v[39:40], v[13:14], v[13:14]
	v_add_f64 v[19:20], v[19:20], -v[41:42]
	v_rcp_f64_e32 v[41:42], v[39:40]
	v_add_f64 v[19:20], v[43:44], v[19:20]
	v_fma_f64 v[43:44], -v[39:40], v[41:42], 1.0
	v_fma_f64 v[41:42], v[43:44], v[41:42], v[41:42]
	v_fma_f64 v[43:44], -v[39:40], v[41:42], 1.0
	v_fma_f64 v[41:42], v[43:44], v[41:42], v[41:42]
	v_mul_f64 v[43:44], v[19:20], v[41:42]
	v_fma_f64 v[19:20], -v[39:40], v[43:44], v[19:20]
	v_fma_f64 v[19:20], v[19:20], v[41:42], v[43:44]
	v_cndmask_b32_e64 v20, v20, 0, s[14:15]
	v_cndmask_b32_e64 v19, v19, 0, s[14:15]
	v_add_f64 v[39:40], v[13:14], v[19:20]
	s_mov_b32 s14, 0x336a0500
	s_mov_b32 s15, 0x3fedd9ad
	;; [unrolled: 1-line block ×3, first 2 shown]
	v_add_f64 v[13:14], v[39:40], -v[13:14]
	v_add_f64 v[13:14], v[19:20], -v[13:14]
	v_fma_f64 v[19:20], v[39:40], v[17:18], v[39:40]
	v_fma_f64 v[13:14], v[39:40], v[17:18], v[13:14]
	v_mul_f64 v[19:20], v[19:20], -2.0
	v_add_f64 v[13:14], v[39:40], v[13:14]
	v_fma_f64 v[19:20], s[14:15], v[27:28], v[19:20]
	v_cmp_lt_f64_e64 s[14:15], 0, v[49:50]
	v_add_f64 v[13:14], v[13:14], v[13:14]
	v_cndmask_b32_e64 v13, v13, v19, s[14:15]
	v_cndmask_b32_e64 v14, v14, v20, s[14:15]
	v_cmp_neq_f64_e64 s[14:15], 1.0, v[49:50]
	v_cndmask_b32_e64 v14, v63, v14, s[14:15]
	v_cndmask_b32_e64 v13, v64, v13, s[14:15]
.LBB42_589:                             ;   in Loop: Header=BB42_417 Depth=1
	s_or_b64 exec, exec, s[82:83]
.LBB42_590:                             ;   in Loop: Header=BB42_417 Depth=1
	s_or_b64 exec, exec, s[80:81]
                                        ; implicit-def: $vgpr51_vgpr52
                                        ; implicit-def: $vgpr53_vgpr54
.LBB42_591:                             ;   in Loop: Header=BB42_417 Depth=1
	s_andn2_saveexec_b64 s[80:81], s[16:17]
	s_cbranch_execz .LBB42_597
; %bb.592:                              ;   in Loop: Header=BB42_417 Depth=1
	s_and_saveexec_b64 s[14:15], vcc
	s_xor_b64 s[82:83], exec, s[14:15]
	s_cbranch_execz .LBB42_594
; %bb.593:                              ;   in Loop: Header=BB42_417 Depth=1
	v_max_f64 v[13:14], |v[53:54]|, |v[53:54]|
	v_max_f64 v[17:18], v[51:52], v[51:52]
	s_mov_b32 s60, s28
	v_cmp_class_f64_e64 s[84:85], v[53:54], s95
	v_cmp_eq_f64_e64 s[16:17], s[70:71], v[51:52]
	v_max_f64 v[19:20], v[17:18], v[13:14]
	v_min_f64 v[13:14], v[17:18], v[13:14]
	v_div_scale_f64 v[17:18], s[14:15], v[19:20], v[19:20], v[13:14]
	s_mov_b32 s14, 0xb5e68a13
	s_mov_b32 s15, 0x3eeba404
	v_rcp_f64_e32 v[39:40], v[17:18]
	v_fma_f64 v[41:42], -v[17:18], v[39:40], 1.0
	v_fma_f64 v[39:40], v[39:40], v[41:42], v[39:40]
	v_div_scale_f64 v[41:42], vcc, v[13:14], v[19:20], v[13:14]
	v_fma_f64 v[43:44], -v[17:18], v[39:40], 1.0
	v_fma_f64 v[39:40], v[39:40], v[43:44], v[39:40]
	v_mul_f64 v[43:44], v[41:42], v[39:40]
	v_fma_f64 v[17:18], -v[17:18], v[43:44], v[41:42]
	v_div_fmas_f64 v[17:18], v[17:18], v[39:40], v[43:44]
	v_cmp_lt_f64_e64 vcc, v[51:52], |v[53:54]|
	v_div_fixup_f64 v[13:14], v[17:18], v[19:20], v[13:14]
	v_mul_f64 v[17:18], v[13:14], v[13:14]
	v_fma_f64 v[19:20], v[17:18], s[14:15], v[29:30]
	s_mov_b32 s14, 0x69efb384
	s_mov_b32 s15, 0x3f4b2bb0
	v_fma_f64 v[19:20], v[17:18], v[19:20], s[14:15]
	s_mov_b32 s14, 0xaf56de9b
	s_mov_b32 s15, 0xbf67952d
	;; [unrolled: 3-line block ×10, first 2 shown]
	v_fma_f64 v[19:20], v[17:18], v[19:20], s[14:15]
	v_cmp_eq_f64_e64 s[14:15], 0, v[53:54]
	v_fma_f64 v[19:20], v[17:18], v[19:20], s[96:97]
	v_fma_f64 v[19:20], v[17:18], v[19:20], s[98:99]
	;; [unrolled: 1-line block ×8, first 2 shown]
	v_mul_f64 v[17:18], v[17:18], v[19:20]
	v_ashrrev_i32_e32 v20, 31, v52
	v_and_b32_e32 v39, 0x54442d18, v20
	v_and_b32_e32 v20, 0x400921fb, v20
	v_fma_f64 v[13:14], v[13:14], v[17:18], v[13:14]
	v_add_f64 v[17:18], -v[13:14], s[28:29]
	v_cndmask_b32_e32 v14, v14, v18, vcc
	v_cndmask_b32_e32 v13, v13, v17, vcc
	v_add_f64 v[17:18], -v[13:14], s[60:61]
	v_cmp_gt_i32_e32 vcc, 0, v52
	v_cndmask_b32_e32 v19, v64, v65, vcc
                                        ; implicit-def: $vgpr51_vgpr52
	v_cndmask_b32_e32 v13, v13, v17, vcc
	v_cndmask_b32_e32 v14, v14, v18, vcc
	v_cndmask_b32_e32 v17, v66, v67, vcc
	v_cndmask_b32_e64 v13, v13, v39, s[14:15]
	v_cndmask_b32_e64 v14, v14, v20, s[14:15]
	s_and_b64 vcc, s[16:17], s[84:85]
	v_cndmask_b32_e32 v14, v14, v17, vcc
	v_cndmask_b32_e32 v13, v13, v19, vcc
	v_cmp_o_f64_e32 vcc, v[53:54], v[53:54]
	v_cndmask_b32_e32 v14, v62, v14, vcc
	v_cndmask_b32_e32 v13, 0, v13, vcc
	v_bfi_b32 v14, s94, v14, v54
                                        ; implicit-def: $vgpr53_vgpr54
.LBB42_594:                             ;   in Loop: Header=BB42_417 Depth=1
	s_andn2_saveexec_b64 s[82:83], s[82:83]
	s_cbranch_execz .LBB42_596
; %bb.595:                              ;   in Loop: Header=BB42_417 Depth=1
	v_max_f64 v[13:14], |v[53:54]|, |v[53:54]|
	v_max_f64 v[17:18], v[51:52], v[51:52]
	s_mov_b32 s60, s28
	v_cmp_class_f64_e64 s[84:85], v[53:54], s95
	v_cmp_eq_f64_e64 s[16:17], s[70:71], v[51:52]
	v_max_f64 v[19:20], v[17:18], v[13:14]
	v_min_f64 v[13:14], v[17:18], v[13:14]
	v_div_scale_f64 v[17:18], s[14:15], v[19:20], v[19:20], v[13:14]
	s_mov_b32 s14, 0xb5e68a13
	s_mov_b32 s15, 0x3eeba404
	v_rcp_f64_e32 v[39:40], v[17:18]
	v_fma_f64 v[41:42], -v[17:18], v[39:40], 1.0
	v_fma_f64 v[39:40], v[39:40], v[41:42], v[39:40]
	v_div_scale_f64 v[41:42], vcc, v[13:14], v[19:20], v[13:14]
	v_fma_f64 v[43:44], -v[17:18], v[39:40], 1.0
	v_fma_f64 v[39:40], v[39:40], v[43:44], v[39:40]
	v_mul_f64 v[43:44], v[41:42], v[39:40]
	v_fma_f64 v[17:18], -v[17:18], v[43:44], v[41:42]
	v_div_fmas_f64 v[17:18], v[17:18], v[39:40], v[43:44]
	v_cmp_lt_f64_e64 vcc, v[51:52], |v[53:54]|
	v_div_fixup_f64 v[13:14], v[17:18], v[19:20], v[13:14]
	v_mul_f64 v[17:18], v[13:14], v[13:14]
	v_fma_f64 v[19:20], v[17:18], s[14:15], v[29:30]
	s_mov_b32 s14, 0x69efb384
	s_mov_b32 s15, 0x3f4b2bb0
	v_fma_f64 v[19:20], v[17:18], v[19:20], s[14:15]
	s_mov_b32 s14, 0xaf56de9b
	s_mov_b32 s15, 0xbf67952d
	;; [unrolled: 3-line block ×10, first 2 shown]
	v_fma_f64 v[19:20], v[17:18], v[19:20], s[14:15]
	v_cmp_eq_f64_e64 s[14:15], 0, v[53:54]
	v_fma_f64 v[19:20], v[17:18], v[19:20], s[96:97]
	v_fma_f64 v[19:20], v[17:18], v[19:20], s[98:99]
	;; [unrolled: 1-line block ×8, first 2 shown]
	v_mul_f64 v[17:18], v[17:18], v[19:20]
	v_xor_b32_e32 v19, 0x80000000, v52
	v_fma_f64 v[13:14], v[13:14], v[17:18], v[13:14]
	v_add_f64 v[17:18], -v[13:14], s[28:29]
	v_cndmask_b32_e32 v14, v14, v18, vcc
	v_cndmask_b32_e32 v13, v13, v17, vcc
	v_add_f64 v[17:18], -v[13:14], s[60:61]
	v_cmp_gt_i32_e32 vcc, 0, v19
	v_ashrrev_i32_e32 v19, 31, v19
	v_and_b32_e32 v39, 0x54442d18, v19
	v_and_b32_e32 v19, 0x400921fb, v19
	v_cndmask_b32_e32 v20, v64, v65, vcc
	v_cndmask_b32_e32 v13, v13, v17, vcc
	;; [unrolled: 1-line block ×4, first 2 shown]
	v_cndmask_b32_e64 v13, v13, v39, s[14:15]
	v_cndmask_b32_e64 v14, v14, v19, s[14:15]
	s_and_b64 vcc, s[16:17], s[84:85]
	v_cndmask_b32_e32 v14, v14, v17, vcc
	v_cndmask_b32_e32 v13, v13, v20, vcc
	v_cmp_o_f64_e32 vcc, v[53:54], v[53:54]
	v_cndmask_b32_e32 v14, v62, v14, vcc
	v_cndmask_b32_e32 v13, 0, v13, vcc
	v_bfi_b32 v14, s94, v14, v54
.LBB42_596:                             ;   in Loop: Header=BB42_417 Depth=1
	s_or_b64 exec, exec, s[82:83]
.LBB42_597:                             ;   in Loop: Header=BB42_417 Depth=1
	s_or_b64 exec, exec, s[80:81]
	v_xor_b32_e32 v17, 0x80000000, v16
	v_cndmask_b32_e64 v16, v17, v16, s[12:13]
                                        ; implicit-def: $vgpr17_vgpr18
.LBB42_598:                             ;   in Loop: Header=BB42_417 Depth=1
	s_andn2_saveexec_b64 s[14:15], s[78:79]
	s_cbranch_execz .LBB42_600
; %bb.599:                              ;   in Loop: Header=BB42_417 Depth=1
	s_waitcnt lgkmcnt(0)
	v_mov_b32_e32 v13, s18
	v_mov_b32_e32 v14, s19
	flat_load_dwordx2 v[13:14], v[13:14] glc
	s_waitcnt vmcnt(0) lgkmcnt(0)
	v_add_f64 v[13:14], v[13:14], -v[17:18]
	v_add_f64 v[13:14], v[13:14], s[28:29]
.LBB42_600:                             ;   in Loop: Header=BB42_417 Depth=1
	s_or_b64 exec, exec, s[14:15]
.LBB42_601:                             ;   in Loop: Header=BB42_417 Depth=1
	s_andn2_saveexec_b64 s[14:15], s[76:77]
	s_cbranch_execz .LBB42_603
; %bb.602:                              ;   in Loop: Header=BB42_417 Depth=1
	s_waitcnt lgkmcnt(0)
	v_mov_b32_e32 v13, 0
	v_mov_b32_e32 v14, 0
.LBB42_603:                             ;   in Loop: Header=BB42_417 Depth=1
	s_or_b64 exec, exec, s[14:15]
                                        ; implicit-def: $vgpr17_vgpr18
                                        ; implicit-def: $vgpr41_vgpr42
                                        ; implicit-def: $vgpr43_vgpr44
                                        ; implicit-def: $vgpr39_vgpr40
.LBB42_604:                             ;   in Loop: Header=BB42_417 Depth=1
	s_andn2_saveexec_b64 s[74:75], s[74:75]
	s_cbranch_execz .LBB42_614
; %bb.605:                              ;   in Loop: Header=BB42_417 Depth=1
	v_cmp_lt_f64_e64 s[14:15], |v[17:18]|, |v[19:20]|
	v_and_b32_e32 v47, 0x7fffffff, v18
	v_and_b32_e32 v48, 0x7fffffff, v20
	s_mov_b32 s16, -1
	s_mov_b32 s17, 0x7fdfffff
                                        ; implicit-def: $vgpr13_vgpr14
                                        ; implicit-def: $vgpr15_vgpr16
	v_cndmask_b32_e64 v46, v47, v48, s[14:15]
	v_cndmask_b32_e64 v45, v17, v19, s[14:15]
	v_cmp_nlt_f64_e32 vcc, s[16:17], v[45:46]
                                        ; implicit-def: $sgpr16_sgpr17
	s_and_saveexec_b64 s[76:77], vcc
	s_xor_b64 s[76:77], exec, s[76:77]
	s_cbranch_execz .LBB42_611
; %bb.606:                              ;   in Loop: Header=BB42_417 Depth=1
	s_mov_b32 s16, 0
	s_mov_b32 s17, 0x20200000
	v_cmp_nlt_f64_e32 vcc, s[16:17], v[45:46]
	s_mov_b32 s16, 0
	v_cndmask_b32_e64 v48, v48, v47, s[14:15]
	v_cndmask_b32_e64 v47, v19, v17, s[14:15]
	s_brev_b32 s17, 4
	v_cmp_ngt_f64_e64 s[16:17], s[16:17], v[47:48]
                                        ; implicit-def: $vgpr13_vgpr14
                                        ; implicit-def: $vgpr15_vgpr16
	s_and_b64 s[78:79], vcc, s[16:17]
                                        ; implicit-def: $sgpr16_sgpr17
	s_and_saveexec_b64 s[80:81], s[78:79]
	s_xor_b64 s[78:79], exec, s[80:81]
	s_cbranch_execz .LBB42_608
; %bb.607:                              ;   in Loop: Header=BB42_417 Depth=1
	s_waitcnt lgkmcnt(0)
	v_mul_f64 v[13:14], v[47:48], v[47:48]
	s_mov_b32 s31, s73
	v_cmp_class_f64_e64 s[80:81], v[17:18], s95
	v_fma_f64 v[13:14], v[45:46], v[45:46], v[13:14]
	v_frexp_mant_f64_e32 v[15:16], v[13:14]
	v_frexp_exp_i32_f64_e32 v45, v[13:14]
	v_cmp_gt_f64_e32 vcc, s[72:73], v[15:16]
	v_cndmask_b32_e64 v46, 0, 1, vcc
	v_ldexp_f64 v[15:16], v[15:16], v46
	v_subbrev_co_u32_e32 v70, vcc, 0, v45, vcc
	v_cmp_class_f64_e64 vcc, v[13:14], s95
	v_add_f64 v[47:48], v[15:16], 1.0
	v_add_f64 v[45:46], v[15:16], -1.0
	v_add_f64 v[49:50], v[47:48], -1.0
	v_add_f64 v[15:16], v[15:16], -v[49:50]
	v_rcp_f64_e32 v[49:50], v[47:48]
	v_fma_f64 v[51:52], -v[47:48], v[49:50], 1.0
	v_fma_f64 v[49:50], v[51:52], v[49:50], v[49:50]
	v_fma_f64 v[51:52], -v[47:48], v[49:50], 1.0
	v_fma_f64 v[49:50], v[51:52], v[49:50], v[49:50]
	v_mul_f64 v[51:52], v[45:46], v[49:50]
	v_mul_f64 v[53:54], v[47:48], v[51:52]
	v_fma_f64 v[47:48], v[51:52], v[47:48], -v[53:54]
	v_fma_f64 v[15:16], v[51:52], v[15:16], v[47:48]
	v_add_f64 v[47:48], v[53:54], v[15:16]
	v_add_f64 v[68:69], v[45:46], -v[47:48]
	v_add_f64 v[53:54], v[47:48], -v[53:54]
	;; [unrolled: 1-line block ×5, first 2 shown]
	v_add_f64 v[15:16], v[15:16], v[45:46]
	v_add_f64 v[15:16], v[68:69], v[15:16]
	v_mul_f64 v[15:16], v[49:50], v[15:16]
	v_add_f64 v[45:46], v[51:52], v[15:16]
	v_add_f64 v[47:48], v[45:46], -v[51:52]
	v_ldexp_f64 v[51:52], v[45:46], 1
	v_add_f64 v[15:16], v[15:16], -v[47:48]
	v_mul_f64 v[47:48], v[45:46], v[45:46]
	v_ldexp_f64 v[15:16], v[15:16], 1
	v_fma_f64 v[49:50], v[47:48], s[34:35], v[23:24]
	v_mul_f64 v[45:46], v[45:46], v[47:48]
	v_fma_f64 v[49:50], v[47:48], v[49:50], s[36:37]
	v_fma_f64 v[49:50], v[47:48], v[49:50], s[38:39]
	;; [unrolled: 1-line block ×5, first 2 shown]
	v_mul_f64 v[45:46], v[45:46], v[49:50]
	v_add_f64 v[47:48], v[51:52], v[45:46]
	v_add_f64 v[49:50], v[47:48], -v[51:52]
	v_add_f64 v[45:46], v[45:46], -v[49:50]
	v_add_f64 v[15:16], v[15:16], v[45:46]
	v_add_f64 v[45:46], v[47:48], v[15:16]
	v_add_f64 v[47:48], v[45:46], -v[47:48]
	v_add_f64 v[15:16], v[15:16], -v[47:48]
	v_cvt_f64_i32_e32 v[47:48], v70
	v_mul_f64 v[49:50], v[47:48], s[44:45]
	v_fma_f64 v[51:52], v[47:48], s[44:45], -v[49:50]
	v_fma_f64 v[47:48], v[47:48], s[46:47], v[51:52]
	v_add_f64 v[51:52], v[49:50], v[47:48]
	v_add_f64 v[49:50], v[51:52], -v[49:50]
	v_add_f64 v[47:48], v[47:48], -v[49:50]
	v_add_f64 v[49:50], v[51:52], v[45:46]
	v_add_f64 v[53:54], v[49:50], -v[51:52]
	v_add_f64 v[68:69], v[49:50], -v[53:54]
	;; [unrolled: 1-line block ×4, first 2 shown]
	v_add_f64 v[45:46], v[45:46], v[51:52]
	v_add_f64 v[51:52], v[47:48], v[15:16]
	v_add_f64 v[53:54], v[51:52], -v[47:48]
	v_add_f64 v[45:46], v[51:52], v[45:46]
	v_add_f64 v[68:69], v[51:52], -v[53:54]
	v_add_f64 v[15:16], v[15:16], -v[53:54]
	;; [unrolled: 1-line block ×3, first 2 shown]
	v_add_f64 v[15:16], v[15:16], v[47:48]
	v_add_f64 v[47:48], v[49:50], v[45:46]
	v_add_f64 v[49:50], v[47:48], -v[49:50]
	v_add_f64 v[45:46], v[45:46], -v[49:50]
	v_add_f64 v[15:16], v[15:16], v[45:46]
	v_add_f64 v[15:16], v[47:48], v[15:16]
	v_cndmask_b32_e32 v16, v16, v14, vcc
	v_cndmask_b32_e32 v15, v15, v13, vcc
	v_mul_f64 v[15:16], v[15:16], 0.5
	v_cmp_neq_f64_e32 vcc, 0, v[13:14]
	v_cndmask_b32_e32 v14, v61, v16, vcc
	v_cndmask_b32_e32 v13, 0, v15, vcc
	v_min_f64 v[15:16], v[41:42], v[43:44]
	v_div_scale_f64 v[41:42], s[16:17], v[39:40], v[39:40], v[15:16]
	s_mov_b32 s16, 0xb5e68a13
	s_mov_b32 s17, 0x3eeba404
	v_rcp_f64_e32 v[43:44], v[41:42]
	v_fma_f64 v[45:46], -v[41:42], v[43:44], 1.0
	v_fma_f64 v[43:44], v[43:44], v[45:46], v[43:44]
	v_fma_f64 v[45:46], -v[41:42], v[43:44], 1.0
	v_fma_f64 v[43:44], v[43:44], v[45:46], v[43:44]
	v_div_scale_f64 v[45:46], vcc, v[15:16], v[39:40], v[15:16]
	v_mul_f64 v[47:48], v[45:46], v[43:44]
	v_fma_f64 v[41:42], -v[41:42], v[47:48], v[45:46]
	s_nop 1
	v_div_fmas_f64 v[41:42], v[41:42], v[43:44], v[47:48]
                                        ; implicit-def: $vgpr43_vgpr44
	v_div_fixup_f64 v[15:16], v[41:42], v[39:40], v[15:16]
	v_mul_f64 v[39:40], v[15:16], v[15:16]
	v_fma_f64 v[41:42], v[39:40], s[16:17], v[29:30]
	s_mov_b32 s16, 0x69efb384
	s_mov_b32 s17, 0x3f4b2bb0
	v_fma_f64 v[41:42], v[39:40], v[41:42], s[16:17]
	s_mov_b32 s16, 0xaf56de9b
	s_mov_b32 s17, 0xbf67952d
	;; [unrolled: 3-line block ×10, first 2 shown]
	v_fma_f64 v[41:42], v[39:40], v[41:42], s[16:17]
	v_cmp_class_f64_e64 s[16:17], v[19:20], s95
	v_fma_f64 v[41:42], v[39:40], v[41:42], s[96:97]
	s_and_b64 s[16:17], s[16:17], s[80:81]
	v_fma_f64 v[41:42], v[39:40], v[41:42], s[98:99]
	v_fma_f64 v[41:42], v[39:40], v[41:42], s[48:49]
	;; [unrolled: 1-line block ×7, first 2 shown]
	v_mul_f64 v[39:40], v[39:40], v[41:42]
                                        ; implicit-def: $vgpr41_vgpr42
	v_fma_f64 v[15:16], v[15:16], v[39:40], v[15:16]
                                        ; implicit-def: $vgpr39_vgpr40
.LBB42_608:                             ;   in Loop: Header=BB42_417 Depth=1
	s_andn2_saveexec_b64 s[78:79], s[78:79]
	s_cbranch_execz .LBB42_610
; %bb.609:                              ;   in Loop: Header=BB42_417 Depth=1
	v_frexp_exp_i32_f64_e32 v49, v[39:40]
	v_cmp_class_f64_e64 s[80:81], v[17:18], s95
	v_cmp_class_f64_e64 s[82:83], v[19:20], s95
	s_mov_b32 s31, s73
	s_andn2_b64 s[16:17], s[16:17], exec
	v_sub_u32_e32 v15, 0, v49
	s_waitcnt lgkmcnt(0)
	v_ldexp_f64 v[13:14], |v[17:18]|, v15
	v_ldexp_f64 v[15:16], |v[19:20]|, v15
	v_mul_f64 v[15:16], v[15:16], v[15:16]
	v_fma_f64 v[13:14], v[13:14], v[13:14], v[15:16]
	v_rsq_f64_e32 v[15:16], v[13:14]
	v_cmp_eq_f64_e32 vcc, 0, v[13:14]
	v_mul_f64 v[45:46], v[13:14], v[15:16]
	v_mul_f64 v[15:16], v[15:16], 0.5
	v_fma_f64 v[47:48], -v[15:16], v[45:46], 0.5
	v_fma_f64 v[45:46], v[45:46], v[47:48], v[45:46]
	v_fma_f64 v[15:16], v[15:16], v[47:48], v[15:16]
	v_fma_f64 v[47:48], -v[45:46], v[45:46], v[13:14]
	v_fma_f64 v[15:16], v[47:48], v[15:16], v[45:46]
	v_cndmask_b32_e32 v14, v16, v14, vcc
	v_cndmask_b32_e32 v13, v15, v13, vcc
	v_ldexp_f64 v[13:14], v[13:14], v49
	s_or_b64 vcc, s[82:83], s[80:81]
	s_and_b64 s[80:81], s[82:83], s[80:81]
	s_and_b64 s[80:81], s[80:81], exec
	s_or_b64 s[16:17], s[16:17], s[80:81]
	v_cndmask_b32_e32 v15, v14, v57, vcc
	v_cndmask_b32_e64 v14, v13, 0, vcc
	v_frexp_mant_f64_e32 v[45:46], v[14:15]
	v_frexp_exp_i32_f64_e32 v13, v[14:15]
	v_cmp_gt_f64_e32 vcc, s[72:73], v[45:46]
	v_cndmask_b32_e64 v16, 0, 1, vcc
	v_ldexp_f64 v[45:46], v[45:46], v16
	v_subbrev_co_u32_e32 v13, vcc, 0, v13, vcc
	v_cmp_class_f64_e64 vcc, v[14:15], s95
	v_add_f64 v[49:50], v[45:46], 1.0
	v_add_f64 v[47:48], v[45:46], -1.0
	v_add_f64 v[51:52], v[49:50], -1.0
	v_add_f64 v[45:46], v[45:46], -v[51:52]
	v_rcp_f64_e32 v[51:52], v[49:50]
	v_fma_f64 v[53:54], -v[49:50], v[51:52], 1.0
	v_fma_f64 v[51:52], v[53:54], v[51:52], v[51:52]
	v_fma_f64 v[53:54], -v[49:50], v[51:52], 1.0
	v_fma_f64 v[51:52], v[53:54], v[51:52], v[51:52]
	v_mul_f64 v[53:54], v[47:48], v[51:52]
	v_mul_f64 v[68:69], v[49:50], v[53:54]
	v_fma_f64 v[49:50], v[53:54], v[49:50], -v[68:69]
	v_fma_f64 v[45:46], v[53:54], v[45:46], v[49:50]
	v_add_f64 v[49:50], v[68:69], v[45:46]
	v_add_f64 v[70:71], v[47:48], -v[49:50]
	v_add_f64 v[68:69], v[49:50], -v[68:69]
	;; [unrolled: 1-line block ×5, first 2 shown]
	v_add_f64 v[45:46], v[45:46], v[47:48]
	v_add_f64 v[45:46], v[70:71], v[45:46]
	v_mul_f64 v[45:46], v[51:52], v[45:46]
	v_add_f64 v[47:48], v[53:54], v[45:46]
	v_add_f64 v[49:50], v[47:48], -v[53:54]
	v_ldexp_f64 v[53:54], v[47:48], 1
	v_add_f64 v[45:46], v[45:46], -v[49:50]
	v_mul_f64 v[49:50], v[47:48], v[47:48]
	v_ldexp_f64 v[45:46], v[45:46], 1
	v_fma_f64 v[51:52], v[49:50], s[34:35], v[23:24]
	v_mul_f64 v[47:48], v[47:48], v[49:50]
	v_fma_f64 v[51:52], v[49:50], v[51:52], s[36:37]
	v_fma_f64 v[51:52], v[49:50], v[51:52], s[38:39]
	;; [unrolled: 1-line block ×5, first 2 shown]
	v_mul_f64 v[47:48], v[47:48], v[51:52]
	v_add_f64 v[49:50], v[53:54], v[47:48]
	v_add_f64 v[51:52], v[49:50], -v[53:54]
	v_add_f64 v[47:48], v[47:48], -v[51:52]
	v_add_f64 v[45:46], v[45:46], v[47:48]
	v_add_f64 v[47:48], v[49:50], v[45:46]
	v_add_f64 v[49:50], v[47:48], -v[49:50]
	v_add_f64 v[45:46], v[45:46], -v[49:50]
	v_cvt_f64_i32_e32 v[49:50], v13
	v_mul_f64 v[51:52], v[49:50], s[44:45]
	v_fma_f64 v[53:54], v[49:50], s[44:45], -v[51:52]
	v_fma_f64 v[49:50], v[49:50], s[46:47], v[53:54]
	v_add_f64 v[53:54], v[51:52], v[49:50]
	v_add_f64 v[51:52], v[53:54], -v[51:52]
	v_add_f64 v[49:50], v[49:50], -v[51:52]
	v_add_f64 v[51:52], v[53:54], v[47:48]
	v_add_f64 v[68:69], v[51:52], -v[53:54]
	v_add_f64 v[70:71], v[51:52], -v[68:69]
	;; [unrolled: 1-line block ×4, first 2 shown]
	v_add_f64 v[47:48], v[47:48], v[53:54]
	v_add_f64 v[53:54], v[49:50], v[45:46]
	v_add_f64 v[68:69], v[53:54], -v[49:50]
	v_add_f64 v[47:48], v[53:54], v[47:48]
	v_add_f64 v[70:71], v[53:54], -v[68:69]
	v_add_f64 v[45:46], v[45:46], -v[68:69]
	;; [unrolled: 1-line block ×3, first 2 shown]
	v_add_f64 v[45:46], v[45:46], v[49:50]
	v_add_f64 v[49:50], v[51:52], v[47:48]
	v_add_f64 v[51:52], v[49:50], -v[51:52]
	v_add_f64 v[47:48], v[47:48], -v[51:52]
	v_add_f64 v[45:46], v[45:46], v[47:48]
	v_add_f64 v[45:46], v[49:50], v[45:46]
	v_cndmask_b32_e32 v13, v45, v14, vcc
	v_cndmask_b32_e32 v16, v46, v15, vcc
	v_cmp_ngt_f64_e32 vcc, 0, v[14:15]
	v_cndmask_b32_e32 v16, v62, v16, vcc
	v_cmp_nge_f64_e32 vcc, 0, v[14:15]
	v_cndmask_b32_e32 v13, 0, v13, vcc
	v_cmp_neq_f64_e32 vcc, 0, v[14:15]
	v_cndmask_b32_e32 v14, v61, v16, vcc
	v_min_f64 v[15:16], v[41:42], v[43:44]
	v_div_scale_f64 v[41:42], s[84:85], v[39:40], v[39:40], v[15:16]
	s_mov_b32 s84, 0xb5e68a13
	s_mov_b32 s85, 0x3eeba404
	v_rcp_f64_e32 v[43:44], v[41:42]
	v_fma_f64 v[45:46], -v[41:42], v[43:44], 1.0
	v_fma_f64 v[43:44], v[43:44], v[45:46], v[43:44]
	v_fma_f64 v[45:46], -v[41:42], v[43:44], 1.0
	v_fma_f64 v[43:44], v[43:44], v[45:46], v[43:44]
	v_div_scale_f64 v[45:46], vcc, v[15:16], v[39:40], v[15:16]
	v_mul_f64 v[47:48], v[45:46], v[43:44]
	v_fma_f64 v[41:42], -v[41:42], v[47:48], v[45:46]
	s_nop 1
	v_div_fmas_f64 v[41:42], v[41:42], v[43:44], v[47:48]
	v_div_fixup_f64 v[15:16], v[41:42], v[39:40], v[15:16]
	v_mul_f64 v[39:40], v[15:16], v[15:16]
	v_fma_f64 v[41:42], v[39:40], s[84:85], v[29:30]
	s_mov_b32 s84, 0x69efb384
	s_mov_b32 s85, 0x3f4b2bb0
	v_fma_f64 v[41:42], v[39:40], v[41:42], s[84:85]
	s_mov_b32 s84, 0xaf56de9b
	s_mov_b32 s85, 0xbf67952d
	;; [unrolled: 3-line block ×10, first 2 shown]
	v_fma_f64 v[41:42], v[39:40], v[41:42], s[84:85]
	v_fma_f64 v[41:42], v[39:40], v[41:42], s[96:97]
	v_fma_f64 v[41:42], v[39:40], v[41:42], s[98:99]
	v_fma_f64 v[41:42], v[39:40], v[41:42], s[48:49]
	v_fma_f64 v[41:42], v[39:40], v[41:42], s[50:51]
	v_fma_f64 v[41:42], v[39:40], v[41:42], s[52:53]
	v_fma_f64 v[41:42], v[39:40], v[41:42], s[54:55]
	v_fma_f64 v[41:42], v[39:40], v[41:42], s[56:57]
	v_fma_f64 v[41:42], v[39:40], v[41:42], s[58:59]
	v_mul_f64 v[39:40], v[39:40], v[41:42]
	v_fma_f64 v[15:16], v[15:16], v[39:40], v[15:16]
.LBB42_610:                             ;   in Loop: Header=BB42_417 Depth=1
	s_or_b64 exec, exec, s[78:79]
                                        ; implicit-def: $vgpr41_vgpr42
                                        ; implicit-def: $vgpr43_vgpr44
                                        ; implicit-def: $vgpr39_vgpr40
.LBB42_611:                             ;   in Loop: Header=BB42_417 Depth=1
	s_andn2_saveexec_b64 s[76:77], s[76:77]
	s_cbranch_execz .LBB42_613
; %bb.612:                              ;   in Loop: Header=BB42_417 Depth=1
	s_waitcnt lgkmcnt(0)
	v_div_scale_f64 v[13:14], s[78:79], s[64:65], s[64:65], v[17:18]
	s_mov_b32 s31, s73
	s_andn2_b64 s[16:17], s[16:17], exec
	v_rcp_f64_e32 v[15:16], v[13:14]
	v_fma_f64 v[45:46], -v[13:14], v[15:16], 1.0
	v_fma_f64 v[15:16], v[15:16], v[45:46], v[15:16]
	v_fma_f64 v[45:46], -v[13:14], v[15:16], 1.0
	v_fma_f64 v[15:16], v[15:16], v[45:46], v[15:16]
	v_div_scale_f64 v[45:46], vcc, v[17:18], s[64:65], v[17:18]
	v_mul_f64 v[47:48], v[45:46], v[15:16]
	v_fma_f64 v[13:14], -v[13:14], v[47:48], v[45:46]
	s_nop 1
	v_div_fmas_f64 v[13:14], v[13:14], v[15:16], v[47:48]
	v_div_scale_f64 v[15:16], s[78:79], s[64:65], s[64:65], v[19:20]
	v_div_fixup_f64 v[13:14], v[13:14], s[64:65], v[17:18]
	v_rcp_f64_e32 v[45:46], v[15:16]
	v_cmp_class_f64_e64 s[78:79], v[13:14], s95
	v_fma_f64 v[47:48], -v[15:16], v[45:46], 1.0
	v_fma_f64 v[45:46], v[45:46], v[47:48], v[45:46]
	v_fma_f64 v[47:48], -v[15:16], v[45:46], 1.0
	v_fma_f64 v[45:46], v[45:46], v[47:48], v[45:46]
	v_div_scale_f64 v[47:48], vcc, v[19:20], s[64:65], v[19:20]
	v_mul_f64 v[49:50], v[47:48], v[45:46]
	v_fma_f64 v[15:16], -v[15:16], v[49:50], v[47:48]
	s_nop 1
	v_div_fmas_f64 v[15:16], v[15:16], v[45:46], v[49:50]
	v_div_fixup_f64 v[15:16], v[15:16], s[64:65], v[19:20]
	v_max_f64 v[45:46], |v[13:14]|, |v[15:16]|
	v_cmp_class_f64_e64 s[80:81], v[15:16], s95
	v_frexp_exp_i32_f64_e32 v53, v[45:46]
	v_sub_u32_e32 v47, 0, v53
	v_ldexp_f64 v[45:46], |v[13:14]|, v47
	v_ldexp_f64 v[47:48], |v[15:16]|, v47
	v_mul_f64 v[47:48], v[47:48], v[47:48]
	v_fma_f64 v[45:46], v[45:46], v[45:46], v[47:48]
	v_rsq_f64_e32 v[47:48], v[45:46]
	v_cmp_eq_f64_e32 vcc, 0, v[45:46]
	v_mul_f64 v[49:50], v[45:46], v[47:48]
	v_mul_f64 v[47:48], v[47:48], 0.5
	v_fma_f64 v[51:52], -v[47:48], v[49:50], 0.5
	v_fma_f64 v[49:50], v[49:50], v[51:52], v[49:50]
	v_fma_f64 v[47:48], v[47:48], v[51:52], v[47:48]
	v_fma_f64 v[51:52], -v[49:50], v[49:50], v[45:46]
	v_fma_f64 v[47:48], v[51:52], v[47:48], v[49:50]
	v_cndmask_b32_e32 v46, v48, v46, vcc
	v_cndmask_b32_e32 v45, v47, v45, vcc
	v_ldexp_f64 v[45:46], v[45:46], v53
	s_or_b64 vcc, s[80:81], s[78:79]
	v_cmp_class_f64_e64 s[80:81], v[17:18], s95
	v_cndmask_b32_e32 v15, v46, v57, vcc
	v_cndmask_b32_e64 v14, v45, 0, vcc
	v_frexp_mant_f64_e32 v[45:46], v[14:15]
	v_frexp_exp_i32_f64_e32 v13, v[14:15]
	v_cmp_gt_f64_e32 vcc, s[72:73], v[45:46]
	v_cndmask_b32_e64 v16, 0, 1, vcc
	v_ldexp_f64 v[45:46], v[45:46], v16
	v_subbrev_co_u32_e32 v13, vcc, 0, v13, vcc
	v_cmp_class_f64_e64 vcc, v[14:15], s95
	v_add_f64 v[49:50], v[45:46], 1.0
	v_add_f64 v[47:48], v[45:46], -1.0
	v_add_f64 v[51:52], v[49:50], -1.0
	v_add_f64 v[45:46], v[45:46], -v[51:52]
	v_rcp_f64_e32 v[51:52], v[49:50]
	v_fma_f64 v[53:54], -v[49:50], v[51:52], 1.0
	v_fma_f64 v[51:52], v[53:54], v[51:52], v[51:52]
	v_fma_f64 v[53:54], -v[49:50], v[51:52], 1.0
	v_fma_f64 v[51:52], v[53:54], v[51:52], v[51:52]
	v_mul_f64 v[53:54], v[47:48], v[51:52]
	v_mul_f64 v[68:69], v[49:50], v[53:54]
	v_fma_f64 v[49:50], v[53:54], v[49:50], -v[68:69]
	v_fma_f64 v[45:46], v[53:54], v[45:46], v[49:50]
	v_add_f64 v[49:50], v[68:69], v[45:46]
	v_add_f64 v[70:71], v[47:48], -v[49:50]
	v_add_f64 v[68:69], v[49:50], -v[68:69]
	;; [unrolled: 1-line block ×5, first 2 shown]
	v_add_f64 v[45:46], v[45:46], v[47:48]
	v_add_f64 v[45:46], v[70:71], v[45:46]
	v_mul_f64 v[45:46], v[51:52], v[45:46]
	v_add_f64 v[47:48], v[53:54], v[45:46]
	v_add_f64 v[49:50], v[47:48], -v[53:54]
	v_ldexp_f64 v[53:54], v[47:48], 1
	v_add_f64 v[45:46], v[45:46], -v[49:50]
	v_mul_f64 v[49:50], v[47:48], v[47:48]
	v_ldexp_f64 v[45:46], v[45:46], 1
	v_fma_f64 v[51:52], v[49:50], s[34:35], v[23:24]
	v_mul_f64 v[47:48], v[47:48], v[49:50]
	v_fma_f64 v[51:52], v[49:50], v[51:52], s[36:37]
	v_fma_f64 v[51:52], v[49:50], v[51:52], s[38:39]
	;; [unrolled: 1-line block ×5, first 2 shown]
	v_mul_f64 v[47:48], v[47:48], v[51:52]
	v_add_f64 v[49:50], v[53:54], v[47:48]
	v_add_f64 v[51:52], v[49:50], -v[53:54]
	v_add_f64 v[47:48], v[47:48], -v[51:52]
	v_add_f64 v[45:46], v[45:46], v[47:48]
	v_add_f64 v[47:48], v[49:50], v[45:46]
	v_add_f64 v[49:50], v[47:48], -v[49:50]
	v_add_f64 v[45:46], v[45:46], -v[49:50]
	v_cvt_f64_i32_e32 v[49:50], v13
	v_mul_f64 v[51:52], v[49:50], s[44:45]
	v_fma_f64 v[53:54], v[49:50], s[44:45], -v[51:52]
	v_fma_f64 v[49:50], v[49:50], s[46:47], v[53:54]
	v_add_f64 v[53:54], v[51:52], v[49:50]
	v_add_f64 v[51:52], v[53:54], -v[51:52]
	v_add_f64 v[49:50], v[49:50], -v[51:52]
	v_add_f64 v[51:52], v[53:54], v[47:48]
	v_add_f64 v[68:69], v[51:52], -v[53:54]
	v_add_f64 v[70:71], v[51:52], -v[68:69]
	;; [unrolled: 1-line block ×4, first 2 shown]
	v_add_f64 v[47:48], v[47:48], v[53:54]
	v_add_f64 v[53:54], v[49:50], v[45:46]
	v_add_f64 v[68:69], v[53:54], -v[49:50]
	v_add_f64 v[47:48], v[53:54], v[47:48]
	v_add_f64 v[70:71], v[53:54], -v[68:69]
	v_add_f64 v[45:46], v[45:46], -v[68:69]
	v_add_f64 v[49:50], v[49:50], -v[70:71]
	v_add_f64 v[45:46], v[45:46], v[49:50]
	v_add_f64 v[49:50], v[51:52], v[47:48]
	v_add_f64 v[51:52], v[49:50], -v[51:52]
	v_add_f64 v[47:48], v[47:48], -v[51:52]
	v_add_f64 v[45:46], v[45:46], v[47:48]
	v_add_f64 v[45:46], v[49:50], v[45:46]
	v_cndmask_b32_e32 v46, v46, v15, vcc
	v_cndmask_b32_e32 v45, v45, v14, vcc
	v_add_f64 v[45:46], v[45:46], 1.0
	v_cmp_ngt_f64_e32 vcc, 0, v[14:15]
	v_cndmask_b32_e32 v16, v62, v46, vcc
	v_cmp_nge_f64_e32 vcc, 0, v[14:15]
	v_cndmask_b32_e32 v13, 0, v45, vcc
	v_cmp_neq_f64_e32 vcc, 0, v[14:15]
	v_cndmask_b32_e32 v14, v61, v16, vcc
	v_min_f64 v[15:16], v[41:42], v[43:44]
	v_div_scale_f64 v[41:42], s[78:79], v[39:40], v[39:40], v[15:16]
	s_mov_b32 s78, 0xb5e68a13
	s_mov_b32 s79, 0x3eeba404
	v_rcp_f64_e32 v[43:44], v[41:42]
	v_fma_f64 v[45:46], -v[41:42], v[43:44], 1.0
	v_fma_f64 v[43:44], v[43:44], v[45:46], v[43:44]
	v_fma_f64 v[45:46], -v[41:42], v[43:44], 1.0
	v_fma_f64 v[43:44], v[43:44], v[45:46], v[43:44]
	v_div_scale_f64 v[45:46], vcc, v[15:16], v[39:40], v[15:16]
	v_mul_f64 v[47:48], v[45:46], v[43:44]
	v_fma_f64 v[41:42], -v[41:42], v[47:48], v[45:46]
	s_nop 1
	v_div_fmas_f64 v[41:42], v[41:42], v[43:44], v[47:48]
	v_div_fixup_f64 v[15:16], v[41:42], v[39:40], v[15:16]
	v_mul_f64 v[39:40], v[15:16], v[15:16]
	v_fma_f64 v[41:42], v[39:40], s[78:79], v[29:30]
	s_mov_b32 s78, 0x69efb384
	s_mov_b32 s79, 0x3f4b2bb0
	v_fma_f64 v[41:42], v[39:40], v[41:42], s[78:79]
	s_mov_b32 s78, 0xaf56de9b
	s_mov_b32 s79, 0xbf67952d
	;; [unrolled: 3-line block ×10, first 2 shown]
	v_fma_f64 v[41:42], v[39:40], v[41:42], s[78:79]
	v_cmp_class_f64_e64 s[78:79], v[19:20], s95
	v_fma_f64 v[41:42], v[39:40], v[41:42], s[96:97]
	s_and_b64 s[78:79], s[78:79], s[80:81]
	s_and_b64 s[78:79], s[78:79], exec
	s_or_b64 s[16:17], s[16:17], s[78:79]
	v_fma_f64 v[41:42], v[39:40], v[41:42], s[98:99]
	v_fma_f64 v[41:42], v[39:40], v[41:42], s[48:49]
	v_fma_f64 v[41:42], v[39:40], v[41:42], s[50:51]
	v_fma_f64 v[41:42], v[39:40], v[41:42], s[52:53]
	v_fma_f64 v[41:42], v[39:40], v[41:42], s[54:55]
	v_fma_f64 v[41:42], v[39:40], v[41:42], s[56:57]
	v_fma_f64 v[41:42], v[39:40], v[41:42], s[58:59]
	v_mul_f64 v[39:40], v[39:40], v[41:42]
	v_fma_f64 v[15:16], v[15:16], v[39:40], v[15:16]
.LBB42_613:                             ;   in Loop: Header=BB42_417 Depth=1
	s_or_b64 exec, exec, s[76:77]
	v_add_f64 v[39:40], -v[15:16], s[28:29]
	s_mov_b32 s60, s28
	v_cmp_gt_i32_e32 vcc, 0, v18
	v_cndmask_b32_e32 v17, v64, v65, vcc
	v_cndmask_b32_e64 v40, v16, v40, s[14:15]
	v_cndmask_b32_e64 v39, v15, v39, s[14:15]
	v_add_f64 v[41:42], -v[39:40], s[60:61]
	v_cmp_eq_f64_e64 s[14:15], 0, v[19:20]
	s_waitcnt lgkmcnt(0)
	v_add_f64 v[15:16], v[13:14], s[44:45]
	v_ashrrev_i32_e32 v13, 31, v18
	v_and_b32_e32 v14, 0x54442d18, v13
	v_cndmask_b32_e32 v19, v66, v67, vcc
	v_bfi_b32 v19, s94, v19, v20
	v_cndmask_b32_e32 v18, v39, v41, vcc
	v_and_b32_e32 v39, 0x400921fb, v13
	v_cndmask_b32_e32 v40, v40, v42, vcc
	v_cndmask_b32_e64 v13, v18, v14, s[14:15]
	v_cndmask_b32_e64 v14, v40, v39, s[14:15]
	v_xor_b32_e32 v20, 0x80000000, v16
	v_cndmask_b32_e64 v14, v14, v19, s[16:17]
	v_cndmask_b32_e64 v13, v13, v17, s[16:17]
	v_and_b32_e32 v14, 0x7fffffff, v14
	v_cndmask_b32_e64 v16, v20, v16, s[12:13]
.LBB42_614:                             ;   in Loop: Header=BB42_417 Depth=1
	s_or_b64 exec, exec, s[74:75]
                                        ; implicit-def: $vgpr19_vgpr20
.LBB42_615:                             ;   in Loop: Header=BB42_417 Depth=1
	s_andn2_saveexec_b64 s[12:13], s[62:63]
	s_cbranch_execz .LBB42_629
; %bb.616:                              ;   in Loop: Header=BB42_417 Depth=1
	v_cmp_neq_f64_e64 s[14:15], |v[17:18]|, s[70:71]
                                        ; implicit-def: $vgpr15_vgpr16
	s_and_saveexec_b64 s[16:17], s[14:15]
	s_xor_b64 s[14:15], exec, s[16:17]
	s_cbranch_execz .LBB42_626
; %bb.617:                              ;   in Loop: Header=BB42_417 Depth=1
	v_cmp_neq_f64_e64 s[16:17], |v[19:20]|, s[70:71]
	s_waitcnt lgkmcnt(0)
	v_xor_b32_e32 v16, 0x80000000, v20
	v_mov_b32_e32 v15, v19
	s_and_saveexec_b64 s[62:63], s[16:17]
	s_xor_b64 s[16:17], exec, s[62:63]
	s_cbranch_execz .LBB42_623
; %bb.618:                              ;   in Loop: Header=BB42_417 Depth=1
	v_cmp_neq_f64_e32 vcc, 0, v[17:18]
                                        ; implicit-def: $vgpr15_vgpr16
	s_and_saveexec_b64 s[62:63], vcc
	s_xor_b64 s[62:63], exec, s[62:63]
	s_cbranch_execz .LBB42_620
; %bb.619:                              ;   in Loop: Header=BB42_417 Depth=1
	v_add_f64 v[13:14], v[19:20], 0
                                        ; implicit-def: $vgpr19_vgpr20
	v_add_f64 v[15:16], v[17:18], v[13:14]
.LBB42_620:                             ;   in Loop: Header=BB42_417 Depth=1
	s_or_saveexec_b64 s[62:63], s[62:63]
	v_mov_b32_e32 v13, v15
	v_mov_b32_e32 v14, v16
	s_xor_b64 exec, exec, s[62:63]
	s_cbranch_execz .LBB42_622
; %bb.621:                              ;   in Loop: Header=BB42_417 Depth=1
	v_mov_b32_e32 v13, s18
	v_mov_b32_e32 v14, s19
	flat_load_dwordx2 v[13:14], v[13:14] glc
	s_waitcnt vmcnt(0)
	v_add_f64 v[15:16], v[19:20], v[19:20]
	s_waitcnt lgkmcnt(0)
	v_add_f64 v[13:14], v[13:14], s[28:29]
.LBB42_622:                             ;   in Loop: Header=BB42_417 Depth=1
	s_or_b64 exec, exec, s[62:63]
                                        ; implicit-def: $vgpr17_vgpr18
.LBB42_623:                             ;   in Loop: Header=BB42_417 Depth=1
	s_andn2_saveexec_b64 s[16:17], s[16:17]
; %bb.624:                              ;   in Loop: Header=BB42_417 Depth=1
	v_add_f64 v[13:14], v[17:18], v[17:18]
; %bb.625:                              ;   in Loop: Header=BB42_417 Depth=1
	s_or_b64 exec, exec, s[16:17]
                                        ; implicit-def: $vgpr19_vgpr20
.LBB42_626:                             ;   in Loop: Header=BB42_417 Depth=1
	s_andn2_saveexec_b64 s[14:15], s[14:15]
	s_cbranch_execz .LBB42_628
; %bb.627:                              ;   in Loop: Header=BB42_417 Depth=1
	s_waitcnt lgkmcnt(0)
	v_add_f64 v[13:14], v[19:20], v[19:20]
	v_mov_b32_e32 v15, 0
	v_mov_b32_e32 v16, 0xfff00000
.LBB42_628:                             ;   in Loop: Header=BB42_417 Depth=1
	s_or_b64 exec, exec, s[14:15]
.LBB42_629:                             ;   in Loop: Header=BB42_417 Depth=1
	s_or_b64 exec, exec, s[12:13]
	v_cmp_o_f64_e32 vcc, v[9:10], v[11:12]
	v_mov_b32_e32 v17, s18
	v_mov_b32_e32 v18, s19
	flat_store_dwordx2 v[17:18], v[21:22]
	s_waitcnt vmcnt(0)
                                        ; implicit-def: $vgpr19_vgpr20
	s_and_saveexec_b64 s[12:13], vcc
	s_xor_b64 s[62:63], exec, s[12:13]
	s_cbranch_execz .LBB42_717
; %bb.630:                              ;   in Loop: Header=BB42_417 Depth=1
	v_max_f64 v[41:42], |v[9:10]|, |v[9:10]|
	v_max_f64 v[43:44], |v[11:12]|, |v[11:12]|
	v_cmp_gt_i64_e64 s[12:13], 0, v[11:12]
                                        ; implicit-def: $vgpr19_vgpr20
	v_max_f64 v[39:40], v[43:44], v[41:42]
	v_cmp_nlt_f64_e32 vcc, s[68:69], v[39:40]
	s_and_saveexec_b64 s[14:15], vcc
	s_xor_b64 s[74:75], exec, s[14:15]
	s_cbranch_execz .LBB42_706
; %bb.631:                              ;   in Loop: Header=BB42_417 Depth=1
	v_cmp_neq_f64_e32 vcc, 1.0, v[9:10]
	v_cmp_neq_f64_e64 s[14:15], 0, v[11:12]
	v_xor_b32_e32 v20, 0x80000000, v12
	v_mov_b32_e32 v19, v11
	s_or_b64 s[14:15], s[14:15], vcc
	s_and_saveexec_b64 s[16:17], s[14:15]
	s_xor_b64 s[76:77], exec, s[16:17]
	s_cbranch_execz .LBB42_703
; %bb.632:                              ;   in Loop: Header=BB42_417 Depth=1
	v_mov_b32_e32 v17, s24
	v_mov_b32_e32 v18, s25
	flat_store_dword v[17:18], v55
	s_waitcnt vmcnt(0)
	flat_load_dword v17, v[17:18] glc
	s_waitcnt vmcnt(0)
	v_cmp_nlt_f64_e64 s[14:15], |v[9:10]|, s[86:87]
	v_cmp_nlt_f64_e64 s[16:17], |v[11:12]|, s[86:87]
	s_or_b64 s[14:15], s[16:17], s[14:15]
	s_waitcnt lgkmcnt(0)
	v_add_f32_e32 v19, 1.0, v17
	v_mov_b32_e32 v17, s26
	v_mov_b32_e32 v18, s27
	flat_store_dword v[17:18], v19
	s_waitcnt vmcnt(0)
	flat_load_dword v17, v[17:18] glc
	s_waitcnt vmcnt(0)
	v_mov_b32_e32 v19, v11
	s_and_saveexec_b64 s[16:17], s[14:15]
	s_xor_b64 s[78:79], exec, s[16:17]
	s_cbranch_execz .LBB42_700
; %bb.633:                              ;   in Loop: Header=BB42_417 Depth=1
	s_waitcnt lgkmcnt(0)
	v_add_f64 v[17:18], |v[9:10]|, 1.0
	s_mov_b32 s14, 0
	s_mov_b32 s15, 0x40240000
	v_max_f64 v[19:20], v[43:44], v[17:18]
	v_frexp_exp_i32_f64_e32 v47, v[19:20]
	v_sub_u32_e32 v39, 0, v47
	v_ldexp_f64 v[19:20], |v[11:12]|, v39
	v_ldexp_f64 v[39:40], v[17:18], v39
	v_mul_f64 v[39:40], v[39:40], v[39:40]
	v_fma_f64 v[19:20], v[19:20], v[19:20], v[39:40]
	v_rsq_f64_e32 v[39:40], v[19:20]
	v_cmp_eq_f64_e32 vcc, 0, v[19:20]
	v_mul_f64 v[41:42], v[19:20], v[39:40]
	v_mul_f64 v[39:40], v[39:40], 0.5
	v_fma_f64 v[45:46], -v[39:40], v[41:42], 0.5
	v_fma_f64 v[41:42], v[41:42], v[45:46], v[41:42]
	v_fma_f64 v[39:40], v[39:40], v[45:46], v[39:40]
	v_fma_f64 v[45:46], -v[41:42], v[41:42], v[19:20]
	v_fma_f64 v[39:40], v[45:46], v[39:40], v[41:42]
	v_add_f64 v[41:42], |v[9:10]|, -1.0
	v_cndmask_b32_e32 v20, v40, v20, vcc
	v_cndmask_b32_e32 v19, v39, v19, vcc
	v_ldexp_f64 v[19:20], v[19:20], v47
	v_cmp_neq_f64_e32 vcc, s[70:71], v[17:18]
	v_cndmask_b32_e32 v40, v57, v20, vcc
	v_cndmask_b32_e32 v39, 0, v19, vcc
	v_max_f64 v[19:20], v[43:44], |v[41:42]|
	v_frexp_exp_i32_f64_e32 v49, v[19:20]
	v_sub_u32_e32 v43, 0, v49
	v_ldexp_f64 v[19:20], |v[11:12]|, v43
	v_ldexp_f64 v[43:44], |v[41:42]|, v43
	v_mul_f64 v[43:44], v[43:44], v[43:44]
	v_fma_f64 v[19:20], v[19:20], v[19:20], v[43:44]
	v_rsq_f64_e32 v[43:44], v[19:20]
	v_cmp_eq_f64_e32 vcc, 0, v[19:20]
	v_mul_f64 v[45:46], v[19:20], v[43:44]
	v_mul_f64 v[43:44], v[43:44], 0.5
	v_fma_f64 v[47:48], -v[43:44], v[45:46], 0.5
	v_fma_f64 v[45:46], v[45:46], v[47:48], v[45:46]
	v_fma_f64 v[43:44], v[43:44], v[47:48], v[43:44]
	v_fma_f64 v[47:48], -v[45:46], v[45:46], v[19:20]
	v_fma_f64 v[43:44], v[47:48], v[43:44], v[45:46]
	v_cndmask_b32_e32 v20, v44, v20, vcc
	v_cndmask_b32_e32 v19, v43, v19, vcc
	v_ldexp_f64 v[19:20], v[19:20], v49
	v_cmp_neq_f64_e64 vcc, |v[41:42]|, s[70:71]
	v_cndmask_b32_e32 v46, v57, v20, vcc
	v_cndmask_b32_e32 v45, 0, v19, vcc
	v_add_f64 v[19:20], v[39:40], v[45:46]
	v_mul_f64 v[19:20], v[19:20], 0.5
	v_cmp_ngt_f64_e32 vcc, 1.0, v[19:20]
	v_cndmask_b32_e32 v44, v58, v20, vcc
	v_cndmask_b32_e32 v43, 0, v19, vcc
	v_cmp_ngt_f64_e32 vcc, s[14:15], v[43:44]
                                        ; implicit-def: $vgpr19_vgpr20
	s_and_saveexec_b64 s[14:15], vcc
	s_xor_b64 s[14:15], exec, s[14:15]
	s_cbranch_execz .LBB42_635
; %bb.634:                              ;   in Loop: Header=BB42_417 Depth=1
	v_fma_f64 v[19:20], v[43:44], v[43:44], -1.0
	s_mov_b32 s16, 0
	s_brev_b32 s17, 8
	s_mov_b32 s31, s73
	v_cmp_gt_f64_e32 vcc, s[16:17], v[19:20]
	v_cndmask_b32_e32 v47, 0, v59, vcc
	v_ldexp_f64 v[19:20], v[19:20], v47
	v_rsq_f64_e32 v[47:48], v[19:20]
	v_mul_f64 v[49:50], v[19:20], v[47:48]
	v_mul_f64 v[47:48], v[47:48], 0.5
	v_fma_f64 v[51:52], -v[47:48], v[49:50], 0.5
	v_fma_f64 v[49:50], v[49:50], v[51:52], v[49:50]
	v_fma_f64 v[47:48], v[47:48], v[51:52], v[47:48]
	v_fma_f64 v[53:54], -v[49:50], v[49:50], v[19:20]
	v_fma_f64 v[49:50], v[53:54], v[47:48], v[49:50]
	v_fma_f64 v[51:52], -v[49:50], v[49:50], v[19:20]
	v_fma_f64 v[47:48], v[51:52], v[47:48], v[49:50]
	v_cndmask_b32_e32 v49, 0, v60, vcc
	v_cmp_class_f64_e32 vcc, v[19:20], v56
	v_ldexp_f64 v[47:48], v[47:48], v49
	v_cndmask_b32_e32 v20, v48, v20, vcc
	v_cndmask_b32_e32 v19, v47, v19, vcc
	v_add_f64 v[19:20], v[43:44], v[19:20]
	v_frexp_mant_f64_e32 v[47:48], v[19:20]
	v_frexp_exp_i32_f64_e32 v49, v[19:20]
	v_cmp_gt_f64_e32 vcc, s[72:73], v[47:48]
	v_cndmask_b32_e64 v50, 0, 1, vcc
	v_ldexp_f64 v[47:48], v[47:48], v50
	v_subbrev_co_u32_e32 v74, vcc, 0, v49, vcc
	v_cmp_class_f64_e64 vcc, v[19:20], s95
	v_add_f64 v[51:52], v[47:48], 1.0
	v_add_f64 v[49:50], v[47:48], -1.0
	v_add_f64 v[53:54], v[51:52], -1.0
	v_add_f64 v[47:48], v[47:48], -v[53:54]
	v_rcp_f64_e32 v[53:54], v[51:52]
	v_fma_f64 v[68:69], -v[51:52], v[53:54], 1.0
	v_fma_f64 v[53:54], v[68:69], v[53:54], v[53:54]
	v_fma_f64 v[68:69], -v[51:52], v[53:54], 1.0
	v_fma_f64 v[53:54], v[68:69], v[53:54], v[53:54]
	v_mul_f64 v[68:69], v[49:50], v[53:54]
	v_mul_f64 v[70:71], v[51:52], v[68:69]
	v_fma_f64 v[51:52], v[68:69], v[51:52], -v[70:71]
	v_fma_f64 v[47:48], v[68:69], v[47:48], v[51:52]
	v_add_f64 v[51:52], v[70:71], v[47:48]
	v_add_f64 v[72:73], v[49:50], -v[51:52]
	v_add_f64 v[70:71], v[51:52], -v[70:71]
	;; [unrolled: 1-line block ×5, first 2 shown]
	v_add_f64 v[47:48], v[47:48], v[49:50]
	v_add_f64 v[47:48], v[72:73], v[47:48]
	v_mul_f64 v[47:48], v[53:54], v[47:48]
	v_add_f64 v[49:50], v[68:69], v[47:48]
	v_add_f64 v[51:52], v[49:50], -v[68:69]
	v_ldexp_f64 v[68:69], v[49:50], 1
	v_add_f64 v[47:48], v[47:48], -v[51:52]
	v_mul_f64 v[51:52], v[49:50], v[49:50]
	v_ldexp_f64 v[47:48], v[47:48], 1
	v_fma_f64 v[53:54], v[51:52], s[34:35], v[23:24]
	v_mul_f64 v[49:50], v[49:50], v[51:52]
	v_fma_f64 v[53:54], v[51:52], v[53:54], s[36:37]
	v_fma_f64 v[53:54], v[51:52], v[53:54], s[38:39]
	;; [unrolled: 1-line block ×5, first 2 shown]
	v_mul_f64 v[49:50], v[49:50], v[53:54]
	v_add_f64 v[51:52], v[68:69], v[49:50]
	v_add_f64 v[53:54], v[51:52], -v[68:69]
	v_add_f64 v[49:50], v[49:50], -v[53:54]
	v_add_f64 v[47:48], v[47:48], v[49:50]
	v_add_f64 v[49:50], v[51:52], v[47:48]
	v_add_f64 v[51:52], v[49:50], -v[51:52]
	v_add_f64 v[47:48], v[47:48], -v[51:52]
	v_cvt_f64_i32_e32 v[51:52], v74
	v_mul_f64 v[53:54], v[51:52], s[44:45]
	v_fma_f64 v[68:69], v[51:52], s[44:45], -v[53:54]
	v_fma_f64 v[51:52], v[51:52], s[46:47], v[68:69]
	v_add_f64 v[68:69], v[53:54], v[51:52]
	v_add_f64 v[53:54], v[68:69], -v[53:54]
	v_add_f64 v[51:52], v[51:52], -v[53:54]
	v_add_f64 v[53:54], v[68:69], v[49:50]
	v_add_f64 v[70:71], v[53:54], -v[68:69]
	v_add_f64 v[72:73], v[53:54], -v[70:71]
	;; [unrolled: 1-line block ×4, first 2 shown]
	v_add_f64 v[49:50], v[49:50], v[68:69]
	v_add_f64 v[68:69], v[51:52], v[47:48]
	v_add_f64 v[70:71], v[68:69], -v[51:52]
	v_add_f64 v[49:50], v[68:69], v[49:50]
	v_add_f64 v[72:73], v[68:69], -v[70:71]
	v_add_f64 v[47:48], v[47:48], -v[70:71]
	;; [unrolled: 1-line block ×3, first 2 shown]
	v_add_f64 v[47:48], v[47:48], v[51:52]
	v_add_f64 v[51:52], v[53:54], v[49:50]
	v_add_f64 v[53:54], v[51:52], -v[53:54]
	v_add_f64 v[49:50], v[49:50], -v[53:54]
	v_add_f64 v[47:48], v[47:48], v[49:50]
	v_add_f64 v[47:48], v[51:52], v[47:48]
	v_cndmask_b32_e32 v47, v47, v19, vcc
	v_cndmask_b32_e32 v48, v48, v20, vcc
	v_cmp_neq_f64_e32 vcc, 0, v[19:20]
	v_cndmask_b32_e32 v20, v61, v48, vcc
	v_cndmask_b32_e32 v19, 0, v47, vcc
.LBB42_635:                             ;   in Loop: Header=BB42_417 Depth=1
	s_or_saveexec_b64 s[16:17], s[14:15]
	v_and_b32_e32 v48, 0x7fffffff, v12
	v_mov_b32_e32 v47, v11
	s_xor_b64 exec, exec, s[16:17]
	s_cbranch_execz .LBB42_657
; %bb.636:                              ;   in Loop: Header=BB42_417 Depth=1
	s_mov_b32 s80, 0
	s_mov_b32 s81, 0x39000000
	v_cmp_neq_f64_e64 s[14:15], |v[9:10]|, 1.0
	v_cmp_nlt_f64_e64 s[80:81], |v[11:12]|, s[80:81]
                                        ; implicit-def: $vgpr19_vgpr20
	s_or_b64 s[14:15], s[80:81], s[14:15]
	s_and_saveexec_b64 s[80:81], s[14:15]
	s_xor_b64 s[80:81], exec, s[80:81]
	s_cbranch_execz .LBB42_654
; %bb.637:                              ;   in Loop: Header=BB42_417 Depth=1
	s_movk_i32 s14, 0xffcc
	v_ldexp_f64 v[19:20], |v[41:42]|, s14
	v_cmp_ge_f64_e64 s[14:15], |v[11:12]|, v[19:20]
                                        ; implicit-def: $vgpr19_vgpr20
	s_and_saveexec_b64 s[82:83], s[14:15]
	s_xor_b64 s[82:83], exec, s[82:83]
	s_cbranch_execz .LBB42_647
; %bb.638:                              ;   in Loop: Header=BB42_417 Depth=1
	v_cmp_neq_f64_e32 vcc, 0, v[17:18]
	v_mov_b32_e32 v19, v47
	v_mov_b32_e32 v20, v48
	s_and_saveexec_b64 s[14:15], vcc
	s_cbranch_execz .LBB42_640
; %bb.639:                              ;   in Loop: Header=BB42_417 Depth=1
	v_mul_f64 v[19:20], v[11:12], v[11:12]
	v_add_f64 v[49:50], v[17:18], v[39:40]
	v_div_scale_f64 v[51:52], s[84:85], v[49:50], v[49:50], v[19:20]
	v_div_scale_f64 v[70:71], vcc, v[19:20], v[49:50], v[19:20]
	v_rcp_f64_e32 v[53:54], v[51:52]
	v_fma_f64 v[68:69], -v[51:52], v[53:54], 1.0
	v_fma_f64 v[53:54], v[53:54], v[68:69], v[53:54]
	v_fma_f64 v[68:69], -v[51:52], v[53:54], 1.0
	v_fma_f64 v[53:54], v[53:54], v[68:69], v[53:54]
	v_mul_f64 v[68:69], v[70:71], v[53:54]
	v_fma_f64 v[51:52], -v[51:52], v[68:69], v[70:71]
	v_div_fmas_f64 v[51:52], v[51:52], v[53:54], v[68:69]
	v_div_fixup_f64 v[19:20], v[51:52], v[49:50], v[19:20]
.LBB42_640:                             ;   in Loop: Header=BB42_417 Depth=1
	s_or_b64 exec, exec, s[14:15]
	v_add_f64 v[51:52], -|v[9:10]|, 1.0
                                        ; implicit-def: $vgpr49_vgpr50
	v_cmp_ngt_f64_e32 vcc, 0, v[51:52]
	s_and_saveexec_b64 s[14:15], vcc
	s_xor_b64 s[14:15], exec, s[14:15]
	s_cbranch_execz .LBB42_644
; %bb.641:                              ;   in Loop: Header=BB42_417 Depth=1
	v_cmp_neq_f64_e32 vcc, 0, v[51:52]
	v_mov_b32_e32 v50, v48
	v_mov_b32_e32 v49, v47
	s_and_saveexec_b64 s[84:85], vcc
	s_cbranch_execz .LBB42_643
; %bb.642:                              ;   in Loop: Header=BB42_417 Depth=1
	v_mul_f64 v[49:50], v[11:12], v[11:12]
	v_add_f64 v[51:52], v[51:52], v[45:46]
	v_div_scale_f64 v[53:54], s[86:87], v[51:52], v[51:52], v[49:50]
	v_div_scale_f64 v[72:73], vcc, v[49:50], v[51:52], v[49:50]
	v_rcp_f64_e32 v[68:69], v[53:54]
	v_fma_f64 v[70:71], -v[53:54], v[68:69], 1.0
	v_fma_f64 v[68:69], v[68:69], v[70:71], v[68:69]
	v_fma_f64 v[70:71], -v[53:54], v[68:69], 1.0
	v_fma_f64 v[68:69], v[68:69], v[70:71], v[68:69]
	v_mul_f64 v[70:71], v[72:73], v[68:69]
	v_fma_f64 v[53:54], -v[53:54], v[70:71], v[72:73]
	v_div_fmas_f64 v[53:54], v[53:54], v[68:69], v[70:71]
	v_div_fixup_f64 v[49:50], v[53:54], v[51:52], v[49:50]
.LBB42_643:                             ;   in Loop: Header=BB42_417 Depth=1
	s_or_b64 exec, exec, s[84:85]
	s_mov_b32 s86, 0x1409212f
	s_mov_b32 s87, 0x3e43988e
                                        ; implicit-def: $vgpr51_vgpr52
.LBB42_644:                             ;   in Loop: Header=BB42_417 Depth=1
	s_andn2_saveexec_b64 s[14:15], s[14:15]
; %bb.645:                              ;   in Loop: Header=BB42_417 Depth=1
	v_add_f64 v[49:50], v[45:46], -v[51:52]
; %bb.646:                              ;   in Loop: Header=BB42_417 Depth=1
	s_or_b64 exec, exec, s[14:15]
	v_mul_f64 v[49:50], v[49:50], 0.5
	s_mov_b32 s14, 0
	s_brev_b32 s15, 8
	s_mov_b32 s31, s73
	v_fma_f64 v[19:20], v[19:20], 0.5, v[49:50]
	v_add_f64 v[49:50], v[43:44], 1.0
	v_mul_f64 v[49:50], v[49:50], v[19:20]
	v_cmp_gt_f64_e32 vcc, s[14:15], v[49:50]
	v_cndmask_b32_e32 v51, 0, v59, vcc
	v_ldexp_f64 v[49:50], v[49:50], v51
	v_rsq_f64_e32 v[51:52], v[49:50]
	v_mul_f64 v[53:54], v[49:50], v[51:52]
	v_mul_f64 v[51:52], v[51:52], 0.5
	v_fma_f64 v[68:69], -v[51:52], v[53:54], 0.5
	v_fma_f64 v[53:54], v[53:54], v[68:69], v[53:54]
	v_fma_f64 v[51:52], v[51:52], v[68:69], v[51:52]
	v_fma_f64 v[70:71], -v[53:54], v[53:54], v[49:50]
	v_fma_f64 v[53:54], v[70:71], v[51:52], v[53:54]
	v_fma_f64 v[68:69], -v[53:54], v[53:54], v[49:50]
	v_fma_f64 v[51:52], v[68:69], v[51:52], v[53:54]
	v_cndmask_b32_e32 v53, 0, v60, vcc
	v_cmp_class_f64_e32 vcc, v[49:50], v56
	v_ldexp_f64 v[51:52], v[51:52], v53
	v_cndmask_b32_e32 v50, v52, v50, vcc
	v_cndmask_b32_e32 v49, v51, v49, vcc
	v_add_f64 v[49:50], v[19:20], v[49:50]
	v_add_f64 v[19:20], v[49:50], 1.0
	v_cmp_ngt_f64_e64 s[14:15], -1.0, v[49:50]
	v_add_f64 v[51:52], v[19:20], -1.0
	v_frexp_exp_i32_f64_e32 v68, v[19:20]
	v_add_f64 v[53:54], v[51:52], -v[19:20]
	v_add_f64 v[51:52], v[49:50], -v[51:52]
	v_add_f64 v[53:54], v[53:54], 1.0
	v_add_f64 v[51:52], v[51:52], v[53:54]
	v_frexp_mant_f64_e32 v[53:54], v[19:20]
	v_cmp_gt_f64_e32 vcc, s[72:73], v[53:54]
	v_subbrev_co_u32_e32 v82, vcc, 0, v68, vcc
	v_sub_u32_e32 v53, 0, v82
	v_ldexp_f64 v[19:20], v[19:20], v53
	v_ldexp_f64 v[51:52], v[51:52], v53
	v_cmp_neq_f64_e32 vcc, s[70:71], v[49:50]
	v_add_f64 v[53:54], v[19:20], -1.0
	v_add_f64 v[68:69], v[53:54], 1.0
	v_add_f64 v[68:69], v[19:20], -v[68:69]
	v_add_f64 v[68:69], v[51:52], v[68:69]
	v_add_f64 v[70:71], v[53:54], v[68:69]
	v_add_f64 v[53:54], v[70:71], -v[53:54]
	v_add_f64 v[53:54], v[68:69], -v[53:54]
	v_add_f64 v[68:69], v[19:20], 1.0
	v_add_f64 v[72:73], v[68:69], -1.0
	v_add_f64 v[19:20], v[19:20], -v[72:73]
	v_add_f64 v[19:20], v[51:52], v[19:20]
	v_add_f64 v[51:52], v[68:69], v[19:20]
	v_add_f64 v[68:69], v[51:52], -v[68:69]
	v_add_f64 v[19:20], v[19:20], -v[68:69]
	v_rcp_f64_e32 v[68:69], v[51:52]
	v_fma_f64 v[72:73], -v[51:52], v[68:69], 1.0
	v_fma_f64 v[68:69], v[72:73], v[68:69], v[68:69]
	v_fma_f64 v[72:73], -v[51:52], v[68:69], 1.0
	v_fma_f64 v[68:69], v[72:73], v[68:69], v[68:69]
	v_mul_f64 v[72:73], v[70:71], v[68:69]
	v_mul_f64 v[74:75], v[51:52], v[72:73]
	v_fma_f64 v[76:77], v[72:73], v[51:52], -v[74:75]
	v_fma_f64 v[76:77], v[72:73], v[19:20], v[76:77]
	v_add_f64 v[78:79], v[74:75], v[76:77]
	v_add_f64 v[80:81], v[70:71], -v[78:79]
	v_add_f64 v[74:75], v[78:79], -v[74:75]
	;; [unrolled: 1-line block ×4, first 2 shown]
	v_add_f64 v[53:54], v[53:54], v[70:71]
	v_add_f64 v[70:71], v[74:75], -v[76:77]
	v_add_f64 v[53:54], v[70:71], v[53:54]
	v_add_f64 v[70:71], v[80:81], v[53:54]
	v_add_f64 v[74:75], v[80:81], -v[70:71]
	v_add_f64 v[53:54], v[53:54], v[74:75]
	v_mul_f64 v[74:75], v[68:69], v[70:71]
	v_mul_f64 v[76:77], v[51:52], v[74:75]
	v_fma_f64 v[51:52], v[74:75], v[51:52], -v[76:77]
	v_fma_f64 v[19:20], v[74:75], v[19:20], v[51:52]
	v_add_f64 v[51:52], v[76:77], v[19:20]
	v_add_f64 v[78:79], v[70:71], -v[51:52]
	v_add_f64 v[76:77], v[51:52], -v[76:77]
	;; [unrolled: 1-line block ×5, first 2 shown]
	v_cvt_f64_i32_e32 v[70:71], v82
	v_add_f64 v[51:52], v[53:54], v[51:52]
	v_add_f64 v[19:20], v[19:20], v[51:52]
	;; [unrolled: 1-line block ×4, first 2 shown]
	v_add_f64 v[53:54], v[51:52], -v[72:73]
	v_mul_f64 v[72:73], v[70:71], s[44:45]
	v_mul_f64 v[19:20], v[68:69], v[19:20]
	v_add_f64 v[53:54], v[74:75], -v[53:54]
	v_fma_f64 v[74:75], v[70:71], s[44:45], -v[72:73]
	v_add_f64 v[19:20], v[53:54], v[19:20]
	v_fma_f64 v[70:71], v[70:71], s[46:47], v[74:75]
	v_add_f64 v[53:54], v[51:52], v[19:20]
	v_add_f64 v[74:75], v[72:73], v[70:71]
	v_add_f64 v[51:52], v[53:54], -v[51:52]
	v_add_f64 v[72:73], v[74:75], -v[72:73]
	;; [unrolled: 1-line block ×3, first 2 shown]
	v_mul_f64 v[51:52], v[53:54], v[53:54]
	v_add_f64 v[70:71], v[70:71], -v[72:73]
	v_ldexp_f64 v[72:73], v[53:54], 1
	v_ldexp_f64 v[19:20], v[19:20], 1
	v_fma_f64 v[68:69], v[51:52], s[34:35], v[23:24]
	v_fma_f64 v[68:69], v[51:52], v[68:69], s[36:37]
	;; [unrolled: 1-line block ×6, first 2 shown]
	v_mul_f64 v[51:52], v[53:54], v[51:52]
	v_mul_f64 v[51:52], v[51:52], v[68:69]
	v_add_f64 v[53:54], v[72:73], v[51:52]
	v_add_f64 v[68:69], v[53:54], -v[72:73]
	v_add_f64 v[51:52], v[51:52], -v[68:69]
	v_add_f64 v[19:20], v[19:20], v[51:52]
	v_add_f64 v[51:52], v[53:54], v[19:20]
	v_add_f64 v[53:54], v[51:52], -v[53:54]
	v_add_f64 v[19:20], v[19:20], -v[53:54]
	v_add_f64 v[53:54], v[74:75], v[51:52]
	v_add_f64 v[68:69], v[53:54], -v[74:75]
	v_add_f64 v[72:73], v[53:54], -v[68:69]
	;; [unrolled: 1-line block ×3, first 2 shown]
	v_add_f64 v[68:69], v[70:71], v[19:20]
	v_add_f64 v[72:73], v[74:75], -v[72:73]
	v_add_f64 v[51:52], v[51:52], v[72:73]
	v_add_f64 v[72:73], v[68:69], -v[70:71]
	v_add_f64 v[51:52], v[68:69], v[51:52]
	v_add_f64 v[74:75], v[68:69], -v[72:73]
	v_add_f64 v[19:20], v[19:20], -v[72:73]
	v_add_f64 v[68:69], v[53:54], v[51:52]
	v_add_f64 v[70:71], v[70:71], -v[74:75]
	v_add_f64 v[53:54], v[68:69], -v[53:54]
	v_add_f64 v[19:20], v[19:20], v[70:71]
	v_add_f64 v[51:52], v[51:52], -v[53:54]
	v_add_f64 v[19:20], v[19:20], v[51:52]
	v_add_f64 v[19:20], v[68:69], v[19:20]
	v_cndmask_b32_e32 v20, v57, v20, vcc
	v_cndmask_b32_e64 v20, v62, v20, s[14:15]
	v_cmp_nge_f64_e64 s[14:15], -1.0, v[49:50]
	s_and_b64 vcc, s[14:15], vcc
	v_cndmask_b32_e32 v19, 0, v19, vcc
	v_cmp_neq_f64_e32 vcc, -1.0, v[49:50]
	v_cndmask_b32_e32 v20, v61, v20, vcc
.LBB42_647:                             ;   in Loop: Header=BB42_417 Depth=1
	s_andn2_saveexec_b64 s[82:83], s[82:83]
	s_cbranch_execz .LBB42_653
; %bb.648:                              ;   in Loop: Header=BB42_417 Depth=1
	v_cmp_nlt_f64_e64 s[14:15], |v[9:10]|, 1.0
                                        ; implicit-def: $vgpr19_vgpr20
	s_and_saveexec_b64 s[84:85], s[14:15]
	s_xor_b64 s[84:85], exec, s[84:85]
	s_cbranch_execz .LBB42_650
; %bb.649:                              ;   in Loop: Header=BB42_417 Depth=1
	v_mul_f64 v[19:20], v[41:42], v[17:18]
	s_mov_b32 s14, 0
	s_brev_b32 s15, 8
	s_mov_b32 s31, s73
	v_cmp_gt_f64_e32 vcc, s[14:15], v[19:20]
	v_cndmask_b32_e32 v49, 0, v59, vcc
	v_ldexp_f64 v[19:20], v[19:20], v49
	v_rsq_f64_e32 v[49:50], v[19:20]
	v_mul_f64 v[51:52], v[19:20], v[49:50]
	v_mul_f64 v[49:50], v[49:50], 0.5
	v_fma_f64 v[53:54], -v[49:50], v[51:52], 0.5
	v_fma_f64 v[51:52], v[51:52], v[53:54], v[51:52]
	v_fma_f64 v[49:50], v[49:50], v[53:54], v[49:50]
	v_fma_f64 v[68:69], -v[51:52], v[51:52], v[19:20]
	v_fma_f64 v[51:52], v[68:69], v[49:50], v[51:52]
	v_fma_f64 v[53:54], -v[51:52], v[51:52], v[19:20]
	v_fma_f64 v[49:50], v[53:54], v[49:50], v[51:52]
	v_cndmask_b32_e32 v51, 0, v60, vcc
	v_cmp_class_f64_e32 vcc, v[19:20], v56
	v_ldexp_f64 v[49:50], v[49:50], v51
	v_cndmask_b32_e32 v20, v50, v20, vcc
	v_cndmask_b32_e32 v19, v49, v19, vcc
	v_add_f64 v[49:50], v[41:42], v[19:20]
	v_add_f64 v[19:20], v[49:50], 1.0
	v_cmp_ngt_f64_e64 s[14:15], -1.0, v[49:50]
	v_add_f64 v[51:52], v[19:20], -1.0
	v_frexp_exp_i32_f64_e32 v68, v[19:20]
	v_add_f64 v[53:54], v[51:52], -v[19:20]
	v_add_f64 v[51:52], v[49:50], -v[51:52]
	v_add_f64 v[53:54], v[53:54], 1.0
	v_add_f64 v[51:52], v[51:52], v[53:54]
	v_frexp_mant_f64_e32 v[53:54], v[19:20]
	v_cmp_gt_f64_e32 vcc, s[72:73], v[53:54]
	v_subbrev_co_u32_e32 v82, vcc, 0, v68, vcc
	v_sub_u32_e32 v53, 0, v82
	v_ldexp_f64 v[19:20], v[19:20], v53
	v_ldexp_f64 v[51:52], v[51:52], v53
	v_cmp_neq_f64_e32 vcc, s[70:71], v[49:50]
	v_add_f64 v[53:54], v[19:20], -1.0
	v_add_f64 v[68:69], v[53:54], 1.0
	v_add_f64 v[68:69], v[19:20], -v[68:69]
	v_add_f64 v[68:69], v[51:52], v[68:69]
	v_add_f64 v[70:71], v[53:54], v[68:69]
	v_add_f64 v[53:54], v[70:71], -v[53:54]
	v_add_f64 v[53:54], v[68:69], -v[53:54]
	v_add_f64 v[68:69], v[19:20], 1.0
	v_add_f64 v[72:73], v[68:69], -1.0
	v_add_f64 v[19:20], v[19:20], -v[72:73]
	v_add_f64 v[19:20], v[51:52], v[19:20]
	v_add_f64 v[51:52], v[68:69], v[19:20]
	v_add_f64 v[68:69], v[51:52], -v[68:69]
	v_add_f64 v[19:20], v[19:20], -v[68:69]
	v_rcp_f64_e32 v[68:69], v[51:52]
	v_fma_f64 v[72:73], -v[51:52], v[68:69], 1.0
	v_fma_f64 v[68:69], v[72:73], v[68:69], v[68:69]
	v_fma_f64 v[72:73], -v[51:52], v[68:69], 1.0
	v_fma_f64 v[68:69], v[72:73], v[68:69], v[68:69]
	v_mul_f64 v[72:73], v[70:71], v[68:69]
	v_mul_f64 v[74:75], v[51:52], v[72:73]
	v_fma_f64 v[76:77], v[72:73], v[51:52], -v[74:75]
	v_fma_f64 v[76:77], v[72:73], v[19:20], v[76:77]
	v_add_f64 v[78:79], v[74:75], v[76:77]
	v_add_f64 v[80:81], v[70:71], -v[78:79]
	v_add_f64 v[74:75], v[78:79], -v[74:75]
	;; [unrolled: 1-line block ×4, first 2 shown]
	v_add_f64 v[53:54], v[53:54], v[70:71]
	v_add_f64 v[70:71], v[74:75], -v[76:77]
	v_add_f64 v[53:54], v[70:71], v[53:54]
	v_add_f64 v[70:71], v[80:81], v[53:54]
	v_add_f64 v[74:75], v[80:81], -v[70:71]
	v_add_f64 v[53:54], v[53:54], v[74:75]
	v_mul_f64 v[74:75], v[68:69], v[70:71]
	v_mul_f64 v[76:77], v[51:52], v[74:75]
	v_fma_f64 v[51:52], v[74:75], v[51:52], -v[76:77]
	v_fma_f64 v[19:20], v[74:75], v[19:20], v[51:52]
	v_add_f64 v[51:52], v[76:77], v[19:20]
	v_add_f64 v[78:79], v[70:71], -v[51:52]
	v_add_f64 v[76:77], v[51:52], -v[76:77]
	;; [unrolled: 1-line block ×5, first 2 shown]
	v_cvt_f64_i32_e32 v[70:71], v82
	v_add_f64 v[51:52], v[53:54], v[51:52]
	v_add_f64 v[19:20], v[19:20], v[51:52]
	;; [unrolled: 1-line block ×4, first 2 shown]
	v_add_f64 v[53:54], v[51:52], -v[72:73]
	v_mul_f64 v[72:73], v[70:71], s[44:45]
	v_mul_f64 v[19:20], v[68:69], v[19:20]
	v_add_f64 v[53:54], v[74:75], -v[53:54]
	v_fma_f64 v[74:75], v[70:71], s[44:45], -v[72:73]
	v_add_f64 v[19:20], v[53:54], v[19:20]
	v_fma_f64 v[70:71], v[70:71], s[46:47], v[74:75]
	v_add_f64 v[53:54], v[51:52], v[19:20]
	v_add_f64 v[74:75], v[72:73], v[70:71]
	v_add_f64 v[51:52], v[53:54], -v[51:52]
	v_add_f64 v[72:73], v[74:75], -v[72:73]
	;; [unrolled: 1-line block ×3, first 2 shown]
	v_mul_f64 v[51:52], v[53:54], v[53:54]
	v_add_f64 v[70:71], v[70:71], -v[72:73]
	v_ldexp_f64 v[72:73], v[53:54], 1
	v_ldexp_f64 v[19:20], v[19:20], 1
	v_fma_f64 v[68:69], v[51:52], s[34:35], v[23:24]
	v_fma_f64 v[68:69], v[51:52], v[68:69], s[36:37]
	;; [unrolled: 1-line block ×6, first 2 shown]
	v_mul_f64 v[51:52], v[53:54], v[51:52]
	v_mul_f64 v[51:52], v[51:52], v[68:69]
	v_add_f64 v[53:54], v[72:73], v[51:52]
	v_add_f64 v[68:69], v[53:54], -v[72:73]
	v_add_f64 v[51:52], v[51:52], -v[68:69]
	v_add_f64 v[19:20], v[19:20], v[51:52]
	v_add_f64 v[51:52], v[53:54], v[19:20]
	v_add_f64 v[53:54], v[51:52], -v[53:54]
	v_add_f64 v[19:20], v[19:20], -v[53:54]
	v_add_f64 v[53:54], v[74:75], v[51:52]
	v_add_f64 v[68:69], v[53:54], -v[74:75]
	v_add_f64 v[72:73], v[53:54], -v[68:69]
	;; [unrolled: 1-line block ×3, first 2 shown]
	v_add_f64 v[68:69], v[70:71], v[19:20]
	v_add_f64 v[72:73], v[74:75], -v[72:73]
	v_add_f64 v[51:52], v[51:52], v[72:73]
	v_add_f64 v[72:73], v[68:69], -v[70:71]
	;; [unrolled: 2-line block ×3, first 2 shown]
	v_add_f64 v[19:20], v[19:20], -v[72:73]
	v_add_f64 v[68:69], v[53:54], v[51:52]
	v_add_f64 v[70:71], v[70:71], -v[74:75]
	v_add_f64 v[53:54], v[68:69], -v[53:54]
	v_add_f64 v[19:20], v[19:20], v[70:71]
	v_add_f64 v[51:52], v[51:52], -v[53:54]
	v_add_f64 v[19:20], v[19:20], v[51:52]
	v_add_f64 v[19:20], v[68:69], v[19:20]
	v_cndmask_b32_e32 v20, v57, v20, vcc
	v_cndmask_b32_e64 v20, v62, v20, s[14:15]
	v_cmp_nge_f64_e64 s[14:15], -1.0, v[49:50]
	s_and_b64 vcc, s[14:15], vcc
	v_cndmask_b32_e32 v19, 0, v19, vcc
	v_cmp_neq_f64_e32 vcc, -1.0, v[49:50]
	v_cndmask_b32_e32 v20, v61, v20, vcc
.LBB42_650:                             ;   in Loop: Header=BB42_417 Depth=1
	s_andn2_saveexec_b64 s[14:15], s[84:85]
	s_cbranch_execz .LBB42_652
; %bb.651:                              ;   in Loop: Header=BB42_417 Depth=1
	v_add_f64 v[19:20], -|v[9:10]|, 1.0
	s_mov_b32 s84, 0
	s_brev_b32 s85, 8
	v_mul_f64 v[19:20], v[19:20], v[17:18]
	v_cmp_gt_f64_e32 vcc, s[84:85], v[19:20]
	v_cndmask_b32_e32 v49, 0, v59, vcc
	v_ldexp_f64 v[19:20], v[19:20], v49
	v_rsq_f64_e32 v[49:50], v[19:20]
	v_mul_f64 v[51:52], v[19:20], v[49:50]
	v_mul_f64 v[49:50], v[49:50], 0.5
	v_fma_f64 v[53:54], -v[49:50], v[51:52], 0.5
	v_fma_f64 v[51:52], v[51:52], v[53:54], v[51:52]
	v_fma_f64 v[49:50], v[49:50], v[53:54], v[49:50]
	v_fma_f64 v[53:54], -v[51:52], v[51:52], v[19:20]
	v_fma_f64 v[51:52], v[53:54], v[49:50], v[51:52]
	v_fma_f64 v[53:54], -v[51:52], v[51:52], v[19:20]
	v_fma_f64 v[49:50], v[53:54], v[49:50], v[51:52]
	v_cndmask_b32_e32 v51, 0, v60, vcc
	v_cmp_class_f64_e32 vcc, v[19:20], v56
	v_mov_b32_e32 v52, v48
	v_ldexp_f64 v[49:50], v[49:50], v51
	v_mov_b32_e32 v51, v11
	v_cndmask_b32_e32 v20, v50, v20, vcc
	v_cndmask_b32_e32 v19, v49, v19, vcc
	v_div_scale_f64 v[49:50], s[84:85], v[19:20], v[19:20], v[51:52]
	v_div_scale_f64 v[51:52], vcc, v[51:52], v[19:20], v[51:52]
	v_rcp_f64_e32 v[53:54], v[49:50]
	v_fma_f64 v[68:69], -v[49:50], v[53:54], 1.0
	v_fma_f64 v[53:54], v[53:54], v[68:69], v[53:54]
	v_fma_f64 v[68:69], -v[49:50], v[53:54], 1.0
	v_fma_f64 v[53:54], v[53:54], v[68:69], v[53:54]
	v_mul_f64 v[68:69], v[51:52], v[53:54]
	v_fma_f64 v[49:50], -v[49:50], v[68:69], v[51:52]
	v_div_fmas_f64 v[49:50], v[49:50], v[53:54], v[68:69]
	v_div_fixup_f64 v[19:20], v[49:50], v[19:20], |v[11:12]|
.LBB42_652:                             ;   in Loop: Header=BB42_417 Depth=1
	s_or_b64 exec, exec, s[14:15]
.LBB42_653:                             ;   in Loop: Header=BB42_417 Depth=1
	s_or_b64 exec, exec, s[82:83]
.LBB42_654:                             ;   in Loop: Header=BB42_417 Depth=1
	s_andn2_saveexec_b64 s[14:15], s[80:81]
	s_cbranch_execz .LBB42_656
; %bb.655:                              ;   in Loop: Header=BB42_417 Depth=1
	s_mov_b32 s80, 0
	s_brev_b32 s81, 8
	v_cmp_lt_f64_e64 vcc, |v[11:12]|, s[80:81]
	v_cndmask_b32_e32 v19, 0, v59, vcc
	v_ldexp_f64 v[19:20], |v[11:12]|, v19
	v_rsq_f64_e32 v[49:50], v[19:20]
	v_mul_f64 v[51:52], v[19:20], v[49:50]
	v_mul_f64 v[49:50], v[49:50], 0.5
	v_fma_f64 v[53:54], -v[49:50], v[51:52], 0.5
	v_fma_f64 v[51:52], v[51:52], v[53:54], v[51:52]
	v_fma_f64 v[49:50], v[49:50], v[53:54], v[49:50]
	v_fma_f64 v[53:54], -v[51:52], v[51:52], v[19:20]
	v_fma_f64 v[51:52], v[53:54], v[49:50], v[51:52]
	v_fma_f64 v[53:54], -v[51:52], v[51:52], v[19:20]
	v_fma_f64 v[49:50], v[53:54], v[49:50], v[51:52]
	v_cndmask_b32_e32 v51, 0, v60, vcc
	v_cmp_class_f64_e32 vcc, v[19:20], v56
	v_ldexp_f64 v[49:50], v[49:50], v51
	v_cndmask_b32_e32 v20, v50, v20, vcc
	v_cndmask_b32_e32 v19, v49, v19, vcc
.LBB42_656:                             ;   in Loop: Header=BB42_417 Depth=1
	s_or_b64 exec, exec, s[14:15]
.LBB42_657:                             ;   in Loop: Header=BB42_417 Depth=1
	s_or_b64 exec, exec, s[16:17]
	s_mov_b32 s14, 0
	s_mov_b32 s15, 0x20200000
	v_cmp_nlt_f64_e64 s[14:15], |v[9:10]|, s[14:15]
                                        ; implicit-def: $sgpr80_sgpr81
                                        ; implicit-def: $vgpr49_vgpr50
                                        ; implicit-def: $vgpr53_vgpr54
                                        ; implicit-def: $vgpr51_vgpr52
	s_and_saveexec_b64 s[16:17], s[14:15]
	s_xor_b64 s[14:15], exec, s[16:17]
	s_cbranch_execz .LBB42_681
; %bb.658:                              ;   in Loop: Header=BB42_417 Depth=1
	v_and_b32_e32 v52, 0x7fffffff, v10
	v_mov_b32_e32 v51, v9
	v_div_scale_f64 v[49:50], s[16:17], v[43:44], v[43:44], v[51:52]
	v_div_scale_f64 v[70:71], vcc, v[51:52], v[43:44], v[51:52]
	s_mov_b32 s16, 0x703afb7f
	s_mov_b32 s17, 0x3fe488ce
	s_mov_b64 s[80:81], 0
	v_rcp_f64_e32 v[53:54], v[49:50]
	v_fma_f64 v[68:69], -v[49:50], v[53:54], 1.0
	v_fma_f64 v[53:54], v[53:54], v[68:69], v[53:54]
	v_fma_f64 v[68:69], -v[49:50], v[53:54], 1.0
	v_fma_f64 v[53:54], v[53:54], v[68:69], v[53:54]
	v_mul_f64 v[68:69], v[70:71], v[53:54]
	v_fma_f64 v[49:50], -v[49:50], v[68:69], v[70:71]
	v_div_fmas_f64 v[49:50], v[49:50], v[53:54], v[68:69]
                                        ; implicit-def: $vgpr53_vgpr54
	v_div_fixup_f64 v[49:50], v[49:50], v[43:44], |v[9:10]|
	v_cmp_lt_f64_e32 vcc, s[16:17], v[49:50]
	s_and_saveexec_b64 s[16:17], vcc
	s_cbranch_execz .LBB42_680
; %bb.659:                              ;   in Loop: Header=BB42_417 Depth=1
	s_mov_b32 s82, 0
	s_mov_b32 s83, 0x3c400000
	v_cmp_neq_f64_e64 s[80:81], |v[9:10]|, 1.0
	v_cmp_nlt_f64_e64 s[82:83], |v[11:12]|, s[82:83]
                                        ; implicit-def: $vgpr53_vgpr54
	s_or_b64 s[80:81], s[82:83], s[80:81]
	s_and_saveexec_b64 s[82:83], s[80:81]
	s_xor_b64 s[80:81], exec, s[82:83]
	s_cbranch_execz .LBB42_677
; %bb.660:                              ;   in Loop: Header=BB42_417 Depth=1
	s_movk_i32 s31, 0xffcc
	v_ldexp_f64 v[53:54], |v[41:42]|, s31
	v_cmp_ge_f64_e64 s[82:83], |v[11:12]|, v[53:54]
                                        ; implicit-def: $vgpr53_vgpr54
	s_and_saveexec_b64 s[84:85], s[82:83]
	s_xor_b64 s[82:83], exec, s[84:85]
	s_cbranch_execz .LBB42_670
; %bb.661:                              ;   in Loop: Header=BB42_417 Depth=1
	v_cmp_neq_f64_e32 vcc, 0, v[17:18]
	v_mov_b32_e32 v54, v48
	v_mov_b32_e32 v53, v47
	s_and_saveexec_b64 s[84:85], vcc
	s_cbranch_execz .LBB42_663
; %bb.662:                              ;   in Loop: Header=BB42_417 Depth=1
	v_mul_f64 v[53:54], v[11:12], v[11:12]
	v_add_f64 v[17:18], v[17:18], v[39:40]
	v_div_scale_f64 v[39:40], s[86:87], v[17:18], v[17:18], v[53:54]
	v_div_scale_f64 v[72:73], vcc, v[53:54], v[17:18], v[53:54]
	v_rcp_f64_e32 v[68:69], v[39:40]
	v_fma_f64 v[70:71], -v[39:40], v[68:69], 1.0
	v_fma_f64 v[68:69], v[68:69], v[70:71], v[68:69]
	v_fma_f64 v[70:71], -v[39:40], v[68:69], 1.0
	v_fma_f64 v[68:69], v[68:69], v[70:71], v[68:69]
	v_mul_f64 v[70:71], v[72:73], v[68:69]
	v_fma_f64 v[39:40], -v[39:40], v[70:71], v[72:73]
	v_div_fmas_f64 v[39:40], v[39:40], v[68:69], v[70:71]
	v_div_fixup_f64 v[53:54], v[39:40], v[17:18], v[53:54]
.LBB42_663:                             ;   in Loop: Header=BB42_417 Depth=1
	s_or_b64 exec, exec, s[84:85]
	v_cmp_ngt_f64_e32 vcc, 0, v[41:42]
	s_and_saveexec_b64 s[84:85], vcc
	s_xor_b64 s[84:85], exec, s[84:85]
	s_cbranch_execz .LBB42_667
; %bb.664:                              ;   in Loop: Header=BB42_417 Depth=1
	v_cmp_neq_f64_e32 vcc, 0, v[41:42]
	s_and_saveexec_b64 s[86:87], vcc
	s_cbranch_execz .LBB42_666
; %bb.665:                              ;   in Loop: Header=BB42_417 Depth=1
	v_mul_f64 v[11:12], v[11:12], v[11:12]
	v_add_f64 v[17:18], v[41:42], v[45:46]
	v_div_scale_f64 v[39:40], vcc, v[17:18], v[17:18], v[11:12]
	v_div_scale_f64 v[47:48], vcc, v[11:12], v[17:18], v[11:12]
	v_rcp_f64_e32 v[41:42], v[39:40]
	v_fma_f64 v[45:46], -v[39:40], v[41:42], 1.0
	v_fma_f64 v[41:42], v[41:42], v[45:46], v[41:42]
	v_fma_f64 v[45:46], -v[39:40], v[41:42], 1.0
	v_fma_f64 v[41:42], v[41:42], v[45:46], v[41:42]
	v_mul_f64 v[45:46], v[47:48], v[41:42]
	v_fma_f64 v[39:40], -v[39:40], v[45:46], v[47:48]
	v_div_fmas_f64 v[39:40], v[39:40], v[41:42], v[45:46]
	v_div_fixup_f64 v[47:48], v[39:40], v[17:18], v[11:12]
.LBB42_666:                             ;   in Loop: Header=BB42_417 Depth=1
	s_or_b64 exec, exec, s[86:87]
                                        ; implicit-def: $vgpr45_vgpr46
                                        ; implicit-def: $vgpr41_vgpr42
.LBB42_667:                             ;   in Loop: Header=BB42_417 Depth=1
	s_andn2_saveexec_b64 s[84:85], s[84:85]
; %bb.668:                              ;   in Loop: Header=BB42_417 Depth=1
	v_add_f64 v[47:48], v[45:46], -v[41:42]
; %bb.669:                              ;   in Loop: Header=BB42_417 Depth=1
	s_or_b64 exec, exec, s[84:85]
	v_mul_f64 v[11:12], v[47:48], 0.5
	v_add_f64 v[17:18], |v[9:10]|, v[43:44]
	s_mov_b32 s84, 0
	s_brev_b32 s85, 8
	v_fma_f64 v[11:12], v[53:54], 0.5, v[11:12]
	v_mul_f64 v[11:12], v[17:18], v[11:12]
	v_cmp_gt_f64_e32 vcc, s[84:85], v[11:12]
	v_cndmask_b32_e32 v17, 0, v59, vcc
	v_ldexp_f64 v[11:12], v[11:12], v17
	v_rsq_f64_e32 v[17:18], v[11:12]
	v_mul_f64 v[39:40], v[11:12], v[17:18]
	v_mul_f64 v[17:18], v[17:18], 0.5
	v_fma_f64 v[41:42], -v[17:18], v[39:40], 0.5
	v_fma_f64 v[39:40], v[39:40], v[41:42], v[39:40]
	v_fma_f64 v[17:18], v[17:18], v[41:42], v[17:18]
	v_fma_f64 v[41:42], -v[39:40], v[39:40], v[11:12]
	v_fma_f64 v[39:40], v[41:42], v[17:18], v[39:40]
	v_fma_f64 v[41:42], -v[39:40], v[39:40], v[11:12]
	v_fma_f64 v[17:18], v[41:42], v[17:18], v[39:40]
	v_cndmask_b32_e32 v39, 0, v60, vcc
	v_cmp_class_f64_e32 vcc, v[11:12], v56
                                        ; implicit-def: $vgpr41_vgpr42
	v_ldexp_f64 v[17:18], v[17:18], v39
	v_cndmask_b32_e32 v54, v18, v12, vcc
	v_cndmask_b32_e32 v53, v17, v11, vcc
                                        ; implicit-def: $vgpr17_vgpr18
.LBB42_670:                             ;   in Loop: Header=BB42_417 Depth=1
	s_andn2_saveexec_b64 s[82:83], s[82:83]
	s_cbranch_execz .LBB42_676
; %bb.671:                              ;   in Loop: Header=BB42_417 Depth=1
	v_cmp_ngt_f64_e64 s[84:85], |v[9:10]|, 1.0
                                        ; implicit-def: $vgpr53_vgpr54
	s_and_saveexec_b64 s[86:87], s[84:85]
	s_xor_b64 s[84:85], exec, s[86:87]
	s_cbranch_execz .LBB42_673
; %bb.672:                              ;   in Loop: Header=BB42_417 Depth=1
	v_add_f64 v[11:12], -|v[9:10]|, 1.0
	s_mov_b32 s86, 0
	s_brev_b32 s87, 8
	v_mul_f64 v[11:12], v[11:12], v[17:18]
	v_cmp_gt_f64_e32 vcc, s[86:87], v[11:12]
	v_cndmask_b32_e32 v17, 0, v59, vcc
	v_ldexp_f64 v[11:12], v[11:12], v17
	v_rsq_f64_e32 v[17:18], v[11:12]
	v_mul_f64 v[39:40], v[11:12], v[17:18]
	v_mul_f64 v[17:18], v[17:18], 0.5
	v_fma_f64 v[41:42], -v[17:18], v[39:40], 0.5
	v_fma_f64 v[39:40], v[39:40], v[41:42], v[39:40]
	v_fma_f64 v[17:18], v[17:18], v[41:42], v[17:18]
	v_fma_f64 v[41:42], -v[39:40], v[39:40], v[11:12]
	v_fma_f64 v[39:40], v[41:42], v[17:18], v[39:40]
	v_fma_f64 v[41:42], -v[39:40], v[39:40], v[11:12]
	v_fma_f64 v[17:18], v[41:42], v[17:18], v[39:40]
	v_cndmask_b32_e32 v39, 0, v60, vcc
	v_cmp_class_f64_e32 vcc, v[11:12], v56
                                        ; implicit-def: $vgpr41_vgpr42
	v_ldexp_f64 v[17:18], v[17:18], v39
	v_cndmask_b32_e32 v54, v18, v12, vcc
	v_cndmask_b32_e32 v53, v17, v11, vcc
                                        ; implicit-def: $vgpr17_vgpr18
.LBB42_673:                             ;   in Loop: Header=BB42_417 Depth=1
	s_andn2_saveexec_b64 s[84:85], s[84:85]
	s_cbranch_execz .LBB42_675
; %bb.674:                              ;   in Loop: Header=BB42_417 Depth=1
	v_mul_f64 v[17:18], v[17:18], v[41:42]
	s_mov_b32 s86, 0
	s_brev_b32 s87, 8
	s_movk_i32 s31, 0x6a
	v_ldexp_f64 v[11:12], |v[11:12]|, s31
	v_ldexp_f64 v[51:52], |v[9:10]|, s31
	v_cmp_gt_f64_e32 vcc, s[86:87], v[17:18]
	v_mul_f64 v[11:12], |v[9:10]|, v[11:12]
	v_cndmask_b32_e32 v39, 0, v59, vcc
	v_ldexp_f64 v[17:18], v[17:18], v39
	v_rsq_f64_e32 v[39:40], v[17:18]
	v_mul_f64 v[41:42], v[17:18], v[39:40]
	v_mul_f64 v[39:40], v[39:40], 0.5
	v_fma_f64 v[43:44], -v[39:40], v[41:42], 0.5
	v_fma_f64 v[41:42], v[41:42], v[43:44], v[41:42]
	v_fma_f64 v[39:40], v[39:40], v[43:44], v[39:40]
	v_fma_f64 v[43:44], -v[41:42], v[41:42], v[17:18]
	v_fma_f64 v[41:42], v[43:44], v[39:40], v[41:42]
	v_fma_f64 v[43:44], -v[41:42], v[41:42], v[17:18]
	v_fma_f64 v[39:40], v[43:44], v[39:40], v[41:42]
	v_cndmask_b32_e32 v41, 0, v60, vcc
	v_cmp_class_f64_e32 vcc, v[17:18], v56
	v_ldexp_f64 v[39:40], v[39:40], v41
	v_cndmask_b32_e32 v18, v40, v18, vcc
	v_cndmask_b32_e32 v17, v39, v17, vcc
	v_div_scale_f64 v[39:40], s[86:87], v[17:18], v[17:18], v[11:12]
	v_rcp_f64_e32 v[41:42], v[39:40]
	v_fma_f64 v[43:44], -v[39:40], v[41:42], 1.0
	v_fma_f64 v[41:42], v[41:42], v[43:44], v[41:42]
	v_div_scale_f64 v[43:44], vcc, v[11:12], v[17:18], v[11:12]
	v_fma_f64 v[45:46], -v[39:40], v[41:42], 1.0
	v_fma_f64 v[41:42], v[41:42], v[45:46], v[41:42]
	v_mul_f64 v[45:46], v[43:44], v[41:42]
	v_fma_f64 v[39:40], -v[39:40], v[45:46], v[43:44]
	v_div_fmas_f64 v[39:40], v[39:40], v[41:42], v[45:46]
	v_div_fixup_f64 v[53:54], v[39:40], v[17:18], v[11:12]
.LBB42_675:                             ;   in Loop: Header=BB42_417 Depth=1
	s_or_b64 exec, exec, s[84:85]
.LBB42_676:                             ;   in Loop: Header=BB42_417 Depth=1
	s_or_b64 exec, exec, s[82:83]
	s_mov_b32 s86, 0x1409212f
	s_mov_b32 s87, 0x3e43988e
                                        ; implicit-def: $vgpr43_vgpr44
.LBB42_677:                             ;   in Loop: Header=BB42_417 Depth=1
	s_andn2_saveexec_b64 s[80:81], s[80:81]
	s_cbranch_execz .LBB42_679
; %bb.678:                              ;   in Loop: Header=BB42_417 Depth=1
	s_mov_b32 s82, 0
	s_brev_b32 s83, 8
	v_cmp_lt_f64_e64 vcc, |v[11:12]|, s[82:83]
	v_mov_b32_e32 v51, 0
	v_mov_b32_e32 v52, 0x3ff00000
	v_cndmask_b32_e32 v17, 0, v59, vcc
	v_ldexp_f64 v[11:12], |v[11:12]|, v17
	v_rsq_f64_e32 v[17:18], v[11:12]
	v_mul_f64 v[39:40], v[11:12], v[17:18]
	v_mul_f64 v[17:18], v[17:18], 0.5
	v_fma_f64 v[41:42], -v[17:18], v[39:40], 0.5
	v_fma_f64 v[39:40], v[39:40], v[41:42], v[39:40]
	v_fma_f64 v[17:18], v[17:18], v[41:42], v[17:18]
	v_fma_f64 v[45:46], -v[39:40], v[39:40], v[11:12]
	v_fma_f64 v[39:40], v[45:46], v[17:18], v[39:40]
	v_fma_f64 v[41:42], -v[39:40], v[39:40], v[11:12]
	v_fma_f64 v[17:18], v[41:42], v[17:18], v[39:40]
	v_cndmask_b32_e32 v39, 0, v60, vcc
	v_cmp_class_f64_e32 vcc, v[11:12], v56
	v_ldexp_f64 v[17:18], v[17:18], v39
	v_cndmask_b32_e32 v12, v18, v12, vcc
	v_cndmask_b32_e32 v11, v17, v11, vcc
	v_add_f64 v[17:18], v[43:44], 1.0
	v_mul_f64 v[17:18], v[17:18], 0.5
	v_cmp_gt_f64_e32 vcc, s[82:83], v[17:18]
	v_cndmask_b32_e32 v39, 0, v59, vcc
	v_ldexp_f64 v[17:18], v[17:18], v39
	v_rsq_f64_e32 v[39:40], v[17:18]
	v_mul_f64 v[41:42], v[17:18], v[39:40]
	v_mul_f64 v[39:40], v[39:40], 0.5
	v_fma_f64 v[43:44], -v[39:40], v[41:42], 0.5
	v_fma_f64 v[41:42], v[41:42], v[43:44], v[41:42]
	v_fma_f64 v[39:40], v[39:40], v[43:44], v[39:40]
	v_fma_f64 v[45:46], -v[41:42], v[41:42], v[17:18]
	v_fma_f64 v[41:42], v[45:46], v[39:40], v[41:42]
	v_fma_f64 v[43:44], -v[41:42], v[41:42], v[17:18]
	v_fma_f64 v[39:40], v[43:44], v[39:40], v[41:42]
	v_cndmask_b32_e32 v41, 0, v60, vcc
	v_cmp_class_f64_e32 vcc, v[17:18], v56
	v_ldexp_f64 v[39:40], v[39:40], v41
	v_cndmask_b32_e32 v18, v40, v18, vcc
	v_cndmask_b32_e32 v17, v39, v17, vcc
	v_mul_f64 v[53:54], v[11:12], v[17:18]
.LBB42_679:                             ;   in Loop: Header=BB42_417 Depth=1
	s_or_b64 exec, exec, s[80:81]
	s_mov_b64 s[80:81], exec
.LBB42_680:                             ;   in Loop: Header=BB42_417 Depth=1
	s_or_b64 exec, exec, s[16:17]
                                        ; implicit-def: $vgpr43_vgpr44
.LBB42_681:                             ;   in Loop: Header=BB42_417 Depth=1
	s_andn2_saveexec_b64 s[14:15], s[14:15]
	s_cbranch_execz .LBB42_683
; %bb.682:                              ;   in Loop: Header=BB42_417 Depth=1
	v_ldexp_f64 v[53:54], v[43:44], 53
	v_ldexp_f64 v[51:52], |v[9:10]|, 53
	s_or_b64 s[80:81], s[80:81], exec
                                        ; implicit-def: $vgpr49_vgpr50
.LBB42_683:                             ;   in Loop: Header=BB42_417 Depth=1
	s_or_b64 exec, exec, s[14:15]
	v_cmp_lt_i64_e32 vcc, -1, v[9:10]
	s_xor_b64 s[14:15], s[80:81], -1
	s_and_saveexec_b64 s[16:17], s[14:15]
	s_xor_b64 s[16:17], exec, s[16:17]
	s_cbranch_execz .LBB42_693
; %bb.684:                              ;   in Loop: Header=BB42_417 Depth=1
	s_and_saveexec_b64 s[14:15], vcc
	s_xor_b64 s[80:81], exec, s[14:15]
	s_cbranch_execz .LBB42_688
; %bb.685:                              ;   in Loop: Header=BB42_417 Depth=1
	v_fma_f64 v[11:12], |v[49:50]|, -0.5, 0.5
	v_mul_f64 v[9:10], v[49:50], v[49:50]
	v_cmp_ge_f64_e64 s[14:15], |v[49:50]|, 0.5
	s_mov_b32 s82, 0x9fea6a70
	s_mov_b32 s83, 0x3fa05985
	v_cndmask_b32_e64 v10, v10, v12, s[14:15]
	v_cndmask_b32_e64 v9, v9, v11, s[14:15]
	v_fma_f64 v[17:18], v[9:10], s[82:83], v[25:26]
	s_mov_b32 s82, 0x37024d6a
	s_mov_b32 s83, 0x3f940521
	v_fma_f64 v[17:18], v[9:10], v[17:18], s[82:83]
	s_mov_b32 s82, 0x98a70509
	s_mov_b32 s83, 0x3f7ab3a0
	;; [unrolled: 3-line block ×11, first 2 shown]
	v_mul_f64 v[9:10], v[9:10], v[17:18]
	v_fma_f64 v[17:18], v[49:50], v[9:10], v[49:50]
	v_fma_f64 v[17:18], s[82:83], v[27:28], -v[17:18]
	s_and_saveexec_b64 s[82:83], s[14:15]
	s_cbranch_execz .LBB42_687
; %bb.686:                              ;   in Loop: Header=BB42_417 Depth=1
	v_rsq_f64_e32 v[17:18], v[11:12]
	v_cmp_eq_f64_e64 s[14:15], 0, v[11:12]
	v_mul_f64 v[39:40], v[11:12], v[17:18]
	v_mul_f64 v[17:18], v[17:18], 0.5
	v_fma_f64 v[41:42], -v[17:18], v[39:40], 0.5
	v_fma_f64 v[39:40], v[39:40], v[41:42], v[39:40]
	v_fma_f64 v[17:18], v[17:18], v[41:42], v[17:18]
	v_fma_f64 v[41:42], -v[39:40], v[39:40], v[11:12]
	v_fma_f64 v[17:18], v[41:42], v[17:18], v[39:40]
	v_cndmask_b32_e64 v18, v18, v12, s[14:15]
	v_cndmask_b32_e64 v17, v17, v11, s[14:15]
	v_mul_f64 v[39:40], v[17:18], v[17:18]
	v_add_f64 v[43:44], v[11:12], -v[39:40]
	v_fma_f64 v[41:42], v[17:18], v[17:18], -v[39:40]
	v_add_f64 v[11:12], v[11:12], -v[43:44]
	v_add_f64 v[11:12], v[11:12], -v[39:40]
	v_add_f64 v[39:40], v[17:18], v[17:18]
	v_add_f64 v[11:12], v[11:12], -v[41:42]
	v_rcp_f64_e32 v[41:42], v[39:40]
	v_add_f64 v[11:12], v[43:44], v[11:12]
	v_fma_f64 v[43:44], -v[39:40], v[41:42], 1.0
	v_fma_f64 v[41:42], v[43:44], v[41:42], v[41:42]
	v_fma_f64 v[43:44], -v[39:40], v[41:42], 1.0
	v_fma_f64 v[41:42], v[43:44], v[41:42], v[41:42]
	v_mul_f64 v[43:44], v[11:12], v[41:42]
	v_fma_f64 v[11:12], -v[39:40], v[43:44], v[11:12]
	v_fma_f64 v[11:12], v[11:12], v[41:42], v[43:44]
	v_cndmask_b32_e64 v12, v12, 0, s[14:15]
	v_cndmask_b32_e64 v11, v11, 0, s[14:15]
	v_add_f64 v[39:40], v[17:18], v[11:12]
	v_cmp_neq_f64_e64 s[14:15], 1.0, v[49:50]
	v_add_f64 v[17:18], v[39:40], -v[17:18]
	v_add_f64 v[11:12], v[11:12], -v[17:18]
	v_fma_f64 v[9:10], v[39:40], v[9:10], v[11:12]
	v_add_f64 v[9:10], v[39:40], v[9:10]
	v_add_f64 v[9:10], v[9:10], v[9:10]
	v_cndmask_b32_e64 v18, 0, v10, s[14:15]
	v_cndmask_b32_e64 v17, 0, v9, s[14:15]
.LBB42_687:                             ;   in Loop: Header=BB42_417 Depth=1
	s_or_b64 exec, exec, s[82:83]
                                        ; implicit-def: $vgpr49_vgpr50
.LBB42_688:                             ;   in Loop: Header=BB42_417 Depth=1
	s_andn2_saveexec_b64 s[80:81], s[80:81]
	s_cbranch_execz .LBB42_692
; %bb.689:                              ;   in Loop: Header=BB42_417 Depth=1
	v_fma_f64 v[11:12], |v[49:50]|, -0.5, 0.5
	v_mul_f64 v[9:10], v[49:50], v[49:50]
	v_cmp_ge_f64_e64 s[14:15], |v[49:50]|, 0.5
	s_mov_b32 s82, 0x9fea6a70
	s_mov_b32 s83, 0x3fa05985
	v_cndmask_b32_e64 v10, v10, v12, s[14:15]
	v_cndmask_b32_e64 v9, v9, v11, s[14:15]
	v_fma_f64 v[17:18], v[9:10], s[82:83], v[25:26]
	s_mov_b32 s82, 0x37024d6a
	s_mov_b32 s83, 0x3f940521
	v_fma_f64 v[17:18], v[9:10], v[17:18], s[82:83]
	s_mov_b32 s82, 0x98a70509
	s_mov_b32 s83, 0x3f7ab3a0
	;; [unrolled: 3-line block ×11, first 2 shown]
	v_mul_f64 v[9:10], v[9:10], v[17:18]
	v_fma_f64 v[17:18], -v[49:50], v[9:10], -v[49:50]
	v_fma_f64 v[17:18], s[82:83], v[27:28], -v[17:18]
	s_and_saveexec_b64 s[82:83], s[14:15]
	s_cbranch_execz .LBB42_691
; %bb.690:                              ;   in Loop: Header=BB42_417 Depth=1
	v_rsq_f64_e32 v[17:18], v[11:12]
	v_cmp_eq_f64_e64 s[14:15], 0, v[11:12]
	v_readlane_b32 s84, v83, 0
	v_readlane_b32 s85, v83, 1
	s_mov_b32 s31, s85
	v_writelane_b32 v83, s30, 0
	v_writelane_b32 v83, s31, 1
	v_mul_f64 v[39:40], v[11:12], v[17:18]
	v_mul_f64 v[17:18], v[17:18], 0.5
	v_fma_f64 v[41:42], -v[17:18], v[39:40], 0.5
	v_fma_f64 v[39:40], v[39:40], v[41:42], v[39:40]
	v_fma_f64 v[17:18], v[17:18], v[41:42], v[17:18]
	v_fma_f64 v[41:42], -v[39:40], v[39:40], v[11:12]
	v_fma_f64 v[17:18], v[41:42], v[17:18], v[39:40]
	v_cndmask_b32_e64 v18, v18, v12, s[14:15]
	v_cndmask_b32_e64 v17, v17, v11, s[14:15]
	v_mul_f64 v[39:40], v[17:18], v[17:18]
	v_add_f64 v[43:44], v[11:12], -v[39:40]
	v_fma_f64 v[41:42], v[17:18], v[17:18], -v[39:40]
	v_add_f64 v[11:12], v[11:12], -v[43:44]
	v_add_f64 v[11:12], v[11:12], -v[39:40]
	v_add_f64 v[39:40], v[17:18], v[17:18]
	v_add_f64 v[11:12], v[11:12], -v[41:42]
	v_rcp_f64_e32 v[41:42], v[39:40]
	v_add_f64 v[11:12], v[43:44], v[11:12]
	v_fma_f64 v[43:44], -v[39:40], v[41:42], 1.0
	v_fma_f64 v[41:42], v[43:44], v[41:42], v[41:42]
	v_fma_f64 v[43:44], -v[39:40], v[41:42], 1.0
	v_fma_f64 v[41:42], v[43:44], v[41:42], v[41:42]
	v_mul_f64 v[43:44], v[11:12], v[41:42]
	v_fma_f64 v[11:12], -v[39:40], v[43:44], v[11:12]
	v_fma_f64 v[11:12], v[11:12], v[41:42], v[43:44]
	v_cndmask_b32_e64 v12, v12, 0, s[14:15]
	v_cndmask_b32_e64 v11, v11, 0, s[14:15]
	v_add_f64 v[39:40], v[17:18], v[11:12]
	s_mov_b32 s14, 0x336a0500
	s_mov_b32 s15, 0x3fedd9ad
	;; [unrolled: 1-line block ×3, first 2 shown]
	v_add_f64 v[17:18], v[39:40], -v[17:18]
	v_add_f64 v[11:12], v[11:12], -v[17:18]
	v_fma_f64 v[17:18], v[39:40], v[9:10], v[39:40]
	v_fma_f64 v[9:10], v[39:40], v[9:10], v[11:12]
	v_mul_f64 v[17:18], v[17:18], -2.0
	v_add_f64 v[9:10], v[39:40], v[9:10]
	v_fma_f64 v[17:18], s[14:15], v[27:28], v[17:18]
	v_cmp_lt_f64_e64 s[14:15], 0, v[49:50]
	v_add_f64 v[9:10], v[9:10], v[9:10]
	v_cndmask_b32_e64 v9, v9, v17, s[14:15]
	v_cndmask_b32_e64 v10, v10, v18, s[14:15]
	v_cmp_neq_f64_e64 s[14:15], 1.0, v[49:50]
	v_cndmask_b32_e64 v18, v63, v10, s[14:15]
	v_cndmask_b32_e64 v17, v64, v9, s[14:15]
.LBB42_691:                             ;   in Loop: Header=BB42_417 Depth=1
	s_or_b64 exec, exec, s[82:83]
.LBB42_692:                             ;   in Loop: Header=BB42_417 Depth=1
	s_or_b64 exec, exec, s[80:81]
                                        ; implicit-def: $vgpr51_vgpr52
                                        ; implicit-def: $vgpr53_vgpr54
.LBB42_693:                             ;   in Loop: Header=BB42_417 Depth=1
	s_andn2_saveexec_b64 s[80:81], s[16:17]
	s_cbranch_execz .LBB42_699
; %bb.694:                              ;   in Loop: Header=BB42_417 Depth=1
	s_and_saveexec_b64 s[14:15], vcc
	s_xor_b64 s[82:83], exec, s[14:15]
	s_cbranch_execz .LBB42_696
; %bb.695:                              ;   in Loop: Header=BB42_417 Depth=1
	v_max_f64 v[9:10], |v[53:54]|, |v[53:54]|
	v_max_f64 v[11:12], v[51:52], v[51:52]
	s_mov_b32 s60, s28
	v_cmp_class_f64_e64 s[84:85], v[53:54], s95
	v_cmp_eq_f64_e64 s[16:17], s[70:71], v[51:52]
	v_max_f64 v[17:18], v[11:12], v[9:10]
	v_min_f64 v[9:10], v[11:12], v[9:10]
	v_div_scale_f64 v[11:12], s[14:15], v[17:18], v[17:18], v[9:10]
	s_mov_b32 s14, 0xb5e68a13
	s_mov_b32 s15, 0x3eeba404
	v_rcp_f64_e32 v[39:40], v[11:12]
	v_fma_f64 v[41:42], -v[11:12], v[39:40], 1.0
	v_fma_f64 v[39:40], v[39:40], v[41:42], v[39:40]
	v_div_scale_f64 v[41:42], vcc, v[9:10], v[17:18], v[9:10]
	v_fma_f64 v[43:44], -v[11:12], v[39:40], 1.0
	v_fma_f64 v[39:40], v[39:40], v[43:44], v[39:40]
	v_mul_f64 v[43:44], v[41:42], v[39:40]
	v_fma_f64 v[11:12], -v[11:12], v[43:44], v[41:42]
	v_div_fmas_f64 v[11:12], v[11:12], v[39:40], v[43:44]
	v_cmp_lt_f64_e64 vcc, v[51:52], |v[53:54]|
	v_div_fixup_f64 v[9:10], v[11:12], v[17:18], v[9:10]
	v_mul_f64 v[11:12], v[9:10], v[9:10]
	v_fma_f64 v[17:18], v[11:12], s[14:15], v[29:30]
	s_mov_b32 s14, 0x69efb384
	s_mov_b32 s15, 0x3f4b2bb0
	v_fma_f64 v[17:18], v[11:12], v[17:18], s[14:15]
	s_mov_b32 s14, 0xaf56de9b
	s_mov_b32 s15, 0xbf67952d
	;; [unrolled: 3-line block ×10, first 2 shown]
	v_fma_f64 v[17:18], v[11:12], v[17:18], s[14:15]
	v_cmp_eq_f64_e64 s[14:15], 0, v[53:54]
	v_fma_f64 v[17:18], v[11:12], v[17:18], s[96:97]
	v_fma_f64 v[17:18], v[11:12], v[17:18], s[98:99]
	;; [unrolled: 1-line block ×8, first 2 shown]
	v_mul_f64 v[11:12], v[11:12], v[17:18]
	v_ashrrev_i32_e32 v18, 31, v52
	v_and_b32_e32 v39, 0x54442d18, v18
	v_and_b32_e32 v18, 0x400921fb, v18
	v_fma_f64 v[9:10], v[9:10], v[11:12], v[9:10]
	v_add_f64 v[11:12], -v[9:10], s[28:29]
	v_cndmask_b32_e32 v10, v10, v12, vcc
	v_cndmask_b32_e32 v9, v9, v11, vcc
	v_add_f64 v[11:12], -v[9:10], s[60:61]
	v_cmp_gt_i32_e32 vcc, 0, v52
	v_cndmask_b32_e32 v17, v64, v65, vcc
                                        ; implicit-def: $vgpr51_vgpr52
	v_cndmask_b32_e32 v9, v9, v11, vcc
	v_cndmask_b32_e32 v10, v10, v12, vcc
	;; [unrolled: 1-line block ×3, first 2 shown]
	v_cndmask_b32_e64 v9, v9, v39, s[14:15]
	v_cndmask_b32_e64 v10, v10, v18, s[14:15]
	s_and_b64 vcc, s[16:17], s[84:85]
	v_cndmask_b32_e32 v10, v10, v11, vcc
	v_cndmask_b32_e32 v9, v9, v17, vcc
	v_cmp_o_f64_e32 vcc, v[53:54], v[53:54]
	v_cndmask_b32_e32 v17, 0, v9, vcc
	v_cndmask_b32_e32 v9, v62, v10, vcc
	v_bfi_b32 v18, s94, v9, v54
                                        ; implicit-def: $vgpr53_vgpr54
.LBB42_696:                             ;   in Loop: Header=BB42_417 Depth=1
	s_andn2_saveexec_b64 s[82:83], s[82:83]
	s_cbranch_execz .LBB42_698
; %bb.697:                              ;   in Loop: Header=BB42_417 Depth=1
	v_max_f64 v[9:10], |v[53:54]|, |v[53:54]|
	v_max_f64 v[11:12], v[51:52], v[51:52]
	s_mov_b32 s60, s28
	v_cmp_class_f64_e64 s[84:85], v[53:54], s95
	v_cmp_eq_f64_e64 s[16:17], s[70:71], v[51:52]
	v_max_f64 v[17:18], v[11:12], v[9:10]
	v_min_f64 v[9:10], v[11:12], v[9:10]
	v_div_scale_f64 v[11:12], s[14:15], v[17:18], v[17:18], v[9:10]
	s_mov_b32 s14, 0xb5e68a13
	s_mov_b32 s15, 0x3eeba404
	v_rcp_f64_e32 v[39:40], v[11:12]
	v_fma_f64 v[41:42], -v[11:12], v[39:40], 1.0
	v_fma_f64 v[39:40], v[39:40], v[41:42], v[39:40]
	v_div_scale_f64 v[41:42], vcc, v[9:10], v[17:18], v[9:10]
	v_fma_f64 v[43:44], -v[11:12], v[39:40], 1.0
	v_fma_f64 v[39:40], v[39:40], v[43:44], v[39:40]
	v_mul_f64 v[43:44], v[41:42], v[39:40]
	v_fma_f64 v[11:12], -v[11:12], v[43:44], v[41:42]
	v_div_fmas_f64 v[11:12], v[11:12], v[39:40], v[43:44]
	v_cmp_lt_f64_e64 vcc, v[51:52], |v[53:54]|
	v_div_fixup_f64 v[9:10], v[11:12], v[17:18], v[9:10]
	v_mul_f64 v[11:12], v[9:10], v[9:10]
	v_fma_f64 v[17:18], v[11:12], s[14:15], v[29:30]
	s_mov_b32 s14, 0x69efb384
	s_mov_b32 s15, 0x3f4b2bb0
	v_fma_f64 v[17:18], v[11:12], v[17:18], s[14:15]
	s_mov_b32 s14, 0xaf56de9b
	s_mov_b32 s15, 0xbf67952d
	;; [unrolled: 3-line block ×10, first 2 shown]
	v_fma_f64 v[17:18], v[11:12], v[17:18], s[14:15]
	v_cmp_eq_f64_e64 s[14:15], 0, v[53:54]
	v_fma_f64 v[17:18], v[11:12], v[17:18], s[96:97]
	v_fma_f64 v[17:18], v[11:12], v[17:18], s[98:99]
	;; [unrolled: 1-line block ×8, first 2 shown]
	v_mul_f64 v[11:12], v[11:12], v[17:18]
	v_xor_b32_e32 v17, 0x80000000, v52
	v_fma_f64 v[9:10], v[9:10], v[11:12], v[9:10]
	v_add_f64 v[11:12], -v[9:10], s[28:29]
	v_cndmask_b32_e32 v10, v10, v12, vcc
	v_cndmask_b32_e32 v9, v9, v11, vcc
	v_add_f64 v[11:12], -v[9:10], s[60:61]
	v_cmp_gt_i32_e32 vcc, 0, v17
	v_ashrrev_i32_e32 v17, 31, v17
	v_and_b32_e32 v39, 0x54442d18, v17
	v_and_b32_e32 v17, 0x400921fb, v17
	v_cndmask_b32_e32 v18, v64, v65, vcc
	v_cndmask_b32_e32 v9, v9, v11, vcc
	;; [unrolled: 1-line block ×4, first 2 shown]
	v_cndmask_b32_e64 v9, v9, v39, s[14:15]
	v_cndmask_b32_e64 v10, v10, v17, s[14:15]
	s_and_b64 vcc, s[16:17], s[84:85]
	v_cndmask_b32_e32 v10, v10, v11, vcc
	v_cndmask_b32_e32 v9, v9, v18, vcc
	v_cmp_o_f64_e32 vcc, v[53:54], v[53:54]
	v_cndmask_b32_e32 v17, 0, v9, vcc
	v_cndmask_b32_e32 v9, v62, v10, vcc
	v_bfi_b32 v18, s94, v9, v54
.LBB42_698:                             ;   in Loop: Header=BB42_417 Depth=1
	s_or_b64 exec, exec, s[82:83]
.LBB42_699:                             ;   in Loop: Header=BB42_417 Depth=1
	s_or_b64 exec, exec, s[80:81]
	v_xor_b32_e32 v9, 0x80000000, v20
	v_cndmask_b32_e64 v20, v9, v20, s[12:13]
                                        ; implicit-def: $vgpr9_vgpr10
.LBB42_700:                             ;   in Loop: Header=BB42_417 Depth=1
	s_andn2_saveexec_b64 s[14:15], s[78:79]
	s_cbranch_execz .LBB42_702
; %bb.701:                              ;   in Loop: Header=BB42_417 Depth=1
	v_mov_b32_e32 v11, s18
	v_mov_b32_e32 v12, s19
	flat_load_dwordx2 v[11:12], v[11:12] glc
	s_waitcnt vmcnt(0) lgkmcnt(0)
	v_add_f64 v[9:10], v[11:12], -v[9:10]
	v_add_f64 v[17:18], v[9:10], s[28:29]
.LBB42_702:                             ;   in Loop: Header=BB42_417 Depth=1
	s_or_b64 exec, exec, s[14:15]
.LBB42_703:                             ;   in Loop: Header=BB42_417 Depth=1
	s_andn2_saveexec_b64 s[14:15], s[76:77]
	s_cbranch_execz .LBB42_705
; %bb.704:                              ;   in Loop: Header=BB42_417 Depth=1
	s_waitcnt lgkmcnt(0)
	v_mov_b32_e32 v17, 0
	v_mov_b32_e32 v18, 0
.LBB42_705:                             ;   in Loop: Header=BB42_417 Depth=1
	s_or_b64 exec, exec, s[14:15]
                                        ; implicit-def: $vgpr9_vgpr10
                                        ; implicit-def: $vgpr41_vgpr42
                                        ; implicit-def: $vgpr43_vgpr44
                                        ; implicit-def: $vgpr39_vgpr40
.LBB42_706:                             ;   in Loop: Header=BB42_417 Depth=1
	s_andn2_saveexec_b64 s[74:75], s[74:75]
	s_cbranch_execz .LBB42_716
; %bb.707:                              ;   in Loop: Header=BB42_417 Depth=1
	v_cmp_lt_f64_e64 s[14:15], |v[9:10]|, |v[11:12]|
	v_and_b32_e32 v47, 0x7fffffff, v10
	v_and_b32_e32 v48, 0x7fffffff, v12
	s_mov_b32 s16, -1
	s_mov_b32 s17, 0x7fdfffff
                                        ; implicit-def: $vgpr17_vgpr18
                                        ; implicit-def: $vgpr19_vgpr20
	v_cndmask_b32_e64 v46, v47, v48, s[14:15]
	v_cndmask_b32_e64 v45, v9, v11, s[14:15]
	v_cmp_nlt_f64_e32 vcc, s[16:17], v[45:46]
                                        ; implicit-def: $sgpr16_sgpr17
	s_and_saveexec_b64 s[76:77], vcc
	s_xor_b64 s[76:77], exec, s[76:77]
	s_cbranch_execz .LBB42_713
; %bb.708:                              ;   in Loop: Header=BB42_417 Depth=1
	s_mov_b32 s16, 0
	s_mov_b32 s17, 0x20200000
	v_cmp_nlt_f64_e32 vcc, s[16:17], v[45:46]
	s_mov_b32 s16, 0
	v_cndmask_b32_e64 v48, v48, v47, s[14:15]
	v_cndmask_b32_e64 v47, v11, v9, s[14:15]
	s_brev_b32 s17, 4
	v_cmp_ngt_f64_e64 s[16:17], s[16:17], v[47:48]
                                        ; implicit-def: $vgpr17_vgpr18
                                        ; implicit-def: $vgpr19_vgpr20
	s_and_b64 s[78:79], vcc, s[16:17]
                                        ; implicit-def: $sgpr16_sgpr17
	s_and_saveexec_b64 s[80:81], s[78:79]
	s_xor_b64 s[78:79], exec, s[80:81]
	s_cbranch_execz .LBB42_710
; %bb.709:                              ;   in Loop: Header=BB42_417 Depth=1
	s_waitcnt lgkmcnt(0)
	v_mul_f64 v[17:18], v[47:48], v[47:48]
	s_mov_b32 s31, s73
	v_cmp_class_f64_e64 s[80:81], v[9:10], s95
	v_fma_f64 v[17:18], v[45:46], v[45:46], v[17:18]
	v_frexp_mant_f64_e32 v[19:20], v[17:18]
	v_frexp_exp_i32_f64_e32 v45, v[17:18]
	v_cmp_gt_f64_e32 vcc, s[72:73], v[19:20]
	v_cndmask_b32_e64 v46, 0, 1, vcc
	v_ldexp_f64 v[19:20], v[19:20], v46
	v_subbrev_co_u32_e32 v70, vcc, 0, v45, vcc
	v_cmp_class_f64_e64 vcc, v[17:18], s95
	v_add_f64 v[47:48], v[19:20], 1.0
	v_add_f64 v[45:46], v[19:20], -1.0
	v_add_f64 v[49:50], v[47:48], -1.0
	v_add_f64 v[19:20], v[19:20], -v[49:50]
	v_rcp_f64_e32 v[49:50], v[47:48]
	v_fma_f64 v[51:52], -v[47:48], v[49:50], 1.0
	v_fma_f64 v[49:50], v[51:52], v[49:50], v[49:50]
	v_fma_f64 v[51:52], -v[47:48], v[49:50], 1.0
	v_fma_f64 v[49:50], v[51:52], v[49:50], v[49:50]
	v_mul_f64 v[51:52], v[45:46], v[49:50]
	v_mul_f64 v[53:54], v[47:48], v[51:52]
	v_fma_f64 v[47:48], v[51:52], v[47:48], -v[53:54]
	v_fma_f64 v[19:20], v[51:52], v[19:20], v[47:48]
	v_add_f64 v[47:48], v[53:54], v[19:20]
	v_add_f64 v[68:69], v[45:46], -v[47:48]
	v_add_f64 v[53:54], v[47:48], -v[53:54]
	;; [unrolled: 1-line block ×5, first 2 shown]
	v_add_f64 v[19:20], v[19:20], v[45:46]
	v_add_f64 v[19:20], v[68:69], v[19:20]
	v_mul_f64 v[19:20], v[49:50], v[19:20]
	v_add_f64 v[45:46], v[51:52], v[19:20]
	v_add_f64 v[47:48], v[45:46], -v[51:52]
	v_ldexp_f64 v[51:52], v[45:46], 1
	v_add_f64 v[19:20], v[19:20], -v[47:48]
	v_mul_f64 v[47:48], v[45:46], v[45:46]
	v_ldexp_f64 v[19:20], v[19:20], 1
	v_fma_f64 v[49:50], v[47:48], s[34:35], v[23:24]
	v_mul_f64 v[45:46], v[45:46], v[47:48]
	v_fma_f64 v[49:50], v[47:48], v[49:50], s[36:37]
	v_fma_f64 v[49:50], v[47:48], v[49:50], s[38:39]
	v_fma_f64 v[49:50], v[47:48], v[49:50], s[40:41]
	v_fma_f64 v[49:50], v[47:48], v[49:50], s[42:43]
	v_fma_f64 v[49:50], v[47:48], v[49:50], s[30:31]
	v_mul_f64 v[45:46], v[45:46], v[49:50]
	v_add_f64 v[47:48], v[51:52], v[45:46]
	v_add_f64 v[49:50], v[47:48], -v[51:52]
	v_add_f64 v[45:46], v[45:46], -v[49:50]
	v_add_f64 v[19:20], v[19:20], v[45:46]
	v_add_f64 v[45:46], v[47:48], v[19:20]
	v_add_f64 v[47:48], v[45:46], -v[47:48]
	v_add_f64 v[19:20], v[19:20], -v[47:48]
	v_cvt_f64_i32_e32 v[47:48], v70
	v_mul_f64 v[49:50], v[47:48], s[44:45]
	v_fma_f64 v[51:52], v[47:48], s[44:45], -v[49:50]
	v_fma_f64 v[47:48], v[47:48], s[46:47], v[51:52]
	v_add_f64 v[51:52], v[49:50], v[47:48]
	v_add_f64 v[49:50], v[51:52], -v[49:50]
	v_add_f64 v[47:48], v[47:48], -v[49:50]
	v_add_f64 v[49:50], v[51:52], v[45:46]
	v_add_f64 v[53:54], v[49:50], -v[51:52]
	v_add_f64 v[68:69], v[49:50], -v[53:54]
	;; [unrolled: 1-line block ×4, first 2 shown]
	v_add_f64 v[45:46], v[45:46], v[51:52]
	v_add_f64 v[51:52], v[47:48], v[19:20]
	v_add_f64 v[53:54], v[51:52], -v[47:48]
	v_add_f64 v[45:46], v[51:52], v[45:46]
	v_add_f64 v[68:69], v[51:52], -v[53:54]
	v_add_f64 v[19:20], v[19:20], -v[53:54]
	;; [unrolled: 1-line block ×3, first 2 shown]
	v_add_f64 v[19:20], v[19:20], v[47:48]
	v_add_f64 v[47:48], v[49:50], v[45:46]
	v_add_f64 v[49:50], v[47:48], -v[49:50]
	v_add_f64 v[45:46], v[45:46], -v[49:50]
	v_add_f64 v[19:20], v[19:20], v[45:46]
	v_add_f64 v[19:20], v[47:48], v[19:20]
	v_cndmask_b32_e32 v20, v20, v18, vcc
	v_cndmask_b32_e32 v19, v19, v17, vcc
	v_mul_f64 v[19:20], v[19:20], 0.5
	v_cmp_neq_f64_e32 vcc, 0, v[17:18]
	v_cndmask_b32_e32 v18, v61, v20, vcc
	v_cndmask_b32_e32 v17, 0, v19, vcc
	v_min_f64 v[19:20], v[41:42], v[43:44]
	v_div_scale_f64 v[41:42], s[16:17], v[39:40], v[39:40], v[19:20]
	s_mov_b32 s16, 0xb5e68a13
	s_mov_b32 s17, 0x3eeba404
	v_rcp_f64_e32 v[43:44], v[41:42]
	v_fma_f64 v[45:46], -v[41:42], v[43:44], 1.0
	v_fma_f64 v[43:44], v[43:44], v[45:46], v[43:44]
	v_fma_f64 v[45:46], -v[41:42], v[43:44], 1.0
	v_fma_f64 v[43:44], v[43:44], v[45:46], v[43:44]
	v_div_scale_f64 v[45:46], vcc, v[19:20], v[39:40], v[19:20]
	v_mul_f64 v[47:48], v[45:46], v[43:44]
	v_fma_f64 v[41:42], -v[41:42], v[47:48], v[45:46]
	s_nop 1
	v_div_fmas_f64 v[41:42], v[41:42], v[43:44], v[47:48]
                                        ; implicit-def: $vgpr43_vgpr44
	v_div_fixup_f64 v[19:20], v[41:42], v[39:40], v[19:20]
	v_mul_f64 v[39:40], v[19:20], v[19:20]
	v_fma_f64 v[41:42], v[39:40], s[16:17], v[29:30]
	s_mov_b32 s16, 0x69efb384
	s_mov_b32 s17, 0x3f4b2bb0
	v_fma_f64 v[41:42], v[39:40], v[41:42], s[16:17]
	s_mov_b32 s16, 0xaf56de9b
	s_mov_b32 s17, 0xbf67952d
	;; [unrolled: 3-line block ×10, first 2 shown]
	v_fma_f64 v[41:42], v[39:40], v[41:42], s[16:17]
	v_cmp_class_f64_e64 s[16:17], v[11:12], s95
	v_fma_f64 v[41:42], v[39:40], v[41:42], s[96:97]
	s_and_b64 s[16:17], s[16:17], s[80:81]
	v_fma_f64 v[41:42], v[39:40], v[41:42], s[98:99]
	v_fma_f64 v[41:42], v[39:40], v[41:42], s[48:49]
	;; [unrolled: 1-line block ×7, first 2 shown]
	v_mul_f64 v[39:40], v[39:40], v[41:42]
                                        ; implicit-def: $vgpr41_vgpr42
	v_fma_f64 v[19:20], v[19:20], v[39:40], v[19:20]
                                        ; implicit-def: $vgpr39_vgpr40
.LBB42_710:                             ;   in Loop: Header=BB42_417 Depth=1
	s_andn2_saveexec_b64 s[78:79], s[78:79]
	s_cbranch_execz .LBB42_712
; %bb.711:                              ;   in Loop: Header=BB42_417 Depth=1
	v_frexp_exp_i32_f64_e32 v49, v[39:40]
	v_cmp_class_f64_e64 s[80:81], v[9:10], s95
	v_cmp_class_f64_e64 s[82:83], v[11:12], s95
	s_mov_b32 s31, s73
	s_andn2_b64 s[16:17], s[16:17], exec
	v_sub_u32_e32 v19, 0, v49
	s_waitcnt lgkmcnt(0)
	v_ldexp_f64 v[17:18], |v[9:10]|, v19
	v_ldexp_f64 v[19:20], |v[11:12]|, v19
	v_mul_f64 v[19:20], v[19:20], v[19:20]
	v_fma_f64 v[17:18], v[17:18], v[17:18], v[19:20]
	v_rsq_f64_e32 v[19:20], v[17:18]
	v_cmp_eq_f64_e32 vcc, 0, v[17:18]
	v_mul_f64 v[45:46], v[17:18], v[19:20]
	v_mul_f64 v[19:20], v[19:20], 0.5
	v_fma_f64 v[47:48], -v[19:20], v[45:46], 0.5
	v_fma_f64 v[45:46], v[45:46], v[47:48], v[45:46]
	v_fma_f64 v[19:20], v[19:20], v[47:48], v[19:20]
	v_fma_f64 v[47:48], -v[45:46], v[45:46], v[17:18]
	v_fma_f64 v[19:20], v[47:48], v[19:20], v[45:46]
	v_cndmask_b32_e32 v18, v20, v18, vcc
	v_cndmask_b32_e32 v17, v19, v17, vcc
	v_ldexp_f64 v[17:18], v[17:18], v49
	s_or_b64 vcc, s[82:83], s[80:81]
	s_and_b64 s[80:81], s[82:83], s[80:81]
	s_and_b64 s[80:81], s[80:81], exec
	s_or_b64 s[16:17], s[16:17], s[80:81]
	v_cndmask_b32_e32 v19, v18, v57, vcc
	v_cndmask_b32_e64 v18, v17, 0, vcc
	v_frexp_mant_f64_e32 v[45:46], v[18:19]
	v_frexp_exp_i32_f64_e32 v17, v[18:19]
	v_cmp_gt_f64_e32 vcc, s[72:73], v[45:46]
	v_cndmask_b32_e64 v20, 0, 1, vcc
	v_ldexp_f64 v[45:46], v[45:46], v20
	v_subbrev_co_u32_e32 v17, vcc, 0, v17, vcc
	v_cmp_class_f64_e64 vcc, v[18:19], s95
	v_add_f64 v[49:50], v[45:46], 1.0
	v_add_f64 v[47:48], v[45:46], -1.0
	v_add_f64 v[51:52], v[49:50], -1.0
	v_add_f64 v[45:46], v[45:46], -v[51:52]
	v_rcp_f64_e32 v[51:52], v[49:50]
	v_fma_f64 v[53:54], -v[49:50], v[51:52], 1.0
	v_fma_f64 v[51:52], v[53:54], v[51:52], v[51:52]
	v_fma_f64 v[53:54], -v[49:50], v[51:52], 1.0
	v_fma_f64 v[51:52], v[53:54], v[51:52], v[51:52]
	v_mul_f64 v[53:54], v[47:48], v[51:52]
	v_mul_f64 v[68:69], v[49:50], v[53:54]
	v_fma_f64 v[49:50], v[53:54], v[49:50], -v[68:69]
	v_fma_f64 v[45:46], v[53:54], v[45:46], v[49:50]
	v_add_f64 v[49:50], v[68:69], v[45:46]
	v_add_f64 v[70:71], v[47:48], -v[49:50]
	v_add_f64 v[68:69], v[49:50], -v[68:69]
	;; [unrolled: 1-line block ×5, first 2 shown]
	v_add_f64 v[45:46], v[45:46], v[47:48]
	v_add_f64 v[45:46], v[70:71], v[45:46]
	v_mul_f64 v[45:46], v[51:52], v[45:46]
	v_add_f64 v[47:48], v[53:54], v[45:46]
	v_add_f64 v[49:50], v[47:48], -v[53:54]
	v_ldexp_f64 v[53:54], v[47:48], 1
	v_add_f64 v[45:46], v[45:46], -v[49:50]
	v_mul_f64 v[49:50], v[47:48], v[47:48]
	v_ldexp_f64 v[45:46], v[45:46], 1
	v_fma_f64 v[51:52], v[49:50], s[34:35], v[23:24]
	v_mul_f64 v[47:48], v[47:48], v[49:50]
	v_fma_f64 v[51:52], v[49:50], v[51:52], s[36:37]
	v_fma_f64 v[51:52], v[49:50], v[51:52], s[38:39]
	;; [unrolled: 1-line block ×5, first 2 shown]
	v_mul_f64 v[47:48], v[47:48], v[51:52]
	v_add_f64 v[49:50], v[53:54], v[47:48]
	v_add_f64 v[51:52], v[49:50], -v[53:54]
	v_add_f64 v[47:48], v[47:48], -v[51:52]
	v_add_f64 v[45:46], v[45:46], v[47:48]
	v_add_f64 v[47:48], v[49:50], v[45:46]
	v_add_f64 v[49:50], v[47:48], -v[49:50]
	v_add_f64 v[45:46], v[45:46], -v[49:50]
	v_cvt_f64_i32_e32 v[49:50], v17
	v_mul_f64 v[51:52], v[49:50], s[44:45]
	v_fma_f64 v[53:54], v[49:50], s[44:45], -v[51:52]
	v_fma_f64 v[49:50], v[49:50], s[46:47], v[53:54]
	v_add_f64 v[53:54], v[51:52], v[49:50]
	v_add_f64 v[51:52], v[53:54], -v[51:52]
	v_add_f64 v[49:50], v[49:50], -v[51:52]
	v_add_f64 v[51:52], v[53:54], v[47:48]
	v_add_f64 v[68:69], v[51:52], -v[53:54]
	v_add_f64 v[70:71], v[51:52], -v[68:69]
	;; [unrolled: 1-line block ×4, first 2 shown]
	v_add_f64 v[47:48], v[47:48], v[53:54]
	v_add_f64 v[53:54], v[49:50], v[45:46]
	v_add_f64 v[68:69], v[53:54], -v[49:50]
	v_add_f64 v[47:48], v[53:54], v[47:48]
	v_add_f64 v[70:71], v[53:54], -v[68:69]
	v_add_f64 v[45:46], v[45:46], -v[68:69]
	;; [unrolled: 1-line block ×3, first 2 shown]
	v_add_f64 v[45:46], v[45:46], v[49:50]
	v_add_f64 v[49:50], v[51:52], v[47:48]
	v_add_f64 v[51:52], v[49:50], -v[51:52]
	v_add_f64 v[47:48], v[47:48], -v[51:52]
	v_add_f64 v[45:46], v[45:46], v[47:48]
	v_add_f64 v[45:46], v[49:50], v[45:46]
	v_cndmask_b32_e32 v17, v45, v18, vcc
	v_cndmask_b32_e32 v20, v46, v19, vcc
	v_cmp_ngt_f64_e32 vcc, 0, v[18:19]
	v_cndmask_b32_e32 v20, v62, v20, vcc
	v_cmp_nge_f64_e32 vcc, 0, v[18:19]
	v_cndmask_b32_e32 v17, 0, v17, vcc
	v_cmp_neq_f64_e32 vcc, 0, v[18:19]
	v_cndmask_b32_e32 v18, v61, v20, vcc
	v_min_f64 v[19:20], v[41:42], v[43:44]
	v_div_scale_f64 v[41:42], s[84:85], v[39:40], v[39:40], v[19:20]
	s_mov_b32 s84, 0xb5e68a13
	s_mov_b32 s85, 0x3eeba404
	v_rcp_f64_e32 v[43:44], v[41:42]
	v_fma_f64 v[45:46], -v[41:42], v[43:44], 1.0
	v_fma_f64 v[43:44], v[43:44], v[45:46], v[43:44]
	v_fma_f64 v[45:46], -v[41:42], v[43:44], 1.0
	v_fma_f64 v[43:44], v[43:44], v[45:46], v[43:44]
	v_div_scale_f64 v[45:46], vcc, v[19:20], v[39:40], v[19:20]
	v_mul_f64 v[47:48], v[45:46], v[43:44]
	v_fma_f64 v[41:42], -v[41:42], v[47:48], v[45:46]
	s_nop 1
	v_div_fmas_f64 v[41:42], v[41:42], v[43:44], v[47:48]
	v_div_fixup_f64 v[19:20], v[41:42], v[39:40], v[19:20]
	v_mul_f64 v[39:40], v[19:20], v[19:20]
	v_fma_f64 v[41:42], v[39:40], s[84:85], v[29:30]
	s_mov_b32 s84, 0x69efb384
	s_mov_b32 s85, 0x3f4b2bb0
	v_fma_f64 v[41:42], v[39:40], v[41:42], s[84:85]
	s_mov_b32 s84, 0xaf56de9b
	s_mov_b32 s85, 0xbf67952d
	;; [unrolled: 3-line block ×10, first 2 shown]
	v_fma_f64 v[41:42], v[39:40], v[41:42], s[84:85]
	v_fma_f64 v[41:42], v[39:40], v[41:42], s[96:97]
	;; [unrolled: 1-line block ×9, first 2 shown]
	v_mul_f64 v[39:40], v[39:40], v[41:42]
	v_fma_f64 v[19:20], v[19:20], v[39:40], v[19:20]
.LBB42_712:                             ;   in Loop: Header=BB42_417 Depth=1
	s_or_b64 exec, exec, s[78:79]
                                        ; implicit-def: $vgpr41_vgpr42
                                        ; implicit-def: $vgpr43_vgpr44
                                        ; implicit-def: $vgpr39_vgpr40
.LBB42_713:                             ;   in Loop: Header=BB42_417 Depth=1
	s_andn2_saveexec_b64 s[76:77], s[76:77]
	s_cbranch_execz .LBB42_715
; %bb.714:                              ;   in Loop: Header=BB42_417 Depth=1
	s_waitcnt lgkmcnt(0)
	v_div_scale_f64 v[17:18], s[78:79], s[64:65], s[64:65], v[9:10]
	s_mov_b32 s31, s73
	s_andn2_b64 s[16:17], s[16:17], exec
	v_rcp_f64_e32 v[19:20], v[17:18]
	v_fma_f64 v[45:46], -v[17:18], v[19:20], 1.0
	v_fma_f64 v[19:20], v[19:20], v[45:46], v[19:20]
	v_fma_f64 v[45:46], -v[17:18], v[19:20], 1.0
	v_fma_f64 v[19:20], v[19:20], v[45:46], v[19:20]
	v_div_scale_f64 v[45:46], vcc, v[9:10], s[64:65], v[9:10]
	v_mul_f64 v[47:48], v[45:46], v[19:20]
	v_fma_f64 v[17:18], -v[17:18], v[47:48], v[45:46]
	s_nop 1
	v_div_fmas_f64 v[17:18], v[17:18], v[19:20], v[47:48]
	v_div_scale_f64 v[19:20], s[78:79], s[64:65], s[64:65], v[11:12]
	v_div_fixup_f64 v[17:18], v[17:18], s[64:65], v[9:10]
	v_rcp_f64_e32 v[45:46], v[19:20]
	v_cmp_class_f64_e64 s[78:79], v[17:18], s95
	v_fma_f64 v[47:48], -v[19:20], v[45:46], 1.0
	v_fma_f64 v[45:46], v[45:46], v[47:48], v[45:46]
	v_fma_f64 v[47:48], -v[19:20], v[45:46], 1.0
	v_fma_f64 v[45:46], v[45:46], v[47:48], v[45:46]
	v_div_scale_f64 v[47:48], vcc, v[11:12], s[64:65], v[11:12]
	v_mul_f64 v[49:50], v[47:48], v[45:46]
	v_fma_f64 v[19:20], -v[19:20], v[49:50], v[47:48]
	s_nop 1
	v_div_fmas_f64 v[19:20], v[19:20], v[45:46], v[49:50]
	v_div_fixup_f64 v[19:20], v[19:20], s[64:65], v[11:12]
	v_max_f64 v[45:46], |v[17:18]|, |v[19:20]|
	v_cmp_class_f64_e64 s[80:81], v[19:20], s95
	v_frexp_exp_i32_f64_e32 v53, v[45:46]
	v_sub_u32_e32 v47, 0, v53
	v_ldexp_f64 v[45:46], |v[17:18]|, v47
	v_ldexp_f64 v[47:48], |v[19:20]|, v47
	v_mul_f64 v[47:48], v[47:48], v[47:48]
	v_fma_f64 v[45:46], v[45:46], v[45:46], v[47:48]
	v_rsq_f64_e32 v[47:48], v[45:46]
	v_cmp_eq_f64_e32 vcc, 0, v[45:46]
	v_mul_f64 v[49:50], v[45:46], v[47:48]
	v_mul_f64 v[47:48], v[47:48], 0.5
	v_fma_f64 v[51:52], -v[47:48], v[49:50], 0.5
	v_fma_f64 v[49:50], v[49:50], v[51:52], v[49:50]
	v_fma_f64 v[47:48], v[47:48], v[51:52], v[47:48]
	v_fma_f64 v[51:52], -v[49:50], v[49:50], v[45:46]
	v_fma_f64 v[47:48], v[51:52], v[47:48], v[49:50]
	v_cndmask_b32_e32 v46, v48, v46, vcc
	v_cndmask_b32_e32 v45, v47, v45, vcc
	v_ldexp_f64 v[45:46], v[45:46], v53
	s_or_b64 vcc, s[80:81], s[78:79]
	v_cmp_class_f64_e64 s[80:81], v[9:10], s95
	v_cndmask_b32_e32 v19, v46, v57, vcc
	v_cndmask_b32_e64 v18, v45, 0, vcc
	v_frexp_mant_f64_e32 v[45:46], v[18:19]
	v_frexp_exp_i32_f64_e32 v17, v[18:19]
	v_cmp_gt_f64_e32 vcc, s[72:73], v[45:46]
	v_cndmask_b32_e64 v20, 0, 1, vcc
	v_ldexp_f64 v[45:46], v[45:46], v20
	v_subbrev_co_u32_e32 v17, vcc, 0, v17, vcc
	v_cmp_class_f64_e64 vcc, v[18:19], s95
	v_add_f64 v[49:50], v[45:46], 1.0
	v_add_f64 v[47:48], v[45:46], -1.0
	v_add_f64 v[51:52], v[49:50], -1.0
	v_add_f64 v[45:46], v[45:46], -v[51:52]
	v_rcp_f64_e32 v[51:52], v[49:50]
	v_fma_f64 v[53:54], -v[49:50], v[51:52], 1.0
	v_fma_f64 v[51:52], v[53:54], v[51:52], v[51:52]
	v_fma_f64 v[53:54], -v[49:50], v[51:52], 1.0
	v_fma_f64 v[51:52], v[53:54], v[51:52], v[51:52]
	v_mul_f64 v[53:54], v[47:48], v[51:52]
	v_mul_f64 v[68:69], v[49:50], v[53:54]
	v_fma_f64 v[49:50], v[53:54], v[49:50], -v[68:69]
	v_fma_f64 v[45:46], v[53:54], v[45:46], v[49:50]
	v_add_f64 v[49:50], v[68:69], v[45:46]
	v_add_f64 v[70:71], v[47:48], -v[49:50]
	v_add_f64 v[68:69], v[49:50], -v[68:69]
	;; [unrolled: 1-line block ×5, first 2 shown]
	v_add_f64 v[45:46], v[45:46], v[47:48]
	v_add_f64 v[45:46], v[70:71], v[45:46]
	v_mul_f64 v[45:46], v[51:52], v[45:46]
	v_add_f64 v[47:48], v[53:54], v[45:46]
	v_add_f64 v[49:50], v[47:48], -v[53:54]
	v_ldexp_f64 v[53:54], v[47:48], 1
	v_add_f64 v[45:46], v[45:46], -v[49:50]
	v_mul_f64 v[49:50], v[47:48], v[47:48]
	v_ldexp_f64 v[45:46], v[45:46], 1
	v_fma_f64 v[51:52], v[49:50], s[34:35], v[23:24]
	v_mul_f64 v[47:48], v[47:48], v[49:50]
	v_fma_f64 v[51:52], v[49:50], v[51:52], s[36:37]
	v_fma_f64 v[51:52], v[49:50], v[51:52], s[38:39]
	;; [unrolled: 1-line block ×5, first 2 shown]
	v_mul_f64 v[47:48], v[47:48], v[51:52]
	v_add_f64 v[49:50], v[53:54], v[47:48]
	v_add_f64 v[51:52], v[49:50], -v[53:54]
	v_add_f64 v[47:48], v[47:48], -v[51:52]
	v_add_f64 v[45:46], v[45:46], v[47:48]
	v_add_f64 v[47:48], v[49:50], v[45:46]
	v_add_f64 v[49:50], v[47:48], -v[49:50]
	v_add_f64 v[45:46], v[45:46], -v[49:50]
	v_cvt_f64_i32_e32 v[49:50], v17
	v_mul_f64 v[51:52], v[49:50], s[44:45]
	v_fma_f64 v[53:54], v[49:50], s[44:45], -v[51:52]
	v_fma_f64 v[49:50], v[49:50], s[46:47], v[53:54]
	v_add_f64 v[53:54], v[51:52], v[49:50]
	v_add_f64 v[51:52], v[53:54], -v[51:52]
	v_add_f64 v[49:50], v[49:50], -v[51:52]
	v_add_f64 v[51:52], v[53:54], v[47:48]
	v_add_f64 v[68:69], v[51:52], -v[53:54]
	v_add_f64 v[70:71], v[51:52], -v[68:69]
	;; [unrolled: 1-line block ×4, first 2 shown]
	v_add_f64 v[47:48], v[47:48], v[53:54]
	v_add_f64 v[53:54], v[49:50], v[45:46]
	v_add_f64 v[68:69], v[53:54], -v[49:50]
	v_add_f64 v[47:48], v[53:54], v[47:48]
	v_add_f64 v[70:71], v[53:54], -v[68:69]
	v_add_f64 v[45:46], v[45:46], -v[68:69]
	;; [unrolled: 1-line block ×3, first 2 shown]
	v_add_f64 v[45:46], v[45:46], v[49:50]
	v_add_f64 v[49:50], v[51:52], v[47:48]
	v_add_f64 v[51:52], v[49:50], -v[51:52]
	v_add_f64 v[47:48], v[47:48], -v[51:52]
	v_add_f64 v[45:46], v[45:46], v[47:48]
	v_add_f64 v[45:46], v[49:50], v[45:46]
	v_cndmask_b32_e32 v46, v46, v19, vcc
	v_cndmask_b32_e32 v45, v45, v18, vcc
	v_add_f64 v[45:46], v[45:46], 1.0
	v_cmp_ngt_f64_e32 vcc, 0, v[18:19]
	v_cndmask_b32_e32 v20, v62, v46, vcc
	v_cmp_nge_f64_e32 vcc, 0, v[18:19]
	v_cndmask_b32_e32 v17, 0, v45, vcc
	v_cmp_neq_f64_e32 vcc, 0, v[18:19]
	v_cndmask_b32_e32 v18, v61, v20, vcc
	v_min_f64 v[19:20], v[41:42], v[43:44]
	v_div_scale_f64 v[41:42], s[78:79], v[39:40], v[39:40], v[19:20]
	s_mov_b32 s78, 0xb5e68a13
	s_mov_b32 s79, 0x3eeba404
	v_rcp_f64_e32 v[43:44], v[41:42]
	v_fma_f64 v[45:46], -v[41:42], v[43:44], 1.0
	v_fma_f64 v[43:44], v[43:44], v[45:46], v[43:44]
	v_fma_f64 v[45:46], -v[41:42], v[43:44], 1.0
	v_fma_f64 v[43:44], v[43:44], v[45:46], v[43:44]
	v_div_scale_f64 v[45:46], vcc, v[19:20], v[39:40], v[19:20]
	v_mul_f64 v[47:48], v[45:46], v[43:44]
	v_fma_f64 v[41:42], -v[41:42], v[47:48], v[45:46]
	s_nop 1
	v_div_fmas_f64 v[41:42], v[41:42], v[43:44], v[47:48]
	v_div_fixup_f64 v[19:20], v[41:42], v[39:40], v[19:20]
	v_mul_f64 v[39:40], v[19:20], v[19:20]
	v_fma_f64 v[41:42], v[39:40], s[78:79], v[29:30]
	s_mov_b32 s78, 0x69efb384
	s_mov_b32 s79, 0x3f4b2bb0
	v_fma_f64 v[41:42], v[39:40], v[41:42], s[78:79]
	s_mov_b32 s78, 0xaf56de9b
	s_mov_b32 s79, 0xbf67952d
	;; [unrolled: 3-line block ×10, first 2 shown]
	v_fma_f64 v[41:42], v[39:40], v[41:42], s[78:79]
	v_cmp_class_f64_e64 s[78:79], v[11:12], s95
	v_fma_f64 v[41:42], v[39:40], v[41:42], s[96:97]
	s_and_b64 s[78:79], s[78:79], s[80:81]
	s_and_b64 s[78:79], s[78:79], exec
	s_or_b64 s[16:17], s[16:17], s[78:79]
	v_fma_f64 v[41:42], v[39:40], v[41:42], s[98:99]
	v_fma_f64 v[41:42], v[39:40], v[41:42], s[48:49]
	;; [unrolled: 1-line block ×7, first 2 shown]
	v_mul_f64 v[39:40], v[39:40], v[41:42]
	v_fma_f64 v[19:20], v[19:20], v[39:40], v[19:20]
.LBB42_715:                             ;   in Loop: Header=BB42_417 Depth=1
	s_or_b64 exec, exec, s[76:77]
	v_add_f64 v[39:40], -v[19:20], s[28:29]
	s_mov_b32 s60, s28
	v_cmp_gt_i32_e32 vcc, 0, v10
	v_ashrrev_i32_e32 v10, 31, v10
	v_cndmask_b32_e32 v9, v64, v65, vcc
	v_cndmask_b32_e64 v40, v20, v40, s[14:15]
	v_cndmask_b32_e64 v39, v19, v39, s[14:15]
	v_add_f64 v[41:42], -v[39:40], s[60:61]
	v_cmp_eq_f64_e64 s[14:15], 0, v[11:12]
	s_waitcnt lgkmcnt(0)
	v_add_f64 v[19:20], v[17:18], s[44:45]
	v_and_b32_e32 v17, 0x54442d18, v10
	v_cndmask_b32_e32 v11, v66, v67, vcc
	v_and_b32_e32 v10, 0x400921fb, v10
	v_bfi_b32 v11, s94, v11, v12
	v_cndmask_b32_e32 v18, v39, v41, vcc
	v_cndmask_b32_e32 v39, v40, v42, vcc
	v_cndmask_b32_e64 v17, v18, v17, s[14:15]
	v_cndmask_b32_e64 v17, v17, v9, s[16:17]
	;; [unrolled: 1-line block ×3, first 2 shown]
	v_xor_b32_e32 v12, 0x80000000, v20
	v_cndmask_b32_e64 v9, v9, v11, s[16:17]
	v_and_b32_e32 v18, 0x7fffffff, v9
	v_cndmask_b32_e64 v20, v12, v20, s[12:13]
.LBB42_716:                             ;   in Loop: Header=BB42_417 Depth=1
	s_or_b64 exec, exec, s[74:75]
                                        ; implicit-def: $vgpr11_vgpr12
.LBB42_717:                             ;   in Loop: Header=BB42_417 Depth=1
	s_andn2_saveexec_b64 s[12:13], s[62:63]
	s_cbranch_execz .LBB42_731
; %bb.718:                              ;   in Loop: Header=BB42_417 Depth=1
	v_cmp_neq_f64_e64 s[14:15], |v[9:10]|, s[70:71]
                                        ; implicit-def: $vgpr19_vgpr20
	s_and_saveexec_b64 s[16:17], s[14:15]
	s_xor_b64 s[14:15], exec, s[16:17]
	s_cbranch_execz .LBB42_728
; %bb.719:                              ;   in Loop: Header=BB42_417 Depth=1
	v_cmp_neq_f64_e64 s[16:17], |v[11:12]|, s[70:71]
	s_waitcnt lgkmcnt(0)
	v_xor_b32_e32 v20, 0x80000000, v12
	v_mov_b32_e32 v19, v11
	s_and_saveexec_b64 s[62:63], s[16:17]
	s_xor_b64 s[16:17], exec, s[62:63]
	s_cbranch_execz .LBB42_725
; %bb.720:                              ;   in Loop: Header=BB42_417 Depth=1
	v_cmp_neq_f64_e32 vcc, 0, v[9:10]
                                        ; implicit-def: $vgpr19_vgpr20
	s_and_saveexec_b64 s[62:63], vcc
	s_xor_b64 s[62:63], exec, s[62:63]
	s_cbranch_execz .LBB42_722
; %bb.721:                              ;   in Loop: Header=BB42_417 Depth=1
	v_add_f64 v[11:12], v[11:12], 0
	v_add_f64 v[19:20], v[9:10], v[11:12]
                                        ; implicit-def: $vgpr11_vgpr12
.LBB42_722:                             ;   in Loop: Header=BB42_417 Depth=1
	s_or_saveexec_b64 s[62:63], s[62:63]
	v_mov_b32_e32 v17, v19
	v_mov_b32_e32 v18, v20
	s_xor_b64 exec, exec, s[62:63]
	s_cbranch_execz .LBB42_724
; %bb.723:                              ;   in Loop: Header=BB42_417 Depth=1
	v_mov_b32_e32 v9, s18
	v_mov_b32_e32 v10, s19
	flat_load_dwordx2 v[9:10], v[9:10] glc
	s_waitcnt vmcnt(0)
	v_add_f64 v[19:20], v[11:12], v[11:12]
	s_waitcnt lgkmcnt(0)
	v_add_f64 v[17:18], v[9:10], s[28:29]
.LBB42_724:                             ;   in Loop: Header=BB42_417 Depth=1
	s_or_b64 exec, exec, s[62:63]
                                        ; implicit-def: $vgpr9_vgpr10
.LBB42_725:                             ;   in Loop: Header=BB42_417 Depth=1
	s_andn2_saveexec_b64 s[16:17], s[16:17]
; %bb.726:                              ;   in Loop: Header=BB42_417 Depth=1
	v_add_f64 v[17:18], v[9:10], v[9:10]
; %bb.727:                              ;   in Loop: Header=BB42_417 Depth=1
	s_or_b64 exec, exec, s[16:17]
                                        ; implicit-def: $vgpr11_vgpr12
.LBB42_728:                             ;   in Loop: Header=BB42_417 Depth=1
	s_andn2_saveexec_b64 s[14:15], s[14:15]
	s_cbranch_execz .LBB42_730
; %bb.729:                              ;   in Loop: Header=BB42_417 Depth=1
	s_waitcnt lgkmcnt(0)
	v_add_f64 v[17:18], v[11:12], v[11:12]
	v_mov_b32_e32 v19, 0
	v_mov_b32_e32 v20, 0xfff00000
.LBB42_730:                             ;   in Loop: Header=BB42_417 Depth=1
	s_or_b64 exec, exec, s[14:15]
.LBB42_731:                             ;   in Loop: Header=BB42_417 Depth=1
	s_or_b64 exec, exec, s[12:13]
	v_cmp_o_f64_e32 vcc, v[1:2], v[3:4]
	v_mov_b32_e32 v9, s18
	v_mov_b32_e32 v10, s19
	flat_store_dwordx2 v[9:10], v[21:22]
	s_waitcnt vmcnt(0)
                                        ; implicit-def: $vgpr11_vgpr12
	s_and_saveexec_b64 s[12:13], vcc
	s_xor_b64 s[62:63], exec, s[12:13]
	s_cbranch_execnz .LBB42_737
; %bb.732:                              ;   in Loop: Header=BB42_417 Depth=1
	s_andn2_saveexec_b64 s[12:13], s[62:63]
	s_cbranch_execnz .LBB42_824
.LBB42_733:                             ;   in Loop: Header=BB42_417 Depth=1
	s_or_b64 exec, exec, s[12:13]
	s_and_saveexec_b64 s[12:13], s[4:5]
	s_xor_b64 s[4:5], exec, s[12:13]
	s_cbranch_execnz .LBB42_837
.LBB42_734:                             ;   in Loop: Header=BB42_417 Depth=1
	s_or_b64 exec, exec, s[4:5]
	s_and_saveexec_b64 s[4:5], s[6:7]
	s_cbranch_execnz .LBB42_838
.LBB42_735:                             ;   in Loop: Header=BB42_417 Depth=1
	s_or_b64 exec, exec, s[4:5]
	s_and_saveexec_b64 s[4:5], s[8:9]
	s_cbranch_execnz .LBB42_839
.LBB42_736:                             ;   in Loop: Header=BB42_417 Depth=1
	s_or_b64 exec, exec, s[4:5]
	s_and_saveexec_b64 s[4:5], s[10:11]
	s_cbranch_execz .LBB42_416
	s_branch .LBB42_840
.LBB42_737:                             ;   in Loop: Header=BB42_417 Depth=1
	v_max_f64 v[41:42], |v[1:2]|, |v[1:2]|
	v_max_f64 v[43:44], |v[3:4]|, |v[3:4]|
	v_cmp_gt_i64_e64 s[12:13], 0, v[3:4]
                                        ; implicit-def: $vgpr11_vgpr12
	v_max_f64 v[39:40], v[43:44], v[41:42]
	v_cmp_nlt_f64_e32 vcc, s[68:69], v[39:40]
	s_and_saveexec_b64 s[14:15], vcc
	s_xor_b64 s[74:75], exec, s[14:15]
	s_cbranch_execz .LBB42_813
; %bb.738:                              ;   in Loop: Header=BB42_417 Depth=1
	v_cmp_neq_f64_e32 vcc, 1.0, v[1:2]
	v_cmp_neq_f64_e64 s[14:15], 0, v[3:4]
	v_xor_b32_e32 v12, 0x80000000, v4
	v_mov_b32_e32 v11, v3
	s_or_b64 s[14:15], s[14:15], vcc
	s_and_saveexec_b64 s[16:17], s[14:15]
	s_xor_b64 s[76:77], exec, s[16:17]
	s_cbranch_execz .LBB42_810
; %bb.739:                              ;   in Loop: Header=BB42_417 Depth=1
	v_mov_b32_e32 v9, s24
	v_mov_b32_e32 v10, s25
	flat_store_dword v[9:10], v55
	s_waitcnt vmcnt(0)
	flat_load_dword v9, v[9:10] glc
	s_waitcnt vmcnt(0)
	v_cmp_nlt_f64_e64 s[14:15], |v[1:2]|, s[86:87]
	v_cmp_nlt_f64_e64 s[16:17], |v[3:4]|, s[86:87]
	s_or_b64 s[14:15], s[16:17], s[14:15]
	s_waitcnt lgkmcnt(0)
	v_add_f32_e32 v11, 1.0, v9
	v_mov_b32_e32 v9, s26
	v_mov_b32_e32 v10, s27
	flat_store_dword v[9:10], v11
	s_waitcnt vmcnt(0)
	flat_load_dword v9, v[9:10] glc
	s_waitcnt vmcnt(0)
	v_mov_b32_e32 v11, v3
	s_and_saveexec_b64 s[16:17], s[14:15]
	s_xor_b64 s[78:79], exec, s[16:17]
	s_cbranch_execz .LBB42_807
; %bb.740:                              ;   in Loop: Header=BB42_417 Depth=1
	s_waitcnt lgkmcnt(0)
	v_add_f64 v[9:10], |v[1:2]|, 1.0
	s_mov_b32 s14, 0
	s_mov_b32 s15, 0x40240000
	v_max_f64 v[11:12], v[43:44], v[9:10]
	v_frexp_exp_i32_f64_e32 v47, v[11:12]
	v_sub_u32_e32 v39, 0, v47
	v_ldexp_f64 v[11:12], |v[3:4]|, v39
	v_ldexp_f64 v[39:40], v[9:10], v39
	v_mul_f64 v[39:40], v[39:40], v[39:40]
	v_fma_f64 v[11:12], v[11:12], v[11:12], v[39:40]
	v_rsq_f64_e32 v[39:40], v[11:12]
	v_cmp_eq_f64_e32 vcc, 0, v[11:12]
	v_mul_f64 v[41:42], v[11:12], v[39:40]
	v_mul_f64 v[39:40], v[39:40], 0.5
	v_fma_f64 v[45:46], -v[39:40], v[41:42], 0.5
	v_fma_f64 v[41:42], v[41:42], v[45:46], v[41:42]
	v_fma_f64 v[39:40], v[39:40], v[45:46], v[39:40]
	v_fma_f64 v[45:46], -v[41:42], v[41:42], v[11:12]
	v_fma_f64 v[39:40], v[45:46], v[39:40], v[41:42]
	v_add_f64 v[41:42], |v[1:2]|, -1.0
	v_cndmask_b32_e32 v12, v40, v12, vcc
	v_cndmask_b32_e32 v11, v39, v11, vcc
	v_ldexp_f64 v[11:12], v[11:12], v47
	v_cmp_neq_f64_e32 vcc, s[70:71], v[9:10]
	v_cndmask_b32_e32 v40, v57, v12, vcc
	v_cndmask_b32_e32 v39, 0, v11, vcc
	v_max_f64 v[11:12], v[43:44], |v[41:42]|
	v_frexp_exp_i32_f64_e32 v49, v[11:12]
	v_sub_u32_e32 v43, 0, v49
	v_ldexp_f64 v[11:12], |v[3:4]|, v43
	v_ldexp_f64 v[43:44], |v[41:42]|, v43
	v_mul_f64 v[43:44], v[43:44], v[43:44]
	v_fma_f64 v[11:12], v[11:12], v[11:12], v[43:44]
	v_rsq_f64_e32 v[43:44], v[11:12]
	v_cmp_eq_f64_e32 vcc, 0, v[11:12]
	v_mul_f64 v[45:46], v[11:12], v[43:44]
	v_mul_f64 v[43:44], v[43:44], 0.5
	v_fma_f64 v[47:48], -v[43:44], v[45:46], 0.5
	v_fma_f64 v[45:46], v[45:46], v[47:48], v[45:46]
	v_fma_f64 v[43:44], v[43:44], v[47:48], v[43:44]
	v_fma_f64 v[47:48], -v[45:46], v[45:46], v[11:12]
	v_fma_f64 v[43:44], v[47:48], v[43:44], v[45:46]
	v_cndmask_b32_e32 v12, v44, v12, vcc
	v_cndmask_b32_e32 v11, v43, v11, vcc
	v_ldexp_f64 v[11:12], v[11:12], v49
	v_cmp_neq_f64_e64 vcc, |v[41:42]|, s[70:71]
	v_cndmask_b32_e32 v46, v57, v12, vcc
	v_cndmask_b32_e32 v45, 0, v11, vcc
	v_add_f64 v[11:12], v[39:40], v[45:46]
	v_mul_f64 v[11:12], v[11:12], 0.5
	v_cmp_ngt_f64_e32 vcc, 1.0, v[11:12]
	v_cndmask_b32_e32 v44, v58, v12, vcc
	v_cndmask_b32_e32 v43, 0, v11, vcc
	v_cmp_ngt_f64_e32 vcc, s[14:15], v[43:44]
                                        ; implicit-def: $vgpr11_vgpr12
	s_and_saveexec_b64 s[14:15], vcc
	s_xor_b64 s[14:15], exec, s[14:15]
	s_cbranch_execz .LBB42_742
; %bb.741:                              ;   in Loop: Header=BB42_417 Depth=1
	v_fma_f64 v[11:12], v[43:44], v[43:44], -1.0
	s_mov_b32 s16, 0
	s_brev_b32 s17, 8
	s_mov_b32 s31, s73
	v_cmp_gt_f64_e32 vcc, s[16:17], v[11:12]
	v_cndmask_b32_e32 v47, 0, v59, vcc
	v_ldexp_f64 v[11:12], v[11:12], v47
	v_rsq_f64_e32 v[47:48], v[11:12]
	v_mul_f64 v[49:50], v[11:12], v[47:48]
	v_mul_f64 v[47:48], v[47:48], 0.5
	v_fma_f64 v[51:52], -v[47:48], v[49:50], 0.5
	v_fma_f64 v[49:50], v[49:50], v[51:52], v[49:50]
	v_fma_f64 v[47:48], v[47:48], v[51:52], v[47:48]
	v_fma_f64 v[53:54], -v[49:50], v[49:50], v[11:12]
	v_fma_f64 v[49:50], v[53:54], v[47:48], v[49:50]
	v_fma_f64 v[51:52], -v[49:50], v[49:50], v[11:12]
	v_fma_f64 v[47:48], v[51:52], v[47:48], v[49:50]
	v_cndmask_b32_e32 v49, 0, v60, vcc
	v_cmp_class_f64_e32 vcc, v[11:12], v56
	v_ldexp_f64 v[47:48], v[47:48], v49
	v_cndmask_b32_e32 v12, v48, v12, vcc
	v_cndmask_b32_e32 v11, v47, v11, vcc
	v_add_f64 v[11:12], v[43:44], v[11:12]
	v_frexp_mant_f64_e32 v[47:48], v[11:12]
	v_frexp_exp_i32_f64_e32 v49, v[11:12]
	v_cmp_gt_f64_e32 vcc, s[72:73], v[47:48]
	v_cndmask_b32_e64 v50, 0, 1, vcc
	v_ldexp_f64 v[47:48], v[47:48], v50
	v_subbrev_co_u32_e32 v74, vcc, 0, v49, vcc
	v_cmp_class_f64_e64 vcc, v[11:12], s95
	v_add_f64 v[51:52], v[47:48], 1.0
	v_add_f64 v[49:50], v[47:48], -1.0
	v_add_f64 v[53:54], v[51:52], -1.0
	v_add_f64 v[47:48], v[47:48], -v[53:54]
	v_rcp_f64_e32 v[53:54], v[51:52]
	v_fma_f64 v[68:69], -v[51:52], v[53:54], 1.0
	v_fma_f64 v[53:54], v[68:69], v[53:54], v[53:54]
	v_fma_f64 v[68:69], -v[51:52], v[53:54], 1.0
	v_fma_f64 v[53:54], v[68:69], v[53:54], v[53:54]
	v_mul_f64 v[68:69], v[49:50], v[53:54]
	v_mul_f64 v[70:71], v[51:52], v[68:69]
	v_fma_f64 v[51:52], v[68:69], v[51:52], -v[70:71]
	v_fma_f64 v[47:48], v[68:69], v[47:48], v[51:52]
	v_add_f64 v[51:52], v[70:71], v[47:48]
	v_add_f64 v[72:73], v[49:50], -v[51:52]
	v_add_f64 v[70:71], v[51:52], -v[70:71]
	;; [unrolled: 1-line block ×5, first 2 shown]
	v_add_f64 v[47:48], v[47:48], v[49:50]
	v_add_f64 v[47:48], v[72:73], v[47:48]
	v_mul_f64 v[47:48], v[53:54], v[47:48]
	v_add_f64 v[49:50], v[68:69], v[47:48]
	v_add_f64 v[51:52], v[49:50], -v[68:69]
	v_ldexp_f64 v[68:69], v[49:50], 1
	v_add_f64 v[47:48], v[47:48], -v[51:52]
	v_mul_f64 v[51:52], v[49:50], v[49:50]
	v_ldexp_f64 v[47:48], v[47:48], 1
	v_fma_f64 v[53:54], v[51:52], s[34:35], v[23:24]
	v_mul_f64 v[49:50], v[49:50], v[51:52]
	v_fma_f64 v[53:54], v[51:52], v[53:54], s[36:37]
	v_fma_f64 v[53:54], v[51:52], v[53:54], s[38:39]
	;; [unrolled: 1-line block ×5, first 2 shown]
	v_mul_f64 v[49:50], v[49:50], v[53:54]
	v_add_f64 v[51:52], v[68:69], v[49:50]
	v_add_f64 v[53:54], v[51:52], -v[68:69]
	v_add_f64 v[49:50], v[49:50], -v[53:54]
	v_add_f64 v[47:48], v[47:48], v[49:50]
	v_add_f64 v[49:50], v[51:52], v[47:48]
	v_add_f64 v[51:52], v[49:50], -v[51:52]
	v_add_f64 v[47:48], v[47:48], -v[51:52]
	v_cvt_f64_i32_e32 v[51:52], v74
	v_mul_f64 v[53:54], v[51:52], s[44:45]
	v_fma_f64 v[68:69], v[51:52], s[44:45], -v[53:54]
	v_fma_f64 v[51:52], v[51:52], s[46:47], v[68:69]
	v_add_f64 v[68:69], v[53:54], v[51:52]
	v_add_f64 v[53:54], v[68:69], -v[53:54]
	v_add_f64 v[51:52], v[51:52], -v[53:54]
	v_add_f64 v[53:54], v[68:69], v[49:50]
	v_add_f64 v[70:71], v[53:54], -v[68:69]
	v_add_f64 v[72:73], v[53:54], -v[70:71]
	;; [unrolled: 1-line block ×4, first 2 shown]
	v_add_f64 v[49:50], v[49:50], v[68:69]
	v_add_f64 v[68:69], v[51:52], v[47:48]
	v_add_f64 v[70:71], v[68:69], -v[51:52]
	v_add_f64 v[49:50], v[68:69], v[49:50]
	v_add_f64 v[72:73], v[68:69], -v[70:71]
	v_add_f64 v[47:48], v[47:48], -v[70:71]
	;; [unrolled: 1-line block ×3, first 2 shown]
	v_add_f64 v[47:48], v[47:48], v[51:52]
	v_add_f64 v[51:52], v[53:54], v[49:50]
	v_add_f64 v[53:54], v[51:52], -v[53:54]
	v_add_f64 v[49:50], v[49:50], -v[53:54]
	v_add_f64 v[47:48], v[47:48], v[49:50]
	v_add_f64 v[47:48], v[51:52], v[47:48]
	v_cndmask_b32_e32 v47, v47, v11, vcc
	v_cndmask_b32_e32 v48, v48, v12, vcc
	v_cmp_neq_f64_e32 vcc, 0, v[11:12]
	v_cndmask_b32_e32 v12, v61, v48, vcc
	v_cndmask_b32_e32 v11, 0, v47, vcc
.LBB42_742:                             ;   in Loop: Header=BB42_417 Depth=1
	s_or_saveexec_b64 s[16:17], s[14:15]
	v_and_b32_e32 v48, 0x7fffffff, v4
	v_mov_b32_e32 v47, v3
	s_xor_b64 exec, exec, s[16:17]
	s_cbranch_execz .LBB42_764
; %bb.743:                              ;   in Loop: Header=BB42_417 Depth=1
	s_mov_b32 s80, 0
	s_mov_b32 s81, 0x39000000
	v_cmp_neq_f64_e64 s[14:15], |v[1:2]|, 1.0
	v_cmp_nlt_f64_e64 s[80:81], |v[3:4]|, s[80:81]
                                        ; implicit-def: $vgpr11_vgpr12
	s_or_b64 s[14:15], s[80:81], s[14:15]
	s_and_saveexec_b64 s[80:81], s[14:15]
	s_xor_b64 s[80:81], exec, s[80:81]
	s_cbranch_execz .LBB42_761
; %bb.744:                              ;   in Loop: Header=BB42_417 Depth=1
	s_movk_i32 s14, 0xffcc
	v_ldexp_f64 v[11:12], |v[41:42]|, s14
	v_cmp_ge_f64_e64 s[14:15], |v[3:4]|, v[11:12]
                                        ; implicit-def: $vgpr11_vgpr12
	s_and_saveexec_b64 s[82:83], s[14:15]
	s_xor_b64 s[82:83], exec, s[82:83]
	s_cbranch_execz .LBB42_754
; %bb.745:                              ;   in Loop: Header=BB42_417 Depth=1
	v_cmp_neq_f64_e32 vcc, 0, v[9:10]
	v_mov_b32_e32 v11, v47
	v_mov_b32_e32 v12, v48
	s_and_saveexec_b64 s[14:15], vcc
	s_cbranch_execz .LBB42_747
; %bb.746:                              ;   in Loop: Header=BB42_417 Depth=1
	v_mul_f64 v[11:12], v[3:4], v[3:4]
	v_add_f64 v[49:50], v[9:10], v[39:40]
	v_div_scale_f64 v[51:52], s[84:85], v[49:50], v[49:50], v[11:12]
	v_div_scale_f64 v[70:71], vcc, v[11:12], v[49:50], v[11:12]
	v_rcp_f64_e32 v[53:54], v[51:52]
	v_fma_f64 v[68:69], -v[51:52], v[53:54], 1.0
	v_fma_f64 v[53:54], v[53:54], v[68:69], v[53:54]
	v_fma_f64 v[68:69], -v[51:52], v[53:54], 1.0
	v_fma_f64 v[53:54], v[53:54], v[68:69], v[53:54]
	v_mul_f64 v[68:69], v[70:71], v[53:54]
	v_fma_f64 v[51:52], -v[51:52], v[68:69], v[70:71]
	v_div_fmas_f64 v[51:52], v[51:52], v[53:54], v[68:69]
	v_div_fixup_f64 v[11:12], v[51:52], v[49:50], v[11:12]
.LBB42_747:                             ;   in Loop: Header=BB42_417 Depth=1
	s_or_b64 exec, exec, s[14:15]
	v_add_f64 v[51:52], -|v[1:2]|, 1.0
                                        ; implicit-def: $vgpr49_vgpr50
	v_cmp_ngt_f64_e32 vcc, 0, v[51:52]
	s_and_saveexec_b64 s[14:15], vcc
	s_xor_b64 s[14:15], exec, s[14:15]
	s_cbranch_execz .LBB42_751
; %bb.748:                              ;   in Loop: Header=BB42_417 Depth=1
	v_cmp_neq_f64_e32 vcc, 0, v[51:52]
	v_mov_b32_e32 v50, v48
	v_mov_b32_e32 v49, v47
	s_and_saveexec_b64 s[84:85], vcc
	s_cbranch_execz .LBB42_750
; %bb.749:                              ;   in Loop: Header=BB42_417 Depth=1
	v_mul_f64 v[49:50], v[3:4], v[3:4]
	v_add_f64 v[51:52], v[51:52], v[45:46]
	v_div_scale_f64 v[53:54], s[86:87], v[51:52], v[51:52], v[49:50]
	v_div_scale_f64 v[72:73], vcc, v[49:50], v[51:52], v[49:50]
	v_rcp_f64_e32 v[68:69], v[53:54]
	v_fma_f64 v[70:71], -v[53:54], v[68:69], 1.0
	v_fma_f64 v[68:69], v[68:69], v[70:71], v[68:69]
	v_fma_f64 v[70:71], -v[53:54], v[68:69], 1.0
	v_fma_f64 v[68:69], v[68:69], v[70:71], v[68:69]
	v_mul_f64 v[70:71], v[72:73], v[68:69]
	v_fma_f64 v[53:54], -v[53:54], v[70:71], v[72:73]
	v_div_fmas_f64 v[53:54], v[53:54], v[68:69], v[70:71]
	v_div_fixup_f64 v[49:50], v[53:54], v[51:52], v[49:50]
.LBB42_750:                             ;   in Loop: Header=BB42_417 Depth=1
	s_or_b64 exec, exec, s[84:85]
	s_mov_b32 s86, 0x1409212f
	s_mov_b32 s87, 0x3e43988e
                                        ; implicit-def: $vgpr51_vgpr52
.LBB42_751:                             ;   in Loop: Header=BB42_417 Depth=1
	s_andn2_saveexec_b64 s[14:15], s[14:15]
; %bb.752:                              ;   in Loop: Header=BB42_417 Depth=1
	v_add_f64 v[49:50], v[45:46], -v[51:52]
; %bb.753:                              ;   in Loop: Header=BB42_417 Depth=1
	s_or_b64 exec, exec, s[14:15]
	v_mul_f64 v[49:50], v[49:50], 0.5
	s_mov_b32 s14, 0
	s_brev_b32 s15, 8
	s_mov_b32 s31, s73
	v_fma_f64 v[11:12], v[11:12], 0.5, v[49:50]
	v_add_f64 v[49:50], v[43:44], 1.0
	v_mul_f64 v[49:50], v[49:50], v[11:12]
	v_cmp_gt_f64_e32 vcc, s[14:15], v[49:50]
	v_cndmask_b32_e32 v51, 0, v59, vcc
	v_ldexp_f64 v[49:50], v[49:50], v51
	v_rsq_f64_e32 v[51:52], v[49:50]
	v_mul_f64 v[53:54], v[49:50], v[51:52]
	v_mul_f64 v[51:52], v[51:52], 0.5
	v_fma_f64 v[68:69], -v[51:52], v[53:54], 0.5
	v_fma_f64 v[53:54], v[53:54], v[68:69], v[53:54]
	v_fma_f64 v[51:52], v[51:52], v[68:69], v[51:52]
	v_fma_f64 v[70:71], -v[53:54], v[53:54], v[49:50]
	v_fma_f64 v[53:54], v[70:71], v[51:52], v[53:54]
	v_fma_f64 v[68:69], -v[53:54], v[53:54], v[49:50]
	v_fma_f64 v[51:52], v[68:69], v[51:52], v[53:54]
	v_cndmask_b32_e32 v53, 0, v60, vcc
	v_cmp_class_f64_e32 vcc, v[49:50], v56
	v_ldexp_f64 v[51:52], v[51:52], v53
	v_cndmask_b32_e32 v50, v52, v50, vcc
	v_cndmask_b32_e32 v49, v51, v49, vcc
	v_add_f64 v[49:50], v[11:12], v[49:50]
	v_add_f64 v[11:12], v[49:50], 1.0
	v_cmp_ngt_f64_e64 s[14:15], -1.0, v[49:50]
	v_add_f64 v[51:52], v[11:12], -1.0
	v_frexp_exp_i32_f64_e32 v68, v[11:12]
	v_add_f64 v[53:54], v[51:52], -v[11:12]
	v_add_f64 v[51:52], v[49:50], -v[51:52]
	v_add_f64 v[53:54], v[53:54], 1.0
	v_add_f64 v[51:52], v[51:52], v[53:54]
	v_frexp_mant_f64_e32 v[53:54], v[11:12]
	v_cmp_gt_f64_e32 vcc, s[72:73], v[53:54]
	v_subbrev_co_u32_e32 v82, vcc, 0, v68, vcc
	v_sub_u32_e32 v53, 0, v82
	v_ldexp_f64 v[11:12], v[11:12], v53
	v_ldexp_f64 v[51:52], v[51:52], v53
	v_cmp_neq_f64_e32 vcc, s[70:71], v[49:50]
	v_add_f64 v[53:54], v[11:12], -1.0
	v_add_f64 v[68:69], v[53:54], 1.0
	v_add_f64 v[68:69], v[11:12], -v[68:69]
	v_add_f64 v[68:69], v[51:52], v[68:69]
	v_add_f64 v[70:71], v[53:54], v[68:69]
	v_add_f64 v[53:54], v[70:71], -v[53:54]
	v_add_f64 v[53:54], v[68:69], -v[53:54]
	v_add_f64 v[68:69], v[11:12], 1.0
	v_add_f64 v[72:73], v[68:69], -1.0
	v_add_f64 v[11:12], v[11:12], -v[72:73]
	v_add_f64 v[11:12], v[51:52], v[11:12]
	v_add_f64 v[51:52], v[68:69], v[11:12]
	v_add_f64 v[68:69], v[51:52], -v[68:69]
	v_add_f64 v[11:12], v[11:12], -v[68:69]
	v_rcp_f64_e32 v[68:69], v[51:52]
	v_fma_f64 v[72:73], -v[51:52], v[68:69], 1.0
	v_fma_f64 v[68:69], v[72:73], v[68:69], v[68:69]
	v_fma_f64 v[72:73], -v[51:52], v[68:69], 1.0
	v_fma_f64 v[68:69], v[72:73], v[68:69], v[68:69]
	v_mul_f64 v[72:73], v[70:71], v[68:69]
	v_mul_f64 v[74:75], v[51:52], v[72:73]
	v_fma_f64 v[76:77], v[72:73], v[51:52], -v[74:75]
	v_fma_f64 v[76:77], v[72:73], v[11:12], v[76:77]
	v_add_f64 v[78:79], v[74:75], v[76:77]
	v_add_f64 v[80:81], v[70:71], -v[78:79]
	v_add_f64 v[74:75], v[78:79], -v[74:75]
	;; [unrolled: 1-line block ×4, first 2 shown]
	v_add_f64 v[53:54], v[53:54], v[70:71]
	v_add_f64 v[70:71], v[74:75], -v[76:77]
	v_add_f64 v[53:54], v[70:71], v[53:54]
	v_add_f64 v[70:71], v[80:81], v[53:54]
	v_add_f64 v[74:75], v[80:81], -v[70:71]
	v_add_f64 v[53:54], v[53:54], v[74:75]
	v_mul_f64 v[74:75], v[68:69], v[70:71]
	v_mul_f64 v[76:77], v[51:52], v[74:75]
	v_fma_f64 v[51:52], v[74:75], v[51:52], -v[76:77]
	v_fma_f64 v[11:12], v[74:75], v[11:12], v[51:52]
	v_add_f64 v[51:52], v[76:77], v[11:12]
	v_add_f64 v[78:79], v[70:71], -v[51:52]
	v_add_f64 v[76:77], v[51:52], -v[76:77]
	;; [unrolled: 1-line block ×5, first 2 shown]
	v_cvt_f64_i32_e32 v[70:71], v82
	v_add_f64 v[51:52], v[53:54], v[51:52]
	v_add_f64 v[11:12], v[11:12], v[51:52]
	;; [unrolled: 1-line block ×4, first 2 shown]
	v_add_f64 v[53:54], v[51:52], -v[72:73]
	v_mul_f64 v[72:73], v[70:71], s[44:45]
	v_mul_f64 v[11:12], v[68:69], v[11:12]
	v_add_f64 v[53:54], v[74:75], -v[53:54]
	v_fma_f64 v[74:75], v[70:71], s[44:45], -v[72:73]
	v_add_f64 v[11:12], v[53:54], v[11:12]
	v_fma_f64 v[70:71], v[70:71], s[46:47], v[74:75]
	v_add_f64 v[53:54], v[51:52], v[11:12]
	v_add_f64 v[74:75], v[72:73], v[70:71]
	v_add_f64 v[51:52], v[53:54], -v[51:52]
	v_add_f64 v[72:73], v[74:75], -v[72:73]
	;; [unrolled: 1-line block ×3, first 2 shown]
	v_mul_f64 v[51:52], v[53:54], v[53:54]
	v_add_f64 v[70:71], v[70:71], -v[72:73]
	v_ldexp_f64 v[72:73], v[53:54], 1
	v_ldexp_f64 v[11:12], v[11:12], 1
	v_fma_f64 v[68:69], v[51:52], s[34:35], v[23:24]
	v_fma_f64 v[68:69], v[51:52], v[68:69], s[36:37]
	;; [unrolled: 1-line block ×6, first 2 shown]
	v_mul_f64 v[51:52], v[53:54], v[51:52]
	v_mul_f64 v[51:52], v[51:52], v[68:69]
	v_add_f64 v[53:54], v[72:73], v[51:52]
	v_add_f64 v[68:69], v[53:54], -v[72:73]
	v_add_f64 v[51:52], v[51:52], -v[68:69]
	v_add_f64 v[11:12], v[11:12], v[51:52]
	v_add_f64 v[51:52], v[53:54], v[11:12]
	v_add_f64 v[53:54], v[51:52], -v[53:54]
	v_add_f64 v[11:12], v[11:12], -v[53:54]
	v_add_f64 v[53:54], v[74:75], v[51:52]
	v_add_f64 v[68:69], v[53:54], -v[74:75]
	v_add_f64 v[72:73], v[53:54], -v[68:69]
	;; [unrolled: 1-line block ×3, first 2 shown]
	v_add_f64 v[68:69], v[70:71], v[11:12]
	v_add_f64 v[72:73], v[74:75], -v[72:73]
	v_add_f64 v[51:52], v[51:52], v[72:73]
	v_add_f64 v[72:73], v[68:69], -v[70:71]
	;; [unrolled: 2-line block ×3, first 2 shown]
	v_add_f64 v[11:12], v[11:12], -v[72:73]
	v_add_f64 v[68:69], v[53:54], v[51:52]
	v_add_f64 v[70:71], v[70:71], -v[74:75]
	v_add_f64 v[53:54], v[68:69], -v[53:54]
	v_add_f64 v[11:12], v[11:12], v[70:71]
	v_add_f64 v[51:52], v[51:52], -v[53:54]
	v_add_f64 v[11:12], v[11:12], v[51:52]
	v_add_f64 v[11:12], v[68:69], v[11:12]
	v_cndmask_b32_e32 v12, v57, v12, vcc
	v_cndmask_b32_e64 v12, v62, v12, s[14:15]
	v_cmp_nge_f64_e64 s[14:15], -1.0, v[49:50]
	s_and_b64 vcc, s[14:15], vcc
	v_cndmask_b32_e32 v11, 0, v11, vcc
	v_cmp_neq_f64_e32 vcc, -1.0, v[49:50]
	v_cndmask_b32_e32 v12, v61, v12, vcc
.LBB42_754:                             ;   in Loop: Header=BB42_417 Depth=1
	s_andn2_saveexec_b64 s[82:83], s[82:83]
	s_cbranch_execz .LBB42_760
; %bb.755:                              ;   in Loop: Header=BB42_417 Depth=1
	v_cmp_nlt_f64_e64 s[14:15], |v[1:2]|, 1.0
                                        ; implicit-def: $vgpr11_vgpr12
	s_and_saveexec_b64 s[84:85], s[14:15]
	s_xor_b64 s[84:85], exec, s[84:85]
	s_cbranch_execz .LBB42_757
; %bb.756:                              ;   in Loop: Header=BB42_417 Depth=1
	v_mul_f64 v[11:12], v[41:42], v[9:10]
	s_mov_b32 s14, 0
	s_brev_b32 s15, 8
	s_mov_b32 s31, s73
	v_cmp_gt_f64_e32 vcc, s[14:15], v[11:12]
	v_cndmask_b32_e32 v49, 0, v59, vcc
	v_ldexp_f64 v[11:12], v[11:12], v49
	v_rsq_f64_e32 v[49:50], v[11:12]
	v_mul_f64 v[51:52], v[11:12], v[49:50]
	v_mul_f64 v[49:50], v[49:50], 0.5
	v_fma_f64 v[53:54], -v[49:50], v[51:52], 0.5
	v_fma_f64 v[51:52], v[51:52], v[53:54], v[51:52]
	v_fma_f64 v[49:50], v[49:50], v[53:54], v[49:50]
	v_fma_f64 v[68:69], -v[51:52], v[51:52], v[11:12]
	v_fma_f64 v[51:52], v[68:69], v[49:50], v[51:52]
	v_fma_f64 v[53:54], -v[51:52], v[51:52], v[11:12]
	v_fma_f64 v[49:50], v[53:54], v[49:50], v[51:52]
	v_cndmask_b32_e32 v51, 0, v60, vcc
	v_cmp_class_f64_e32 vcc, v[11:12], v56
	v_ldexp_f64 v[49:50], v[49:50], v51
	v_cndmask_b32_e32 v12, v50, v12, vcc
	v_cndmask_b32_e32 v11, v49, v11, vcc
	v_add_f64 v[49:50], v[41:42], v[11:12]
	v_add_f64 v[11:12], v[49:50], 1.0
	v_cmp_ngt_f64_e64 s[14:15], -1.0, v[49:50]
	v_add_f64 v[51:52], v[11:12], -1.0
	v_frexp_exp_i32_f64_e32 v68, v[11:12]
	v_add_f64 v[53:54], v[51:52], -v[11:12]
	v_add_f64 v[51:52], v[49:50], -v[51:52]
	v_add_f64 v[53:54], v[53:54], 1.0
	v_add_f64 v[51:52], v[51:52], v[53:54]
	v_frexp_mant_f64_e32 v[53:54], v[11:12]
	v_cmp_gt_f64_e32 vcc, s[72:73], v[53:54]
	v_subbrev_co_u32_e32 v82, vcc, 0, v68, vcc
	v_sub_u32_e32 v53, 0, v82
	v_ldexp_f64 v[11:12], v[11:12], v53
	v_ldexp_f64 v[51:52], v[51:52], v53
	v_cmp_neq_f64_e32 vcc, s[70:71], v[49:50]
	v_add_f64 v[53:54], v[11:12], -1.0
	v_add_f64 v[68:69], v[53:54], 1.0
	v_add_f64 v[68:69], v[11:12], -v[68:69]
	v_add_f64 v[68:69], v[51:52], v[68:69]
	v_add_f64 v[70:71], v[53:54], v[68:69]
	v_add_f64 v[53:54], v[70:71], -v[53:54]
	v_add_f64 v[53:54], v[68:69], -v[53:54]
	v_add_f64 v[68:69], v[11:12], 1.0
	v_add_f64 v[72:73], v[68:69], -1.0
	v_add_f64 v[11:12], v[11:12], -v[72:73]
	v_add_f64 v[11:12], v[51:52], v[11:12]
	v_add_f64 v[51:52], v[68:69], v[11:12]
	v_add_f64 v[68:69], v[51:52], -v[68:69]
	v_add_f64 v[11:12], v[11:12], -v[68:69]
	v_rcp_f64_e32 v[68:69], v[51:52]
	v_fma_f64 v[72:73], -v[51:52], v[68:69], 1.0
	v_fma_f64 v[68:69], v[72:73], v[68:69], v[68:69]
	v_fma_f64 v[72:73], -v[51:52], v[68:69], 1.0
	v_fma_f64 v[68:69], v[72:73], v[68:69], v[68:69]
	v_mul_f64 v[72:73], v[70:71], v[68:69]
	v_mul_f64 v[74:75], v[51:52], v[72:73]
	v_fma_f64 v[76:77], v[72:73], v[51:52], -v[74:75]
	v_fma_f64 v[76:77], v[72:73], v[11:12], v[76:77]
	v_add_f64 v[78:79], v[74:75], v[76:77]
	v_add_f64 v[80:81], v[70:71], -v[78:79]
	v_add_f64 v[74:75], v[78:79], -v[74:75]
	v_add_f64 v[70:71], v[70:71], -v[80:81]
	v_add_f64 v[70:71], v[70:71], -v[78:79]
	v_add_f64 v[53:54], v[53:54], v[70:71]
	v_add_f64 v[70:71], v[74:75], -v[76:77]
	v_add_f64 v[53:54], v[70:71], v[53:54]
	v_add_f64 v[70:71], v[80:81], v[53:54]
	v_add_f64 v[74:75], v[80:81], -v[70:71]
	v_add_f64 v[53:54], v[53:54], v[74:75]
	v_mul_f64 v[74:75], v[68:69], v[70:71]
	v_mul_f64 v[76:77], v[51:52], v[74:75]
	v_fma_f64 v[51:52], v[74:75], v[51:52], -v[76:77]
	v_fma_f64 v[11:12], v[74:75], v[11:12], v[51:52]
	v_add_f64 v[51:52], v[76:77], v[11:12]
	v_add_f64 v[78:79], v[70:71], -v[51:52]
	v_add_f64 v[76:77], v[51:52], -v[76:77]
	;; [unrolled: 1-line block ×5, first 2 shown]
	v_cvt_f64_i32_e32 v[70:71], v82
	v_add_f64 v[51:52], v[53:54], v[51:52]
	v_add_f64 v[11:12], v[11:12], v[51:52]
	;; [unrolled: 1-line block ×4, first 2 shown]
	v_add_f64 v[53:54], v[51:52], -v[72:73]
	v_mul_f64 v[72:73], v[70:71], s[44:45]
	v_mul_f64 v[11:12], v[68:69], v[11:12]
	v_add_f64 v[53:54], v[74:75], -v[53:54]
	v_fma_f64 v[74:75], v[70:71], s[44:45], -v[72:73]
	v_add_f64 v[11:12], v[53:54], v[11:12]
	v_fma_f64 v[70:71], v[70:71], s[46:47], v[74:75]
	v_add_f64 v[53:54], v[51:52], v[11:12]
	v_add_f64 v[74:75], v[72:73], v[70:71]
	v_add_f64 v[51:52], v[53:54], -v[51:52]
	v_add_f64 v[72:73], v[74:75], -v[72:73]
	;; [unrolled: 1-line block ×3, first 2 shown]
	v_mul_f64 v[51:52], v[53:54], v[53:54]
	v_add_f64 v[70:71], v[70:71], -v[72:73]
	v_ldexp_f64 v[72:73], v[53:54], 1
	v_ldexp_f64 v[11:12], v[11:12], 1
	v_fma_f64 v[68:69], v[51:52], s[34:35], v[23:24]
	v_fma_f64 v[68:69], v[51:52], v[68:69], s[36:37]
	;; [unrolled: 1-line block ×6, first 2 shown]
	v_mul_f64 v[51:52], v[53:54], v[51:52]
	v_mul_f64 v[51:52], v[51:52], v[68:69]
	v_add_f64 v[53:54], v[72:73], v[51:52]
	v_add_f64 v[68:69], v[53:54], -v[72:73]
	v_add_f64 v[51:52], v[51:52], -v[68:69]
	v_add_f64 v[11:12], v[11:12], v[51:52]
	v_add_f64 v[51:52], v[53:54], v[11:12]
	v_add_f64 v[53:54], v[51:52], -v[53:54]
	v_add_f64 v[11:12], v[11:12], -v[53:54]
	v_add_f64 v[53:54], v[74:75], v[51:52]
	v_add_f64 v[68:69], v[53:54], -v[74:75]
	v_add_f64 v[72:73], v[53:54], -v[68:69]
	;; [unrolled: 1-line block ×3, first 2 shown]
	v_add_f64 v[68:69], v[70:71], v[11:12]
	v_add_f64 v[72:73], v[74:75], -v[72:73]
	v_add_f64 v[51:52], v[51:52], v[72:73]
	v_add_f64 v[72:73], v[68:69], -v[70:71]
	;; [unrolled: 2-line block ×3, first 2 shown]
	v_add_f64 v[11:12], v[11:12], -v[72:73]
	v_add_f64 v[68:69], v[53:54], v[51:52]
	v_add_f64 v[70:71], v[70:71], -v[74:75]
	v_add_f64 v[53:54], v[68:69], -v[53:54]
	v_add_f64 v[11:12], v[11:12], v[70:71]
	v_add_f64 v[51:52], v[51:52], -v[53:54]
	v_add_f64 v[11:12], v[11:12], v[51:52]
	v_add_f64 v[11:12], v[68:69], v[11:12]
	v_cndmask_b32_e32 v12, v57, v12, vcc
	v_cndmask_b32_e64 v12, v62, v12, s[14:15]
	v_cmp_nge_f64_e64 s[14:15], -1.0, v[49:50]
	s_and_b64 vcc, s[14:15], vcc
	v_cndmask_b32_e32 v11, 0, v11, vcc
	v_cmp_neq_f64_e32 vcc, -1.0, v[49:50]
	v_cndmask_b32_e32 v12, v61, v12, vcc
.LBB42_757:                             ;   in Loop: Header=BB42_417 Depth=1
	s_andn2_saveexec_b64 s[14:15], s[84:85]
	s_cbranch_execz .LBB42_759
; %bb.758:                              ;   in Loop: Header=BB42_417 Depth=1
	v_add_f64 v[11:12], -|v[1:2]|, 1.0
	s_mov_b32 s84, 0
	s_brev_b32 s85, 8
	v_mul_f64 v[11:12], v[11:12], v[9:10]
	v_cmp_gt_f64_e32 vcc, s[84:85], v[11:12]
	v_cndmask_b32_e32 v49, 0, v59, vcc
	v_ldexp_f64 v[11:12], v[11:12], v49
	v_rsq_f64_e32 v[49:50], v[11:12]
	v_mul_f64 v[51:52], v[11:12], v[49:50]
	v_mul_f64 v[49:50], v[49:50], 0.5
	v_fma_f64 v[53:54], -v[49:50], v[51:52], 0.5
	v_fma_f64 v[51:52], v[51:52], v[53:54], v[51:52]
	v_fma_f64 v[49:50], v[49:50], v[53:54], v[49:50]
	v_fma_f64 v[53:54], -v[51:52], v[51:52], v[11:12]
	v_fma_f64 v[51:52], v[53:54], v[49:50], v[51:52]
	v_fma_f64 v[53:54], -v[51:52], v[51:52], v[11:12]
	v_fma_f64 v[49:50], v[53:54], v[49:50], v[51:52]
	v_cndmask_b32_e32 v51, 0, v60, vcc
	v_cmp_class_f64_e32 vcc, v[11:12], v56
	v_mov_b32_e32 v52, v48
	v_ldexp_f64 v[49:50], v[49:50], v51
	v_mov_b32_e32 v51, v3
	v_cndmask_b32_e32 v12, v50, v12, vcc
	v_cndmask_b32_e32 v11, v49, v11, vcc
	v_div_scale_f64 v[49:50], s[84:85], v[11:12], v[11:12], v[51:52]
	v_div_scale_f64 v[51:52], vcc, v[51:52], v[11:12], v[51:52]
	v_rcp_f64_e32 v[53:54], v[49:50]
	v_fma_f64 v[68:69], -v[49:50], v[53:54], 1.0
	v_fma_f64 v[53:54], v[53:54], v[68:69], v[53:54]
	v_fma_f64 v[68:69], -v[49:50], v[53:54], 1.0
	v_fma_f64 v[53:54], v[53:54], v[68:69], v[53:54]
	v_mul_f64 v[68:69], v[51:52], v[53:54]
	v_fma_f64 v[49:50], -v[49:50], v[68:69], v[51:52]
	v_div_fmas_f64 v[49:50], v[49:50], v[53:54], v[68:69]
	v_div_fixup_f64 v[11:12], v[49:50], v[11:12], |v[3:4]|
.LBB42_759:                             ;   in Loop: Header=BB42_417 Depth=1
	s_or_b64 exec, exec, s[14:15]
.LBB42_760:                             ;   in Loop: Header=BB42_417 Depth=1
	s_or_b64 exec, exec, s[82:83]
.LBB42_761:                             ;   in Loop: Header=BB42_417 Depth=1
	s_andn2_saveexec_b64 s[14:15], s[80:81]
	s_cbranch_execz .LBB42_763
; %bb.762:                              ;   in Loop: Header=BB42_417 Depth=1
	s_mov_b32 s80, 0
	s_brev_b32 s81, 8
	v_cmp_lt_f64_e64 vcc, |v[3:4]|, s[80:81]
	v_cndmask_b32_e32 v11, 0, v59, vcc
	v_ldexp_f64 v[11:12], |v[3:4]|, v11
	v_rsq_f64_e32 v[49:50], v[11:12]
	v_mul_f64 v[51:52], v[11:12], v[49:50]
	v_mul_f64 v[49:50], v[49:50], 0.5
	v_fma_f64 v[53:54], -v[49:50], v[51:52], 0.5
	v_fma_f64 v[51:52], v[51:52], v[53:54], v[51:52]
	v_fma_f64 v[49:50], v[49:50], v[53:54], v[49:50]
	v_fma_f64 v[53:54], -v[51:52], v[51:52], v[11:12]
	v_fma_f64 v[51:52], v[53:54], v[49:50], v[51:52]
	v_fma_f64 v[53:54], -v[51:52], v[51:52], v[11:12]
	v_fma_f64 v[49:50], v[53:54], v[49:50], v[51:52]
	v_cndmask_b32_e32 v51, 0, v60, vcc
	v_cmp_class_f64_e32 vcc, v[11:12], v56
	v_ldexp_f64 v[49:50], v[49:50], v51
	v_cndmask_b32_e32 v12, v50, v12, vcc
	v_cndmask_b32_e32 v11, v49, v11, vcc
.LBB42_763:                             ;   in Loop: Header=BB42_417 Depth=1
	s_or_b64 exec, exec, s[14:15]
.LBB42_764:                             ;   in Loop: Header=BB42_417 Depth=1
	s_or_b64 exec, exec, s[16:17]
	s_mov_b32 s14, 0
	s_mov_b32 s15, 0x20200000
	v_cmp_nlt_f64_e64 s[14:15], |v[1:2]|, s[14:15]
                                        ; implicit-def: $sgpr80_sgpr81
                                        ; implicit-def: $vgpr49_vgpr50
                                        ; implicit-def: $vgpr53_vgpr54
                                        ; implicit-def: $vgpr51_vgpr52
	s_and_saveexec_b64 s[16:17], s[14:15]
	s_xor_b64 s[14:15], exec, s[16:17]
	s_cbranch_execz .LBB42_788
; %bb.765:                              ;   in Loop: Header=BB42_417 Depth=1
	v_and_b32_e32 v52, 0x7fffffff, v2
	v_mov_b32_e32 v51, v1
	v_div_scale_f64 v[49:50], s[16:17], v[43:44], v[43:44], v[51:52]
	v_div_scale_f64 v[70:71], vcc, v[51:52], v[43:44], v[51:52]
	s_mov_b32 s16, 0x703afb7f
	s_mov_b32 s17, 0x3fe488ce
	s_mov_b64 s[80:81], 0
	v_rcp_f64_e32 v[53:54], v[49:50]
	v_fma_f64 v[68:69], -v[49:50], v[53:54], 1.0
	v_fma_f64 v[53:54], v[53:54], v[68:69], v[53:54]
	v_fma_f64 v[68:69], -v[49:50], v[53:54], 1.0
	v_fma_f64 v[53:54], v[53:54], v[68:69], v[53:54]
	v_mul_f64 v[68:69], v[70:71], v[53:54]
	v_fma_f64 v[49:50], -v[49:50], v[68:69], v[70:71]
	v_div_fmas_f64 v[49:50], v[49:50], v[53:54], v[68:69]
                                        ; implicit-def: $vgpr53_vgpr54
	v_div_fixup_f64 v[49:50], v[49:50], v[43:44], |v[1:2]|
	v_cmp_lt_f64_e32 vcc, s[16:17], v[49:50]
	s_and_saveexec_b64 s[16:17], vcc
	s_cbranch_execz .LBB42_787
; %bb.766:                              ;   in Loop: Header=BB42_417 Depth=1
	s_mov_b32 s82, 0
	s_mov_b32 s83, 0x3c400000
	v_cmp_neq_f64_e64 s[80:81], |v[1:2]|, 1.0
	v_cmp_nlt_f64_e64 s[82:83], |v[3:4]|, s[82:83]
                                        ; implicit-def: $vgpr53_vgpr54
	s_or_b64 s[80:81], s[82:83], s[80:81]
	s_and_saveexec_b64 s[82:83], s[80:81]
	s_xor_b64 s[80:81], exec, s[82:83]
	s_cbranch_execz .LBB42_784
; %bb.767:                              ;   in Loop: Header=BB42_417 Depth=1
	s_movk_i32 s31, 0xffcc
	v_ldexp_f64 v[53:54], |v[41:42]|, s31
	v_cmp_ge_f64_e64 s[82:83], |v[3:4]|, v[53:54]
                                        ; implicit-def: $vgpr53_vgpr54
	s_and_saveexec_b64 s[84:85], s[82:83]
	s_xor_b64 s[82:83], exec, s[84:85]
	s_cbranch_execz .LBB42_777
; %bb.768:                              ;   in Loop: Header=BB42_417 Depth=1
	v_cmp_neq_f64_e32 vcc, 0, v[9:10]
	v_mov_b32_e32 v54, v48
	v_mov_b32_e32 v53, v47
	s_and_saveexec_b64 s[84:85], vcc
	s_cbranch_execz .LBB42_770
; %bb.769:                              ;   in Loop: Header=BB42_417 Depth=1
	v_mul_f64 v[53:54], v[3:4], v[3:4]
	v_add_f64 v[9:10], v[9:10], v[39:40]
	v_div_scale_f64 v[39:40], s[86:87], v[9:10], v[9:10], v[53:54]
	v_div_scale_f64 v[72:73], vcc, v[53:54], v[9:10], v[53:54]
	v_rcp_f64_e32 v[68:69], v[39:40]
	v_fma_f64 v[70:71], -v[39:40], v[68:69], 1.0
	v_fma_f64 v[68:69], v[68:69], v[70:71], v[68:69]
	v_fma_f64 v[70:71], -v[39:40], v[68:69], 1.0
	v_fma_f64 v[68:69], v[68:69], v[70:71], v[68:69]
	v_mul_f64 v[70:71], v[72:73], v[68:69]
	v_fma_f64 v[39:40], -v[39:40], v[70:71], v[72:73]
	v_div_fmas_f64 v[39:40], v[39:40], v[68:69], v[70:71]
	v_div_fixup_f64 v[53:54], v[39:40], v[9:10], v[53:54]
.LBB42_770:                             ;   in Loop: Header=BB42_417 Depth=1
	s_or_b64 exec, exec, s[84:85]
	v_cmp_ngt_f64_e32 vcc, 0, v[41:42]
	s_and_saveexec_b64 s[84:85], vcc
	s_xor_b64 s[84:85], exec, s[84:85]
	s_cbranch_execz .LBB42_774
; %bb.771:                              ;   in Loop: Header=BB42_417 Depth=1
	v_cmp_neq_f64_e32 vcc, 0, v[41:42]
	s_and_saveexec_b64 s[86:87], vcc
	s_cbranch_execz .LBB42_773
; %bb.772:                              ;   in Loop: Header=BB42_417 Depth=1
	v_mul_f64 v[3:4], v[3:4], v[3:4]
	v_add_f64 v[9:10], v[41:42], v[45:46]
	v_div_scale_f64 v[39:40], vcc, v[9:10], v[9:10], v[3:4]
	v_div_scale_f64 v[47:48], vcc, v[3:4], v[9:10], v[3:4]
	v_rcp_f64_e32 v[41:42], v[39:40]
	v_fma_f64 v[45:46], -v[39:40], v[41:42], 1.0
	v_fma_f64 v[41:42], v[41:42], v[45:46], v[41:42]
	v_fma_f64 v[45:46], -v[39:40], v[41:42], 1.0
	v_fma_f64 v[41:42], v[41:42], v[45:46], v[41:42]
	v_mul_f64 v[45:46], v[47:48], v[41:42]
	v_fma_f64 v[39:40], -v[39:40], v[45:46], v[47:48]
	v_div_fmas_f64 v[39:40], v[39:40], v[41:42], v[45:46]
	v_div_fixup_f64 v[47:48], v[39:40], v[9:10], v[3:4]
.LBB42_773:                             ;   in Loop: Header=BB42_417 Depth=1
	s_or_b64 exec, exec, s[86:87]
                                        ; implicit-def: $vgpr45_vgpr46
                                        ; implicit-def: $vgpr41_vgpr42
.LBB42_774:                             ;   in Loop: Header=BB42_417 Depth=1
	s_andn2_saveexec_b64 s[84:85], s[84:85]
; %bb.775:                              ;   in Loop: Header=BB42_417 Depth=1
	v_add_f64 v[47:48], v[45:46], -v[41:42]
; %bb.776:                              ;   in Loop: Header=BB42_417 Depth=1
	s_or_b64 exec, exec, s[84:85]
	v_mul_f64 v[3:4], v[47:48], 0.5
	v_add_f64 v[9:10], |v[1:2]|, v[43:44]
	s_mov_b32 s84, 0
	s_brev_b32 s85, 8
	v_fma_f64 v[3:4], v[53:54], 0.5, v[3:4]
	v_mul_f64 v[3:4], v[9:10], v[3:4]
	v_cmp_gt_f64_e32 vcc, s[84:85], v[3:4]
	v_cndmask_b32_e32 v9, 0, v59, vcc
	v_ldexp_f64 v[3:4], v[3:4], v9
	v_rsq_f64_e32 v[9:10], v[3:4]
	v_mul_f64 v[39:40], v[3:4], v[9:10]
	v_mul_f64 v[9:10], v[9:10], 0.5
	v_fma_f64 v[41:42], -v[9:10], v[39:40], 0.5
	v_fma_f64 v[39:40], v[39:40], v[41:42], v[39:40]
	v_fma_f64 v[9:10], v[9:10], v[41:42], v[9:10]
	v_fma_f64 v[41:42], -v[39:40], v[39:40], v[3:4]
	v_fma_f64 v[39:40], v[41:42], v[9:10], v[39:40]
	v_fma_f64 v[41:42], -v[39:40], v[39:40], v[3:4]
	v_fma_f64 v[9:10], v[41:42], v[9:10], v[39:40]
	v_cndmask_b32_e32 v39, 0, v60, vcc
	v_cmp_class_f64_e32 vcc, v[3:4], v56
                                        ; implicit-def: $vgpr41_vgpr42
	v_ldexp_f64 v[9:10], v[9:10], v39
	v_cndmask_b32_e32 v54, v10, v4, vcc
	v_cndmask_b32_e32 v53, v9, v3, vcc
                                        ; implicit-def: $vgpr9_vgpr10
.LBB42_777:                             ;   in Loop: Header=BB42_417 Depth=1
	s_andn2_saveexec_b64 s[82:83], s[82:83]
	s_cbranch_execz .LBB42_783
; %bb.778:                              ;   in Loop: Header=BB42_417 Depth=1
	v_cmp_ngt_f64_e64 s[84:85], |v[1:2]|, 1.0
                                        ; implicit-def: $vgpr53_vgpr54
	s_and_saveexec_b64 s[86:87], s[84:85]
	s_xor_b64 s[84:85], exec, s[86:87]
	s_cbranch_execz .LBB42_780
; %bb.779:                              ;   in Loop: Header=BB42_417 Depth=1
	v_add_f64 v[3:4], -|v[1:2]|, 1.0
	s_mov_b32 s86, 0
	s_brev_b32 s87, 8
	v_mul_f64 v[3:4], v[3:4], v[9:10]
	v_cmp_gt_f64_e32 vcc, s[86:87], v[3:4]
	v_cndmask_b32_e32 v9, 0, v59, vcc
	v_ldexp_f64 v[3:4], v[3:4], v9
	v_rsq_f64_e32 v[9:10], v[3:4]
	v_mul_f64 v[39:40], v[3:4], v[9:10]
	v_mul_f64 v[9:10], v[9:10], 0.5
	v_fma_f64 v[41:42], -v[9:10], v[39:40], 0.5
	v_fma_f64 v[39:40], v[39:40], v[41:42], v[39:40]
	v_fma_f64 v[9:10], v[9:10], v[41:42], v[9:10]
	v_fma_f64 v[41:42], -v[39:40], v[39:40], v[3:4]
	v_fma_f64 v[39:40], v[41:42], v[9:10], v[39:40]
	v_fma_f64 v[41:42], -v[39:40], v[39:40], v[3:4]
	v_fma_f64 v[9:10], v[41:42], v[9:10], v[39:40]
	v_cndmask_b32_e32 v39, 0, v60, vcc
	v_cmp_class_f64_e32 vcc, v[3:4], v56
                                        ; implicit-def: $vgpr41_vgpr42
	v_ldexp_f64 v[9:10], v[9:10], v39
	v_cndmask_b32_e32 v54, v10, v4, vcc
	v_cndmask_b32_e32 v53, v9, v3, vcc
                                        ; implicit-def: $vgpr9_vgpr10
.LBB42_780:                             ;   in Loop: Header=BB42_417 Depth=1
	s_andn2_saveexec_b64 s[84:85], s[84:85]
	s_cbranch_execz .LBB42_782
; %bb.781:                              ;   in Loop: Header=BB42_417 Depth=1
	v_mul_f64 v[9:10], v[9:10], v[41:42]
	s_mov_b32 s86, 0
	s_brev_b32 s87, 8
	s_movk_i32 s31, 0x6a
	v_ldexp_f64 v[3:4], |v[3:4]|, s31
	v_ldexp_f64 v[51:52], |v[1:2]|, s31
	v_cmp_gt_f64_e32 vcc, s[86:87], v[9:10]
	v_mul_f64 v[3:4], |v[1:2]|, v[3:4]
	v_cndmask_b32_e32 v39, 0, v59, vcc
	v_ldexp_f64 v[9:10], v[9:10], v39
	v_rsq_f64_e32 v[39:40], v[9:10]
	v_mul_f64 v[41:42], v[9:10], v[39:40]
	v_mul_f64 v[39:40], v[39:40], 0.5
	v_fma_f64 v[43:44], -v[39:40], v[41:42], 0.5
	v_fma_f64 v[41:42], v[41:42], v[43:44], v[41:42]
	v_fma_f64 v[39:40], v[39:40], v[43:44], v[39:40]
	v_fma_f64 v[43:44], -v[41:42], v[41:42], v[9:10]
	v_fma_f64 v[41:42], v[43:44], v[39:40], v[41:42]
	v_fma_f64 v[43:44], -v[41:42], v[41:42], v[9:10]
	v_fma_f64 v[39:40], v[43:44], v[39:40], v[41:42]
	v_cndmask_b32_e32 v41, 0, v60, vcc
	v_cmp_class_f64_e32 vcc, v[9:10], v56
	v_ldexp_f64 v[39:40], v[39:40], v41
	v_cndmask_b32_e32 v10, v40, v10, vcc
	v_cndmask_b32_e32 v9, v39, v9, vcc
	v_div_scale_f64 v[39:40], s[86:87], v[9:10], v[9:10], v[3:4]
	v_rcp_f64_e32 v[41:42], v[39:40]
	v_fma_f64 v[43:44], -v[39:40], v[41:42], 1.0
	v_fma_f64 v[41:42], v[41:42], v[43:44], v[41:42]
	v_div_scale_f64 v[43:44], vcc, v[3:4], v[9:10], v[3:4]
	v_fma_f64 v[45:46], -v[39:40], v[41:42], 1.0
	v_fma_f64 v[41:42], v[41:42], v[45:46], v[41:42]
	v_mul_f64 v[45:46], v[43:44], v[41:42]
	v_fma_f64 v[39:40], -v[39:40], v[45:46], v[43:44]
	v_div_fmas_f64 v[39:40], v[39:40], v[41:42], v[45:46]
	v_div_fixup_f64 v[53:54], v[39:40], v[9:10], v[3:4]
.LBB42_782:                             ;   in Loop: Header=BB42_417 Depth=1
	s_or_b64 exec, exec, s[84:85]
.LBB42_783:                             ;   in Loop: Header=BB42_417 Depth=1
	s_or_b64 exec, exec, s[82:83]
	s_mov_b32 s86, 0x1409212f
	s_mov_b32 s87, 0x3e43988e
                                        ; implicit-def: $vgpr43_vgpr44
.LBB42_784:                             ;   in Loop: Header=BB42_417 Depth=1
	s_andn2_saveexec_b64 s[80:81], s[80:81]
	s_cbranch_execz .LBB42_786
; %bb.785:                              ;   in Loop: Header=BB42_417 Depth=1
	s_mov_b32 s82, 0
	s_brev_b32 s83, 8
	v_cmp_lt_f64_e64 vcc, |v[3:4]|, s[82:83]
	v_mov_b32_e32 v51, 0
	v_mov_b32_e32 v52, 0x3ff00000
	v_cndmask_b32_e32 v9, 0, v59, vcc
	v_ldexp_f64 v[3:4], |v[3:4]|, v9
	v_rsq_f64_e32 v[9:10], v[3:4]
	v_mul_f64 v[39:40], v[3:4], v[9:10]
	v_mul_f64 v[9:10], v[9:10], 0.5
	v_fma_f64 v[41:42], -v[9:10], v[39:40], 0.5
	v_fma_f64 v[39:40], v[39:40], v[41:42], v[39:40]
	v_fma_f64 v[9:10], v[9:10], v[41:42], v[9:10]
	v_fma_f64 v[45:46], -v[39:40], v[39:40], v[3:4]
	v_fma_f64 v[39:40], v[45:46], v[9:10], v[39:40]
	v_fma_f64 v[41:42], -v[39:40], v[39:40], v[3:4]
	v_fma_f64 v[9:10], v[41:42], v[9:10], v[39:40]
	v_cndmask_b32_e32 v39, 0, v60, vcc
	v_cmp_class_f64_e32 vcc, v[3:4], v56
	v_ldexp_f64 v[9:10], v[9:10], v39
	v_cndmask_b32_e32 v4, v10, v4, vcc
	v_cndmask_b32_e32 v3, v9, v3, vcc
	v_add_f64 v[9:10], v[43:44], 1.0
	v_mul_f64 v[9:10], v[9:10], 0.5
	v_cmp_gt_f64_e32 vcc, s[82:83], v[9:10]
	v_cndmask_b32_e32 v39, 0, v59, vcc
	v_ldexp_f64 v[9:10], v[9:10], v39
	v_rsq_f64_e32 v[39:40], v[9:10]
	v_mul_f64 v[41:42], v[9:10], v[39:40]
	v_mul_f64 v[39:40], v[39:40], 0.5
	v_fma_f64 v[43:44], -v[39:40], v[41:42], 0.5
	v_fma_f64 v[41:42], v[41:42], v[43:44], v[41:42]
	v_fma_f64 v[39:40], v[39:40], v[43:44], v[39:40]
	v_fma_f64 v[45:46], -v[41:42], v[41:42], v[9:10]
	v_fma_f64 v[41:42], v[45:46], v[39:40], v[41:42]
	v_fma_f64 v[43:44], -v[41:42], v[41:42], v[9:10]
	v_fma_f64 v[39:40], v[43:44], v[39:40], v[41:42]
	v_cndmask_b32_e32 v41, 0, v60, vcc
	v_cmp_class_f64_e32 vcc, v[9:10], v56
	v_ldexp_f64 v[39:40], v[39:40], v41
	v_cndmask_b32_e32 v10, v40, v10, vcc
	v_cndmask_b32_e32 v9, v39, v9, vcc
	v_mul_f64 v[53:54], v[3:4], v[9:10]
.LBB42_786:                             ;   in Loop: Header=BB42_417 Depth=1
	s_or_b64 exec, exec, s[80:81]
	s_mov_b64 s[80:81], exec
.LBB42_787:                             ;   in Loop: Header=BB42_417 Depth=1
	s_or_b64 exec, exec, s[16:17]
                                        ; implicit-def: $vgpr43_vgpr44
.LBB42_788:                             ;   in Loop: Header=BB42_417 Depth=1
	s_andn2_saveexec_b64 s[14:15], s[14:15]
	s_cbranch_execz .LBB42_790
; %bb.789:                              ;   in Loop: Header=BB42_417 Depth=1
	v_ldexp_f64 v[53:54], v[43:44], 53
	v_ldexp_f64 v[51:52], |v[1:2]|, 53
	s_or_b64 s[80:81], s[80:81], exec
                                        ; implicit-def: $vgpr49_vgpr50
.LBB42_790:                             ;   in Loop: Header=BB42_417 Depth=1
	s_or_b64 exec, exec, s[14:15]
	v_cmp_lt_i64_e32 vcc, -1, v[1:2]
	s_xor_b64 s[14:15], s[80:81], -1
	s_and_saveexec_b64 s[16:17], s[14:15]
	s_xor_b64 s[16:17], exec, s[16:17]
	s_cbranch_execz .LBB42_800
; %bb.791:                              ;   in Loop: Header=BB42_417 Depth=1
	s_and_saveexec_b64 s[14:15], vcc
	s_xor_b64 s[80:81], exec, s[14:15]
	s_cbranch_execz .LBB42_795
; %bb.792:                              ;   in Loop: Header=BB42_417 Depth=1
	v_fma_f64 v[3:4], |v[49:50]|, -0.5, 0.5
	v_mul_f64 v[1:2], v[49:50], v[49:50]
	v_cmp_ge_f64_e64 s[14:15], |v[49:50]|, 0.5
	s_mov_b32 s82, 0x9fea6a70
	s_mov_b32 s83, 0x3fa05985
	v_cndmask_b32_e64 v2, v2, v4, s[14:15]
	v_cndmask_b32_e64 v1, v1, v3, s[14:15]
	v_fma_f64 v[9:10], v[1:2], s[82:83], v[25:26]
	s_mov_b32 s82, 0x37024d6a
	s_mov_b32 s83, 0x3f940521
	v_fma_f64 v[9:10], v[1:2], v[9:10], s[82:83]
	s_mov_b32 s82, 0x98a70509
	s_mov_b32 s83, 0x3f7ab3a0
	;; [unrolled: 3-line block ×11, first 2 shown]
	v_mul_f64 v[1:2], v[1:2], v[9:10]
	v_fma_f64 v[9:10], v[49:50], v[1:2], v[49:50]
	v_fma_f64 v[9:10], s[82:83], v[27:28], -v[9:10]
	s_and_saveexec_b64 s[82:83], s[14:15]
	s_cbranch_execz .LBB42_794
; %bb.793:                              ;   in Loop: Header=BB42_417 Depth=1
	v_rsq_f64_e32 v[9:10], v[3:4]
	v_cmp_eq_f64_e64 s[14:15], 0, v[3:4]
	v_mul_f64 v[39:40], v[3:4], v[9:10]
	v_mul_f64 v[9:10], v[9:10], 0.5
	v_fma_f64 v[41:42], -v[9:10], v[39:40], 0.5
	v_fma_f64 v[39:40], v[39:40], v[41:42], v[39:40]
	v_fma_f64 v[9:10], v[9:10], v[41:42], v[9:10]
	v_fma_f64 v[41:42], -v[39:40], v[39:40], v[3:4]
	v_fma_f64 v[9:10], v[41:42], v[9:10], v[39:40]
	v_cndmask_b32_e64 v10, v10, v4, s[14:15]
	v_cndmask_b32_e64 v9, v9, v3, s[14:15]
	v_mul_f64 v[39:40], v[9:10], v[9:10]
	v_add_f64 v[43:44], v[3:4], -v[39:40]
	v_fma_f64 v[41:42], v[9:10], v[9:10], -v[39:40]
	v_add_f64 v[3:4], v[3:4], -v[43:44]
	v_add_f64 v[3:4], v[3:4], -v[39:40]
	v_add_f64 v[39:40], v[9:10], v[9:10]
	v_add_f64 v[3:4], v[3:4], -v[41:42]
	v_rcp_f64_e32 v[41:42], v[39:40]
	v_add_f64 v[3:4], v[43:44], v[3:4]
	v_fma_f64 v[43:44], -v[39:40], v[41:42], 1.0
	v_fma_f64 v[41:42], v[43:44], v[41:42], v[41:42]
	v_fma_f64 v[43:44], -v[39:40], v[41:42], 1.0
	v_fma_f64 v[41:42], v[43:44], v[41:42], v[41:42]
	v_mul_f64 v[43:44], v[3:4], v[41:42]
	v_fma_f64 v[3:4], -v[39:40], v[43:44], v[3:4]
	v_fma_f64 v[3:4], v[3:4], v[41:42], v[43:44]
	v_cndmask_b32_e64 v4, v4, 0, s[14:15]
	v_cndmask_b32_e64 v3, v3, 0, s[14:15]
	v_add_f64 v[39:40], v[9:10], v[3:4]
	v_cmp_neq_f64_e64 s[14:15], 1.0, v[49:50]
	v_add_f64 v[9:10], v[39:40], -v[9:10]
	v_add_f64 v[3:4], v[3:4], -v[9:10]
	v_fma_f64 v[1:2], v[39:40], v[1:2], v[3:4]
	v_add_f64 v[1:2], v[39:40], v[1:2]
	v_add_f64 v[1:2], v[1:2], v[1:2]
	v_cndmask_b32_e64 v10, 0, v2, s[14:15]
	v_cndmask_b32_e64 v9, 0, v1, s[14:15]
.LBB42_794:                             ;   in Loop: Header=BB42_417 Depth=1
	s_or_b64 exec, exec, s[82:83]
                                        ; implicit-def: $vgpr49_vgpr50
.LBB42_795:                             ;   in Loop: Header=BB42_417 Depth=1
	s_andn2_saveexec_b64 s[80:81], s[80:81]
	s_cbranch_execz .LBB42_799
; %bb.796:                              ;   in Loop: Header=BB42_417 Depth=1
	v_fma_f64 v[3:4], |v[49:50]|, -0.5, 0.5
	v_mul_f64 v[1:2], v[49:50], v[49:50]
	v_cmp_ge_f64_e64 s[14:15], |v[49:50]|, 0.5
	s_mov_b32 s82, 0x9fea6a70
	s_mov_b32 s83, 0x3fa05985
	v_cndmask_b32_e64 v2, v2, v4, s[14:15]
	v_cndmask_b32_e64 v1, v1, v3, s[14:15]
	v_fma_f64 v[9:10], v[1:2], s[82:83], v[25:26]
	s_mov_b32 s82, 0x37024d6a
	s_mov_b32 s83, 0x3f940521
	v_fma_f64 v[9:10], v[1:2], v[9:10], s[82:83]
	s_mov_b32 s82, 0x98a70509
	s_mov_b32 s83, 0x3f7ab3a0
	;; [unrolled: 3-line block ×11, first 2 shown]
	v_mul_f64 v[1:2], v[1:2], v[9:10]
	v_fma_f64 v[9:10], -v[49:50], v[1:2], -v[49:50]
	v_fma_f64 v[9:10], s[82:83], v[27:28], -v[9:10]
	s_and_saveexec_b64 s[82:83], s[14:15]
	s_cbranch_execz .LBB42_798
; %bb.797:                              ;   in Loop: Header=BB42_417 Depth=1
	v_rsq_f64_e32 v[9:10], v[3:4]
	v_cmp_eq_f64_e64 s[14:15], 0, v[3:4]
	v_readlane_b32 s84, v83, 0
	v_readlane_b32 s85, v83, 1
	s_mov_b32 s31, s85
	v_writelane_b32 v83, s30, 0
	v_writelane_b32 v83, s31, 1
	v_mul_f64 v[39:40], v[3:4], v[9:10]
	v_mul_f64 v[9:10], v[9:10], 0.5
	v_fma_f64 v[41:42], -v[9:10], v[39:40], 0.5
	v_fma_f64 v[39:40], v[39:40], v[41:42], v[39:40]
	v_fma_f64 v[9:10], v[9:10], v[41:42], v[9:10]
	v_fma_f64 v[41:42], -v[39:40], v[39:40], v[3:4]
	v_fma_f64 v[9:10], v[41:42], v[9:10], v[39:40]
	v_cndmask_b32_e64 v10, v10, v4, s[14:15]
	v_cndmask_b32_e64 v9, v9, v3, s[14:15]
	v_mul_f64 v[39:40], v[9:10], v[9:10]
	v_add_f64 v[43:44], v[3:4], -v[39:40]
	v_fma_f64 v[41:42], v[9:10], v[9:10], -v[39:40]
	v_add_f64 v[3:4], v[3:4], -v[43:44]
	v_add_f64 v[3:4], v[3:4], -v[39:40]
	v_add_f64 v[39:40], v[9:10], v[9:10]
	v_add_f64 v[3:4], v[3:4], -v[41:42]
	v_rcp_f64_e32 v[41:42], v[39:40]
	v_add_f64 v[3:4], v[43:44], v[3:4]
	v_fma_f64 v[43:44], -v[39:40], v[41:42], 1.0
	v_fma_f64 v[41:42], v[43:44], v[41:42], v[41:42]
	v_fma_f64 v[43:44], -v[39:40], v[41:42], 1.0
	v_fma_f64 v[41:42], v[43:44], v[41:42], v[41:42]
	v_mul_f64 v[43:44], v[3:4], v[41:42]
	v_fma_f64 v[3:4], -v[39:40], v[43:44], v[3:4]
	v_fma_f64 v[3:4], v[3:4], v[41:42], v[43:44]
	v_cndmask_b32_e64 v4, v4, 0, s[14:15]
	v_cndmask_b32_e64 v3, v3, 0, s[14:15]
	v_add_f64 v[39:40], v[9:10], v[3:4]
	s_mov_b32 s14, 0x336a0500
	s_mov_b32 s15, 0x3fedd9ad
	;; [unrolled: 1-line block ×3, first 2 shown]
	v_add_f64 v[9:10], v[39:40], -v[9:10]
	v_add_f64 v[3:4], v[3:4], -v[9:10]
	v_fma_f64 v[9:10], v[39:40], v[1:2], v[39:40]
	v_fma_f64 v[1:2], v[39:40], v[1:2], v[3:4]
	v_mul_f64 v[9:10], v[9:10], -2.0
	v_add_f64 v[1:2], v[39:40], v[1:2]
	v_fma_f64 v[9:10], s[14:15], v[27:28], v[9:10]
	v_cmp_lt_f64_e64 s[14:15], 0, v[49:50]
	v_add_f64 v[1:2], v[1:2], v[1:2]
	v_cndmask_b32_e64 v1, v1, v9, s[14:15]
	v_cndmask_b32_e64 v2, v2, v10, s[14:15]
	v_cmp_neq_f64_e64 s[14:15], 1.0, v[49:50]
	v_cndmask_b32_e64 v10, v63, v2, s[14:15]
	v_cndmask_b32_e64 v9, v64, v1, s[14:15]
.LBB42_798:                             ;   in Loop: Header=BB42_417 Depth=1
	s_or_b64 exec, exec, s[82:83]
.LBB42_799:                             ;   in Loop: Header=BB42_417 Depth=1
	s_or_b64 exec, exec, s[80:81]
                                        ; implicit-def: $vgpr51_vgpr52
                                        ; implicit-def: $vgpr53_vgpr54
.LBB42_800:                             ;   in Loop: Header=BB42_417 Depth=1
	s_andn2_saveexec_b64 s[80:81], s[16:17]
	s_cbranch_execz .LBB42_806
; %bb.801:                              ;   in Loop: Header=BB42_417 Depth=1
	s_and_saveexec_b64 s[14:15], vcc
	s_xor_b64 s[82:83], exec, s[14:15]
	s_cbranch_execz .LBB42_803
; %bb.802:                              ;   in Loop: Header=BB42_417 Depth=1
	v_max_f64 v[1:2], |v[53:54]|, |v[53:54]|
	v_max_f64 v[3:4], v[51:52], v[51:52]
	s_mov_b32 s60, s28
	v_cmp_class_f64_e64 s[84:85], v[53:54], s95
	v_cmp_eq_f64_e64 s[16:17], s[70:71], v[51:52]
	v_max_f64 v[9:10], v[3:4], v[1:2]
	v_min_f64 v[1:2], v[3:4], v[1:2]
	v_div_scale_f64 v[3:4], s[14:15], v[9:10], v[9:10], v[1:2]
	s_mov_b32 s14, 0xb5e68a13
	s_mov_b32 s15, 0x3eeba404
	v_rcp_f64_e32 v[39:40], v[3:4]
	v_fma_f64 v[41:42], -v[3:4], v[39:40], 1.0
	v_fma_f64 v[39:40], v[39:40], v[41:42], v[39:40]
	v_div_scale_f64 v[41:42], vcc, v[1:2], v[9:10], v[1:2]
	v_fma_f64 v[43:44], -v[3:4], v[39:40], 1.0
	v_fma_f64 v[39:40], v[39:40], v[43:44], v[39:40]
	v_mul_f64 v[43:44], v[41:42], v[39:40]
	v_fma_f64 v[3:4], -v[3:4], v[43:44], v[41:42]
	v_div_fmas_f64 v[3:4], v[3:4], v[39:40], v[43:44]
	v_cmp_lt_f64_e64 vcc, v[51:52], |v[53:54]|
	v_div_fixup_f64 v[1:2], v[3:4], v[9:10], v[1:2]
	v_mul_f64 v[3:4], v[1:2], v[1:2]
	v_fma_f64 v[9:10], v[3:4], s[14:15], v[29:30]
	s_mov_b32 s14, 0x69efb384
	s_mov_b32 s15, 0x3f4b2bb0
	v_fma_f64 v[9:10], v[3:4], v[9:10], s[14:15]
	s_mov_b32 s14, 0xaf56de9b
	s_mov_b32 s15, 0xbf67952d
	;; [unrolled: 3-line block ×10, first 2 shown]
	v_fma_f64 v[9:10], v[3:4], v[9:10], s[14:15]
	v_cmp_eq_f64_e64 s[14:15], 0, v[53:54]
	v_fma_f64 v[9:10], v[3:4], v[9:10], s[96:97]
	v_fma_f64 v[9:10], v[3:4], v[9:10], s[98:99]
	;; [unrolled: 1-line block ×8, first 2 shown]
	v_mul_f64 v[3:4], v[3:4], v[9:10]
	v_ashrrev_i32_e32 v10, 31, v52
	v_and_b32_e32 v39, 0x54442d18, v10
	v_and_b32_e32 v10, 0x400921fb, v10
	v_fma_f64 v[1:2], v[1:2], v[3:4], v[1:2]
	v_add_f64 v[3:4], -v[1:2], s[28:29]
	v_cndmask_b32_e32 v2, v2, v4, vcc
	v_cndmask_b32_e32 v1, v1, v3, vcc
	v_add_f64 v[3:4], -v[1:2], s[60:61]
	v_cmp_gt_i32_e32 vcc, 0, v52
	v_cndmask_b32_e32 v9, v64, v65, vcc
                                        ; implicit-def: $vgpr51_vgpr52
	v_cndmask_b32_e32 v1, v1, v3, vcc
	v_cndmask_b32_e32 v2, v2, v4, vcc
	;; [unrolled: 1-line block ×3, first 2 shown]
	v_cndmask_b32_e64 v1, v1, v39, s[14:15]
	v_cndmask_b32_e64 v2, v2, v10, s[14:15]
	s_and_b64 vcc, s[16:17], s[84:85]
	v_cndmask_b32_e32 v2, v2, v3, vcc
	v_cndmask_b32_e32 v1, v1, v9, vcc
	v_cmp_o_f64_e32 vcc, v[53:54], v[53:54]
	v_cndmask_b32_e32 v9, 0, v1, vcc
	v_cndmask_b32_e32 v1, v62, v2, vcc
	v_bfi_b32 v10, s94, v1, v54
                                        ; implicit-def: $vgpr53_vgpr54
.LBB42_803:                             ;   in Loop: Header=BB42_417 Depth=1
	s_andn2_saveexec_b64 s[82:83], s[82:83]
	s_cbranch_execz .LBB42_805
; %bb.804:                              ;   in Loop: Header=BB42_417 Depth=1
	v_max_f64 v[1:2], |v[53:54]|, |v[53:54]|
	v_max_f64 v[3:4], v[51:52], v[51:52]
	s_mov_b32 s60, s28
	v_cmp_class_f64_e64 s[84:85], v[53:54], s95
	v_cmp_eq_f64_e64 s[16:17], s[70:71], v[51:52]
	v_max_f64 v[9:10], v[3:4], v[1:2]
	v_min_f64 v[1:2], v[3:4], v[1:2]
	v_div_scale_f64 v[3:4], s[14:15], v[9:10], v[9:10], v[1:2]
	s_mov_b32 s14, 0xb5e68a13
	s_mov_b32 s15, 0x3eeba404
	v_rcp_f64_e32 v[39:40], v[3:4]
	v_fma_f64 v[41:42], -v[3:4], v[39:40], 1.0
	v_fma_f64 v[39:40], v[39:40], v[41:42], v[39:40]
	v_div_scale_f64 v[41:42], vcc, v[1:2], v[9:10], v[1:2]
	v_fma_f64 v[43:44], -v[3:4], v[39:40], 1.0
	v_fma_f64 v[39:40], v[39:40], v[43:44], v[39:40]
	v_mul_f64 v[43:44], v[41:42], v[39:40]
	v_fma_f64 v[3:4], -v[3:4], v[43:44], v[41:42]
	v_div_fmas_f64 v[3:4], v[3:4], v[39:40], v[43:44]
	v_cmp_lt_f64_e64 vcc, v[51:52], |v[53:54]|
	v_div_fixup_f64 v[1:2], v[3:4], v[9:10], v[1:2]
	v_mul_f64 v[3:4], v[1:2], v[1:2]
	v_fma_f64 v[9:10], v[3:4], s[14:15], v[29:30]
	s_mov_b32 s14, 0x69efb384
	s_mov_b32 s15, 0x3f4b2bb0
	v_fma_f64 v[9:10], v[3:4], v[9:10], s[14:15]
	s_mov_b32 s14, 0xaf56de9b
	s_mov_b32 s15, 0xbf67952d
	;; [unrolled: 3-line block ×10, first 2 shown]
	v_fma_f64 v[9:10], v[3:4], v[9:10], s[14:15]
	v_cmp_eq_f64_e64 s[14:15], 0, v[53:54]
	v_fma_f64 v[9:10], v[3:4], v[9:10], s[96:97]
	v_fma_f64 v[9:10], v[3:4], v[9:10], s[98:99]
	;; [unrolled: 1-line block ×8, first 2 shown]
	v_mul_f64 v[3:4], v[3:4], v[9:10]
	v_xor_b32_e32 v9, 0x80000000, v52
	v_fma_f64 v[1:2], v[1:2], v[3:4], v[1:2]
	v_add_f64 v[3:4], -v[1:2], s[28:29]
	v_cndmask_b32_e32 v2, v2, v4, vcc
	v_cndmask_b32_e32 v1, v1, v3, vcc
	v_add_f64 v[3:4], -v[1:2], s[60:61]
	v_cmp_gt_i32_e32 vcc, 0, v9
	v_ashrrev_i32_e32 v9, 31, v9
	v_and_b32_e32 v39, 0x54442d18, v9
	v_and_b32_e32 v9, 0x400921fb, v9
	v_cndmask_b32_e32 v10, v64, v65, vcc
	v_cndmask_b32_e32 v1, v1, v3, vcc
	;; [unrolled: 1-line block ×4, first 2 shown]
	v_cndmask_b32_e64 v1, v1, v39, s[14:15]
	v_cndmask_b32_e64 v2, v2, v9, s[14:15]
	s_and_b64 vcc, s[16:17], s[84:85]
	v_cndmask_b32_e32 v2, v2, v3, vcc
	v_cndmask_b32_e32 v1, v1, v10, vcc
	v_cmp_o_f64_e32 vcc, v[53:54], v[53:54]
	v_cndmask_b32_e32 v9, 0, v1, vcc
	v_cndmask_b32_e32 v1, v62, v2, vcc
	v_bfi_b32 v10, s94, v1, v54
.LBB42_805:                             ;   in Loop: Header=BB42_417 Depth=1
	s_or_b64 exec, exec, s[82:83]
.LBB42_806:                             ;   in Loop: Header=BB42_417 Depth=1
	s_or_b64 exec, exec, s[80:81]
	v_xor_b32_e32 v1, 0x80000000, v12
	v_cndmask_b32_e64 v12, v1, v12, s[12:13]
                                        ; implicit-def: $vgpr1_vgpr2
.LBB42_807:                             ;   in Loop: Header=BB42_417 Depth=1
	s_andn2_saveexec_b64 s[14:15], s[78:79]
	s_cbranch_execz .LBB42_809
; %bb.808:                              ;   in Loop: Header=BB42_417 Depth=1
	v_mov_b32_e32 v3, s18
	v_mov_b32_e32 v4, s19
	flat_load_dwordx2 v[3:4], v[3:4] glc
	s_waitcnt vmcnt(0) lgkmcnt(0)
	v_add_f64 v[1:2], v[3:4], -v[1:2]
	v_add_f64 v[9:10], v[1:2], s[28:29]
.LBB42_809:                             ;   in Loop: Header=BB42_417 Depth=1
	s_or_b64 exec, exec, s[14:15]
.LBB42_810:                             ;   in Loop: Header=BB42_417 Depth=1
	s_andn2_saveexec_b64 s[14:15], s[76:77]
	s_cbranch_execz .LBB42_812
; %bb.811:                              ;   in Loop: Header=BB42_417 Depth=1
	s_waitcnt lgkmcnt(0)
	v_mov_b32_e32 v9, 0
	v_mov_b32_e32 v10, 0
.LBB42_812:                             ;   in Loop: Header=BB42_417 Depth=1
	s_or_b64 exec, exec, s[14:15]
                                        ; implicit-def: $vgpr1_vgpr2
                                        ; implicit-def: $vgpr41_vgpr42
                                        ; implicit-def: $vgpr43_vgpr44
                                        ; implicit-def: $vgpr39_vgpr40
.LBB42_813:                             ;   in Loop: Header=BB42_417 Depth=1
	s_andn2_saveexec_b64 s[74:75], s[74:75]
	s_cbranch_execz .LBB42_823
; %bb.814:                              ;   in Loop: Header=BB42_417 Depth=1
	v_cmp_lt_f64_e64 s[14:15], |v[1:2]|, |v[3:4]|
	v_and_b32_e32 v47, 0x7fffffff, v2
	v_and_b32_e32 v48, 0x7fffffff, v4
	s_mov_b32 s16, -1
	s_mov_b32 s17, 0x7fdfffff
                                        ; implicit-def: $vgpr9_vgpr10
                                        ; implicit-def: $vgpr11_vgpr12
	v_cndmask_b32_e64 v46, v47, v48, s[14:15]
	v_cndmask_b32_e64 v45, v1, v3, s[14:15]
	v_cmp_nlt_f64_e32 vcc, s[16:17], v[45:46]
                                        ; implicit-def: $sgpr16_sgpr17
	s_and_saveexec_b64 s[76:77], vcc
	s_xor_b64 s[76:77], exec, s[76:77]
	s_cbranch_execz .LBB42_820
; %bb.815:                              ;   in Loop: Header=BB42_417 Depth=1
	s_mov_b32 s16, 0
	s_mov_b32 s17, 0x20200000
	v_cmp_nlt_f64_e32 vcc, s[16:17], v[45:46]
	s_mov_b32 s16, 0
	v_cndmask_b32_e64 v48, v48, v47, s[14:15]
	v_cndmask_b32_e64 v47, v3, v1, s[14:15]
	s_brev_b32 s17, 4
	v_cmp_ngt_f64_e64 s[16:17], s[16:17], v[47:48]
                                        ; implicit-def: $vgpr9_vgpr10
                                        ; implicit-def: $vgpr11_vgpr12
	s_and_b64 s[78:79], vcc, s[16:17]
                                        ; implicit-def: $sgpr16_sgpr17
	s_and_saveexec_b64 s[80:81], s[78:79]
	s_xor_b64 s[78:79], exec, s[80:81]
	s_cbranch_execz .LBB42_817
; %bb.816:                              ;   in Loop: Header=BB42_417 Depth=1
	s_waitcnt lgkmcnt(0)
	v_mul_f64 v[9:10], v[47:48], v[47:48]
	s_mov_b32 s31, s73
	v_cmp_class_f64_e64 s[80:81], v[1:2], s95
	v_fma_f64 v[9:10], v[45:46], v[45:46], v[9:10]
	v_frexp_mant_f64_e32 v[11:12], v[9:10]
	v_frexp_exp_i32_f64_e32 v45, v[9:10]
	v_cmp_gt_f64_e32 vcc, s[72:73], v[11:12]
	v_cndmask_b32_e64 v46, 0, 1, vcc
	v_ldexp_f64 v[11:12], v[11:12], v46
	v_subbrev_co_u32_e32 v70, vcc, 0, v45, vcc
	v_cmp_class_f64_e64 vcc, v[9:10], s95
	v_add_f64 v[47:48], v[11:12], 1.0
	v_add_f64 v[45:46], v[11:12], -1.0
	v_add_f64 v[49:50], v[47:48], -1.0
	v_add_f64 v[11:12], v[11:12], -v[49:50]
	v_rcp_f64_e32 v[49:50], v[47:48]
	v_fma_f64 v[51:52], -v[47:48], v[49:50], 1.0
	v_fma_f64 v[49:50], v[51:52], v[49:50], v[49:50]
	v_fma_f64 v[51:52], -v[47:48], v[49:50], 1.0
	v_fma_f64 v[49:50], v[51:52], v[49:50], v[49:50]
	v_mul_f64 v[51:52], v[45:46], v[49:50]
	v_mul_f64 v[53:54], v[47:48], v[51:52]
	v_fma_f64 v[47:48], v[51:52], v[47:48], -v[53:54]
	v_fma_f64 v[11:12], v[51:52], v[11:12], v[47:48]
	v_add_f64 v[47:48], v[53:54], v[11:12]
	v_add_f64 v[68:69], v[45:46], -v[47:48]
	v_add_f64 v[53:54], v[47:48], -v[53:54]
	;; [unrolled: 1-line block ×5, first 2 shown]
	v_add_f64 v[11:12], v[11:12], v[45:46]
	v_add_f64 v[11:12], v[68:69], v[11:12]
	v_mul_f64 v[11:12], v[49:50], v[11:12]
	v_add_f64 v[45:46], v[51:52], v[11:12]
	v_add_f64 v[47:48], v[45:46], -v[51:52]
	v_ldexp_f64 v[51:52], v[45:46], 1
	v_add_f64 v[11:12], v[11:12], -v[47:48]
	v_mul_f64 v[47:48], v[45:46], v[45:46]
	v_ldexp_f64 v[11:12], v[11:12], 1
	v_fma_f64 v[49:50], v[47:48], s[34:35], v[23:24]
	v_mul_f64 v[45:46], v[45:46], v[47:48]
	v_fma_f64 v[49:50], v[47:48], v[49:50], s[36:37]
	v_fma_f64 v[49:50], v[47:48], v[49:50], s[38:39]
	;; [unrolled: 1-line block ×5, first 2 shown]
	v_mul_f64 v[45:46], v[45:46], v[49:50]
	v_add_f64 v[47:48], v[51:52], v[45:46]
	v_add_f64 v[49:50], v[47:48], -v[51:52]
	v_add_f64 v[45:46], v[45:46], -v[49:50]
	v_add_f64 v[11:12], v[11:12], v[45:46]
	v_add_f64 v[45:46], v[47:48], v[11:12]
	v_add_f64 v[47:48], v[45:46], -v[47:48]
	v_add_f64 v[11:12], v[11:12], -v[47:48]
	v_cvt_f64_i32_e32 v[47:48], v70
	v_mul_f64 v[49:50], v[47:48], s[44:45]
	v_fma_f64 v[51:52], v[47:48], s[44:45], -v[49:50]
	v_fma_f64 v[47:48], v[47:48], s[46:47], v[51:52]
	v_add_f64 v[51:52], v[49:50], v[47:48]
	v_add_f64 v[49:50], v[51:52], -v[49:50]
	v_add_f64 v[47:48], v[47:48], -v[49:50]
	v_add_f64 v[49:50], v[51:52], v[45:46]
	v_add_f64 v[53:54], v[49:50], -v[51:52]
	v_add_f64 v[68:69], v[49:50], -v[53:54]
	;; [unrolled: 1-line block ×4, first 2 shown]
	v_add_f64 v[45:46], v[45:46], v[51:52]
	v_add_f64 v[51:52], v[47:48], v[11:12]
	v_add_f64 v[53:54], v[51:52], -v[47:48]
	v_add_f64 v[45:46], v[51:52], v[45:46]
	v_add_f64 v[68:69], v[51:52], -v[53:54]
	v_add_f64 v[11:12], v[11:12], -v[53:54]
	;; [unrolled: 1-line block ×3, first 2 shown]
	v_add_f64 v[11:12], v[11:12], v[47:48]
	v_add_f64 v[47:48], v[49:50], v[45:46]
	v_add_f64 v[49:50], v[47:48], -v[49:50]
	v_add_f64 v[45:46], v[45:46], -v[49:50]
	v_add_f64 v[11:12], v[11:12], v[45:46]
	v_add_f64 v[11:12], v[47:48], v[11:12]
	v_cndmask_b32_e32 v12, v12, v10, vcc
	v_cndmask_b32_e32 v11, v11, v9, vcc
	v_mul_f64 v[11:12], v[11:12], 0.5
	v_cmp_neq_f64_e32 vcc, 0, v[9:10]
	v_cndmask_b32_e32 v10, v61, v12, vcc
	v_cndmask_b32_e32 v9, 0, v11, vcc
	v_min_f64 v[11:12], v[41:42], v[43:44]
	v_div_scale_f64 v[41:42], s[16:17], v[39:40], v[39:40], v[11:12]
	s_mov_b32 s16, 0xb5e68a13
	s_mov_b32 s17, 0x3eeba404
	v_rcp_f64_e32 v[43:44], v[41:42]
	v_fma_f64 v[45:46], -v[41:42], v[43:44], 1.0
	v_fma_f64 v[43:44], v[43:44], v[45:46], v[43:44]
	v_fma_f64 v[45:46], -v[41:42], v[43:44], 1.0
	v_fma_f64 v[43:44], v[43:44], v[45:46], v[43:44]
	v_div_scale_f64 v[45:46], vcc, v[11:12], v[39:40], v[11:12]
	v_mul_f64 v[47:48], v[45:46], v[43:44]
	v_fma_f64 v[41:42], -v[41:42], v[47:48], v[45:46]
	s_nop 1
	v_div_fmas_f64 v[41:42], v[41:42], v[43:44], v[47:48]
                                        ; implicit-def: $vgpr43_vgpr44
	v_div_fixup_f64 v[11:12], v[41:42], v[39:40], v[11:12]
	v_mul_f64 v[39:40], v[11:12], v[11:12]
	v_fma_f64 v[41:42], v[39:40], s[16:17], v[29:30]
	s_mov_b32 s16, 0x69efb384
	s_mov_b32 s17, 0x3f4b2bb0
	v_fma_f64 v[41:42], v[39:40], v[41:42], s[16:17]
	s_mov_b32 s16, 0xaf56de9b
	s_mov_b32 s17, 0xbf67952d
	;; [unrolled: 3-line block ×10, first 2 shown]
	v_fma_f64 v[41:42], v[39:40], v[41:42], s[16:17]
	v_cmp_class_f64_e64 s[16:17], v[3:4], s95
	v_fma_f64 v[41:42], v[39:40], v[41:42], s[96:97]
	s_and_b64 s[16:17], s[16:17], s[80:81]
	v_fma_f64 v[41:42], v[39:40], v[41:42], s[98:99]
	v_fma_f64 v[41:42], v[39:40], v[41:42], s[48:49]
	;; [unrolled: 1-line block ×7, first 2 shown]
	v_mul_f64 v[39:40], v[39:40], v[41:42]
                                        ; implicit-def: $vgpr41_vgpr42
	v_fma_f64 v[11:12], v[11:12], v[39:40], v[11:12]
                                        ; implicit-def: $vgpr39_vgpr40
.LBB42_817:                             ;   in Loop: Header=BB42_417 Depth=1
	s_andn2_saveexec_b64 s[78:79], s[78:79]
	s_cbranch_execz .LBB42_819
; %bb.818:                              ;   in Loop: Header=BB42_417 Depth=1
	v_frexp_exp_i32_f64_e32 v49, v[39:40]
	v_cmp_class_f64_e64 s[80:81], v[1:2], s95
	v_cmp_class_f64_e64 s[82:83], v[3:4], s95
	s_mov_b32 s31, s73
	s_andn2_b64 s[16:17], s[16:17], exec
	v_sub_u32_e32 v11, 0, v49
	s_waitcnt lgkmcnt(0)
	v_ldexp_f64 v[9:10], |v[1:2]|, v11
	v_ldexp_f64 v[11:12], |v[3:4]|, v11
	v_mul_f64 v[11:12], v[11:12], v[11:12]
	v_fma_f64 v[9:10], v[9:10], v[9:10], v[11:12]
	v_rsq_f64_e32 v[11:12], v[9:10]
	v_cmp_eq_f64_e32 vcc, 0, v[9:10]
	v_mul_f64 v[45:46], v[9:10], v[11:12]
	v_mul_f64 v[11:12], v[11:12], 0.5
	v_fma_f64 v[47:48], -v[11:12], v[45:46], 0.5
	v_fma_f64 v[45:46], v[45:46], v[47:48], v[45:46]
	v_fma_f64 v[11:12], v[11:12], v[47:48], v[11:12]
	v_fma_f64 v[47:48], -v[45:46], v[45:46], v[9:10]
	v_fma_f64 v[11:12], v[47:48], v[11:12], v[45:46]
	v_cndmask_b32_e32 v10, v12, v10, vcc
	v_cndmask_b32_e32 v9, v11, v9, vcc
	v_ldexp_f64 v[9:10], v[9:10], v49
	s_or_b64 vcc, s[82:83], s[80:81]
	s_and_b64 s[80:81], s[82:83], s[80:81]
	s_and_b64 s[80:81], s[80:81], exec
	s_or_b64 s[16:17], s[16:17], s[80:81]
	v_cndmask_b32_e32 v11, v10, v57, vcc
	v_cndmask_b32_e64 v10, v9, 0, vcc
	v_frexp_mant_f64_e32 v[45:46], v[10:11]
	v_frexp_exp_i32_f64_e32 v9, v[10:11]
	v_cmp_gt_f64_e32 vcc, s[72:73], v[45:46]
	v_cndmask_b32_e64 v12, 0, 1, vcc
	v_ldexp_f64 v[45:46], v[45:46], v12
	v_subbrev_co_u32_e32 v9, vcc, 0, v9, vcc
	v_cmp_class_f64_e64 vcc, v[10:11], s95
	v_add_f64 v[49:50], v[45:46], 1.0
	v_add_f64 v[47:48], v[45:46], -1.0
	v_add_f64 v[51:52], v[49:50], -1.0
	v_add_f64 v[45:46], v[45:46], -v[51:52]
	v_rcp_f64_e32 v[51:52], v[49:50]
	v_fma_f64 v[53:54], -v[49:50], v[51:52], 1.0
	v_fma_f64 v[51:52], v[53:54], v[51:52], v[51:52]
	v_fma_f64 v[53:54], -v[49:50], v[51:52], 1.0
	v_fma_f64 v[51:52], v[53:54], v[51:52], v[51:52]
	v_mul_f64 v[53:54], v[47:48], v[51:52]
	v_mul_f64 v[68:69], v[49:50], v[53:54]
	v_fma_f64 v[49:50], v[53:54], v[49:50], -v[68:69]
	v_fma_f64 v[45:46], v[53:54], v[45:46], v[49:50]
	v_add_f64 v[49:50], v[68:69], v[45:46]
	v_add_f64 v[70:71], v[47:48], -v[49:50]
	v_add_f64 v[68:69], v[49:50], -v[68:69]
	v_add_f64 v[47:48], v[47:48], -v[70:71]
	v_add_f64 v[45:46], v[68:69], -v[45:46]
	v_add_f64 v[47:48], v[47:48], -v[49:50]
	v_add_f64 v[45:46], v[45:46], v[47:48]
	v_add_f64 v[45:46], v[70:71], v[45:46]
	v_mul_f64 v[45:46], v[51:52], v[45:46]
	v_add_f64 v[47:48], v[53:54], v[45:46]
	v_add_f64 v[49:50], v[47:48], -v[53:54]
	v_ldexp_f64 v[53:54], v[47:48], 1
	v_add_f64 v[45:46], v[45:46], -v[49:50]
	v_mul_f64 v[49:50], v[47:48], v[47:48]
	v_ldexp_f64 v[45:46], v[45:46], 1
	v_fma_f64 v[51:52], v[49:50], s[34:35], v[23:24]
	v_mul_f64 v[47:48], v[47:48], v[49:50]
	v_fma_f64 v[51:52], v[49:50], v[51:52], s[36:37]
	v_fma_f64 v[51:52], v[49:50], v[51:52], s[38:39]
	;; [unrolled: 1-line block ×5, first 2 shown]
	v_mul_f64 v[47:48], v[47:48], v[51:52]
	v_add_f64 v[49:50], v[53:54], v[47:48]
	v_add_f64 v[51:52], v[49:50], -v[53:54]
	v_add_f64 v[47:48], v[47:48], -v[51:52]
	v_add_f64 v[45:46], v[45:46], v[47:48]
	v_add_f64 v[47:48], v[49:50], v[45:46]
	v_add_f64 v[49:50], v[47:48], -v[49:50]
	v_add_f64 v[45:46], v[45:46], -v[49:50]
	v_cvt_f64_i32_e32 v[49:50], v9
	v_mul_f64 v[51:52], v[49:50], s[44:45]
	v_fma_f64 v[53:54], v[49:50], s[44:45], -v[51:52]
	v_fma_f64 v[49:50], v[49:50], s[46:47], v[53:54]
	v_add_f64 v[53:54], v[51:52], v[49:50]
	v_add_f64 v[51:52], v[53:54], -v[51:52]
	v_add_f64 v[49:50], v[49:50], -v[51:52]
	v_add_f64 v[51:52], v[53:54], v[47:48]
	v_add_f64 v[68:69], v[51:52], -v[53:54]
	v_add_f64 v[70:71], v[51:52], -v[68:69]
	;; [unrolled: 1-line block ×4, first 2 shown]
	v_add_f64 v[47:48], v[47:48], v[53:54]
	v_add_f64 v[53:54], v[49:50], v[45:46]
	v_add_f64 v[68:69], v[53:54], -v[49:50]
	v_add_f64 v[47:48], v[53:54], v[47:48]
	v_add_f64 v[70:71], v[53:54], -v[68:69]
	v_add_f64 v[45:46], v[45:46], -v[68:69]
	v_add_f64 v[49:50], v[49:50], -v[70:71]
	v_add_f64 v[45:46], v[45:46], v[49:50]
	v_add_f64 v[49:50], v[51:52], v[47:48]
	v_add_f64 v[51:52], v[49:50], -v[51:52]
	v_add_f64 v[47:48], v[47:48], -v[51:52]
	v_add_f64 v[45:46], v[45:46], v[47:48]
	v_add_f64 v[45:46], v[49:50], v[45:46]
	v_cndmask_b32_e32 v9, v45, v10, vcc
	v_cndmask_b32_e32 v12, v46, v11, vcc
	v_cmp_ngt_f64_e32 vcc, 0, v[10:11]
	v_cndmask_b32_e32 v12, v62, v12, vcc
	v_cmp_nge_f64_e32 vcc, 0, v[10:11]
	v_cndmask_b32_e32 v9, 0, v9, vcc
	v_cmp_neq_f64_e32 vcc, 0, v[10:11]
	v_cndmask_b32_e32 v10, v61, v12, vcc
	v_min_f64 v[11:12], v[41:42], v[43:44]
	v_div_scale_f64 v[41:42], s[84:85], v[39:40], v[39:40], v[11:12]
	s_mov_b32 s84, 0xb5e68a13
	s_mov_b32 s85, 0x3eeba404
	v_rcp_f64_e32 v[43:44], v[41:42]
	v_fma_f64 v[45:46], -v[41:42], v[43:44], 1.0
	v_fma_f64 v[43:44], v[43:44], v[45:46], v[43:44]
	v_fma_f64 v[45:46], -v[41:42], v[43:44], 1.0
	v_fma_f64 v[43:44], v[43:44], v[45:46], v[43:44]
	v_div_scale_f64 v[45:46], vcc, v[11:12], v[39:40], v[11:12]
	v_mul_f64 v[47:48], v[45:46], v[43:44]
	v_fma_f64 v[41:42], -v[41:42], v[47:48], v[45:46]
	s_nop 1
	v_div_fmas_f64 v[41:42], v[41:42], v[43:44], v[47:48]
	v_div_fixup_f64 v[11:12], v[41:42], v[39:40], v[11:12]
	v_mul_f64 v[39:40], v[11:12], v[11:12]
	v_fma_f64 v[41:42], v[39:40], s[84:85], v[29:30]
	s_mov_b32 s84, 0x69efb384
	s_mov_b32 s85, 0x3f4b2bb0
	v_fma_f64 v[41:42], v[39:40], v[41:42], s[84:85]
	s_mov_b32 s84, 0xaf56de9b
	s_mov_b32 s85, 0xbf67952d
	;; [unrolled: 3-line block ×10, first 2 shown]
	v_fma_f64 v[41:42], v[39:40], v[41:42], s[84:85]
	v_fma_f64 v[41:42], v[39:40], v[41:42], s[96:97]
	;; [unrolled: 1-line block ×9, first 2 shown]
	v_mul_f64 v[39:40], v[39:40], v[41:42]
	v_fma_f64 v[11:12], v[11:12], v[39:40], v[11:12]
.LBB42_819:                             ;   in Loop: Header=BB42_417 Depth=1
	s_or_b64 exec, exec, s[78:79]
                                        ; implicit-def: $vgpr41_vgpr42
                                        ; implicit-def: $vgpr43_vgpr44
                                        ; implicit-def: $vgpr39_vgpr40
.LBB42_820:                             ;   in Loop: Header=BB42_417 Depth=1
	s_andn2_saveexec_b64 s[76:77], s[76:77]
	s_cbranch_execz .LBB42_822
; %bb.821:                              ;   in Loop: Header=BB42_417 Depth=1
	s_waitcnt lgkmcnt(0)
	v_div_scale_f64 v[9:10], s[78:79], s[64:65], s[64:65], v[1:2]
	s_mov_b32 s31, s73
	s_andn2_b64 s[16:17], s[16:17], exec
	v_rcp_f64_e32 v[11:12], v[9:10]
	v_fma_f64 v[45:46], -v[9:10], v[11:12], 1.0
	v_fma_f64 v[11:12], v[11:12], v[45:46], v[11:12]
	v_fma_f64 v[45:46], -v[9:10], v[11:12], 1.0
	v_fma_f64 v[11:12], v[11:12], v[45:46], v[11:12]
	v_div_scale_f64 v[45:46], vcc, v[1:2], s[64:65], v[1:2]
	v_mul_f64 v[47:48], v[45:46], v[11:12]
	v_fma_f64 v[9:10], -v[9:10], v[47:48], v[45:46]
	s_nop 1
	v_div_fmas_f64 v[9:10], v[9:10], v[11:12], v[47:48]
	v_div_scale_f64 v[11:12], s[78:79], s[64:65], s[64:65], v[3:4]
	v_div_fixup_f64 v[9:10], v[9:10], s[64:65], v[1:2]
	v_rcp_f64_e32 v[45:46], v[11:12]
	v_cmp_class_f64_e64 s[78:79], v[9:10], s95
	v_fma_f64 v[47:48], -v[11:12], v[45:46], 1.0
	v_fma_f64 v[45:46], v[45:46], v[47:48], v[45:46]
	v_fma_f64 v[47:48], -v[11:12], v[45:46], 1.0
	v_fma_f64 v[45:46], v[45:46], v[47:48], v[45:46]
	v_div_scale_f64 v[47:48], vcc, v[3:4], s[64:65], v[3:4]
	v_mul_f64 v[49:50], v[47:48], v[45:46]
	v_fma_f64 v[11:12], -v[11:12], v[49:50], v[47:48]
	s_nop 1
	v_div_fmas_f64 v[11:12], v[11:12], v[45:46], v[49:50]
	v_div_fixup_f64 v[11:12], v[11:12], s[64:65], v[3:4]
	v_max_f64 v[45:46], |v[9:10]|, |v[11:12]|
	v_cmp_class_f64_e64 s[80:81], v[11:12], s95
	v_frexp_exp_i32_f64_e32 v53, v[45:46]
	v_sub_u32_e32 v47, 0, v53
	v_ldexp_f64 v[45:46], |v[9:10]|, v47
	v_ldexp_f64 v[47:48], |v[11:12]|, v47
	v_mul_f64 v[47:48], v[47:48], v[47:48]
	v_fma_f64 v[45:46], v[45:46], v[45:46], v[47:48]
	v_rsq_f64_e32 v[47:48], v[45:46]
	v_cmp_eq_f64_e32 vcc, 0, v[45:46]
	v_mul_f64 v[49:50], v[45:46], v[47:48]
	v_mul_f64 v[47:48], v[47:48], 0.5
	v_fma_f64 v[51:52], -v[47:48], v[49:50], 0.5
	v_fma_f64 v[49:50], v[49:50], v[51:52], v[49:50]
	v_fma_f64 v[47:48], v[47:48], v[51:52], v[47:48]
	v_fma_f64 v[51:52], -v[49:50], v[49:50], v[45:46]
	v_fma_f64 v[47:48], v[51:52], v[47:48], v[49:50]
	v_cndmask_b32_e32 v46, v48, v46, vcc
	v_cndmask_b32_e32 v45, v47, v45, vcc
	v_ldexp_f64 v[45:46], v[45:46], v53
	s_or_b64 vcc, s[80:81], s[78:79]
	v_cmp_class_f64_e64 s[80:81], v[1:2], s95
	v_cndmask_b32_e32 v11, v46, v57, vcc
	v_cndmask_b32_e64 v10, v45, 0, vcc
	v_frexp_mant_f64_e32 v[45:46], v[10:11]
	v_frexp_exp_i32_f64_e32 v9, v[10:11]
	v_cmp_gt_f64_e32 vcc, s[72:73], v[45:46]
	v_cndmask_b32_e64 v12, 0, 1, vcc
	v_ldexp_f64 v[45:46], v[45:46], v12
	v_subbrev_co_u32_e32 v9, vcc, 0, v9, vcc
	v_cmp_class_f64_e64 vcc, v[10:11], s95
	v_add_f64 v[49:50], v[45:46], 1.0
	v_add_f64 v[47:48], v[45:46], -1.0
	v_add_f64 v[51:52], v[49:50], -1.0
	v_add_f64 v[45:46], v[45:46], -v[51:52]
	v_rcp_f64_e32 v[51:52], v[49:50]
	v_fma_f64 v[53:54], -v[49:50], v[51:52], 1.0
	v_fma_f64 v[51:52], v[53:54], v[51:52], v[51:52]
	v_fma_f64 v[53:54], -v[49:50], v[51:52], 1.0
	v_fma_f64 v[51:52], v[53:54], v[51:52], v[51:52]
	v_mul_f64 v[53:54], v[47:48], v[51:52]
	v_mul_f64 v[68:69], v[49:50], v[53:54]
	v_fma_f64 v[49:50], v[53:54], v[49:50], -v[68:69]
	v_fma_f64 v[45:46], v[53:54], v[45:46], v[49:50]
	v_add_f64 v[49:50], v[68:69], v[45:46]
	v_add_f64 v[70:71], v[47:48], -v[49:50]
	v_add_f64 v[68:69], v[49:50], -v[68:69]
	;; [unrolled: 1-line block ×5, first 2 shown]
	v_add_f64 v[45:46], v[45:46], v[47:48]
	v_add_f64 v[45:46], v[70:71], v[45:46]
	v_mul_f64 v[45:46], v[51:52], v[45:46]
	v_add_f64 v[47:48], v[53:54], v[45:46]
	v_add_f64 v[49:50], v[47:48], -v[53:54]
	v_ldexp_f64 v[53:54], v[47:48], 1
	v_add_f64 v[45:46], v[45:46], -v[49:50]
	v_mul_f64 v[49:50], v[47:48], v[47:48]
	v_ldexp_f64 v[45:46], v[45:46], 1
	v_fma_f64 v[51:52], v[49:50], s[34:35], v[23:24]
	v_mul_f64 v[47:48], v[47:48], v[49:50]
	v_fma_f64 v[51:52], v[49:50], v[51:52], s[36:37]
	v_fma_f64 v[51:52], v[49:50], v[51:52], s[38:39]
	;; [unrolled: 1-line block ×5, first 2 shown]
	v_mul_f64 v[47:48], v[47:48], v[51:52]
	v_add_f64 v[49:50], v[53:54], v[47:48]
	v_add_f64 v[51:52], v[49:50], -v[53:54]
	v_add_f64 v[47:48], v[47:48], -v[51:52]
	v_add_f64 v[45:46], v[45:46], v[47:48]
	v_add_f64 v[47:48], v[49:50], v[45:46]
	v_add_f64 v[49:50], v[47:48], -v[49:50]
	v_add_f64 v[45:46], v[45:46], -v[49:50]
	v_cvt_f64_i32_e32 v[49:50], v9
	v_mul_f64 v[51:52], v[49:50], s[44:45]
	v_fma_f64 v[53:54], v[49:50], s[44:45], -v[51:52]
	v_fma_f64 v[49:50], v[49:50], s[46:47], v[53:54]
	v_add_f64 v[53:54], v[51:52], v[49:50]
	v_add_f64 v[51:52], v[53:54], -v[51:52]
	v_add_f64 v[49:50], v[49:50], -v[51:52]
	v_add_f64 v[51:52], v[53:54], v[47:48]
	v_add_f64 v[68:69], v[51:52], -v[53:54]
	v_add_f64 v[70:71], v[51:52], -v[68:69]
	;; [unrolled: 1-line block ×4, first 2 shown]
	v_add_f64 v[47:48], v[47:48], v[53:54]
	v_add_f64 v[53:54], v[49:50], v[45:46]
	v_add_f64 v[68:69], v[53:54], -v[49:50]
	v_add_f64 v[47:48], v[53:54], v[47:48]
	v_add_f64 v[70:71], v[53:54], -v[68:69]
	v_add_f64 v[45:46], v[45:46], -v[68:69]
	;; [unrolled: 1-line block ×3, first 2 shown]
	v_add_f64 v[45:46], v[45:46], v[49:50]
	v_add_f64 v[49:50], v[51:52], v[47:48]
	v_add_f64 v[51:52], v[49:50], -v[51:52]
	v_add_f64 v[47:48], v[47:48], -v[51:52]
	v_add_f64 v[45:46], v[45:46], v[47:48]
	v_add_f64 v[45:46], v[49:50], v[45:46]
	v_cndmask_b32_e32 v46, v46, v11, vcc
	v_cndmask_b32_e32 v45, v45, v10, vcc
	v_add_f64 v[45:46], v[45:46], 1.0
	v_cmp_ngt_f64_e32 vcc, 0, v[10:11]
	v_cndmask_b32_e32 v12, v62, v46, vcc
	v_cmp_nge_f64_e32 vcc, 0, v[10:11]
	v_cndmask_b32_e32 v9, 0, v45, vcc
	v_cmp_neq_f64_e32 vcc, 0, v[10:11]
	v_cndmask_b32_e32 v10, v61, v12, vcc
	v_min_f64 v[11:12], v[41:42], v[43:44]
	v_div_scale_f64 v[41:42], s[78:79], v[39:40], v[39:40], v[11:12]
	s_mov_b32 s78, 0xb5e68a13
	s_mov_b32 s79, 0x3eeba404
	v_rcp_f64_e32 v[43:44], v[41:42]
	v_fma_f64 v[45:46], -v[41:42], v[43:44], 1.0
	v_fma_f64 v[43:44], v[43:44], v[45:46], v[43:44]
	v_fma_f64 v[45:46], -v[41:42], v[43:44], 1.0
	v_fma_f64 v[43:44], v[43:44], v[45:46], v[43:44]
	v_div_scale_f64 v[45:46], vcc, v[11:12], v[39:40], v[11:12]
	v_mul_f64 v[47:48], v[45:46], v[43:44]
	v_fma_f64 v[41:42], -v[41:42], v[47:48], v[45:46]
	s_nop 1
	v_div_fmas_f64 v[41:42], v[41:42], v[43:44], v[47:48]
	v_div_fixup_f64 v[11:12], v[41:42], v[39:40], v[11:12]
	v_mul_f64 v[39:40], v[11:12], v[11:12]
	v_fma_f64 v[41:42], v[39:40], s[78:79], v[29:30]
	s_mov_b32 s78, 0x69efb384
	s_mov_b32 s79, 0x3f4b2bb0
	v_fma_f64 v[41:42], v[39:40], v[41:42], s[78:79]
	s_mov_b32 s78, 0xaf56de9b
	s_mov_b32 s79, 0xbf67952d
	;; [unrolled: 3-line block ×10, first 2 shown]
	v_fma_f64 v[41:42], v[39:40], v[41:42], s[78:79]
	v_cmp_class_f64_e64 s[78:79], v[3:4], s95
	v_fma_f64 v[41:42], v[39:40], v[41:42], s[96:97]
	s_and_b64 s[78:79], s[78:79], s[80:81]
	s_and_b64 s[78:79], s[78:79], exec
	s_or_b64 s[16:17], s[16:17], s[78:79]
	v_fma_f64 v[41:42], v[39:40], v[41:42], s[98:99]
	v_fma_f64 v[41:42], v[39:40], v[41:42], s[48:49]
	;; [unrolled: 1-line block ×7, first 2 shown]
	v_mul_f64 v[39:40], v[39:40], v[41:42]
	v_fma_f64 v[11:12], v[11:12], v[39:40], v[11:12]
.LBB42_822:                             ;   in Loop: Header=BB42_417 Depth=1
	s_or_b64 exec, exec, s[76:77]
	v_add_f64 v[39:40], -v[11:12], s[28:29]
	s_mov_b32 s60, s28
	v_cmp_gt_i32_e32 vcc, 0, v2
	v_ashrrev_i32_e32 v2, 31, v2
	v_cndmask_b32_e32 v1, v64, v65, vcc
	v_cndmask_b32_e64 v40, v12, v40, s[14:15]
	v_cndmask_b32_e64 v39, v11, v39, s[14:15]
	v_add_f64 v[41:42], -v[39:40], s[60:61]
	v_cmp_eq_f64_e64 s[14:15], 0, v[3:4]
	s_waitcnt lgkmcnt(0)
	v_add_f64 v[11:12], v[9:10], s[44:45]
	v_and_b32_e32 v9, 0x54442d18, v2
	v_cndmask_b32_e32 v3, v66, v67, vcc
	v_and_b32_e32 v2, 0x400921fb, v2
	v_bfi_b32 v3, s94, v3, v4
	v_cndmask_b32_e32 v10, v39, v41, vcc
	v_cndmask_b32_e32 v39, v40, v42, vcc
	v_cndmask_b32_e64 v9, v10, v9, s[14:15]
	v_cndmask_b32_e64 v9, v9, v1, s[16:17]
	;; [unrolled: 1-line block ×3, first 2 shown]
	v_xor_b32_e32 v4, 0x80000000, v12
	v_cndmask_b32_e64 v1, v1, v3, s[16:17]
	v_and_b32_e32 v10, 0x7fffffff, v1
	v_cndmask_b32_e64 v12, v4, v12, s[12:13]
.LBB42_823:                             ;   in Loop: Header=BB42_417 Depth=1
	s_or_b64 exec, exec, s[74:75]
                                        ; implicit-def: $vgpr3_vgpr4
	s_andn2_saveexec_b64 s[12:13], s[62:63]
	s_cbranch_execz .LBB42_733
.LBB42_824:                             ;   in Loop: Header=BB42_417 Depth=1
	v_cmp_neq_f64_e64 s[14:15], |v[1:2]|, s[70:71]
                                        ; implicit-def: $vgpr11_vgpr12
	s_and_saveexec_b64 s[16:17], s[14:15]
	s_xor_b64 s[14:15], exec, s[16:17]
	s_cbranch_execz .LBB42_834
; %bb.825:                              ;   in Loop: Header=BB42_417 Depth=1
	v_cmp_neq_f64_e64 s[16:17], |v[3:4]|, s[70:71]
	s_waitcnt lgkmcnt(0)
	v_xor_b32_e32 v12, 0x80000000, v4
	v_mov_b32_e32 v11, v3
	s_and_saveexec_b64 s[62:63], s[16:17]
	s_xor_b64 s[16:17], exec, s[62:63]
	s_cbranch_execz .LBB42_831
; %bb.826:                              ;   in Loop: Header=BB42_417 Depth=1
	v_cmp_neq_f64_e32 vcc, 0, v[1:2]
                                        ; implicit-def: $vgpr11_vgpr12
	s_and_saveexec_b64 s[62:63], vcc
	s_xor_b64 s[62:63], exec, s[62:63]
	s_cbranch_execz .LBB42_828
; %bb.827:                              ;   in Loop: Header=BB42_417 Depth=1
	v_add_f64 v[3:4], v[3:4], 0
	v_add_f64 v[11:12], v[1:2], v[3:4]
                                        ; implicit-def: $vgpr3_vgpr4
.LBB42_828:                             ;   in Loop: Header=BB42_417 Depth=1
	s_or_saveexec_b64 s[62:63], s[62:63]
	v_mov_b32_e32 v9, v11
	v_mov_b32_e32 v10, v12
	s_xor_b64 exec, exec, s[62:63]
	s_cbranch_execz .LBB42_830
; %bb.829:                              ;   in Loop: Header=BB42_417 Depth=1
	v_mov_b32_e32 v1, s18
	v_mov_b32_e32 v2, s19
	flat_load_dwordx2 v[1:2], v[1:2] glc
	s_waitcnt vmcnt(0)
	v_add_f64 v[11:12], v[3:4], v[3:4]
	s_waitcnt lgkmcnt(0)
	v_add_f64 v[9:10], v[1:2], s[28:29]
.LBB42_830:                             ;   in Loop: Header=BB42_417 Depth=1
	s_or_b64 exec, exec, s[62:63]
                                        ; implicit-def: $vgpr1_vgpr2
.LBB42_831:                             ;   in Loop: Header=BB42_417 Depth=1
	s_andn2_saveexec_b64 s[16:17], s[16:17]
; %bb.832:                              ;   in Loop: Header=BB42_417 Depth=1
	v_add_f64 v[9:10], v[1:2], v[1:2]
; %bb.833:                              ;   in Loop: Header=BB42_417 Depth=1
	s_or_b64 exec, exec, s[16:17]
                                        ; implicit-def: $vgpr3_vgpr4
.LBB42_834:                             ;   in Loop: Header=BB42_417 Depth=1
	s_andn2_saveexec_b64 s[14:15], s[14:15]
	s_cbranch_execz .LBB42_836
; %bb.835:                              ;   in Loop: Header=BB42_417 Depth=1
	s_waitcnt lgkmcnt(0)
	v_add_f64 v[9:10], v[3:4], v[3:4]
	v_mov_b32_e32 v11, 0
	v_mov_b32_e32 v12, 0xfff00000
.LBB42_836:                             ;   in Loop: Header=BB42_417 Depth=1
	s_or_b64 exec, exec, s[14:15]
	s_or_b64 exec, exec, s[12:13]
	s_and_saveexec_b64 s[12:13], s[4:5]
	s_xor_b64 s[4:5], exec, s[12:13]
	s_cbranch_execz .LBB42_734
.LBB42_837:                             ;   in Loop: Header=BB42_417 Depth=1
	v_lshlrev_b64 v[1:2], 4, v[31:32]
	v_mov_b32_e32 v3, s90
	v_add_co_u32_e32 v1, vcc, s89, v1
	v_addc_co_u32_e32 v2, vcc, v3, v2, vcc
	s_waitcnt lgkmcnt(0)
	global_store_dwordx4 v[1:2], v[5:8], off
	s_or_b64 exec, exec, s[4:5]
	s_and_saveexec_b64 s[4:5], s[6:7]
	s_cbranch_execz .LBB42_735
.LBB42_838:                             ;   in Loop: Header=BB42_417 Depth=1
	v_lshlrev_b64 v[1:2], 4, v[33:34]
	v_mov_b32_e32 v3, s90
	v_add_co_u32_e32 v1, vcc, s89, v1
	v_addc_co_u32_e32 v2, vcc, v3, v2, vcc
	s_waitcnt lgkmcnt(0)
	global_store_dwordx4 v[1:2], v[13:16], off
	s_or_b64 exec, exec, s[4:5]
	s_and_saveexec_b64 s[4:5], s[8:9]
	s_cbranch_execz .LBB42_736
.LBB42_839:                             ;   in Loop: Header=BB42_417 Depth=1
	v_lshlrev_b64 v[1:2], 4, v[35:36]
	v_mov_b32_e32 v3, s90
	v_add_co_u32_e32 v1, vcc, s89, v1
	v_addc_co_u32_e32 v2, vcc, v3, v2, vcc
	s_waitcnt lgkmcnt(0)
	global_store_dwordx4 v[1:2], v[17:20], off
	s_or_b64 exec, exec, s[4:5]
	s_and_saveexec_b64 s[4:5], s[10:11]
	s_cbranch_execz .LBB42_416
.LBB42_840:                             ;   in Loop: Header=BB42_417 Depth=1
	v_lshlrev_b64 v[1:2], 4, v[37:38]
	v_mov_b32_e32 v3, s90
	v_add_co_u32_e32 v1, vcc, s89, v1
	v_addc_co_u32_e32 v2, vcc, v3, v2, vcc
	s_waitcnt lgkmcnt(0)
	global_store_dwordx4 v[1:2], v[9:12], off
	s_branch .LBB42_416
.LBB42_841:
	s_endpgm
	.section	.rodata,"a",@progbits
	.p2align	6, 0x0
	.amdhsa_kernel _ZN2at6native12_GLOBAL__N_125multi_tensor_apply_kernelINS1_18TensorListMetadataILi2EEENS1_14UnaryOpFunctorIN3c107complexIdEELi2ELi1ELi1EEEJNS0_4AcosIS8_EEEEEvT_T0_DpT1_
		.amdhsa_group_segment_fixed_size 0
		.amdhsa_private_segment_fixed_size 24
		.amdhsa_kernarg_size 3408
		.amdhsa_user_sgpr_count 8
		.amdhsa_user_sgpr_private_segment_buffer 1
		.amdhsa_user_sgpr_dispatch_ptr 0
		.amdhsa_user_sgpr_queue_ptr 0
		.amdhsa_user_sgpr_kernarg_segment_ptr 1
		.amdhsa_user_sgpr_dispatch_id 0
		.amdhsa_user_sgpr_flat_scratch_init 1
		.amdhsa_user_sgpr_private_segment_size 0
		.amdhsa_uses_dynamic_stack 0
		.amdhsa_system_sgpr_private_segment_wavefront_offset 1
		.amdhsa_system_sgpr_workgroup_id_x 1
		.amdhsa_system_sgpr_workgroup_id_y 0
		.amdhsa_system_sgpr_workgroup_id_z 0
		.amdhsa_system_sgpr_workgroup_info 0
		.amdhsa_system_vgpr_workitem_id 0
		.amdhsa_next_free_vgpr 84
		.amdhsa_next_free_sgpr 100
		.amdhsa_reserve_vcc 1
		.amdhsa_reserve_flat_scratch 1
		.amdhsa_float_round_mode_32 0
		.amdhsa_float_round_mode_16_64 0
		.amdhsa_float_denorm_mode_32 3
		.amdhsa_float_denorm_mode_16_64 3
		.amdhsa_dx10_clamp 1
		.amdhsa_ieee_mode 1
		.amdhsa_fp16_overflow 0
		.amdhsa_exception_fp_ieee_invalid_op 0
		.amdhsa_exception_fp_denorm_src 0
		.amdhsa_exception_fp_ieee_div_zero 0
		.amdhsa_exception_fp_ieee_overflow 0
		.amdhsa_exception_fp_ieee_underflow 0
		.amdhsa_exception_fp_ieee_inexact 0
		.amdhsa_exception_int_div_zero 0
	.end_amdhsa_kernel
	.section	.text._ZN2at6native12_GLOBAL__N_125multi_tensor_apply_kernelINS1_18TensorListMetadataILi2EEENS1_14UnaryOpFunctorIN3c107complexIdEELi2ELi1ELi1EEEJNS0_4AcosIS8_EEEEEvT_T0_DpT1_,"axG",@progbits,_ZN2at6native12_GLOBAL__N_125multi_tensor_apply_kernelINS1_18TensorListMetadataILi2EEENS1_14UnaryOpFunctorIN3c107complexIdEELi2ELi1ELi1EEEJNS0_4AcosIS8_EEEEEvT_T0_DpT1_,comdat
.Lfunc_end42:
	.size	_ZN2at6native12_GLOBAL__N_125multi_tensor_apply_kernelINS1_18TensorListMetadataILi2EEENS1_14UnaryOpFunctorIN3c107complexIdEELi2ELi1ELi1EEEJNS0_4AcosIS8_EEEEEvT_T0_DpT1_, .Lfunc_end42-_ZN2at6native12_GLOBAL__N_125multi_tensor_apply_kernelINS1_18TensorListMetadataILi2EEENS1_14UnaryOpFunctorIN3c107complexIdEELi2ELi1ELi1EEEJNS0_4AcosIS8_EEEEEvT_T0_DpT1_
                                        ; -- End function
	.set _ZN2at6native12_GLOBAL__N_125multi_tensor_apply_kernelINS1_18TensorListMetadataILi2EEENS1_14UnaryOpFunctorIN3c107complexIdEELi2ELi1ELi1EEEJNS0_4AcosIS8_EEEEEvT_T0_DpT1_.num_vgpr, 84
	.set _ZN2at6native12_GLOBAL__N_125multi_tensor_apply_kernelINS1_18TensorListMetadataILi2EEENS1_14UnaryOpFunctorIN3c107complexIdEELi2ELi1ELi1EEEJNS0_4AcosIS8_EEEEEvT_T0_DpT1_.num_agpr, 0
	.set _ZN2at6native12_GLOBAL__N_125multi_tensor_apply_kernelINS1_18TensorListMetadataILi2EEENS1_14UnaryOpFunctorIN3c107complexIdEELi2ELi1ELi1EEEJNS0_4AcosIS8_EEEEEvT_T0_DpT1_.numbered_sgpr, 100
	.set _ZN2at6native12_GLOBAL__N_125multi_tensor_apply_kernelINS1_18TensorListMetadataILi2EEENS1_14UnaryOpFunctorIN3c107complexIdEELi2ELi1ELi1EEEJNS0_4AcosIS8_EEEEEvT_T0_DpT1_.num_named_barrier, 0
	.set _ZN2at6native12_GLOBAL__N_125multi_tensor_apply_kernelINS1_18TensorListMetadataILi2EEENS1_14UnaryOpFunctorIN3c107complexIdEELi2ELi1ELi1EEEJNS0_4AcosIS8_EEEEEvT_T0_DpT1_.private_seg_size, 24
	.set _ZN2at6native12_GLOBAL__N_125multi_tensor_apply_kernelINS1_18TensorListMetadataILi2EEENS1_14UnaryOpFunctorIN3c107complexIdEELi2ELi1ELi1EEEJNS0_4AcosIS8_EEEEEvT_T0_DpT1_.uses_vcc, 1
	.set _ZN2at6native12_GLOBAL__N_125multi_tensor_apply_kernelINS1_18TensorListMetadataILi2EEENS1_14UnaryOpFunctorIN3c107complexIdEELi2ELi1ELi1EEEJNS0_4AcosIS8_EEEEEvT_T0_DpT1_.uses_flat_scratch, 1
	.set _ZN2at6native12_GLOBAL__N_125multi_tensor_apply_kernelINS1_18TensorListMetadataILi2EEENS1_14UnaryOpFunctorIN3c107complexIdEELi2ELi1ELi1EEEJNS0_4AcosIS8_EEEEEvT_T0_DpT1_.has_dyn_sized_stack, 0
	.set _ZN2at6native12_GLOBAL__N_125multi_tensor_apply_kernelINS1_18TensorListMetadataILi2EEENS1_14UnaryOpFunctorIN3c107complexIdEELi2ELi1ELi1EEEJNS0_4AcosIS8_EEEEEvT_T0_DpT1_.has_recursion, 0
	.set _ZN2at6native12_GLOBAL__N_125multi_tensor_apply_kernelINS1_18TensorListMetadataILi2EEENS1_14UnaryOpFunctorIN3c107complexIdEELi2ELi1ELi1EEEJNS0_4AcosIS8_EEEEEvT_T0_DpT1_.has_indirect_call, 0
	.section	.AMDGPU.csdata,"",@progbits
; Kernel info:
; codeLenInByte = 104228
; TotalNumSgprs: 106
; NumVgprs: 84
; ScratchSize: 24
; MemoryBound: 1
; FloatMode: 240
; IeeeMode: 1
; LDSByteSize: 0 bytes/workgroup (compile time only)
; SGPRBlocks: 13
; VGPRBlocks: 20
; NumSGPRsForWavesPerEU: 106
; NumVGPRsForWavesPerEU: 84
; Occupancy: 3
; WaveLimiterHint : 0
; COMPUTE_PGM_RSRC2:SCRATCH_EN: 1
; COMPUTE_PGM_RSRC2:USER_SGPR: 8
; COMPUTE_PGM_RSRC2:TRAP_HANDLER: 0
; COMPUTE_PGM_RSRC2:TGID_X_EN: 1
; COMPUTE_PGM_RSRC2:TGID_Y_EN: 0
; COMPUTE_PGM_RSRC2:TGID_Z_EN: 0
; COMPUTE_PGM_RSRC2:TIDIG_COMP_CNT: 0
	.section	.text._ZN2at6native12_GLOBAL__N_125multi_tensor_apply_kernelINS1_18TensorListMetadataILi2EEENS1_14UnaryOpFunctorIN3c107complexIfEELi2ELi1ELi1EEEJNS0_4AcosIS8_EEEEEvT_T0_DpT1_,"axG",@progbits,_ZN2at6native12_GLOBAL__N_125multi_tensor_apply_kernelINS1_18TensorListMetadataILi2EEENS1_14UnaryOpFunctorIN3c107complexIfEELi2ELi1ELi1EEEJNS0_4AcosIS8_EEEEEvT_T0_DpT1_,comdat
	.globl	_ZN2at6native12_GLOBAL__N_125multi_tensor_apply_kernelINS1_18TensorListMetadataILi2EEENS1_14UnaryOpFunctorIN3c107complexIfEELi2ELi1ELi1EEEJNS0_4AcosIS8_EEEEEvT_T0_DpT1_ ; -- Begin function _ZN2at6native12_GLOBAL__N_125multi_tensor_apply_kernelINS1_18TensorListMetadataILi2EEENS1_14UnaryOpFunctorIN3c107complexIfEELi2ELi1ELi1EEEJNS0_4AcosIS8_EEEEEvT_T0_DpT1_
	.p2align	8
	.type	_ZN2at6native12_GLOBAL__N_125multi_tensor_apply_kernelINS1_18TensorListMetadataILi2EEENS1_14UnaryOpFunctorIN3c107complexIfEELi2ELi1ELi1EEEJNS0_4AcosIS8_EEEEEvT_T0_DpT1_,@function
_ZN2at6native12_GLOBAL__N_125multi_tensor_apply_kernelINS1_18TensorListMetadataILi2EEENS1_14UnaryOpFunctorIN3c107complexIfEELi2ELi1ELi1EEEJNS0_4AcosIS8_EEEEEvT_T0_DpT1_: ; @_ZN2at6native12_GLOBAL__N_125multi_tensor_apply_kernelINS1_18TensorListMetadataILi2EEENS1_14UnaryOpFunctorIN3c107complexIfEELi2ELi1ELi1EEEJNS0_4AcosIS8_EEEEEvT_T0_DpT1_
; %bb.0:
	v_mov_b32_e32 v1, s8
	global_load_ubyte v1, v1, s[4:5] offset:1536
	s_add_u32 flat_scratch_lo, s6, s9
	s_addc_u32 flat_scratch_hi, s7, 0
	s_add_u32 s0, s0, s9
	s_addc_u32 s1, s1, 0
	s_add_u32 s6, s4, s8
	s_mul_hi_u32 s11, s8, 3
	s_mul_i32 s8, s8, 3
	s_addc_u32 s12, s5, 0
	s_add_u32 s10, s6, s8
	s_addc_u32 s11, s12, s11
	s_load_dword s10, s[10:11], 0x740
	s_mov_b32 s7, 0
	s_mov_b32 s9, s7
	s_waitcnt lgkmcnt(0)
	s_ashr_i32 s11, s10, 31
	s_lshl_b64 s[18:19], s[10:11], 19
	s_waitcnt vmcnt(0)
	v_readfirstlane_b32 s6, v1
	s_lshl_b32 s6, s6, 3
	s_load_dwordx2 s[12:13], s[4:5], s6 offset:0x0
	s_load_dwordx2 s[16:17], s[4:5], s6 offset:0x400
	;; [unrolled: 1-line block ×3, first 2 shown]
	s_waitcnt lgkmcnt(0)
	s_add_u32 s33, s12, s18
	s_addc_u32 s52, s13, s19
	s_and_b32 s6, s33, 31
	s_add_u32 s53, s14, s18
	s_addc_u32 s54, s15, s19
	s_lshl_b64 s[10:11], s[10:11], 16
	s_and_b32 s8, s53, 31
	s_sub_u32 s14, s16, s10
	s_subb_u32 s15, s17, s11
	s_and_b32 s10, s16, 3
	s_mov_b32 s11, s7
	s_or_b64 s[8:9], s[8:9], s[10:11]
	s_or_b64 s[6:7], s[8:9], s[6:7]
	s_cmp_eq_u64 s[6:7], 0
	s_mov_b64 s[6:7], -1
	s_cbranch_scc0 .LBB43_397
; %bb.1:
	v_mov_b32_e32 v1, 0x10000
	v_mov_b32_e32 v2, 0
	v_cmp_lt_i64_e32 vcc, s[14:15], v[1:2]
	v_mov_b32_e32 v2, 0
	s_and_b64 s[6:7], vcc, exec
	s_cselect_b32 s17, s15, 0
	s_cselect_b32 s16, s14, 0x10000
	v_lshlrev_b32_e32 v1, 2, v0
	v_cmp_gt_i64_e32 vcc, s[16:17], v[1:2]
	s_and_saveexec_b64 s[18:19], vcc
	s_cbranch_execz .LBB43_396
; %bb.2:
	s_mov_b64 s[20:21], src_private_base
	v_mov_b32_e32 v1, v2
	s_mov_b32 s20, 8
	s_add_u32 s22, s4, 0xc50
	v_mov_b32_e32 v13, s20
	v_mov_b32_e32 v16, v1
	s_addc_u32 s23, s5, 0
	s_mov_b32 s24, 0
	s_mov_b32 s25, s21
	;; [unrolled: 1-line block ×4, first 2 shown]
	s_mov_b64 s[28:29], 0
	v_mov_b32_e32 v19, s52
	v_mov_b32_e32 v20, 0x248d3132
	s_mov_b32 s50, 0x4b000000
	v_mov_b32_e32 v21, 0xd800000
	s_mov_b32 s51, 0x395db3d7
	s_brev_b32 s55, -2
	s_mov_b32 s56, 0x7f800000
	s_mov_b32 s57, 0x41200000
	;; [unrolled: 1-line block ×4, first 2 shown]
	v_mov_b32_e32 v22, 0x260
	s_mov_b32 s60, 0x800000
	s_mov_b32 s61, 0x3f317217
	;; [unrolled: 1-line block ×3, first 2 shown]
	s_brev_b32 s63, 44
	s_mov_b32 s64, 0x3f2aaaab
	v_mov_b32_e32 v23, 0x3f2aaada
	s_mov_b32 s65, 0x3f317218
	s_mov_b32 s66, 0x33800000
	;; [unrolled: 1-line block ×7, first 2 shown]
	v_mov_b32_e32 v24, 0x3d034c3c
	v_mov_b32_e32 v25, 0x3d3641b1
	;; [unrolled: 1-line block ×10, first 2 shown]
	s_movk_i32 s72, 0x204
	s_mov_b32 s73, 0x7effffff
	s_mov_b32 s74, 0x5e000000
	s_brev_b32 s75, 4
	s_mov_b32 s76, 0x402df854
	v_mov_b32_e32 v34, 0x7f800000
	v_mov_b32_e32 v35, 0x41b17218
	;; [unrolled: 1-line block ×9, first 2 shown]
	s_branch .LBB43_5
.LBB43_3:                               ;   in Loop: Header=BB43_5 Depth=1
	s_or_b64 exec, exec, s[8:9]
.LBB43_4:                               ;   in Loop: Header=BB43_5 Depth=1
	s_or_b64 exec, exec, s[6:7]
	v_mov_b32_e32 v2, s54
	s_waitcnt lgkmcnt(0)
	v_add_co_u32_e32 v1, vcc, s53, v17
	v_addc_co_u32_e32 v2, vcc, v2, v18, vcc
	global_store_dwordx4 v[1:2], v[5:8], off
	global_store_dwordx4 v[1:2], v[9:12], off offset:16
	s_load_dword s6, s[22:23], 0xc
	s_waitcnt lgkmcnt(0)
	s_and_b32 s6, s6, 0xffff
	v_add_co_u32_e32 v15, vcc, s6, v15
	v_addc_co_u32_e32 v16, vcc, 0, v16, vcc
	v_lshlrev_b64 v[1:2], 2, v[15:16]
	v_cmp_le_i64_e32 vcc, s[16:17], v[1:2]
	s_or_b64 s[28:29], vcc, s[28:29]
	s_andn2_b64 exec, exec, s[28:29]
	s_cbranch_execz .LBB43_396
.LBB43_5:                               ; =>This Inner Loop Header: Depth=1
	v_lshlrev_b64 v[17:18], 5, v[15:16]
	v_add_co_u32_e32 v5, vcc, s33, v17
	v_addc_co_u32_e32 v6, vcc, v19, v18, vcc
	global_load_dwordx4 v[9:12], v[5:6], off
	global_load_dwordx4 v[1:4], v[5:6], off offset:16
                                        ; implicit-def: $vgpr6
	s_waitcnt vmcnt(1)
	v_cmp_o_f32_e32 vcc, v9, v10
	flat_store_dword v[13:14], v20
	s_waitcnt vmcnt(0)
	s_and_saveexec_b64 s[6:7], vcc
	s_xor_b64 s[30:31], exec, s[6:7]
	s_cbranch_execz .LBB43_89
; %bb.6:                                ;   in Loop: Header=BB43_5 Depth=1
	v_max_f32_e64 v8, |v10|, |v10|
	v_max_f32_e64 v41, |v9|, |v9|
	v_max_f32_e32 v7, v41, v8
	v_cmp_gt_i32_e64 s[8:9], 0, v9
	v_cmp_lt_i32_e64 s[10:11], -1, v9
	v_cmp_gt_i32_e64 s[6:7], 0, v10
	v_cmp_nlt_f32_e32 vcc, s50, v7
                                        ; implicit-def: $vgpr6
	s_and_saveexec_b64 s[12:13], vcc
	s_xor_b64 s[34:35], exec, s[12:13]
	s_cbranch_execz .LBB43_78
; %bb.7:                                ;   in Loop: Header=BB43_5 Depth=1
	v_cmp_neq_f32_e32 vcc, 1.0, v9
	v_cmp_neq_f32_e64 s[12:13], 0, v10
	s_or_b64 s[12:13], vcc, s[12:13]
	v_xor_b32_e32 v6, 0x80000000, v10
	s_and_saveexec_b64 s[36:37], s[12:13]
	s_xor_b64 s[36:37], exec, s[36:37]
	s_cbranch_execz .LBB43_75
; %bb.8:                                ;   in Loop: Header=BB43_5 Depth=1
	v_mov_b32_e32 v5, s24
	v_mov_b32_e32 v6, s25
	flat_store_dword v[5:6], v21
	s_waitcnt vmcnt(0)
	flat_load_dword v5, v[5:6] glc
	s_waitcnt vmcnt(0)
	v_cmp_nlt_f32_e64 s[12:13], |v9|, s51
	v_cmp_nlt_f32_e64 s[38:39], |v10|, s51
	s_or_b64 s[12:13], s[12:13], s[38:39]
	s_waitcnt lgkmcnt(0)
	v_add_f32_e32 v7, 1.0, v5
	v_mov_b32_e32 v5, s26
	v_mov_b32_e32 v6, s27
	flat_store_dword v[5:6], v7
	s_waitcnt vmcnt(0)
	flat_load_dword v5, v[5:6] glc
	s_waitcnt vmcnt(0) lgkmcnt(0)
	v_xor_b32_e32 v6, 0x80000000, v10
	s_and_saveexec_b64 s[38:39], s[12:13]
	s_xor_b64 s[38:39], exec, s[38:39]
	s_cbranch_execz .LBB43_72
; %bb.9:                                ;   in Loop: Header=BB43_5 Depth=1
	v_add_f32_e64 v7, |v9|, 1.0
	v_max_f32_e32 v5, v8, v7
	v_add_f32_e64 v6, |v9|, -1.0
	v_cvt_f64_f32_e32 v[41:42], v5
	v_max_f32_e64 v8, v8, |v6|
	v_cvt_f64_f32_e32 v[43:44], v8
	v_cmp_neq_f32_e32 vcc, s56, v5
	v_frexp_exp_i32_f64_e32 v41, v[41:42]
	v_frexp_exp_i32_f64_e32 v42, v[43:44]
	v_sub_u32_e32 v43, 0, v41
	v_ldexp_f32 v45, |v10|, v43
	v_sub_u32_e32 v44, 0, v42
	v_ldexp_f32 v43, v7, v43
	v_ldexp_f32 v46, |v10|, v44
	v_ldexp_f32 v44, |v6|, v44
	v_mul_f32_e32 v43, v43, v43
	v_mul_f32_e32 v44, v44, v44
	v_fmac_f32_e32 v43, v45, v45
	v_fmac_f32_e32 v44, v46, v46
	v_sqrt_f32_e32 v43, v43
	v_sqrt_f32_e32 v44, v44
	v_ldexp_f32 v41, v43, v41
	v_ldexp_f32 v42, v44, v42
	v_cndmask_b32_e32 v43, v34, v41, vcc
	v_cmp_neq_f32_e32 vcc, s56, v8
	v_cndmask_b32_e32 v8, v34, v42, vcc
	v_add_f32_e32 v5, v43, v8
	v_mul_f32_e32 v5, 0.5, v5
	v_cmp_ngt_f32_e32 vcc, 1.0, v5
	v_cndmask_b32_e32 v5, 1.0, v5, vcc
	v_cmp_ngt_f32_e32 vcc, s57, v5
                                        ; implicit-def: $vgpr41
	s_and_saveexec_b64 s[12:13], vcc
	s_xor_b64 s[40:41], exec, s[12:13]
	s_cbranch_execz .LBB43_11
; %bb.10:                               ;   in Loop: Header=BB43_5 Depth=1
	v_fma_f32 v41, v5, v5, -1.0
	v_mul_f32_e32 v42, 0x4f800000, v41
	v_cmp_gt_f32_e32 vcc, s58, v41
	v_cndmask_b32_e32 v41, v41, v42, vcc
	v_sqrt_f32_e32 v42, v41
	v_add_u32_e32 v44, -1, v42
	v_fma_f32 v46, -v44, v42, v41
	v_add_u32_e32 v45, 1, v42
	v_cmp_ge_f32_e64 s[12:13], 0, v46
	v_cndmask_b32_e64 v44, v42, v44, s[12:13]
	v_fma_f32 v42, -v45, v42, v41
	v_cmp_lt_f32_e64 s[12:13], 0, v42
	v_cndmask_b32_e64 v42, v44, v45, s[12:13]
	v_mul_f32_e32 v44, 0x37800000, v42
	v_cndmask_b32_e32 v42, v42, v44, vcc
	v_cmp_class_f32_e32 vcc, v41, v22
	v_cndmask_b32_e32 v41, v42, v41, vcc
	v_add_f32_e32 v41, v5, v41
	v_cmp_gt_f32_e32 vcc, s60, v41
	v_cndmask_b32_e64 v42, 0, 32, vcc
	v_ldexp_f32 v41, v41, v42
	v_log_f32_e32 v41, v41
	v_mul_f32_e32 v42, 0x3f317217, v41
	v_fma_f32 v42, v41, s61, -v42
	v_fmac_f32_e32 v42, 0x3377d1cf, v41
	v_fmac_f32_e32 v42, 0x3f317217, v41
	v_cmp_lt_f32_e64 s[12:13], |v41|, s56
	v_cndmask_b32_e64 v41, v41, v42, s[12:13]
	v_cndmask_b32_e32 v42, 0, v35, vcc
	v_sub_f32_e32 v41, v41, v42
.LBB43_11:                              ;   in Loop: Header=BB43_5 Depth=1
	s_or_saveexec_b64 s[40:41], s[40:41]
	v_and_b32_e32 v42, 0x7fffffff, v10
	s_xor_b64 exec, exec, s[40:41]
	s_cbranch_execz .LBB43_33
; %bb.12:                               ;   in Loop: Header=BB43_5 Depth=1
	v_cmp_neq_f32_e64 s[12:13], |v9|, 1.0
	v_cmp_nlt_f32_e64 s[42:43], |v10|, s62
	s_or_b64 s[12:13], s[12:13], s[42:43]
                                        ; implicit-def: $vgpr41
	s_and_saveexec_b64 s[42:43], s[12:13]
	s_xor_b64 s[42:43], exec, s[42:43]
	s_cbranch_execz .LBB43_30
; %bb.13:                               ;   in Loop: Header=BB43_5 Depth=1
	v_mul_f32_e64 v41, |v6|, s63
	v_cmp_ge_f32_e64 s[12:13], |v10|, v41
                                        ; implicit-def: $vgpr41
	s_and_saveexec_b64 s[44:45], s[12:13]
	s_xor_b64 s[44:45], exec, s[44:45]
	s_cbranch_execz .LBB43_23
; %bb.14:                               ;   in Loop: Header=BB43_5 Depth=1
	v_cmp_neq_f32_e32 vcc, 0, v7
	v_mov_b32_e32 v41, v42
	s_and_saveexec_b64 s[12:13], vcc
	s_cbranch_execz .LBB43_16
; %bb.15:                               ;   in Loop: Header=BB43_5 Depth=1
	v_mul_f32_e32 v41, v10, v10
	v_add_f32_e32 v44, v7, v43
	v_div_scale_f32 v45, s[46:47], v44, v44, v41
	v_div_scale_f32 v46, vcc, v41, v44, v41
	v_rcp_f32_e32 v47, v45
	v_fma_f32 v48, -v45, v47, 1.0
	v_fmac_f32_e32 v47, v48, v47
	v_mul_f32_e32 v48, v46, v47
	v_fma_f32 v49, -v45, v48, v46
	v_fmac_f32_e32 v48, v49, v47
	v_fma_f32 v45, -v45, v48, v46
	v_div_fmas_f32 v45, v45, v47, v48
	v_div_fixup_f32 v41, v45, v44, v41
.LBB43_16:                              ;   in Loop: Header=BB43_5 Depth=1
	s_or_b64 exec, exec, s[12:13]
	v_sub_f32_e64 v45, 1.0, |v9|
	v_cmp_ngt_f32_e32 vcc, 0, v45
                                        ; implicit-def: $vgpr44
	s_and_saveexec_b64 s[12:13], vcc
	s_xor_b64 s[12:13], exec, s[12:13]
	s_cbranch_execz .LBB43_20
; %bb.17:                               ;   in Loop: Header=BB43_5 Depth=1
	v_cmp_neq_f32_e32 vcc, 0, v45
	v_mov_b32_e32 v44, v42
	s_and_saveexec_b64 s[46:47], vcc
	s_cbranch_execz .LBB43_19
; %bb.18:                               ;   in Loop: Header=BB43_5 Depth=1
	v_mul_f32_e32 v44, v10, v10
	v_add_f32_e32 v45, v45, v8
	v_div_scale_f32 v46, s[48:49], v45, v45, v44
	v_div_scale_f32 v47, vcc, v44, v45, v44
	v_rcp_f32_e32 v48, v46
	v_fma_f32 v49, -v46, v48, 1.0
	v_fmac_f32_e32 v48, v49, v48
	v_mul_f32_e32 v49, v47, v48
	v_fma_f32 v50, -v46, v49, v47
	v_fmac_f32_e32 v49, v50, v48
	v_fma_f32 v46, -v46, v49, v47
	v_div_fmas_f32 v46, v46, v48, v49
	v_div_fixup_f32 v44, v46, v45, v44
.LBB43_19:                              ;   in Loop: Header=BB43_5 Depth=1
	s_or_b64 exec, exec, s[46:47]
                                        ; implicit-def: $vgpr45
.LBB43_20:                              ;   in Loop: Header=BB43_5 Depth=1
	s_andn2_saveexec_b64 s[12:13], s[12:13]
; %bb.21:                               ;   in Loop: Header=BB43_5 Depth=1
	v_sub_f32_e32 v44, v8, v45
; %bb.22:                               ;   in Loop: Header=BB43_5 Depth=1
	s_or_b64 exec, exec, s[12:13]
	v_mul_f32_e32 v44, 0.5, v44
	v_fmac_f32_e32 v44, 0.5, v41
	v_add_f32_e32 v41, 1.0, v5
	v_mul_f32_e32 v41, v41, v44
	v_mul_f32_e32 v45, 0x4f800000, v41
	v_cmp_gt_f32_e32 vcc, s58, v41
	v_cndmask_b32_e32 v41, v41, v45, vcc
	v_sqrt_f32_e32 v45, v41
	v_add_u32_e32 v46, -1, v45
	v_fma_f32 v47, -v46, v45, v41
	v_cmp_ge_f32_e64 s[12:13], 0, v47
	v_add_u32_e32 v47, 1, v45
	v_cndmask_b32_e64 v46, v45, v46, s[12:13]
	v_fma_f32 v45, -v47, v45, v41
	v_cmp_lt_f32_e64 s[12:13], 0, v45
	v_cndmask_b32_e64 v45, v46, v47, s[12:13]
	v_mul_f32_e32 v46, 0x37800000, v45
	v_cndmask_b32_e32 v45, v45, v46, vcc
	v_cmp_class_f32_e32 vcc, v41, v22
	v_cndmask_b32_e32 v41, v45, v41, vcc
	v_add_f32_e32 v41, v44, v41
	v_add_f32_e32 v46, 1.0, v41
	v_cvt_f64_f32_e32 v[44:45], v46
	v_add_f32_e32 v47, -1.0, v46
	v_frexp_exp_i32_f64_e32 v44, v[44:45]
	v_sub_f32_e32 v45, v47, v46
	v_add_f32_e32 v45, 1.0, v45
	v_sub_f32_e32 v47, v41, v47
	v_add_f32_e32 v45, v47, v45
	v_frexp_mant_f32_e32 v47, v46
	v_cmp_gt_f32_e32 vcc, s64, v47
	v_subbrev_co_u32_e32 v44, vcc, 0, v44, vcc
	v_sub_u32_e32 v47, 0, v44
	v_ldexp_f32 v46, v46, v47
	v_ldexp_f32 v45, v45, v47
	v_add_f32_e32 v47, -1.0, v46
	v_add_f32_e32 v50, 1.0, v46
	v_add_f32_e32 v48, 1.0, v47
	v_add_f32_e32 v51, -1.0, v50
	v_sub_f32_e32 v48, v46, v48
	v_sub_f32_e32 v46, v46, v51
	v_add_f32_e32 v48, v45, v48
	v_add_f32_e32 v45, v45, v46
	;; [unrolled: 1-line block ×3, first 2 shown]
	v_rcp_f32_e32 v51, v46
	v_add_f32_e32 v49, v47, v48
	v_sub_f32_e32 v47, v49, v47
	v_sub_f32_e32 v47, v48, v47
	;; [unrolled: 1-line block ×4, first 2 shown]
	v_mul_f32_e32 v48, v49, v51
	v_mul_f32_e32 v50, v46, v48
	v_fma_f32 v52, v48, v46, -v50
	v_fmac_f32_e32 v52, v48, v45
	v_add_f32_e32 v53, v50, v52
	v_sub_f32_e32 v54, v49, v53
	v_sub_f32_e32 v49, v49, v54
	;; [unrolled: 1-line block ×4, first 2 shown]
	v_add_f32_e32 v47, v47, v49
	v_sub_f32_e32 v49, v50, v52
	v_add_f32_e32 v47, v49, v47
	v_add_f32_e32 v49, v54, v47
	v_mul_f32_e32 v50, v51, v49
	v_mul_f32_e32 v52, v46, v50
	v_fma_f32 v46, v50, v46, -v52
	v_fmac_f32_e32 v46, v50, v45
	v_sub_f32_e32 v45, v54, v49
	v_add_f32_e32 v45, v47, v45
	v_add_f32_e32 v47, v52, v46
	v_sub_f32_e32 v53, v49, v47
	v_sub_f32_e32 v49, v49, v53
	;; [unrolled: 1-line block ×4, first 2 shown]
	v_add_f32_e32 v45, v45, v47
	v_sub_f32_e32 v46, v52, v46
	v_cvt_f32_i32_e32 v44, v44
	v_add_f32_e32 v45, v46, v45
	v_add_f32_e32 v46, v48, v50
	;; [unrolled: 1-line block ×3, first 2 shown]
	v_sub_f32_e32 v47, v46, v48
	v_mul_f32_e32 v45, v51, v45
	v_sub_f32_e32 v47, v50, v47
	v_add_f32_e32 v45, v47, v45
	v_mul_f32_e32 v50, 0x3f317218, v44
	v_add_f32_e32 v47, v46, v45
	v_fma_f32 v51, v44, s65, -v50
	v_mul_f32_e32 v48, v47, v47
	v_mov_b32_e32 v49, 0x3ecc95a3
	v_fmac_f32_e32 v51, 0xb102e308, v44
	v_sub_f32_e32 v44, v47, v46
	v_fmac_f32_e32 v49, 0x3e9b6dac, v48
	v_sub_f32_e32 v44, v45, v44
	v_add_f32_e32 v45, v50, v51
	v_fma_f32 v49, v48, v49, v23
	v_sub_f32_e32 v46, v45, v50
	v_ldexp_f32 v50, v47, 1
	v_mul_f32_e32 v47, v47, v48
	v_mul_f32_e32 v47, v47, v49
	v_add_f32_e32 v48, v50, v47
	v_sub_f32_e32 v49, v48, v50
	v_ldexp_f32 v44, v44, 1
	v_sub_f32_e32 v47, v47, v49
	v_add_f32_e32 v44, v44, v47
	v_add_f32_e32 v47, v48, v44
	v_sub_f32_e32 v48, v47, v48
	v_sub_f32_e32 v44, v44, v48
	v_add_f32_e32 v48, v45, v47
	v_sub_f32_e32 v49, v48, v45
	v_sub_f32_e32 v50, v48, v49
	;; [unrolled: 1-line block ×5, first 2 shown]
	v_add_f32_e32 v45, v47, v45
	v_add_f32_e32 v47, v46, v44
	v_sub_f32_e32 v49, v47, v46
	v_sub_f32_e32 v50, v47, v49
	;; [unrolled: 1-line block ×4, first 2 shown]
	v_add_f32_e32 v45, v47, v45
	v_add_f32_e32 v44, v44, v46
	;; [unrolled: 1-line block ×3, first 2 shown]
	v_sub_f32_e32 v47, v46, v48
	v_sub_f32_e32 v45, v45, v47
	v_add_f32_e32 v44, v44, v45
	v_add_f32_e32 v44, v46, v44
	v_cmp_neq_f32_e32 vcc, s56, v41
	v_cndmask_b32_e32 v44, v34, v44, vcc
	v_cmp_ngt_f32_e32 vcc, -1.0, v41
	v_cndmask_b32_e32 v44, v36, v44, vcc
	v_cmp_neq_f32_e32 vcc, -1.0, v41
	v_cndmask_b32_e32 v44, v37, v44, vcc
	v_cmp_lt_f32_e64 vcc, |v41|, s66
	v_cndmask_b32_e32 v41, v44, v41, vcc
.LBB43_23:                              ;   in Loop: Header=BB43_5 Depth=1
	s_andn2_saveexec_b64 s[44:45], s[44:45]
	s_cbranch_execz .LBB43_29
; %bb.24:                               ;   in Loop: Header=BB43_5 Depth=1
	v_cmp_nlt_f32_e64 s[12:13], |v9|, 1.0
                                        ; implicit-def: $vgpr41
	s_and_saveexec_b64 s[46:47], s[12:13]
	s_xor_b64 s[46:47], exec, s[46:47]
	s_cbranch_execz .LBB43_26
; %bb.25:                               ;   in Loop: Header=BB43_5 Depth=1
	v_mul_f32_e32 v41, v6, v7
	v_mul_f32_e32 v44, 0x4f800000, v41
	v_cmp_gt_f32_e32 vcc, s58, v41
	v_cndmask_b32_e32 v41, v41, v44, vcc
	v_sqrt_f32_e32 v44, v41
	v_add_u32_e32 v45, -1, v44
	v_fma_f32 v47, -v45, v44, v41
	v_add_u32_e32 v46, 1, v44
	v_cmp_ge_f32_e64 s[12:13], 0, v47
	v_cndmask_b32_e64 v45, v44, v45, s[12:13]
	v_fma_f32 v44, -v46, v44, v41
	v_cmp_lt_f32_e64 s[12:13], 0, v44
	v_cndmask_b32_e64 v44, v45, v46, s[12:13]
	v_mul_f32_e32 v45, 0x37800000, v44
	v_cndmask_b32_e32 v44, v44, v45, vcc
	v_cmp_class_f32_e32 vcc, v41, v22
	v_cndmask_b32_e32 v41, v44, v41, vcc
	v_add_f32_e32 v41, v6, v41
	v_add_f32_e32 v46, 1.0, v41
	v_cvt_f64_f32_e32 v[44:45], v46
	v_add_f32_e32 v47, -1.0, v46
	v_frexp_exp_i32_f64_e32 v44, v[44:45]
	v_sub_f32_e32 v45, v47, v46
	v_add_f32_e32 v45, 1.0, v45
	v_sub_f32_e32 v47, v41, v47
	v_add_f32_e32 v45, v47, v45
	v_frexp_mant_f32_e32 v47, v46
	v_cmp_gt_f32_e32 vcc, s64, v47
	v_subbrev_co_u32_e32 v44, vcc, 0, v44, vcc
	v_sub_u32_e32 v47, 0, v44
	v_ldexp_f32 v46, v46, v47
	v_ldexp_f32 v45, v45, v47
	v_add_f32_e32 v47, -1.0, v46
	v_add_f32_e32 v50, 1.0, v46
	v_add_f32_e32 v48, 1.0, v47
	v_add_f32_e32 v51, -1.0, v50
	v_sub_f32_e32 v48, v46, v48
	v_sub_f32_e32 v46, v46, v51
	v_add_f32_e32 v48, v45, v48
	v_add_f32_e32 v45, v45, v46
	;; [unrolled: 1-line block ×3, first 2 shown]
	v_rcp_f32_e32 v51, v46
	v_add_f32_e32 v49, v47, v48
	v_sub_f32_e32 v47, v49, v47
	v_sub_f32_e32 v47, v48, v47
	;; [unrolled: 1-line block ×4, first 2 shown]
	v_mul_f32_e32 v48, v49, v51
	v_mul_f32_e32 v50, v46, v48
	v_fma_f32 v52, v48, v46, -v50
	v_fmac_f32_e32 v52, v48, v45
	v_add_f32_e32 v53, v50, v52
	v_sub_f32_e32 v54, v49, v53
	v_sub_f32_e32 v49, v49, v54
	;; [unrolled: 1-line block ×4, first 2 shown]
	v_add_f32_e32 v47, v47, v49
	v_sub_f32_e32 v49, v50, v52
	v_add_f32_e32 v47, v49, v47
	v_add_f32_e32 v49, v54, v47
	v_mul_f32_e32 v50, v51, v49
	v_mul_f32_e32 v52, v46, v50
	v_fma_f32 v46, v50, v46, -v52
	v_fmac_f32_e32 v46, v50, v45
	v_sub_f32_e32 v45, v54, v49
	v_add_f32_e32 v45, v47, v45
	v_add_f32_e32 v47, v52, v46
	v_sub_f32_e32 v53, v49, v47
	v_sub_f32_e32 v49, v49, v53
	;; [unrolled: 1-line block ×4, first 2 shown]
	v_add_f32_e32 v45, v45, v47
	v_sub_f32_e32 v46, v52, v46
	v_cvt_f32_i32_e32 v44, v44
	v_add_f32_e32 v45, v46, v45
	v_add_f32_e32 v46, v48, v50
	;; [unrolled: 1-line block ×3, first 2 shown]
	v_sub_f32_e32 v47, v46, v48
	v_mul_f32_e32 v45, v51, v45
	v_sub_f32_e32 v47, v50, v47
	v_add_f32_e32 v45, v47, v45
	v_mul_f32_e32 v50, 0x3f317218, v44
	v_add_f32_e32 v47, v46, v45
	v_fma_f32 v51, v44, s65, -v50
	v_mul_f32_e32 v48, v47, v47
	v_mov_b32_e32 v49, 0x3ecc95a3
	v_fmac_f32_e32 v51, 0xb102e308, v44
	v_sub_f32_e32 v44, v47, v46
	v_fmac_f32_e32 v49, 0x3e9b6dac, v48
	v_sub_f32_e32 v44, v45, v44
	v_add_f32_e32 v45, v50, v51
	v_fma_f32 v49, v48, v49, v23
	v_sub_f32_e32 v46, v45, v50
	v_ldexp_f32 v50, v47, 1
	v_mul_f32_e32 v47, v47, v48
	v_mul_f32_e32 v47, v47, v49
	v_add_f32_e32 v48, v50, v47
	v_sub_f32_e32 v49, v48, v50
	v_ldexp_f32 v44, v44, 1
	v_sub_f32_e32 v47, v47, v49
	v_add_f32_e32 v44, v44, v47
	v_add_f32_e32 v47, v48, v44
	v_sub_f32_e32 v48, v47, v48
	v_sub_f32_e32 v44, v44, v48
	v_add_f32_e32 v48, v45, v47
	v_sub_f32_e32 v49, v48, v45
	v_sub_f32_e32 v50, v48, v49
	;; [unrolled: 1-line block ×5, first 2 shown]
	v_add_f32_e32 v45, v47, v45
	v_add_f32_e32 v47, v46, v44
	v_sub_f32_e32 v49, v47, v46
	v_sub_f32_e32 v50, v47, v49
	v_sub_f32_e32 v46, v46, v50
	v_sub_f32_e32 v44, v44, v49
	v_add_f32_e32 v45, v47, v45
	v_add_f32_e32 v44, v44, v46
	;; [unrolled: 1-line block ×3, first 2 shown]
	v_sub_f32_e32 v47, v46, v48
	v_sub_f32_e32 v45, v45, v47
	v_add_f32_e32 v44, v44, v45
	v_add_f32_e32 v44, v46, v44
	v_cmp_neq_f32_e32 vcc, s56, v41
	v_cndmask_b32_e32 v44, v34, v44, vcc
	v_cmp_ngt_f32_e32 vcc, -1.0, v41
	v_cndmask_b32_e32 v44, v36, v44, vcc
	v_cmp_neq_f32_e32 vcc, -1.0, v41
	v_cndmask_b32_e32 v44, v37, v44, vcc
	v_cmp_lt_f32_e64 vcc, |v41|, s66
	v_cndmask_b32_e32 v41, v44, v41, vcc
.LBB43_26:                              ;   in Loop: Header=BB43_5 Depth=1
	s_andn2_saveexec_b64 s[46:47], s[46:47]
	s_cbranch_execz .LBB43_28
; %bb.27:                               ;   in Loop: Header=BB43_5 Depth=1
	v_sub_f32_e64 v41, 1.0, |v9|
	v_mul_f32_e32 v41, v41, v7
	v_mul_f32_e32 v44, 0x4f800000, v41
	v_cmp_gt_f32_e32 vcc, s58, v41
	v_cndmask_b32_e32 v41, v41, v44, vcc
	v_sqrt_f32_e32 v44, v41
	v_add_u32_e32 v45, -1, v44
	v_fma_f32 v47, -v45, v44, v41
	v_add_u32_e32 v46, 1, v44
	v_cmp_ge_f32_e64 s[12:13], 0, v47
	v_cndmask_b32_e64 v45, v44, v45, s[12:13]
	v_fma_f32 v44, -v46, v44, v41
	v_cmp_lt_f32_e64 s[12:13], 0, v44
	v_cndmask_b32_e64 v44, v45, v46, s[12:13]
	v_mul_f32_e32 v45, 0x37800000, v44
	v_cndmask_b32_e32 v44, v44, v45, vcc
	v_cmp_class_f32_e32 vcc, v41, v22
	v_cndmask_b32_e32 v41, v44, v41, vcc
	v_and_b32_e32 v44, 0x7fffffff, v10
	v_div_scale_f32 v45, s[12:13], v41, v41, v44
	v_div_scale_f32 v44, vcc, v44, v41, v44
	v_rcp_f32_e32 v46, v45
	v_fma_f32 v47, -v45, v46, 1.0
	v_fmac_f32_e32 v46, v47, v46
	v_mul_f32_e32 v47, v44, v46
	v_fma_f32 v48, -v45, v47, v44
	v_fmac_f32_e32 v47, v48, v46
	v_fma_f32 v44, -v45, v47, v44
	v_div_fmas_f32 v44, v44, v46, v47
	v_div_fixup_f32 v41, v44, v41, |v10|
.LBB43_28:                              ;   in Loop: Header=BB43_5 Depth=1
	s_or_b64 exec, exec, s[46:47]
.LBB43_29:                              ;   in Loop: Header=BB43_5 Depth=1
	s_or_b64 exec, exec, s[44:45]
.LBB43_30:                              ;   in Loop: Header=BB43_5 Depth=1
	s_andn2_saveexec_b64 s[42:43], s[42:43]
	s_cbranch_execz .LBB43_32
; %bb.31:                               ;   in Loop: Header=BB43_5 Depth=1
	v_mul_f32_e64 v41, |v10|, s59
	v_cmp_lt_f32_e64 vcc, |v10|, s58
	v_cndmask_b32_e64 v41, |v10|, v41, vcc
	v_sqrt_f32_e32 v44, v41
	v_add_u32_e32 v45, -1, v44
	v_fma_f32 v47, -v45, v44, v41
	v_add_u32_e32 v46, 1, v44
	v_cmp_ge_f32_e64 s[12:13], 0, v47
	v_cndmask_b32_e64 v45, v44, v45, s[12:13]
	v_fma_f32 v44, -v46, v44, v41
	v_cmp_lt_f32_e64 s[12:13], 0, v44
	v_cndmask_b32_e64 v44, v45, v46, s[12:13]
	v_mul_f32_e32 v45, 0x37800000, v44
	v_cndmask_b32_e32 v44, v44, v45, vcc
	v_cmp_class_f32_e32 vcc, v41, v22
	v_cndmask_b32_e32 v41, v44, v41, vcc
.LBB43_32:                              ;   in Loop: Header=BB43_5 Depth=1
	s_or_b64 exec, exec, s[42:43]
.LBB43_33:                              ;   in Loop: Header=BB43_5 Depth=1
	s_or_b64 exec, exec, s[40:41]
	v_cmp_nlt_f32_e64 s[40:41], |v9|, s67
                                        ; implicit-def: $sgpr12_sgpr13
                                        ; implicit-def: $vgpr44
                                        ; implicit-def: $vgpr46
                                        ; implicit-def: $vgpr45
	s_and_saveexec_b64 s[42:43], s[40:41]
	s_xor_b64 s[40:41], exec, s[42:43]
	s_cbranch_execz .LBB43_57
; %bb.34:                               ;   in Loop: Header=BB43_5 Depth=1
	v_and_b32_e32 v45, 0x7fffffff, v9
	v_div_scale_f32 v44, s[12:13], v5, v5, v45
	v_div_scale_f32 v46, vcc, v45, v5, v45
	s_mov_b64 s[12:13], 0
	v_rcp_f32_e32 v47, v44
	v_fma_f32 v48, -v44, v47, 1.0
	v_fmac_f32_e32 v47, v48, v47
	v_mul_f32_e32 v48, v46, v47
	v_fma_f32 v49, -v44, v48, v46
	v_fmac_f32_e32 v48, v49, v47
	v_fma_f32 v44, -v44, v48, v46
	v_div_fmas_f32 v44, v44, v47, v48
                                        ; implicit-def: $vgpr46
	v_div_fixup_f32 v44, v44, v5, |v9|
	v_cmp_lt_f32_e32 vcc, s68, v44
	s_and_saveexec_b64 s[42:43], vcc
	s_cbranch_execz .LBB43_56
; %bb.35:                               ;   in Loop: Header=BB43_5 Depth=1
	v_cmp_neq_f32_e64 s[12:13], |v9|, 1.0
	v_cmp_nlt_f32_e64 s[44:45], |v10|, s69
	s_or_b64 s[12:13], s[12:13], s[44:45]
                                        ; implicit-def: $vgpr46
	s_and_saveexec_b64 s[44:45], s[12:13]
	s_xor_b64 s[44:45], exec, s[44:45]
	s_cbranch_execz .LBB43_53
; %bb.36:                               ;   in Loop: Header=BB43_5 Depth=1
	v_mul_f32_e64 v46, |v6|, s63
	v_cmp_ge_f32_e64 s[12:13], |v10|, v46
                                        ; implicit-def: $vgpr46
	s_and_saveexec_b64 s[46:47], s[12:13]
	s_xor_b64 s[46:47], exec, s[46:47]
	s_cbranch_execz .LBB43_46
; %bb.37:                               ;   in Loop: Header=BB43_5 Depth=1
	v_cmp_neq_f32_e32 vcc, 0, v7
	v_mov_b32_e32 v46, v42
	s_and_saveexec_b64 s[12:13], vcc
	s_cbranch_execz .LBB43_39
; %bb.38:                               ;   in Loop: Header=BB43_5 Depth=1
	v_mul_f32_e32 v46, v10, v10
	v_add_f32_e32 v7, v7, v43
	v_div_scale_f32 v43, s[48:49], v7, v7, v46
	v_div_scale_f32 v47, vcc, v46, v7, v46
	v_rcp_f32_e32 v48, v43
	v_fma_f32 v49, -v43, v48, 1.0
	v_fmac_f32_e32 v48, v49, v48
	v_mul_f32_e32 v49, v47, v48
	v_fma_f32 v50, -v43, v49, v47
	v_fmac_f32_e32 v49, v50, v48
	v_fma_f32 v43, -v43, v49, v47
	v_div_fmas_f32 v43, v43, v48, v49
	v_div_fixup_f32 v46, v43, v7, v46
.LBB43_39:                              ;   in Loop: Header=BB43_5 Depth=1
	s_or_b64 exec, exec, s[12:13]
	v_cmp_ngt_f32_e32 vcc, 0, v6
	s_and_saveexec_b64 s[12:13], vcc
	s_xor_b64 s[12:13], exec, s[12:13]
	s_cbranch_execz .LBB43_43
; %bb.40:                               ;   in Loop: Header=BB43_5 Depth=1
	v_cmp_neq_f32_e32 vcc, 0, v6
	s_and_saveexec_b64 s[48:49], vcc
	s_cbranch_execz .LBB43_42
; %bb.41:                               ;   in Loop: Header=BB43_5 Depth=1
	v_mul_f32_e32 v7, v10, v10
	v_add_f32_e32 v6, v6, v8
	v_div_scale_f32 v8, s[78:79], v6, v6, v7
	v_div_scale_f32 v42, vcc, v7, v6, v7
	v_rcp_f32_e32 v43, v8
	v_fma_f32 v47, -v8, v43, 1.0
	v_fmac_f32_e32 v43, v47, v43
	v_mul_f32_e32 v47, v42, v43
	v_fma_f32 v48, -v8, v47, v42
	v_fmac_f32_e32 v47, v48, v43
	v_fma_f32 v8, -v8, v47, v42
	v_div_fmas_f32 v8, v8, v43, v47
	v_div_fixup_f32 v42, v8, v6, v7
.LBB43_42:                              ;   in Loop: Header=BB43_5 Depth=1
	s_or_b64 exec, exec, s[48:49]
                                        ; implicit-def: $vgpr8
                                        ; implicit-def: $vgpr6
.LBB43_43:                              ;   in Loop: Header=BB43_5 Depth=1
	s_andn2_saveexec_b64 s[12:13], s[12:13]
; %bb.44:                               ;   in Loop: Header=BB43_5 Depth=1
	v_sub_f32_e32 v42, v8, v6
; %bb.45:                               ;   in Loop: Header=BB43_5 Depth=1
	s_or_b64 exec, exec, s[12:13]
	v_mul_f32_e32 v6, 0.5, v42
	v_fmac_f32_e32 v6, 0.5, v46
	v_add_f32_e64 v5, |v9|, v5
	v_mul_f32_e32 v5, v5, v6
	v_mul_f32_e32 v6, 0x4f800000, v5
	v_cmp_gt_f32_e32 vcc, s58, v5
	v_cndmask_b32_e32 v5, v5, v6, vcc
	v_sqrt_f32_e32 v6, v5
	v_add_u32_e32 v7, -1, v6
	v_fma_f32 v8, -v7, v6, v5
	v_cmp_ge_f32_e64 s[12:13], 0, v8
	v_add_u32_e32 v8, 1, v6
	v_cndmask_b32_e64 v7, v6, v7, s[12:13]
	v_fma_f32 v6, -v8, v6, v5
	v_cmp_lt_f32_e64 s[12:13], 0, v6
	v_cndmask_b32_e64 v6, v7, v8, s[12:13]
	v_mul_f32_e32 v7, 0x37800000, v6
	v_cndmask_b32_e32 v6, v6, v7, vcc
	v_cmp_class_f32_e32 vcc, v5, v22
	v_cndmask_b32_e32 v46, v6, v5, vcc
                                        ; implicit-def: $vgpr7
                                        ; implicit-def: $vgpr6
.LBB43_46:                              ;   in Loop: Header=BB43_5 Depth=1
	s_andn2_saveexec_b64 s[46:47], s[46:47]
	s_cbranch_execz .LBB43_52
; %bb.47:                               ;   in Loop: Header=BB43_5 Depth=1
	v_cmp_ngt_f32_e64 s[12:13], |v9|, 1.0
                                        ; implicit-def: $vgpr46
	s_and_saveexec_b64 s[48:49], s[12:13]
	s_xor_b64 s[48:49], exec, s[48:49]
	s_cbranch_execz .LBB43_49
; %bb.48:                               ;   in Loop: Header=BB43_5 Depth=1
	v_sub_f32_e64 v5, 1.0, |v9|
	v_mul_f32_e32 v5, v5, v7
	v_mul_f32_e32 v6, 0x4f800000, v5
	v_cmp_gt_f32_e32 vcc, s58, v5
	v_cndmask_b32_e32 v5, v5, v6, vcc
	v_sqrt_f32_e32 v6, v5
	v_add_u32_e32 v7, -1, v6
	v_fma_f32 v42, -v7, v6, v5
	v_add_u32_e32 v8, 1, v6
	v_cmp_ge_f32_e64 s[12:13], 0, v42
	v_cndmask_b32_e64 v7, v6, v7, s[12:13]
	v_fma_f32 v6, -v8, v6, v5
	v_cmp_lt_f32_e64 s[12:13], 0, v6
	v_cndmask_b32_e64 v6, v7, v8, s[12:13]
	v_mul_f32_e32 v7, 0x37800000, v6
	v_cndmask_b32_e32 v6, v6, v7, vcc
	v_cmp_class_f32_e32 vcc, v5, v22
	v_cndmask_b32_e32 v46, v6, v5, vcc
                                        ; implicit-def: $vgpr7
                                        ; implicit-def: $vgpr6
.LBB43_49:                              ;   in Loop: Header=BB43_5 Depth=1
	s_andn2_saveexec_b64 s[48:49], s[48:49]
	s_cbranch_execz .LBB43_51
; %bb.50:                               ;   in Loop: Header=BB43_5 Depth=1
	v_mul_f32_e32 v5, v7, v6
	v_mul_f32_e32 v6, 0x4f800000, v5
	v_cmp_gt_f32_e32 vcc, s58, v5
	v_cndmask_b32_e32 v5, v5, v6, vcc
	v_sqrt_f32_e32 v6, v5
	v_mul_f32_e64 v7, |v10|, s70
	v_mul_f32_e64 v7, |v9|, v7
	v_add_u32_e32 v8, -1, v6
	v_fma_f32 v42, -v8, v6, v5
	v_cmp_ge_f32_e64 s[12:13], 0, v42
	v_add_u32_e32 v42, 1, v6
	v_cndmask_b32_e64 v8, v6, v8, s[12:13]
	v_fma_f32 v6, -v42, v6, v5
	v_cmp_lt_f32_e64 s[12:13], 0, v6
	v_cndmask_b32_e64 v6, v8, v42, s[12:13]
	v_mul_f32_e32 v8, 0x37800000, v6
	v_cndmask_b32_e32 v6, v6, v8, vcc
	v_cmp_class_f32_e32 vcc, v5, v22
	v_cndmask_b32_e32 v5, v6, v5, vcc
	v_div_scale_f32 v6, s[12:13], v5, v5, v7
	v_div_scale_f32 v8, vcc, v7, v5, v7
	v_rcp_f32_e32 v42, v6
	v_fma_f32 v43, -v6, v42, 1.0
	v_fmac_f32_e32 v42, v43, v42
	v_mul_f32_e32 v43, v8, v42
	v_fma_f32 v45, -v6, v43, v8
	v_fmac_f32_e32 v43, v45, v42
	v_fma_f32 v6, -v6, v43, v8
	v_div_fmas_f32 v6, v6, v42, v43
	v_mul_f32_e64 v45, |v9|, s70
	v_div_fixup_f32 v46, v6, v5, v7
.LBB43_51:                              ;   in Loop: Header=BB43_5 Depth=1
	s_or_b64 exec, exec, s[48:49]
.LBB43_52:                              ;   in Loop: Header=BB43_5 Depth=1
	s_or_b64 exec, exec, s[46:47]
                                        ; implicit-def: $vgpr5
.LBB43_53:                              ;   in Loop: Header=BB43_5 Depth=1
	s_andn2_saveexec_b64 s[44:45], s[44:45]
	s_cbranch_execz .LBB43_55
; %bb.54:                               ;   in Loop: Header=BB43_5 Depth=1
	v_mul_f32_e64 v6, |v10|, s59
	v_cmp_lt_f32_e64 vcc, |v10|, s58
	v_cndmask_b32_e64 v6, |v10|, v6, vcc
	v_sqrt_f32_e32 v7, v6
	v_add_f32_e32 v5, 1.0, v5
	v_mul_f32_e32 v5, 0.5, v5
	v_mov_b32_e32 v45, 1.0
	v_add_u32_e32 v8, -1, v7
	v_fma_f32 v43, -v8, v7, v6
	v_add_u32_e32 v42, 1, v7
	v_cmp_ge_f32_e64 s[12:13], 0, v43
	v_cndmask_b32_e64 v8, v7, v8, s[12:13]
	v_fma_f32 v7, -v42, v7, v6
	v_cmp_lt_f32_e64 s[12:13], 0, v7
	v_cndmask_b32_e64 v7, v8, v42, s[12:13]
	v_mul_f32_e32 v8, 0x37800000, v7
	v_cndmask_b32_e32 v7, v7, v8, vcc
	v_mul_f32_e32 v8, 0x4f800000, v5
	v_cmp_gt_f32_e32 vcc, s58, v5
	v_cndmask_b32_e32 v5, v5, v8, vcc
	v_sqrt_f32_e32 v8, v5
	v_cmp_class_f32_e64 s[12:13], v6, v22
	v_cndmask_b32_e64 v6, v7, v6, s[12:13]
	v_add_u32_e32 v7, -1, v8
	v_fma_f32 v42, -v7, v8, v5
	v_cmp_ge_f32_e64 s[12:13], 0, v42
	v_add_u32_e32 v42, 1, v8
	v_cndmask_b32_e64 v7, v8, v7, s[12:13]
	v_fma_f32 v8, -v42, v8, v5
	v_cmp_lt_f32_e64 s[12:13], 0, v8
	v_cndmask_b32_e64 v7, v7, v42, s[12:13]
	v_mul_f32_e32 v8, 0x37800000, v7
	v_cndmask_b32_e32 v7, v7, v8, vcc
	v_cmp_class_f32_e32 vcc, v5, v22
	v_cndmask_b32_e32 v5, v7, v5, vcc
	v_mul_f32_e32 v46, v6, v5
.LBB43_55:                              ;   in Loop: Header=BB43_5 Depth=1
	s_or_b64 exec, exec, s[44:45]
	s_mov_b64 s[12:13], exec
.LBB43_56:                              ;   in Loop: Header=BB43_5 Depth=1
	s_or_b64 exec, exec, s[42:43]
                                        ; implicit-def: $vgpr5
.LBB43_57:                              ;   in Loop: Header=BB43_5 Depth=1
	s_andn2_saveexec_b64 s[40:41], s[40:41]
; %bb.58:                               ;   in Loop: Header=BB43_5 Depth=1
	v_mul_f32_e32 v46, 0x4b800000, v5
	v_mul_f32_e64 v45, |v9|, s71
	s_or_b64 s[12:13], s[12:13], exec
                                        ; implicit-def: $vgpr44
; %bb.59:                               ;   in Loop: Header=BB43_5 Depth=1
	s_or_b64 exec, exec, s[40:41]
	s_xor_b64 s[12:13], s[12:13], -1
                                        ; implicit-def: $vgpr5
	s_and_saveexec_b64 s[40:41], s[12:13]
	s_xor_b64 s[40:41], exec, s[40:41]
	s_cbranch_execz .LBB43_65
; %bb.60:                               ;   in Loop: Header=BB43_5 Depth=1
                                        ; implicit-def: $vgpr5
	s_and_saveexec_b64 s[12:13], s[10:11]
	s_xor_b64 s[12:13], exec, s[12:13]
	s_cbranch_execz .LBB43_62
; %bb.61:                               ;   in Loop: Header=BB43_5 Depth=1
	v_fma_f32 v5, |v44|, -0.5, 0.5
	v_mul_f32_e32 v6, v44, v44
	v_cmp_gt_f32_e64 vcc, |v44|, 0.5
	v_cndmask_b32_e32 v5, v6, v5, vcc
	v_mov_b32_e32 v6, 0x3c5fc5da
	v_fmac_f32_e32 v6, 0x3d1c21a7, v5
	v_fma_f32 v6, v5, v6, v24
	v_fma_f32 v6, v5, v6, v25
	v_sqrt_f32_e32 v7, v5
	v_fma_f32 v6, v5, v6, v26
	v_fma_f32 v6, v5, v6, v27
	v_mul_f32_e32 v5, v5, v6
	v_fmac_f32_e32 v7, v7, v5
	v_fmac_f32_e32 v44, v44, v5
	v_add_f32_e32 v6, v7, v7
	v_sub_f32_e32 v5, 0x3fc90fdb, v44
	v_cndmask_b32_e32 v5, v5, v6, vcc
                                        ; implicit-def: $vgpr44
.LBB43_62:                              ;   in Loop: Header=BB43_5 Depth=1
	s_andn2_saveexec_b64 s[42:43], s[12:13]
	s_cbranch_execz .LBB43_64
; %bb.63:                               ;   in Loop: Header=BB43_5 Depth=1
	v_fma_f32 v5, |v44|, -0.5, 0.5
	v_mul_f32_e32 v6, v44, v44
	v_cmp_gt_f32_e64 vcc, |v44|, 0.5
	v_cndmask_b32_e32 v5, v6, v5, vcc
	v_mov_b32_e32 v6, 0x3c5fc5da
	v_fmac_f32_e32 v6, 0x3d1c21a7, v5
	v_fma_f32 v6, v5, v6, v24
	v_fma_f32 v6, v5, v6, v25
	v_sqrt_f32_e32 v7, v5
	v_fma_f32 v6, v5, v6, v26
	v_fma_f32 v6, v5, v6, v27
	v_mul_f32_e32 v5, v5, v6
	v_fmac_f32_e32 v7, v7, v5
	v_add_f32_e32 v6, v7, v7
	v_sub_f32_e32 v7, 0x40490fdb, v6
	v_cmp_lt_f32_e64 s[12:13], 0, v44
	v_fma_f32 v5, -v44, v5, -v44
	v_cndmask_b32_e64 v6, v6, v7, s[12:13]
	v_sub_f32_e32 v5, 0x3fc90fdb, v5
	v_cndmask_b32_e32 v5, v5, v6, vcc
.LBB43_64:                              ;   in Loop: Header=BB43_5 Depth=1
	s_or_b64 exec, exec, s[42:43]
                                        ; implicit-def: $vgpr45
                                        ; implicit-def: $vgpr46
.LBB43_65:                              ;   in Loop: Header=BB43_5 Depth=1
	s_andn2_saveexec_b64 s[12:13], s[40:41]
	s_cbranch_execz .LBB43_71
; %bb.66:                               ;   in Loop: Header=BB43_5 Depth=1
	v_max_f32_e64 v5, |v46|, |v46|
	v_max_f32_e32 v6, v45, v45
	v_min_f32_e32 v7, v6, v5
	v_max_f32_e32 v5, v6, v5
	v_frexp_mant_f32_e32 v6, v5
	v_rcp_f32_e32 v6, v6
	v_frexp_exp_i32_f32_e32 v5, v5
	v_frexp_exp_i32_f32_e32 v8, v7
	v_frexp_mant_f32_e32 v7, v7
	v_mul_f32_e32 v6, v7, v6
	v_sub_u32_e32 v5, v8, v5
	v_ldexp_f32 v5, v6, v5
	v_mul_f32_e32 v6, v5, v5
	v_mov_b32_e32 v7, 0xbc7a590c
	v_fmac_f32_e32 v7, 0x3b2d2a58, v6
	v_fma_f32 v7, v6, v7, v28
	v_fma_f32 v7, v6, v7, v29
	v_fma_f32 v7, v6, v7, v30
	v_fma_f32 v7, v6, v7, v31
	v_fma_f32 v7, v6, v7, v32
	v_fma_f32 v7, v6, v7, v33
	v_mul_f32_e32 v6, v6, v7
	v_fmac_f32_e32 v5, v5, v6
	v_sub_f32_e32 v6, 0x3fc90fdb, v5
	v_cmp_gt_f32_e64 vcc, |v46|, v45
	v_cndmask_b32_e32 v6, v5, v6, vcc
                                        ; implicit-def: $vgpr5
	s_and_saveexec_b64 s[40:41], s[10:11]
	s_xor_b64 s[10:11], exec, s[40:41]
; %bb.67:                               ;   in Loop: Header=BB43_5 Depth=1
	v_cmp_neq_f32_e32 vcc, 0, v46
	v_cndmask_b32_e32 v5, 0, v6, vcc
	v_cmp_eq_f32_e32 vcc, s56, v45
	v_cmp_class_f32_e64 s[40:41], v46, s72
	s_and_b64 vcc, vcc, s[40:41]
	v_cndmask_b32_e32 v5, v5, v38, vcc
	v_cmp_o_f32_e32 vcc, v46, v46
	v_cndmask_b32_e32 v5, v36, v5, vcc
	v_bfi_b32 v5, s55, v5, v46
                                        ; implicit-def: $vgpr6
                                        ; implicit-def: $vgpr45
                                        ; implicit-def: $vgpr46
; %bb.68:                               ;   in Loop: Header=BB43_5 Depth=1
	s_andn2_saveexec_b64 s[10:11], s[10:11]
	s_cbranch_execz .LBB43_70
; %bb.69:                               ;   in Loop: Header=BB43_5 Depth=1
	v_sub_f32_e32 v5, 0x40490fdb, v6
	v_cmp_lt_f32_e32 vcc, 0, v45
	v_cndmask_b32_e32 v5, v6, v5, vcc
	v_cmp_neq_f32_e32 vcc, 0, v46
	v_cndmask_b32_e32 v5, v39, v5, vcc
	v_cmp_eq_f32_e32 vcc, s56, v45
	v_cmp_class_f32_e64 s[40:41], v46, s72
	s_and_b64 vcc, vcc, s[40:41]
	v_cndmask_b32_e32 v5, v5, v40, vcc
	v_cmp_o_f32_e32 vcc, v46, v46
	v_cndmask_b32_e32 v5, v36, v5, vcc
	v_bfi_b32 v5, s55, v5, v46
.LBB43_70:                              ;   in Loop: Header=BB43_5 Depth=1
	s_or_b64 exec, exec, s[10:11]
.LBB43_71:                              ;   in Loop: Header=BB43_5 Depth=1
	s_or_b64 exec, exec, s[12:13]
	v_cndmask_b32_e64 v6, -v41, v41, s[6:7]
.LBB43_72:                              ;   in Loop: Header=BB43_5 Depth=1
	s_andn2_saveexec_b64 s[10:11], s[38:39]
	s_cbranch_execz .LBB43_74
; %bb.73:                               ;   in Loop: Header=BB43_5 Depth=1
	v_mov_b32_e32 v7, s20
	v_mov_b32_e32 v8, s21
	flat_load_dword v5, v[7:8] glc
	s_waitcnt vmcnt(0) lgkmcnt(0)
	v_sub_f32_e32 v5, v5, v9
	v_add_f32_e32 v5, 0x3fc90fdb, v5
.LBB43_74:                              ;   in Loop: Header=BB43_5 Depth=1
	s_or_b64 exec, exec, s[10:11]
.LBB43_75:                              ;   in Loop: Header=BB43_5 Depth=1
	s_andn2_saveexec_b64 s[10:11], s[36:37]
; %bb.76:                               ;   in Loop: Header=BB43_5 Depth=1
	v_mov_b32_e32 v5, 0
; %bb.77:                               ;   in Loop: Header=BB43_5 Depth=1
	s_or_b64 exec, exec, s[10:11]
                                        ; implicit-def: $vgpr41
                                        ; implicit-def: $vgpr8
                                        ; implicit-def: $vgpr7
.LBB43_78:                              ;   in Loop: Header=BB43_5 Depth=1
	s_andn2_saveexec_b64 s[34:35], s[34:35]
	s_cbranch_execz .LBB43_88
; %bb.79:                               ;   in Loop: Header=BB43_5 Depth=1
	v_cmp_lt_f32_e64 s[10:11], |v9|, |v10|
	v_cndmask_b32_e64 v42, |v9|, |v10|, s[10:11]
	v_cmp_nlt_f32_e32 vcc, s73, v42
                                        ; implicit-def: $vgpr6
                                        ; implicit-def: $vgpr5
	s_and_saveexec_b64 s[12:13], vcc
	s_xor_b64 s[36:37], exec, s[12:13]
	s_cbranch_execz .LBB43_85
; %bb.80:                               ;   in Loop: Header=BB43_5 Depth=1
	v_cndmask_b32_e64 v43, |v10|, |v9|, s[10:11]
	v_cmp_nlt_f32_e32 vcc, s74, v42
	v_cmp_ngt_f32_e64 s[12:13], s75, v43
	s_and_b64 s[12:13], vcc, s[12:13]
                                        ; implicit-def: $vgpr6
                                        ; implicit-def: $vgpr5
	s_and_saveexec_b64 s[38:39], s[12:13]
	s_xor_b64 s[12:13], exec, s[38:39]
	s_cbranch_execz .LBB43_82
; %bb.81:                               ;   in Loop: Header=BB43_5 Depth=1
	v_mul_f32_e32 v5, v43, v43
	v_fmac_f32_e32 v5, v42, v42
	v_cmp_gt_f32_e32 vcc, s60, v5
	v_cndmask_b32_e64 v6, 0, 32, vcc
	v_ldexp_f32 v5, v5, v6
	v_log_f32_e32 v5, v5
	v_cndmask_b32_e32 v6, 0, v35, vcc
	v_mul_f32_e32 v42, 0x3f317217, v5
	v_fma_f32 v42, v5, s61, -v42
	v_fmac_f32_e32 v42, 0x3377d1cf, v5
	v_fmac_f32_e32 v42, 0x3f317217, v5
	v_cmp_lt_f32_e64 vcc, |v5|, s56
	v_cndmask_b32_e32 v5, v5, v42, vcc
	v_sub_f32_e32 v5, v5, v6
	v_mul_f32_e32 v6, 0.5, v5
	v_min_f32_e32 v5, v41, v8
	v_frexp_mant_f32_e32 v8, v7
	v_rcp_f32_e32 v8, v8
	v_frexp_exp_i32_f32_e32 v7, v7
	v_frexp_exp_i32_f32_e32 v41, v5
	v_frexp_mant_f32_e32 v5, v5
	v_mul_f32_e32 v5, v5, v8
	v_sub_u32_e32 v7, v41, v7
	v_ldexp_f32 v5, v5, v7
	v_mul_f32_e32 v7, v5, v5
	v_mov_b32_e32 v8, 0xbc7a590c
	v_fmac_f32_e32 v8, 0x3b2d2a58, v7
	v_fma_f32 v8, v7, v8, v28
	v_fma_f32 v8, v7, v8, v29
	;; [unrolled: 1-line block ×6, first 2 shown]
	v_mul_f32_e32 v7, v7, v8
	v_fmac_f32_e32 v5, v5, v7
                                        ; implicit-def: $vgpr7
                                        ; implicit-def: $vgpr41
                                        ; implicit-def: $vgpr8
.LBB43_82:                              ;   in Loop: Header=BB43_5 Depth=1
	s_andn2_saveexec_b64 s[12:13], s[12:13]
	s_cbranch_execz .LBB43_84
; %bb.83:                               ;   in Loop: Header=BB43_5 Depth=1
	v_cvt_f64_f32_e32 v[5:6], v7
	v_cmp_neq_f32_e32 vcc, s56, v7
	v_mov_b32_e32 v42, 0xbc7a590c
	v_frexp_exp_i32_f64_e32 v5, v[5:6]
	v_min_f32_e32 v6, v41, v8
	v_frexp_exp_i32_f32_e32 v8, v7
	v_frexp_mant_f32_e32 v41, v7
	v_rcp_f32_e32 v41, v41
	v_frexp_exp_i32_f32_e32 v43, v6
	v_frexp_mant_f32_e32 v6, v6
	v_sub_u32_e32 v8, v43, v8
	v_sub_u32_e32 v44, 0, v5
	v_ldexp_f32 v45, |v9|, v44
	v_ldexp_f32 v44, |v10|, v44
	v_mul_f32_e32 v44, v44, v44
	v_fmac_f32_e32 v44, v45, v45
	v_sqrt_f32_e32 v44, v44
	v_mul_f32_e32 v6, v6, v41
	v_ldexp_f32 v5, v44, v5
	v_cndmask_b32_e32 v5, v34, v5, vcc
	v_cmp_gt_f32_e32 vcc, s60, v5
	v_cndmask_b32_e64 v7, 0, 32, vcc
	v_ldexp_f32 v5, v5, v7
	v_log_f32_e32 v7, v5
	v_ldexp_f32 v5, v6, v8
	v_mul_f32_e32 v8, v5, v5
	v_cndmask_b32_e32 v6, 0, v35, vcc
	v_mul_f32_e32 v41, 0x3f317217, v7
	v_fma_f32 v41, v7, s61, -v41
	v_fmac_f32_e32 v41, 0x3377d1cf, v7
	v_fmac_f32_e32 v41, 0x3f317217, v7
	v_cmp_lt_f32_e64 vcc, |v7|, s56
	v_cndmask_b32_e32 v7, v7, v41, vcc
	v_fmac_f32_e32 v42, 0x3b2d2a58, v8
	v_sub_f32_e32 v6, v7, v6
	v_fma_f32 v7, v8, v42, v28
	v_fma_f32 v7, v8, v7, v29
	;; [unrolled: 1-line block ×6, first 2 shown]
	v_mul_f32_e32 v7, v8, v7
	v_fmac_f32_e32 v5, v5, v7
.LBB43_84:                              ;   in Loop: Header=BB43_5 Depth=1
	s_or_b64 exec, exec, s[12:13]
                                        ; implicit-def: $vgpr41
                                        ; implicit-def: $vgpr8
                                        ; implicit-def: $vgpr7
.LBB43_85:                              ;   in Loop: Header=BB43_5 Depth=1
	s_andn2_saveexec_b64 s[36:37], s[36:37]
	s_cbranch_execz .LBB43_87
; %bb.86:                               ;   in Loop: Header=BB43_5 Depth=1
	v_div_scale_f32 v5, s[12:13], s76, s76, v9
	v_rcp_f32_e32 v6, v5
	v_fma_f32 v42, -v5, v6, 1.0
	v_fmac_f32_e32 v6, v42, v6
	v_div_scale_f32 v42, vcc, v9, s76, v9
	v_mul_f32_e32 v43, v42, v6
	v_fma_f32 v44, -v5, v43, v42
	v_fmac_f32_e32 v43, v44, v6
	v_fma_f32 v5, -v5, v43, v42
	v_div_fmas_f32 v5, v5, v6, v43
	v_div_fixup_f32 v42, v5, s76, v9
	v_div_scale_f32 v5, s[12:13], s76, s76, v10
	v_rcp_f32_e32 v6, v5
	v_fma_f32 v43, -v5, v6, 1.0
	v_fmac_f32_e32 v6, v43, v6
	v_div_scale_f32 v43, vcc, v10, s76, v10
	v_mul_f32_e32 v44, v43, v6
	v_fma_f32 v45, -v5, v44, v43
	v_fmac_f32_e32 v44, v45, v6
	v_fma_f32 v5, -v5, v44, v43
	v_div_fmas_f32 v5, v5, v6, v44
	v_div_fixup_f32 v43, v5, s76, v10
	v_max_f32_e64 v44, |v42|, |v43|
	v_cvt_f64_f32_e32 v[5:6], v44
	v_cmp_neq_f32_e32 vcc, s56, v44
	v_frexp_exp_i32_f64_e32 v5, v[5:6]
	v_sub_u32_e32 v6, 0, v5
	v_ldexp_f32 v42, |v42|, v6
	v_ldexp_f32 v6, |v43|, v6
	v_mul_f32_e32 v6, v6, v6
	v_fmac_f32_e32 v6, v42, v42
	v_sqrt_f32_e32 v6, v6
	v_ldexp_f32 v5, v6, v5
	v_cndmask_b32_e32 v5, v34, v5, vcc
	v_cmp_gt_f32_e32 vcc, s60, v5
	v_cndmask_b32_e64 v6, 0, 32, vcc
	v_ldexp_f32 v5, v5, v6
	v_log_f32_e32 v5, v5
	v_mul_f32_e32 v6, 0x3f317217, v5
	v_fma_f32 v6, v5, s61, -v6
	v_fmac_f32_e32 v6, 0x3377d1cf, v5
	v_fmac_f32_e32 v6, 0x3f317217, v5
	v_cmp_lt_f32_e64 s[12:13], |v5|, s56
	v_cndmask_b32_e64 v5, v5, v6, s[12:13]
	v_cndmask_b32_e32 v6, 0, v35, vcc
	v_sub_f32_e32 v5, v5, v6
	v_add_f32_e32 v6, 1.0, v5
	v_min_f32_e32 v5, v41, v8
	v_frexp_exp_i32_f32_e32 v8, v7
	v_frexp_mant_f32_e32 v7, v7
	v_rcp_f32_e32 v7, v7
	v_frexp_exp_i32_f32_e32 v41, v5
	v_frexp_mant_f32_e32 v5, v5
	v_mul_f32_e32 v5, v5, v7
	v_sub_u32_e32 v7, v41, v8
	v_ldexp_f32 v5, v5, v7
	v_mul_f32_e32 v7, v5, v5
	v_mov_b32_e32 v8, 0xbc7a590c
	v_fmac_f32_e32 v8, 0x3b2d2a58, v7
	v_fma_f32 v8, v7, v8, v28
	v_fma_f32 v8, v7, v8, v29
	;; [unrolled: 1-line block ×6, first 2 shown]
	v_mul_f32_e32 v7, v7, v8
	v_fmac_f32_e32 v5, v5, v7
.LBB43_87:                              ;   in Loop: Header=BB43_5 Depth=1
	s_or_b64 exec, exec, s[36:37]
	v_sub_f32_e32 v7, 0x3fc90fdb, v5
	v_cndmask_b32_e64 v5, v5, v7, s[10:11]
	v_sub_f32_e32 v7, 0x40490fdb, v5
	v_cmp_gt_f32_e32 vcc, 0, v9
	v_cndmask_b32_e32 v5, v5, v7, vcc
	v_cndmask_b32_e64 v7, 0, v39, s[8:9]
	v_cndmask_b32_e32 v8, v38, v40, vcc
	v_cmp_class_f32_e64 s[8:9], v9, s72
	v_cmp_class_f32_e64 s[10:11], v10, s72
	v_cmp_eq_f32_e32 vcc, 0, v10
	v_cndmask_b32_e64 v5, |v5|, v7, vcc
	s_and_b64 vcc, s[8:9], s[10:11]
	v_add_f32_e32 v6, 0x3f317218, v6
	v_cndmask_b32_e32 v5, v5, v8, vcc
	v_cndmask_b32_e64 v6, -v6, v6, s[6:7]
.LBB43_88:                              ;   in Loop: Header=BB43_5 Depth=1
	s_or_b64 exec, exec, s[34:35]
.LBB43_89:                              ;   in Loop: Header=BB43_5 Depth=1
	s_andn2_saveexec_b64 s[6:7], s[30:31]
	s_cbranch_execz .LBB43_103
; %bb.90:                               ;   in Loop: Header=BB43_5 Depth=1
	v_cmp_neq_f32_e64 s[8:9], |v9|, s56
                                        ; implicit-def: $vgpr6
	s_and_saveexec_b64 s[10:11], s[8:9]
	s_xor_b64 s[8:9], exec, s[10:11]
	s_cbranch_execz .LBB43_100
; %bb.91:                               ;   in Loop: Header=BB43_5 Depth=1
	v_cmp_neq_f32_e64 s[10:11], |v10|, s56
	v_xor_b32_e32 v6, 0x80000000, v10
	s_and_saveexec_b64 s[12:13], s[10:11]
	s_xor_b64 s[10:11], exec, s[12:13]
	s_cbranch_execz .LBB43_97
; %bb.92:                               ;   in Loop: Header=BB43_5 Depth=1
	v_cmp_neq_f32_e32 vcc, 0, v9
                                        ; implicit-def: $vgpr6
	s_and_saveexec_b64 s[12:13], vcc
	s_xor_b64 s[12:13], exec, s[12:13]
; %bb.93:                               ;   in Loop: Header=BB43_5 Depth=1
	v_add_f32_e32 v5, 0, v10
	v_add_f32_e32 v6, v9, v5
; %bb.94:                               ;   in Loop: Header=BB43_5 Depth=1
	s_or_saveexec_b64 s[12:13], s[12:13]
	v_mov_b32_e32 v5, v6
	s_xor_b64 exec, exec, s[12:13]
	s_cbranch_execz .LBB43_96
; %bb.95:                               ;   in Loop: Header=BB43_5 Depth=1
	v_mov_b32_e32 v5, s20
	v_mov_b32_e32 v6, s21
	flat_load_dword v5, v[5:6] glc
	s_waitcnt vmcnt(0)
	v_add_f32_e32 v6, v10, v10
	s_waitcnt lgkmcnt(0)
	v_add_f32_e32 v5, 0x3fc90fdb, v5
.LBB43_96:                              ;   in Loop: Header=BB43_5 Depth=1
	s_or_b64 exec, exec, s[12:13]
.LBB43_97:                              ;   in Loop: Header=BB43_5 Depth=1
	s_andn2_saveexec_b64 s[10:11], s[10:11]
; %bb.98:                               ;   in Loop: Header=BB43_5 Depth=1
	v_add_f32_e32 v5, v9, v9
; %bb.99:                               ;   in Loop: Header=BB43_5 Depth=1
	s_or_b64 exec, exec, s[10:11]
.LBB43_100:                             ;   in Loop: Header=BB43_5 Depth=1
	s_andn2_saveexec_b64 s[8:9], s[8:9]
; %bb.101:                              ;   in Loop: Header=BB43_5 Depth=1
	v_add_f32_e32 v5, v10, v10
	v_mov_b32_e32 v6, 0xff800000
; %bb.102:                              ;   in Loop: Header=BB43_5 Depth=1
	s_or_b64 exec, exec, s[8:9]
.LBB43_103:                             ;   in Loop: Header=BB43_5 Depth=1
	s_or_b64 exec, exec, s[6:7]
	v_mov_b32_e32 v7, s20
	v_mov_b32_e32 v8, s21
	v_cmp_o_f32_e32 vcc, v11, v12
	flat_store_dword v[7:8], v20
	s_waitcnt vmcnt(0)
	s_and_saveexec_b64 s[6:7], vcc
	s_xor_b64 s[30:31], exec, s[6:7]
	s_cbranch_execz .LBB43_187
; %bb.104:                              ;   in Loop: Header=BB43_5 Depth=1
	v_max_f32_e64 v10, |v12|, |v12|
	v_max_f32_e64 v41, |v11|, |v11|
	v_max_f32_e32 v9, v41, v10
	v_cmp_gt_i32_e64 s[8:9], 0, v11
	v_cmp_lt_i32_e64 s[10:11], -1, v11
	v_cmp_gt_i32_e64 s[6:7], 0, v12
	v_cmp_nlt_f32_e32 vcc, s50, v9
	s_and_saveexec_b64 s[12:13], vcc
	s_xor_b64 s[34:35], exec, s[12:13]
	s_cbranch_execz .LBB43_176
; %bb.105:                              ;   in Loop: Header=BB43_5 Depth=1
	v_cmp_neq_f32_e32 vcc, 1.0, v11
	v_cmp_neq_f32_e64 s[12:13], 0, v12
	s_or_b64 s[12:13], vcc, s[12:13]
	v_xor_b32_e32 v8, 0x80000000, v12
	s_and_saveexec_b64 s[36:37], s[12:13]
	s_xor_b64 s[36:37], exec, s[36:37]
	s_cbranch_execz .LBB43_173
; %bb.106:                              ;   in Loop: Header=BB43_5 Depth=1
	v_mov_b32_e32 v7, s24
	v_mov_b32_e32 v8, s25
	flat_store_dword v[7:8], v21
	s_waitcnt vmcnt(0)
	flat_load_dword v7, v[7:8] glc
	s_waitcnt vmcnt(0)
	v_cmp_nlt_f32_e64 s[12:13], |v11|, s51
	v_cmp_nlt_f32_e64 s[38:39], |v12|, s51
	s_or_b64 s[12:13], s[12:13], s[38:39]
	s_waitcnt lgkmcnt(0)
	v_add_f32_e32 v9, 1.0, v7
	v_mov_b32_e32 v7, s26
	v_mov_b32_e32 v8, s27
	flat_store_dword v[7:8], v9
	s_waitcnt vmcnt(0)
	flat_load_dword v7, v[7:8] glc
	s_waitcnt vmcnt(0)
	v_xor_b32_e32 v8, 0x80000000, v12
	s_and_saveexec_b64 s[38:39], s[12:13]
	s_xor_b64 s[38:39], exec, s[38:39]
	s_cbranch_execz .LBB43_170
; %bb.107:                              ;   in Loop: Header=BB43_5 Depth=1
	v_add_f32_e64 v9, |v11|, 1.0
	s_waitcnt lgkmcnt(0)
	v_max_f32_e32 v7, v10, v9
	v_add_f32_e64 v8, |v11|, -1.0
	v_cvt_f64_f32_e32 v[41:42], v7
	v_max_f32_e64 v10, v10, |v8|
	v_cvt_f64_f32_e32 v[43:44], v10
	v_cmp_neq_f32_e32 vcc, s56, v7
	v_frexp_exp_i32_f64_e32 v41, v[41:42]
	v_frexp_exp_i32_f64_e32 v42, v[43:44]
	v_sub_u32_e32 v43, 0, v41
	v_ldexp_f32 v45, |v12|, v43
	v_sub_u32_e32 v44, 0, v42
	v_ldexp_f32 v43, v9, v43
	v_ldexp_f32 v46, |v12|, v44
	v_ldexp_f32 v44, |v8|, v44
	v_mul_f32_e32 v43, v43, v43
	v_mul_f32_e32 v44, v44, v44
	v_fmac_f32_e32 v43, v45, v45
	v_fmac_f32_e32 v44, v46, v46
	v_sqrt_f32_e32 v43, v43
	v_sqrt_f32_e32 v44, v44
	v_ldexp_f32 v41, v43, v41
	v_ldexp_f32 v42, v44, v42
	v_cndmask_b32_e32 v43, v34, v41, vcc
	v_cmp_neq_f32_e32 vcc, s56, v10
	v_cndmask_b32_e32 v10, v34, v42, vcc
	v_add_f32_e32 v7, v43, v10
	v_mul_f32_e32 v7, 0.5, v7
	v_cmp_ngt_f32_e32 vcc, 1.0, v7
	v_cndmask_b32_e32 v7, 1.0, v7, vcc
	v_cmp_ngt_f32_e32 vcc, s57, v7
                                        ; implicit-def: $vgpr41
	s_and_saveexec_b64 s[12:13], vcc
	s_xor_b64 s[40:41], exec, s[12:13]
	s_cbranch_execz .LBB43_109
; %bb.108:                              ;   in Loop: Header=BB43_5 Depth=1
	v_fma_f32 v41, v7, v7, -1.0
	v_mul_f32_e32 v42, 0x4f800000, v41
	v_cmp_gt_f32_e32 vcc, s58, v41
	v_cndmask_b32_e32 v41, v41, v42, vcc
	v_sqrt_f32_e32 v42, v41
	v_add_u32_e32 v44, -1, v42
	v_fma_f32 v46, -v44, v42, v41
	v_add_u32_e32 v45, 1, v42
	v_cmp_ge_f32_e64 s[12:13], 0, v46
	v_cndmask_b32_e64 v44, v42, v44, s[12:13]
	v_fma_f32 v42, -v45, v42, v41
	v_cmp_lt_f32_e64 s[12:13], 0, v42
	v_cndmask_b32_e64 v42, v44, v45, s[12:13]
	v_mul_f32_e32 v44, 0x37800000, v42
	v_cndmask_b32_e32 v42, v42, v44, vcc
	v_cmp_class_f32_e32 vcc, v41, v22
	v_cndmask_b32_e32 v41, v42, v41, vcc
	v_add_f32_e32 v41, v7, v41
	v_cmp_gt_f32_e32 vcc, s60, v41
	v_cndmask_b32_e64 v42, 0, 32, vcc
	v_ldexp_f32 v41, v41, v42
	v_log_f32_e32 v41, v41
	v_mul_f32_e32 v42, 0x3f317217, v41
	v_fma_f32 v42, v41, s61, -v42
	v_fmac_f32_e32 v42, 0x3377d1cf, v41
	v_fmac_f32_e32 v42, 0x3f317217, v41
	v_cmp_lt_f32_e64 s[12:13], |v41|, s56
	v_cndmask_b32_e64 v41, v41, v42, s[12:13]
	v_cndmask_b32_e32 v42, 0, v35, vcc
	v_sub_f32_e32 v41, v41, v42
.LBB43_109:                             ;   in Loop: Header=BB43_5 Depth=1
	s_or_saveexec_b64 s[40:41], s[40:41]
	v_and_b32_e32 v42, 0x7fffffff, v12
	s_xor_b64 exec, exec, s[40:41]
	s_cbranch_execz .LBB43_131
; %bb.110:                              ;   in Loop: Header=BB43_5 Depth=1
	v_cmp_neq_f32_e64 s[12:13], |v11|, 1.0
	v_cmp_nlt_f32_e64 s[42:43], |v12|, s62
	s_or_b64 s[12:13], s[12:13], s[42:43]
                                        ; implicit-def: $vgpr41
	s_and_saveexec_b64 s[42:43], s[12:13]
	s_xor_b64 s[42:43], exec, s[42:43]
	s_cbranch_execz .LBB43_128
; %bb.111:                              ;   in Loop: Header=BB43_5 Depth=1
	v_mul_f32_e64 v41, |v8|, s63
	v_cmp_ge_f32_e64 s[12:13], |v12|, v41
                                        ; implicit-def: $vgpr41
	s_and_saveexec_b64 s[44:45], s[12:13]
	s_xor_b64 s[44:45], exec, s[44:45]
	s_cbranch_execz .LBB43_121
; %bb.112:                              ;   in Loop: Header=BB43_5 Depth=1
	v_cmp_neq_f32_e32 vcc, 0, v9
	v_mov_b32_e32 v41, v42
	s_and_saveexec_b64 s[12:13], vcc
	s_cbranch_execz .LBB43_114
; %bb.113:                              ;   in Loop: Header=BB43_5 Depth=1
	v_mul_f32_e32 v41, v12, v12
	v_add_f32_e32 v44, v9, v43
	v_div_scale_f32 v45, s[46:47], v44, v44, v41
	v_div_scale_f32 v46, vcc, v41, v44, v41
	v_rcp_f32_e32 v47, v45
	v_fma_f32 v48, -v45, v47, 1.0
	v_fmac_f32_e32 v47, v48, v47
	v_mul_f32_e32 v48, v46, v47
	v_fma_f32 v49, -v45, v48, v46
	v_fmac_f32_e32 v48, v49, v47
	v_fma_f32 v45, -v45, v48, v46
	v_div_fmas_f32 v45, v45, v47, v48
	v_div_fixup_f32 v41, v45, v44, v41
.LBB43_114:                             ;   in Loop: Header=BB43_5 Depth=1
	s_or_b64 exec, exec, s[12:13]
	v_sub_f32_e64 v45, 1.0, |v11|
	v_cmp_ngt_f32_e32 vcc, 0, v45
                                        ; implicit-def: $vgpr44
	s_and_saveexec_b64 s[12:13], vcc
	s_xor_b64 s[12:13], exec, s[12:13]
	s_cbranch_execz .LBB43_118
; %bb.115:                              ;   in Loop: Header=BB43_5 Depth=1
	v_cmp_neq_f32_e32 vcc, 0, v45
	v_mov_b32_e32 v44, v42
	s_and_saveexec_b64 s[46:47], vcc
	s_cbranch_execz .LBB43_117
; %bb.116:                              ;   in Loop: Header=BB43_5 Depth=1
	v_mul_f32_e32 v44, v12, v12
	v_add_f32_e32 v45, v45, v10
	v_div_scale_f32 v46, s[48:49], v45, v45, v44
	v_div_scale_f32 v47, vcc, v44, v45, v44
	v_rcp_f32_e32 v48, v46
	v_fma_f32 v49, -v46, v48, 1.0
	v_fmac_f32_e32 v48, v49, v48
	v_mul_f32_e32 v49, v47, v48
	v_fma_f32 v50, -v46, v49, v47
	v_fmac_f32_e32 v49, v50, v48
	v_fma_f32 v46, -v46, v49, v47
	v_div_fmas_f32 v46, v46, v48, v49
	v_div_fixup_f32 v44, v46, v45, v44
.LBB43_117:                             ;   in Loop: Header=BB43_5 Depth=1
	s_or_b64 exec, exec, s[46:47]
                                        ; implicit-def: $vgpr45
.LBB43_118:                             ;   in Loop: Header=BB43_5 Depth=1
	s_andn2_saveexec_b64 s[12:13], s[12:13]
; %bb.119:                              ;   in Loop: Header=BB43_5 Depth=1
	v_sub_f32_e32 v44, v10, v45
; %bb.120:                              ;   in Loop: Header=BB43_5 Depth=1
	s_or_b64 exec, exec, s[12:13]
	v_mul_f32_e32 v44, 0.5, v44
	v_fmac_f32_e32 v44, 0.5, v41
	v_add_f32_e32 v41, 1.0, v7
	v_mul_f32_e32 v41, v41, v44
	v_mul_f32_e32 v45, 0x4f800000, v41
	v_cmp_gt_f32_e32 vcc, s58, v41
	v_cndmask_b32_e32 v41, v41, v45, vcc
	v_sqrt_f32_e32 v45, v41
	v_add_u32_e32 v46, -1, v45
	v_fma_f32 v47, -v46, v45, v41
	v_cmp_ge_f32_e64 s[12:13], 0, v47
	v_add_u32_e32 v47, 1, v45
	v_cndmask_b32_e64 v46, v45, v46, s[12:13]
	v_fma_f32 v45, -v47, v45, v41
	v_cmp_lt_f32_e64 s[12:13], 0, v45
	v_cndmask_b32_e64 v45, v46, v47, s[12:13]
	v_mul_f32_e32 v46, 0x37800000, v45
	v_cndmask_b32_e32 v45, v45, v46, vcc
	v_cmp_class_f32_e32 vcc, v41, v22
	v_cndmask_b32_e32 v41, v45, v41, vcc
	v_add_f32_e32 v41, v44, v41
	v_add_f32_e32 v46, 1.0, v41
	v_cvt_f64_f32_e32 v[44:45], v46
	v_add_f32_e32 v47, -1.0, v46
	v_frexp_exp_i32_f64_e32 v44, v[44:45]
	v_sub_f32_e32 v45, v47, v46
	v_add_f32_e32 v45, 1.0, v45
	v_sub_f32_e32 v47, v41, v47
	v_add_f32_e32 v45, v47, v45
	v_frexp_mant_f32_e32 v47, v46
	v_cmp_gt_f32_e32 vcc, s64, v47
	v_subbrev_co_u32_e32 v44, vcc, 0, v44, vcc
	v_sub_u32_e32 v47, 0, v44
	v_ldexp_f32 v46, v46, v47
	v_ldexp_f32 v45, v45, v47
	v_add_f32_e32 v47, -1.0, v46
	v_add_f32_e32 v50, 1.0, v46
	v_add_f32_e32 v48, 1.0, v47
	v_add_f32_e32 v51, -1.0, v50
	v_sub_f32_e32 v48, v46, v48
	v_sub_f32_e32 v46, v46, v51
	v_add_f32_e32 v48, v45, v48
	v_add_f32_e32 v45, v45, v46
	;; [unrolled: 1-line block ×3, first 2 shown]
	v_rcp_f32_e32 v51, v46
	v_add_f32_e32 v49, v47, v48
	v_sub_f32_e32 v47, v49, v47
	v_sub_f32_e32 v47, v48, v47
	;; [unrolled: 1-line block ×4, first 2 shown]
	v_mul_f32_e32 v48, v49, v51
	v_mul_f32_e32 v50, v46, v48
	v_fma_f32 v52, v48, v46, -v50
	v_fmac_f32_e32 v52, v48, v45
	v_add_f32_e32 v53, v50, v52
	v_sub_f32_e32 v54, v49, v53
	v_sub_f32_e32 v49, v49, v54
	;; [unrolled: 1-line block ×4, first 2 shown]
	v_add_f32_e32 v47, v47, v49
	v_sub_f32_e32 v49, v50, v52
	v_add_f32_e32 v47, v49, v47
	v_add_f32_e32 v49, v54, v47
	v_mul_f32_e32 v50, v51, v49
	v_mul_f32_e32 v52, v46, v50
	v_fma_f32 v46, v50, v46, -v52
	v_fmac_f32_e32 v46, v50, v45
	v_sub_f32_e32 v45, v54, v49
	v_add_f32_e32 v45, v47, v45
	v_add_f32_e32 v47, v52, v46
	v_sub_f32_e32 v53, v49, v47
	v_sub_f32_e32 v49, v49, v53
	;; [unrolled: 1-line block ×4, first 2 shown]
	v_add_f32_e32 v45, v45, v47
	v_sub_f32_e32 v46, v52, v46
	v_cvt_f32_i32_e32 v44, v44
	v_add_f32_e32 v45, v46, v45
	v_add_f32_e32 v46, v48, v50
	;; [unrolled: 1-line block ×3, first 2 shown]
	v_sub_f32_e32 v47, v46, v48
	v_mul_f32_e32 v45, v51, v45
	v_sub_f32_e32 v47, v50, v47
	v_add_f32_e32 v45, v47, v45
	v_mul_f32_e32 v50, 0x3f317218, v44
	v_add_f32_e32 v47, v46, v45
	v_fma_f32 v51, v44, s65, -v50
	v_mul_f32_e32 v48, v47, v47
	v_mov_b32_e32 v49, 0x3ecc95a3
	v_fmac_f32_e32 v51, 0xb102e308, v44
	v_sub_f32_e32 v44, v47, v46
	v_fmac_f32_e32 v49, 0x3e9b6dac, v48
	v_sub_f32_e32 v44, v45, v44
	v_add_f32_e32 v45, v50, v51
	v_fma_f32 v49, v48, v49, v23
	v_sub_f32_e32 v46, v45, v50
	v_ldexp_f32 v50, v47, 1
	v_mul_f32_e32 v47, v47, v48
	v_mul_f32_e32 v47, v47, v49
	v_add_f32_e32 v48, v50, v47
	v_sub_f32_e32 v49, v48, v50
	v_ldexp_f32 v44, v44, 1
	v_sub_f32_e32 v47, v47, v49
	v_add_f32_e32 v44, v44, v47
	v_add_f32_e32 v47, v48, v44
	v_sub_f32_e32 v48, v47, v48
	v_sub_f32_e32 v44, v44, v48
	v_add_f32_e32 v48, v45, v47
	v_sub_f32_e32 v49, v48, v45
	v_sub_f32_e32 v50, v48, v49
	;; [unrolled: 1-line block ×5, first 2 shown]
	v_add_f32_e32 v45, v47, v45
	v_add_f32_e32 v47, v46, v44
	v_sub_f32_e32 v49, v47, v46
	v_sub_f32_e32 v50, v47, v49
	;; [unrolled: 1-line block ×4, first 2 shown]
	v_add_f32_e32 v45, v47, v45
	v_add_f32_e32 v44, v44, v46
	;; [unrolled: 1-line block ×3, first 2 shown]
	v_sub_f32_e32 v47, v46, v48
	v_sub_f32_e32 v45, v45, v47
	v_add_f32_e32 v44, v44, v45
	v_add_f32_e32 v44, v46, v44
	v_cmp_neq_f32_e32 vcc, s56, v41
	v_cndmask_b32_e32 v44, v34, v44, vcc
	v_cmp_ngt_f32_e32 vcc, -1.0, v41
	v_cndmask_b32_e32 v44, v36, v44, vcc
	v_cmp_neq_f32_e32 vcc, -1.0, v41
	v_cndmask_b32_e32 v44, v37, v44, vcc
	v_cmp_lt_f32_e64 vcc, |v41|, s66
	v_cndmask_b32_e32 v41, v44, v41, vcc
.LBB43_121:                             ;   in Loop: Header=BB43_5 Depth=1
	s_andn2_saveexec_b64 s[44:45], s[44:45]
	s_cbranch_execz .LBB43_127
; %bb.122:                              ;   in Loop: Header=BB43_5 Depth=1
	v_cmp_nlt_f32_e64 s[12:13], |v11|, 1.0
                                        ; implicit-def: $vgpr41
	s_and_saveexec_b64 s[46:47], s[12:13]
	s_xor_b64 s[46:47], exec, s[46:47]
	s_cbranch_execz .LBB43_124
; %bb.123:                              ;   in Loop: Header=BB43_5 Depth=1
	v_mul_f32_e32 v41, v8, v9
	v_mul_f32_e32 v44, 0x4f800000, v41
	v_cmp_gt_f32_e32 vcc, s58, v41
	v_cndmask_b32_e32 v41, v41, v44, vcc
	v_sqrt_f32_e32 v44, v41
	v_add_u32_e32 v45, -1, v44
	v_fma_f32 v47, -v45, v44, v41
	v_add_u32_e32 v46, 1, v44
	v_cmp_ge_f32_e64 s[12:13], 0, v47
	v_cndmask_b32_e64 v45, v44, v45, s[12:13]
	v_fma_f32 v44, -v46, v44, v41
	v_cmp_lt_f32_e64 s[12:13], 0, v44
	v_cndmask_b32_e64 v44, v45, v46, s[12:13]
	v_mul_f32_e32 v45, 0x37800000, v44
	v_cndmask_b32_e32 v44, v44, v45, vcc
	v_cmp_class_f32_e32 vcc, v41, v22
	v_cndmask_b32_e32 v41, v44, v41, vcc
	v_add_f32_e32 v41, v8, v41
	v_add_f32_e32 v46, 1.0, v41
	v_cvt_f64_f32_e32 v[44:45], v46
	v_add_f32_e32 v47, -1.0, v46
	v_frexp_exp_i32_f64_e32 v44, v[44:45]
	v_sub_f32_e32 v45, v47, v46
	v_add_f32_e32 v45, 1.0, v45
	v_sub_f32_e32 v47, v41, v47
	v_add_f32_e32 v45, v47, v45
	v_frexp_mant_f32_e32 v47, v46
	v_cmp_gt_f32_e32 vcc, s64, v47
	v_subbrev_co_u32_e32 v44, vcc, 0, v44, vcc
	v_sub_u32_e32 v47, 0, v44
	v_ldexp_f32 v46, v46, v47
	v_ldexp_f32 v45, v45, v47
	v_add_f32_e32 v47, -1.0, v46
	v_add_f32_e32 v50, 1.0, v46
	v_add_f32_e32 v48, 1.0, v47
	v_add_f32_e32 v51, -1.0, v50
	v_sub_f32_e32 v48, v46, v48
	v_sub_f32_e32 v46, v46, v51
	v_add_f32_e32 v48, v45, v48
	v_add_f32_e32 v45, v45, v46
	;; [unrolled: 1-line block ×3, first 2 shown]
	v_rcp_f32_e32 v51, v46
	v_add_f32_e32 v49, v47, v48
	v_sub_f32_e32 v47, v49, v47
	v_sub_f32_e32 v47, v48, v47
	;; [unrolled: 1-line block ×4, first 2 shown]
	v_mul_f32_e32 v48, v49, v51
	v_mul_f32_e32 v50, v46, v48
	v_fma_f32 v52, v48, v46, -v50
	v_fmac_f32_e32 v52, v48, v45
	v_add_f32_e32 v53, v50, v52
	v_sub_f32_e32 v54, v49, v53
	v_sub_f32_e32 v49, v49, v54
	;; [unrolled: 1-line block ×4, first 2 shown]
	v_add_f32_e32 v47, v47, v49
	v_sub_f32_e32 v49, v50, v52
	v_add_f32_e32 v47, v49, v47
	v_add_f32_e32 v49, v54, v47
	v_mul_f32_e32 v50, v51, v49
	v_mul_f32_e32 v52, v46, v50
	v_fma_f32 v46, v50, v46, -v52
	v_fmac_f32_e32 v46, v50, v45
	v_sub_f32_e32 v45, v54, v49
	v_add_f32_e32 v45, v47, v45
	v_add_f32_e32 v47, v52, v46
	v_sub_f32_e32 v53, v49, v47
	v_sub_f32_e32 v49, v49, v53
	;; [unrolled: 1-line block ×4, first 2 shown]
	v_add_f32_e32 v45, v45, v47
	v_sub_f32_e32 v46, v52, v46
	v_cvt_f32_i32_e32 v44, v44
	v_add_f32_e32 v45, v46, v45
	v_add_f32_e32 v46, v48, v50
	;; [unrolled: 1-line block ×3, first 2 shown]
	v_sub_f32_e32 v47, v46, v48
	v_mul_f32_e32 v45, v51, v45
	v_sub_f32_e32 v47, v50, v47
	v_add_f32_e32 v45, v47, v45
	v_mul_f32_e32 v50, 0x3f317218, v44
	v_add_f32_e32 v47, v46, v45
	v_fma_f32 v51, v44, s65, -v50
	v_mul_f32_e32 v48, v47, v47
	v_mov_b32_e32 v49, 0x3ecc95a3
	v_fmac_f32_e32 v51, 0xb102e308, v44
	v_sub_f32_e32 v44, v47, v46
	v_fmac_f32_e32 v49, 0x3e9b6dac, v48
	v_sub_f32_e32 v44, v45, v44
	v_add_f32_e32 v45, v50, v51
	v_fma_f32 v49, v48, v49, v23
	v_sub_f32_e32 v46, v45, v50
	v_ldexp_f32 v50, v47, 1
	v_mul_f32_e32 v47, v47, v48
	v_mul_f32_e32 v47, v47, v49
	v_add_f32_e32 v48, v50, v47
	v_sub_f32_e32 v49, v48, v50
	v_ldexp_f32 v44, v44, 1
	v_sub_f32_e32 v47, v47, v49
	v_add_f32_e32 v44, v44, v47
	v_add_f32_e32 v47, v48, v44
	v_sub_f32_e32 v48, v47, v48
	v_sub_f32_e32 v44, v44, v48
	v_add_f32_e32 v48, v45, v47
	v_sub_f32_e32 v49, v48, v45
	v_sub_f32_e32 v50, v48, v49
	;; [unrolled: 1-line block ×5, first 2 shown]
	v_add_f32_e32 v45, v47, v45
	v_add_f32_e32 v47, v46, v44
	v_sub_f32_e32 v49, v47, v46
	v_sub_f32_e32 v50, v47, v49
	;; [unrolled: 1-line block ×4, first 2 shown]
	v_add_f32_e32 v45, v47, v45
	v_add_f32_e32 v44, v44, v46
	v_add_f32_e32 v46, v48, v45
	v_sub_f32_e32 v47, v46, v48
	v_sub_f32_e32 v45, v45, v47
	v_add_f32_e32 v44, v44, v45
	v_add_f32_e32 v44, v46, v44
	v_cmp_neq_f32_e32 vcc, s56, v41
	v_cndmask_b32_e32 v44, v34, v44, vcc
	v_cmp_ngt_f32_e32 vcc, -1.0, v41
	v_cndmask_b32_e32 v44, v36, v44, vcc
	v_cmp_neq_f32_e32 vcc, -1.0, v41
	v_cndmask_b32_e32 v44, v37, v44, vcc
	v_cmp_lt_f32_e64 vcc, |v41|, s66
	v_cndmask_b32_e32 v41, v44, v41, vcc
.LBB43_124:                             ;   in Loop: Header=BB43_5 Depth=1
	s_andn2_saveexec_b64 s[46:47], s[46:47]
	s_cbranch_execz .LBB43_126
; %bb.125:                              ;   in Loop: Header=BB43_5 Depth=1
	v_sub_f32_e64 v41, 1.0, |v11|
	v_mul_f32_e32 v41, v41, v9
	v_mul_f32_e32 v44, 0x4f800000, v41
	v_cmp_gt_f32_e32 vcc, s58, v41
	v_cndmask_b32_e32 v41, v41, v44, vcc
	v_sqrt_f32_e32 v44, v41
	v_add_u32_e32 v45, -1, v44
	v_fma_f32 v47, -v45, v44, v41
	v_add_u32_e32 v46, 1, v44
	v_cmp_ge_f32_e64 s[12:13], 0, v47
	v_cndmask_b32_e64 v45, v44, v45, s[12:13]
	v_fma_f32 v44, -v46, v44, v41
	v_cmp_lt_f32_e64 s[12:13], 0, v44
	v_cndmask_b32_e64 v44, v45, v46, s[12:13]
	v_mul_f32_e32 v45, 0x37800000, v44
	v_cndmask_b32_e32 v44, v44, v45, vcc
	v_cmp_class_f32_e32 vcc, v41, v22
	v_cndmask_b32_e32 v41, v44, v41, vcc
	v_and_b32_e32 v44, 0x7fffffff, v12
	v_div_scale_f32 v45, s[12:13], v41, v41, v44
	v_div_scale_f32 v44, vcc, v44, v41, v44
	v_rcp_f32_e32 v46, v45
	v_fma_f32 v47, -v45, v46, 1.0
	v_fmac_f32_e32 v46, v47, v46
	v_mul_f32_e32 v47, v44, v46
	v_fma_f32 v48, -v45, v47, v44
	v_fmac_f32_e32 v47, v48, v46
	v_fma_f32 v44, -v45, v47, v44
	v_div_fmas_f32 v44, v44, v46, v47
	v_div_fixup_f32 v41, v44, v41, |v12|
.LBB43_126:                             ;   in Loop: Header=BB43_5 Depth=1
	s_or_b64 exec, exec, s[46:47]
.LBB43_127:                             ;   in Loop: Header=BB43_5 Depth=1
	s_or_b64 exec, exec, s[44:45]
.LBB43_128:                             ;   in Loop: Header=BB43_5 Depth=1
	s_andn2_saveexec_b64 s[42:43], s[42:43]
	s_cbranch_execz .LBB43_130
; %bb.129:                              ;   in Loop: Header=BB43_5 Depth=1
	v_mul_f32_e64 v41, |v12|, s59
	v_cmp_lt_f32_e64 vcc, |v12|, s58
	v_cndmask_b32_e64 v41, |v12|, v41, vcc
	v_sqrt_f32_e32 v44, v41
	v_add_u32_e32 v45, -1, v44
	v_fma_f32 v47, -v45, v44, v41
	v_add_u32_e32 v46, 1, v44
	v_cmp_ge_f32_e64 s[12:13], 0, v47
	v_cndmask_b32_e64 v45, v44, v45, s[12:13]
	v_fma_f32 v44, -v46, v44, v41
	v_cmp_lt_f32_e64 s[12:13], 0, v44
	v_cndmask_b32_e64 v44, v45, v46, s[12:13]
	v_mul_f32_e32 v45, 0x37800000, v44
	v_cndmask_b32_e32 v44, v44, v45, vcc
	v_cmp_class_f32_e32 vcc, v41, v22
	v_cndmask_b32_e32 v41, v44, v41, vcc
.LBB43_130:                             ;   in Loop: Header=BB43_5 Depth=1
	s_or_b64 exec, exec, s[42:43]
.LBB43_131:                             ;   in Loop: Header=BB43_5 Depth=1
	s_or_b64 exec, exec, s[40:41]
	v_cmp_nlt_f32_e64 s[40:41], |v11|, s67
                                        ; implicit-def: $sgpr12_sgpr13
                                        ; implicit-def: $vgpr44
                                        ; implicit-def: $vgpr46
                                        ; implicit-def: $vgpr45
	s_and_saveexec_b64 s[42:43], s[40:41]
	s_xor_b64 s[40:41], exec, s[42:43]
	s_cbranch_execz .LBB43_155
; %bb.132:                              ;   in Loop: Header=BB43_5 Depth=1
	v_and_b32_e32 v45, 0x7fffffff, v11
	v_div_scale_f32 v44, s[12:13], v7, v7, v45
	v_div_scale_f32 v46, vcc, v45, v7, v45
	s_mov_b64 s[12:13], 0
	v_rcp_f32_e32 v47, v44
	v_fma_f32 v48, -v44, v47, 1.0
	v_fmac_f32_e32 v47, v48, v47
	v_mul_f32_e32 v48, v46, v47
	v_fma_f32 v49, -v44, v48, v46
	v_fmac_f32_e32 v48, v49, v47
	v_fma_f32 v44, -v44, v48, v46
	v_div_fmas_f32 v44, v44, v47, v48
                                        ; implicit-def: $vgpr46
	v_div_fixup_f32 v44, v44, v7, |v11|
	v_cmp_lt_f32_e32 vcc, s68, v44
	s_and_saveexec_b64 s[42:43], vcc
	s_cbranch_execz .LBB43_154
; %bb.133:                              ;   in Loop: Header=BB43_5 Depth=1
	v_cmp_neq_f32_e64 s[12:13], |v11|, 1.0
	v_cmp_nlt_f32_e64 s[44:45], |v12|, s69
	s_or_b64 s[12:13], s[12:13], s[44:45]
                                        ; implicit-def: $vgpr46
	s_and_saveexec_b64 s[44:45], s[12:13]
	s_xor_b64 s[44:45], exec, s[44:45]
	s_cbranch_execz .LBB43_151
; %bb.134:                              ;   in Loop: Header=BB43_5 Depth=1
	v_mul_f32_e64 v46, |v8|, s63
	v_cmp_ge_f32_e64 s[12:13], |v12|, v46
                                        ; implicit-def: $vgpr46
	s_and_saveexec_b64 s[46:47], s[12:13]
	s_xor_b64 s[46:47], exec, s[46:47]
	s_cbranch_execz .LBB43_144
; %bb.135:                              ;   in Loop: Header=BB43_5 Depth=1
	v_cmp_neq_f32_e32 vcc, 0, v9
	v_mov_b32_e32 v46, v42
	s_and_saveexec_b64 s[12:13], vcc
	s_cbranch_execz .LBB43_137
; %bb.136:                              ;   in Loop: Header=BB43_5 Depth=1
	v_mul_f32_e32 v46, v12, v12
	v_add_f32_e32 v9, v9, v43
	v_div_scale_f32 v43, s[48:49], v9, v9, v46
	v_div_scale_f32 v47, vcc, v46, v9, v46
	v_rcp_f32_e32 v48, v43
	v_fma_f32 v49, -v43, v48, 1.0
	v_fmac_f32_e32 v48, v49, v48
	v_mul_f32_e32 v49, v47, v48
	v_fma_f32 v50, -v43, v49, v47
	v_fmac_f32_e32 v49, v50, v48
	v_fma_f32 v43, -v43, v49, v47
	v_div_fmas_f32 v43, v43, v48, v49
	v_div_fixup_f32 v46, v43, v9, v46
.LBB43_137:                             ;   in Loop: Header=BB43_5 Depth=1
	s_or_b64 exec, exec, s[12:13]
	v_cmp_ngt_f32_e32 vcc, 0, v8
	s_and_saveexec_b64 s[12:13], vcc
	s_xor_b64 s[12:13], exec, s[12:13]
	s_cbranch_execz .LBB43_141
; %bb.138:                              ;   in Loop: Header=BB43_5 Depth=1
	v_cmp_neq_f32_e32 vcc, 0, v8
	s_and_saveexec_b64 s[48:49], vcc
	s_cbranch_execz .LBB43_140
; %bb.139:                              ;   in Loop: Header=BB43_5 Depth=1
	v_mul_f32_e32 v9, v12, v12
	v_add_f32_e32 v8, v8, v10
	v_div_scale_f32 v10, s[78:79], v8, v8, v9
	v_div_scale_f32 v12, vcc, v9, v8, v9
	v_rcp_f32_e32 v42, v10
	v_fma_f32 v43, -v10, v42, 1.0
	v_fmac_f32_e32 v42, v43, v42
	v_mul_f32_e32 v43, v12, v42
	v_fma_f32 v47, -v10, v43, v12
	v_fmac_f32_e32 v43, v47, v42
	v_fma_f32 v10, -v10, v43, v12
	v_div_fmas_f32 v10, v10, v42, v43
	v_div_fixup_f32 v42, v10, v8, v9
.LBB43_140:                             ;   in Loop: Header=BB43_5 Depth=1
	s_or_b64 exec, exec, s[48:49]
                                        ; implicit-def: $vgpr10
                                        ; implicit-def: $vgpr8
.LBB43_141:                             ;   in Loop: Header=BB43_5 Depth=1
	s_andn2_saveexec_b64 s[12:13], s[12:13]
; %bb.142:                              ;   in Loop: Header=BB43_5 Depth=1
	v_sub_f32_e32 v42, v10, v8
; %bb.143:                              ;   in Loop: Header=BB43_5 Depth=1
	s_or_b64 exec, exec, s[12:13]
	v_mul_f32_e32 v8, 0.5, v42
	v_fmac_f32_e32 v8, 0.5, v46
	v_add_f32_e64 v7, |v11|, v7
	v_mul_f32_e32 v7, v7, v8
	v_mul_f32_e32 v8, 0x4f800000, v7
	v_cmp_gt_f32_e32 vcc, s58, v7
	v_cndmask_b32_e32 v7, v7, v8, vcc
	v_sqrt_f32_e32 v8, v7
	v_add_u32_e32 v9, -1, v8
	v_fma_f32 v10, -v9, v8, v7
	v_cmp_ge_f32_e64 s[12:13], 0, v10
	v_add_u32_e32 v10, 1, v8
	v_cndmask_b32_e64 v9, v8, v9, s[12:13]
	v_fma_f32 v8, -v10, v8, v7
	v_cmp_lt_f32_e64 s[12:13], 0, v8
	v_cndmask_b32_e64 v8, v9, v10, s[12:13]
	v_mul_f32_e32 v9, 0x37800000, v8
	v_cndmask_b32_e32 v8, v8, v9, vcc
	v_cmp_class_f32_e32 vcc, v7, v22
	v_cndmask_b32_e32 v46, v8, v7, vcc
                                        ; implicit-def: $vgpr9_vgpr10_vgpr11_vgpr12
                                        ; implicit-def: $vgpr9
                                        ; implicit-def: $vgpr8
.LBB43_144:                             ;   in Loop: Header=BB43_5 Depth=1
	s_andn2_saveexec_b64 s[46:47], s[46:47]
	s_cbranch_execz .LBB43_150
; %bb.145:                              ;   in Loop: Header=BB43_5 Depth=1
	v_cmp_ngt_f32_e64 s[12:13], |v11|, 1.0
                                        ; implicit-def: $vgpr46
	s_and_saveexec_b64 s[48:49], s[12:13]
	s_xor_b64 s[48:49], exec, s[48:49]
	s_cbranch_execz .LBB43_147
; %bb.146:                              ;   in Loop: Header=BB43_5 Depth=1
	v_sub_f32_e64 v7, 1.0, |v11|
	v_mul_f32_e32 v7, v7, v9
	v_mul_f32_e32 v8, 0x4f800000, v7
	v_cmp_gt_f32_e32 vcc, s58, v7
	v_cndmask_b32_e32 v7, v7, v8, vcc
	v_sqrt_f32_e32 v8, v7
	v_add_u32_e32 v9, -1, v8
	v_fma_f32 v11, -v9, v8, v7
	v_add_u32_e32 v10, 1, v8
	v_cmp_ge_f32_e64 s[12:13], 0, v11
	v_cndmask_b32_e64 v9, v8, v9, s[12:13]
	v_fma_f32 v8, -v10, v8, v7
	v_cmp_lt_f32_e64 s[12:13], 0, v8
	v_cndmask_b32_e64 v8, v9, v10, s[12:13]
	v_mul_f32_e32 v9, 0x37800000, v8
	v_cndmask_b32_e32 v8, v8, v9, vcc
	v_cmp_class_f32_e32 vcc, v7, v22
	v_cndmask_b32_e32 v46, v8, v7, vcc
                                        ; implicit-def: $vgpr9_vgpr10_vgpr11_vgpr12
                                        ; implicit-def: $vgpr9
                                        ; implicit-def: $vgpr8
.LBB43_147:                             ;   in Loop: Header=BB43_5 Depth=1
	s_andn2_saveexec_b64 s[48:49], s[48:49]
	s_cbranch_execz .LBB43_149
; %bb.148:                              ;   in Loop: Header=BB43_5 Depth=1
	v_mul_f32_e32 v7, v9, v8
	v_mul_f32_e32 v8, 0x4f800000, v7
	v_cmp_gt_f32_e32 vcc, s58, v7
	v_cndmask_b32_e32 v7, v7, v8, vcc
	v_sqrt_f32_e32 v8, v7
	v_mul_f32_e64 v9, |v12|, s70
	v_mul_f32_e64 v9, |v11|, v9
	;; [unrolled: 1-line block ×3, first 2 shown]
	v_add_u32_e32 v10, -1, v8
	v_fma_f32 v12, -v10, v8, v7
	v_cmp_ge_f32_e64 s[12:13], 0, v12
	v_add_u32_e32 v12, 1, v8
	v_cndmask_b32_e64 v10, v8, v10, s[12:13]
	v_fma_f32 v8, -v12, v8, v7
	v_cmp_lt_f32_e64 s[12:13], 0, v8
	v_cndmask_b32_e64 v8, v10, v12, s[12:13]
	v_mul_f32_e32 v10, 0x37800000, v8
	v_cndmask_b32_e32 v8, v8, v10, vcc
	v_cmp_class_f32_e32 vcc, v7, v22
	v_cndmask_b32_e32 v7, v8, v7, vcc
	v_div_scale_f32 v8, s[12:13], v7, v7, v9
	v_div_scale_f32 v10, vcc, v9, v7, v9
	v_rcp_f32_e32 v12, v8
	v_fma_f32 v42, -v8, v12, 1.0
	v_fmac_f32_e32 v12, v42, v12
	v_mul_f32_e32 v42, v10, v12
	v_fma_f32 v43, -v8, v42, v10
	v_fmac_f32_e32 v42, v43, v12
	v_fma_f32 v8, -v8, v42, v10
	v_div_fmas_f32 v8, v8, v12, v42
	v_div_fixup_f32 v46, v8, v7, v9
.LBB43_149:                             ;   in Loop: Header=BB43_5 Depth=1
	s_or_b64 exec, exec, s[48:49]
.LBB43_150:                             ;   in Loop: Header=BB43_5 Depth=1
	s_or_b64 exec, exec, s[46:47]
                                        ; implicit-def: $vgpr9_vgpr10_vgpr11_vgpr12
                                        ; implicit-def: $vgpr7
.LBB43_151:                             ;   in Loop: Header=BB43_5 Depth=1
	s_andn2_saveexec_b64 s[44:45], s[44:45]
	s_cbranch_execz .LBB43_153
; %bb.152:                              ;   in Loop: Header=BB43_5 Depth=1
	v_mul_f32_e64 v8, |v12|, s59
	v_cmp_lt_f32_e64 vcc, |v12|, s58
	v_cndmask_b32_e64 v8, |v12|, v8, vcc
	v_sqrt_f32_e32 v9, v8
	v_add_f32_e32 v7, 1.0, v7
	v_mul_f32_e32 v7, 0.5, v7
	v_mov_b32_e32 v45, 1.0
	v_add_u32_e32 v10, -1, v9
	v_fma_f32 v12, -v10, v9, v8
	v_add_u32_e32 v11, 1, v9
	v_cmp_ge_f32_e64 s[12:13], 0, v12
	v_cndmask_b32_e64 v10, v9, v10, s[12:13]
	v_fma_f32 v9, -v11, v9, v8
	v_cmp_lt_f32_e64 s[12:13], 0, v9
	v_cndmask_b32_e64 v9, v10, v11, s[12:13]
	v_mul_f32_e32 v10, 0x37800000, v9
	v_cndmask_b32_e32 v9, v9, v10, vcc
	v_mul_f32_e32 v10, 0x4f800000, v7
	v_cmp_gt_f32_e32 vcc, s58, v7
	v_cndmask_b32_e32 v7, v7, v10, vcc
	v_sqrt_f32_e32 v10, v7
	v_cmp_class_f32_e64 s[12:13], v8, v22
	v_cndmask_b32_e64 v8, v9, v8, s[12:13]
	v_add_u32_e32 v9, -1, v10
	v_fma_f32 v11, -v9, v10, v7
	v_cmp_ge_f32_e64 s[12:13], 0, v11
	v_add_u32_e32 v11, 1, v10
	v_cndmask_b32_e64 v9, v10, v9, s[12:13]
	v_fma_f32 v10, -v11, v10, v7
	v_cmp_lt_f32_e64 s[12:13], 0, v10
	v_cndmask_b32_e64 v9, v9, v11, s[12:13]
	v_mul_f32_e32 v10, 0x37800000, v9
	v_cndmask_b32_e32 v9, v9, v10, vcc
	v_cmp_class_f32_e32 vcc, v7, v22
	v_cndmask_b32_e32 v7, v9, v7, vcc
	v_mul_f32_e32 v46, v8, v7
.LBB43_153:                             ;   in Loop: Header=BB43_5 Depth=1
	s_or_b64 exec, exec, s[44:45]
	s_mov_b64 s[12:13], exec
.LBB43_154:                             ;   in Loop: Header=BB43_5 Depth=1
	s_or_b64 exec, exec, s[42:43]
                                        ; implicit-def: $vgpr7
                                        ; implicit-def: $vgpr9_vgpr10_vgpr11_vgpr12
.LBB43_155:                             ;   in Loop: Header=BB43_5 Depth=1
	s_andn2_saveexec_b64 s[40:41], s[40:41]
; %bb.156:                              ;   in Loop: Header=BB43_5 Depth=1
	v_mul_f32_e32 v46, 0x4b800000, v7
	v_mul_f32_e64 v45, |v11|, s71
	s_or_b64 s[12:13], s[12:13], exec
                                        ; implicit-def: $vgpr44
; %bb.157:                              ;   in Loop: Header=BB43_5 Depth=1
	s_or_b64 exec, exec, s[40:41]
	s_xor_b64 s[12:13], s[12:13], -1
	s_and_saveexec_b64 s[40:41], s[12:13]
	s_xor_b64 s[40:41], exec, s[40:41]
	s_cbranch_execz .LBB43_163
; %bb.158:                              ;   in Loop: Header=BB43_5 Depth=1
	s_and_saveexec_b64 s[12:13], s[10:11]
	s_xor_b64 s[12:13], exec, s[12:13]
	s_cbranch_execz .LBB43_160
; %bb.159:                              ;   in Loop: Header=BB43_5 Depth=1
	v_fma_f32 v7, |v44|, -0.5, 0.5
	v_mul_f32_e32 v8, v44, v44
	v_cmp_gt_f32_e64 vcc, |v44|, 0.5
	v_cndmask_b32_e32 v7, v8, v7, vcc
	v_mov_b32_e32 v8, 0x3c5fc5da
	v_fmac_f32_e32 v8, 0x3d1c21a7, v7
	v_fma_f32 v8, v7, v8, v24
	v_fma_f32 v8, v7, v8, v25
	v_sqrt_f32_e32 v9, v7
	v_fma_f32 v8, v7, v8, v26
	v_fma_f32 v8, v7, v8, v27
	v_mul_f32_e32 v7, v7, v8
	v_fmac_f32_e32 v9, v9, v7
	v_fmac_f32_e32 v44, v44, v7
	v_add_f32_e32 v8, v9, v9
	v_sub_f32_e32 v7, 0x3fc90fdb, v44
	v_cndmask_b32_e32 v7, v7, v8, vcc
                                        ; implicit-def: $vgpr44
.LBB43_160:                             ;   in Loop: Header=BB43_5 Depth=1
	s_andn2_saveexec_b64 s[42:43], s[12:13]
	s_cbranch_execz .LBB43_162
; %bb.161:                              ;   in Loop: Header=BB43_5 Depth=1
	v_fma_f32 v7, |v44|, -0.5, 0.5
	v_mul_f32_e32 v8, v44, v44
	v_cmp_gt_f32_e64 vcc, |v44|, 0.5
	v_cndmask_b32_e32 v7, v8, v7, vcc
	v_mov_b32_e32 v8, 0x3c5fc5da
	v_fmac_f32_e32 v8, 0x3d1c21a7, v7
	v_fma_f32 v8, v7, v8, v24
	v_fma_f32 v8, v7, v8, v25
	v_sqrt_f32_e32 v9, v7
	v_fma_f32 v8, v7, v8, v26
	v_fma_f32 v8, v7, v8, v27
	v_mul_f32_e32 v7, v7, v8
	v_fmac_f32_e32 v9, v9, v7
	v_add_f32_e32 v8, v9, v9
	v_sub_f32_e32 v9, 0x40490fdb, v8
	v_cmp_lt_f32_e64 s[12:13], 0, v44
	v_fma_f32 v7, -v44, v7, -v44
	v_cndmask_b32_e64 v8, v8, v9, s[12:13]
	v_sub_f32_e32 v7, 0x3fc90fdb, v7
	v_cndmask_b32_e32 v7, v7, v8, vcc
.LBB43_162:                             ;   in Loop: Header=BB43_5 Depth=1
	s_or_b64 exec, exec, s[42:43]
                                        ; implicit-def: $vgpr45
                                        ; implicit-def: $vgpr46
.LBB43_163:                             ;   in Loop: Header=BB43_5 Depth=1
	s_andn2_saveexec_b64 s[12:13], s[40:41]
	s_cbranch_execz .LBB43_169
; %bb.164:                              ;   in Loop: Header=BB43_5 Depth=1
	v_max_f32_e64 v7, |v46|, |v46|
	v_max_f32_e32 v8, v45, v45
	v_min_f32_e32 v9, v8, v7
	v_max_f32_e32 v7, v8, v7
	v_frexp_mant_f32_e32 v8, v7
	v_rcp_f32_e32 v8, v8
	v_frexp_exp_i32_f32_e32 v7, v7
	v_frexp_exp_i32_f32_e32 v10, v9
	v_frexp_mant_f32_e32 v9, v9
	v_mul_f32_e32 v8, v9, v8
	v_sub_u32_e32 v7, v10, v7
	v_ldexp_f32 v7, v8, v7
	v_mul_f32_e32 v8, v7, v7
	v_mov_b32_e32 v9, 0xbc7a590c
	v_fmac_f32_e32 v9, 0x3b2d2a58, v8
	v_fma_f32 v9, v8, v9, v28
	v_fma_f32 v9, v8, v9, v29
	;; [unrolled: 1-line block ×6, first 2 shown]
	v_mul_f32_e32 v8, v8, v9
	v_fmac_f32_e32 v7, v7, v8
	v_sub_f32_e32 v8, 0x3fc90fdb, v7
	v_cmp_gt_f32_e64 vcc, |v46|, v45
	v_cndmask_b32_e32 v8, v7, v8, vcc
	s_and_saveexec_b64 s[40:41], s[10:11]
	s_xor_b64 s[10:11], exec, s[40:41]
; %bb.165:                              ;   in Loop: Header=BB43_5 Depth=1
	v_cmp_neq_f32_e32 vcc, 0, v46
	v_cndmask_b32_e32 v7, 0, v8, vcc
	v_cmp_eq_f32_e32 vcc, s56, v45
	v_cmp_class_f32_e64 s[40:41], v46, s72
	s_and_b64 vcc, vcc, s[40:41]
	v_cndmask_b32_e32 v7, v7, v38, vcc
	v_cmp_o_f32_e32 vcc, v46, v46
	v_cndmask_b32_e32 v7, v36, v7, vcc
	v_bfi_b32 v7, s55, v7, v46
                                        ; implicit-def: $vgpr8
                                        ; implicit-def: $vgpr45
                                        ; implicit-def: $vgpr46
; %bb.166:                              ;   in Loop: Header=BB43_5 Depth=1
	s_andn2_saveexec_b64 s[10:11], s[10:11]
	s_cbranch_execz .LBB43_168
; %bb.167:                              ;   in Loop: Header=BB43_5 Depth=1
	v_sub_f32_e32 v7, 0x40490fdb, v8
	v_cmp_lt_f32_e32 vcc, 0, v45
	v_cndmask_b32_e32 v7, v8, v7, vcc
	v_cmp_neq_f32_e32 vcc, 0, v46
	v_cndmask_b32_e32 v7, v39, v7, vcc
	v_cmp_eq_f32_e32 vcc, s56, v45
	v_cmp_class_f32_e64 s[40:41], v46, s72
	s_and_b64 vcc, vcc, s[40:41]
	v_cndmask_b32_e32 v7, v7, v40, vcc
	v_cmp_o_f32_e32 vcc, v46, v46
	v_cndmask_b32_e32 v7, v36, v7, vcc
	v_bfi_b32 v7, s55, v7, v46
.LBB43_168:                             ;   in Loop: Header=BB43_5 Depth=1
	s_or_b64 exec, exec, s[10:11]
.LBB43_169:                             ;   in Loop: Header=BB43_5 Depth=1
	s_or_b64 exec, exec, s[12:13]
	v_cndmask_b32_e64 v8, -v41, v41, s[6:7]
                                        ; implicit-def: $vgpr9_vgpr10_vgpr11_vgpr12
.LBB43_170:                             ;   in Loop: Header=BB43_5 Depth=1
	s_andn2_saveexec_b64 s[10:11], s[38:39]
	s_cbranch_execz .LBB43_172
; %bb.171:                              ;   in Loop: Header=BB43_5 Depth=1
	v_mov_b32_e32 v9, s20
	v_mov_b32_e32 v10, s21
	s_waitcnt lgkmcnt(0)
	flat_load_dword v7, v[9:10] glc
	s_waitcnt vmcnt(0) lgkmcnt(0)
	v_sub_f32_e32 v7, v7, v11
	v_add_f32_e32 v7, 0x3fc90fdb, v7
.LBB43_172:                             ;   in Loop: Header=BB43_5 Depth=1
	s_or_b64 exec, exec, s[10:11]
.LBB43_173:                             ;   in Loop: Header=BB43_5 Depth=1
	s_andn2_saveexec_b64 s[10:11], s[36:37]
	s_cbranch_execz .LBB43_175
; %bb.174:                              ;   in Loop: Header=BB43_5 Depth=1
	s_waitcnt lgkmcnt(0)
	v_mov_b32_e32 v7, 0
.LBB43_175:                             ;   in Loop: Header=BB43_5 Depth=1
	s_or_b64 exec, exec, s[10:11]
                                        ; implicit-def: $vgpr9_vgpr10_vgpr11_vgpr12
                                        ; implicit-def: $vgpr41
                                        ; implicit-def: $vgpr10
                                        ; implicit-def: $vgpr9
.LBB43_176:                             ;   in Loop: Header=BB43_5 Depth=1
	s_andn2_saveexec_b64 s[34:35], s[34:35]
	s_cbranch_execz .LBB43_186
; %bb.177:                              ;   in Loop: Header=BB43_5 Depth=1
	v_cmp_lt_f32_e64 s[10:11], |v11|, |v12|
	v_cndmask_b32_e64 v42, |v11|, |v12|, s[10:11]
	v_cmp_nlt_f32_e32 vcc, s73, v42
                                        ; implicit-def: $vgpr8
                                        ; implicit-def: $vgpr7
	s_and_saveexec_b64 s[12:13], vcc
	s_xor_b64 s[36:37], exec, s[12:13]
	s_cbranch_execz .LBB43_183
; %bb.178:                              ;   in Loop: Header=BB43_5 Depth=1
	v_cndmask_b32_e64 v43, |v12|, |v11|, s[10:11]
	v_cmp_nlt_f32_e32 vcc, s74, v42
	v_cmp_ngt_f32_e64 s[12:13], s75, v43
	s_and_b64 s[12:13], vcc, s[12:13]
                                        ; implicit-def: $vgpr8
                                        ; implicit-def: $vgpr7
	s_and_saveexec_b64 s[38:39], s[12:13]
	s_xor_b64 s[12:13], exec, s[38:39]
	s_cbranch_execz .LBB43_180
; %bb.179:                              ;   in Loop: Header=BB43_5 Depth=1
	s_waitcnt lgkmcnt(0)
	v_mul_f32_e32 v7, v43, v43
	v_fmac_f32_e32 v7, v42, v42
	v_cmp_gt_f32_e32 vcc, s60, v7
	v_cndmask_b32_e64 v8, 0, 32, vcc
	v_ldexp_f32 v7, v7, v8
	v_log_f32_e32 v7, v7
	v_cndmask_b32_e32 v8, 0, v35, vcc
	v_mul_f32_e32 v42, 0x3f317217, v7
	v_fma_f32 v42, v7, s61, -v42
	v_fmac_f32_e32 v42, 0x3377d1cf, v7
	v_fmac_f32_e32 v42, 0x3f317217, v7
	v_cmp_lt_f32_e64 vcc, |v7|, s56
	v_cndmask_b32_e32 v7, v7, v42, vcc
	v_sub_f32_e32 v7, v7, v8
	v_mul_f32_e32 v8, 0.5, v7
	v_min_f32_e32 v7, v41, v10
	v_frexp_mant_f32_e32 v10, v9
	v_rcp_f32_e32 v10, v10
	v_frexp_exp_i32_f32_e32 v9, v9
	v_frexp_exp_i32_f32_e32 v41, v7
	v_frexp_mant_f32_e32 v7, v7
	v_mul_f32_e32 v7, v7, v10
	v_sub_u32_e32 v9, v41, v9
	v_ldexp_f32 v7, v7, v9
	v_mul_f32_e32 v9, v7, v7
	v_mov_b32_e32 v10, 0xbc7a590c
	v_fmac_f32_e32 v10, 0x3b2d2a58, v9
	v_fma_f32 v10, v9, v10, v28
	v_fma_f32 v10, v9, v10, v29
	v_fma_f32 v10, v9, v10, v30
	v_fma_f32 v10, v9, v10, v31
	v_fma_f32 v10, v9, v10, v32
	v_fma_f32 v10, v9, v10, v33
	v_mul_f32_e32 v9, v9, v10
	v_fmac_f32_e32 v7, v7, v9
                                        ; implicit-def: $vgpr9
                                        ; implicit-def: $vgpr41
                                        ; implicit-def: $vgpr10
.LBB43_180:                             ;   in Loop: Header=BB43_5 Depth=1
	s_andn2_saveexec_b64 s[12:13], s[12:13]
	s_cbranch_execz .LBB43_182
; %bb.181:                              ;   in Loop: Header=BB43_5 Depth=1
	s_waitcnt lgkmcnt(0)
	v_cvt_f64_f32_e32 v[7:8], v9
	v_cmp_neq_f32_e32 vcc, s56, v9
	v_mov_b32_e32 v42, 0xbc7a590c
	v_frexp_exp_i32_f64_e32 v7, v[7:8]
	v_min_f32_e32 v8, v41, v10
	v_frexp_exp_i32_f32_e32 v10, v9
	v_frexp_mant_f32_e32 v41, v9
	v_rcp_f32_e32 v41, v41
	v_frexp_exp_i32_f32_e32 v43, v8
	v_frexp_mant_f32_e32 v8, v8
	v_sub_u32_e32 v10, v43, v10
	v_sub_u32_e32 v44, 0, v7
	v_ldexp_f32 v45, |v11|, v44
	v_ldexp_f32 v44, |v12|, v44
	v_mul_f32_e32 v44, v44, v44
	v_fmac_f32_e32 v44, v45, v45
	v_sqrt_f32_e32 v44, v44
	v_mul_f32_e32 v8, v8, v41
	v_ldexp_f32 v7, v44, v7
	v_cndmask_b32_e32 v7, v34, v7, vcc
	v_cmp_gt_f32_e32 vcc, s60, v7
	v_cndmask_b32_e64 v9, 0, 32, vcc
	v_ldexp_f32 v7, v7, v9
	v_log_f32_e32 v9, v7
	v_ldexp_f32 v7, v8, v10
	v_mul_f32_e32 v10, v7, v7
	v_cndmask_b32_e32 v8, 0, v35, vcc
	v_mul_f32_e32 v41, 0x3f317217, v9
	v_fma_f32 v41, v9, s61, -v41
	v_fmac_f32_e32 v41, 0x3377d1cf, v9
	v_fmac_f32_e32 v41, 0x3f317217, v9
	v_cmp_lt_f32_e64 vcc, |v9|, s56
	v_cndmask_b32_e32 v9, v9, v41, vcc
	v_fmac_f32_e32 v42, 0x3b2d2a58, v10
	v_sub_f32_e32 v8, v9, v8
	v_fma_f32 v9, v10, v42, v28
	v_fma_f32 v9, v10, v9, v29
	;; [unrolled: 1-line block ×6, first 2 shown]
	v_mul_f32_e32 v9, v10, v9
	v_fmac_f32_e32 v7, v7, v9
.LBB43_182:                             ;   in Loop: Header=BB43_5 Depth=1
	s_or_b64 exec, exec, s[12:13]
                                        ; implicit-def: $vgpr41
                                        ; implicit-def: $vgpr10
                                        ; implicit-def: $vgpr9
.LBB43_183:                             ;   in Loop: Header=BB43_5 Depth=1
	s_andn2_saveexec_b64 s[36:37], s[36:37]
	s_cbranch_execz .LBB43_185
; %bb.184:                              ;   in Loop: Header=BB43_5 Depth=1
	s_waitcnt lgkmcnt(0)
	v_div_scale_f32 v7, s[12:13], s76, s76, v11
	v_div_scale_f32 v8, s[12:13], s76, s76, v12
	v_div_scale_f32 v42, vcc, v11, s76, v11
	v_div_scale_f32 v43, s[12:13], v12, s76, v12
	v_min_f32_e32 v10, v41, v10
	v_frexp_exp_i32_f32_e32 v41, v9
	v_frexp_mant_f32_e32 v9, v9
	v_rcp_f32_e32 v9, v9
	v_rcp_f32_e32 v44, v7
	;; [unrolled: 1-line block ×3, first 2 shown]
	v_fma_f32 v46, -v7, v44, 1.0
	v_fmac_f32_e32 v44, v46, v44
	v_fma_f32 v47, -v8, v45, 1.0
	v_fmac_f32_e32 v45, v47, v45
	v_mul_f32_e32 v46, v42, v44
	v_mul_f32_e32 v47, v43, v45
	v_fma_f32 v48, -v7, v46, v42
	v_fma_f32 v49, -v8, v47, v43
	v_fmac_f32_e32 v46, v48, v44
	v_fmac_f32_e32 v47, v49, v45
	v_fma_f32 v7, -v7, v46, v42
	v_fma_f32 v8, -v8, v47, v43
	v_div_fmas_f32 v7, v7, v44, v46
	s_mov_b64 vcc, s[12:13]
	v_div_fmas_f32 v8, v8, v45, v47
	v_frexp_exp_i32_f32_e32 v46, v10
	v_frexp_mant_f32_e32 v10, v10
	v_mul_f32_e32 v9, v10, v9
	v_mov_b32_e32 v42, 0xbc7a590c
	v_div_fixup_f32 v43, v7, s76, v11
	v_div_fixup_f32 v44, v8, s76, v12
	v_max_f32_e64 v45, |v43|, |v44|
	v_cvt_f64_f32_e32 v[7:8], v45
	v_cmp_neq_f32_e32 vcc, s56, v45
	v_frexp_exp_i32_f64_e32 v8, v[7:8]
	v_sub_u32_e32 v7, v46, v41
	v_ldexp_f32 v7, v9, v7
	v_mul_f32_e32 v9, v7, v7
	v_fmac_f32_e32 v42, 0x3b2d2a58, v9
	v_fma_f32 v10, v9, v42, v28
	v_fma_f32 v10, v9, v10, v29
	;; [unrolled: 1-line block ×3, first 2 shown]
	v_sub_u32_e32 v41, 0, v8
	v_ldexp_f32 v42, |v43|, v41
	v_ldexp_f32 v41, |v44|, v41
	v_mul_f32_e32 v41, v41, v41
	v_fmac_f32_e32 v41, v42, v42
	v_sqrt_f32_e32 v41, v41
	v_fma_f32 v10, v9, v10, v31
	v_fma_f32 v10, v9, v10, v32
	;; [unrolled: 1-line block ×3, first 2 shown]
	v_ldexp_f32 v8, v41, v8
	v_cndmask_b32_e32 v8, v34, v8, vcc
	v_cmp_gt_f32_e32 vcc, s60, v8
	v_cndmask_b32_e64 v41, 0, 32, vcc
	v_ldexp_f32 v8, v8, v41
	v_log_f32_e32 v8, v8
	v_mul_f32_e32 v9, v9, v10
	v_cndmask_b32_e32 v10, 0, v35, vcc
	v_fmac_f32_e32 v7, v7, v9
	v_mul_f32_e32 v41, 0x3f317217, v8
	v_fma_f32 v41, v8, s61, -v41
	v_fmac_f32_e32 v41, 0x3377d1cf, v8
	v_fmac_f32_e32 v41, 0x3f317217, v8
	v_cmp_lt_f32_e64 vcc, |v8|, s56
	v_cndmask_b32_e32 v8, v8, v41, vcc
	v_sub_f32_e32 v8, v8, v10
	v_add_f32_e32 v8, 1.0, v8
.LBB43_185:                             ;   in Loop: Header=BB43_5 Depth=1
	s_or_b64 exec, exec, s[36:37]
	s_waitcnt lgkmcnt(0)
	v_sub_f32_e32 v9, 0x3fc90fdb, v7
	v_cndmask_b32_e64 v7, v7, v9, s[10:11]
	v_sub_f32_e32 v9, 0x40490fdb, v7
	v_cmp_gt_f32_e32 vcc, 0, v11
	v_cndmask_b32_e32 v7, v7, v9, vcc
	v_cndmask_b32_e64 v9, 0, v39, s[8:9]
	v_cndmask_b32_e32 v10, v38, v40, vcc
	v_cmp_class_f32_e64 s[8:9], v11, s72
	v_cmp_class_f32_e64 s[10:11], v12, s72
	v_cmp_eq_f32_e32 vcc, 0, v12
	v_cndmask_b32_e64 v7, |v7|, v9, vcc
	s_and_b64 vcc, s[8:9], s[10:11]
	v_add_f32_e32 v8, 0x3f317218, v8
	v_cndmask_b32_e32 v7, v7, v10, vcc
	v_cndmask_b32_e64 v8, -v8, v8, s[6:7]
.LBB43_186:                             ;   in Loop: Header=BB43_5 Depth=1
	s_or_b64 exec, exec, s[34:35]
                                        ; implicit-def: $vgpr9_vgpr10_vgpr11_vgpr12
.LBB43_187:                             ;   in Loop: Header=BB43_5 Depth=1
	s_andn2_saveexec_b64 s[6:7], s[30:31]
	s_cbranch_execz .LBB43_201
; %bb.188:                              ;   in Loop: Header=BB43_5 Depth=1
	v_cmp_neq_f32_e64 s[8:9], |v11|, s56
	s_and_saveexec_b64 s[10:11], s[8:9]
	s_xor_b64 s[8:9], exec, s[10:11]
	s_cbranch_execz .LBB43_198
; %bb.189:                              ;   in Loop: Header=BB43_5 Depth=1
	v_cmp_neq_f32_e64 s[10:11], |v12|, s56
	v_xor_b32_e32 v8, 0x80000000, v12
	s_and_saveexec_b64 s[12:13], s[10:11]
	s_xor_b64 s[10:11], exec, s[12:13]
	s_cbranch_execz .LBB43_195
; %bb.190:                              ;   in Loop: Header=BB43_5 Depth=1
	v_cmp_neq_f32_e32 vcc, 0, v11
	s_and_saveexec_b64 s[12:13], vcc
	s_xor_b64 s[12:13], exec, s[12:13]
	s_cbranch_execz .LBB43_192
; %bb.191:                              ;   in Loop: Header=BB43_5 Depth=1
	s_waitcnt lgkmcnt(0)
	v_add_f32_e32 v7, 0, v12
	v_add_f32_e32 v8, v11, v7
                                        ; implicit-def: $vgpr9_vgpr10_vgpr11_vgpr12
.LBB43_192:                             ;   in Loop: Header=BB43_5 Depth=1
	s_or_saveexec_b64 s[12:13], s[12:13]
	s_waitcnt lgkmcnt(0)
	v_mov_b32_e32 v7, v8
	s_xor_b64 exec, exec, s[12:13]
	s_cbranch_execz .LBB43_194
; %bb.193:                              ;   in Loop: Header=BB43_5 Depth=1
	v_mov_b32_e32 v7, s20
	v_mov_b32_e32 v8, s21
	flat_load_dword v7, v[7:8] glc
	s_waitcnt vmcnt(0)
	v_add_f32_e32 v8, v12, v12
	s_waitcnt lgkmcnt(0)
	v_add_f32_e32 v7, 0x3fc90fdb, v7
.LBB43_194:                             ;   in Loop: Header=BB43_5 Depth=1
	s_or_b64 exec, exec, s[12:13]
                                        ; implicit-def: $vgpr9_vgpr10_vgpr11_vgpr12
.LBB43_195:                             ;   in Loop: Header=BB43_5 Depth=1
	s_andn2_saveexec_b64 s[10:11], s[10:11]
	s_cbranch_execz .LBB43_197
; %bb.196:                              ;   in Loop: Header=BB43_5 Depth=1
	s_waitcnt lgkmcnt(0)
	v_add_f32_e32 v7, v11, v11
.LBB43_197:                             ;   in Loop: Header=BB43_5 Depth=1
	s_or_b64 exec, exec, s[10:11]
                                        ; implicit-def: $vgpr9_vgpr10_vgpr11_vgpr12
.LBB43_198:                             ;   in Loop: Header=BB43_5 Depth=1
	s_andn2_saveexec_b64 s[8:9], s[8:9]
	s_cbranch_execz .LBB43_200
; %bb.199:                              ;   in Loop: Header=BB43_5 Depth=1
	s_waitcnt lgkmcnt(0)
	v_add_f32_e32 v7, v12, v12
	v_mov_b32_e32 v8, 0xff800000
.LBB43_200:                             ;   in Loop: Header=BB43_5 Depth=1
	s_or_b64 exec, exec, s[8:9]
.LBB43_201:                             ;   in Loop: Header=BB43_5 Depth=1
	s_or_b64 exec, exec, s[6:7]
	v_mov_b32_e32 v9, s20
	v_mov_b32_e32 v10, s21
	v_cmp_o_f32_e32 vcc, v1, v2
	flat_store_dword v[9:10], v20
	s_waitcnt vmcnt(0)
                                        ; implicit-def: $vgpr10
	s_and_saveexec_b64 s[6:7], vcc
	s_xor_b64 s[30:31], exec, s[6:7]
	s_cbranch_execz .LBB43_285
; %bb.202:                              ;   in Loop: Header=BB43_5 Depth=1
	v_max_f32_e64 v12, |v2|, |v2|
	v_max_f32_e64 v41, |v1|, |v1|
	v_max_f32_e32 v11, v41, v12
	v_cmp_gt_i32_e64 s[8:9], 0, v1
	v_cmp_lt_i32_e64 s[10:11], -1, v1
	v_cmp_gt_i32_e64 s[6:7], 0, v2
	v_cmp_nlt_f32_e32 vcc, s50, v11
                                        ; implicit-def: $vgpr10
	s_and_saveexec_b64 s[12:13], vcc
	s_xor_b64 s[34:35], exec, s[12:13]
	s_cbranch_execz .LBB43_274
; %bb.203:                              ;   in Loop: Header=BB43_5 Depth=1
	v_cmp_neq_f32_e32 vcc, 1.0, v1
	v_cmp_neq_f32_e64 s[12:13], 0, v2
	s_or_b64 s[12:13], vcc, s[12:13]
	v_xor_b32_e32 v10, 0x80000000, v2
	s_and_saveexec_b64 s[36:37], s[12:13]
	s_xor_b64 s[36:37], exec, s[36:37]
	s_cbranch_execz .LBB43_271
; %bb.204:                              ;   in Loop: Header=BB43_5 Depth=1
	v_mov_b32_e32 v9, s24
	v_mov_b32_e32 v10, s25
	flat_store_dword v[9:10], v21
	s_waitcnt vmcnt(0)
	flat_load_dword v9, v[9:10] glc
	s_waitcnt vmcnt(0)
	v_cmp_nlt_f32_e64 s[12:13], |v1|, s51
	v_cmp_nlt_f32_e64 s[38:39], |v2|, s51
	s_or_b64 s[12:13], s[12:13], s[38:39]
	s_waitcnt lgkmcnt(0)
	v_add_f32_e32 v11, 1.0, v9
	v_mov_b32_e32 v9, s26
	v_mov_b32_e32 v10, s27
	flat_store_dword v[9:10], v11
	s_waitcnt vmcnt(0)
	flat_load_dword v9, v[9:10] glc
	s_waitcnt vmcnt(0) lgkmcnt(0)
	v_xor_b32_e32 v10, 0x80000000, v2
	s_and_saveexec_b64 s[38:39], s[12:13]
	s_xor_b64 s[38:39], exec, s[38:39]
	s_cbranch_execz .LBB43_268
; %bb.205:                              ;   in Loop: Header=BB43_5 Depth=1
	v_add_f32_e64 v11, |v1|, 1.0
	v_max_f32_e32 v9, v12, v11
	v_add_f32_e64 v10, |v1|, -1.0
	v_cvt_f64_f32_e32 v[41:42], v9
	v_max_f32_e64 v12, v12, |v10|
	v_cvt_f64_f32_e32 v[43:44], v12
	v_cmp_neq_f32_e32 vcc, s56, v9
	v_frexp_exp_i32_f64_e32 v41, v[41:42]
	v_frexp_exp_i32_f64_e32 v42, v[43:44]
	v_sub_u32_e32 v43, 0, v41
	v_ldexp_f32 v45, |v2|, v43
	v_sub_u32_e32 v44, 0, v42
	v_ldexp_f32 v43, v11, v43
	v_ldexp_f32 v46, |v2|, v44
	v_ldexp_f32 v44, |v10|, v44
	v_mul_f32_e32 v43, v43, v43
	v_mul_f32_e32 v44, v44, v44
	v_fmac_f32_e32 v43, v45, v45
	v_fmac_f32_e32 v44, v46, v46
	v_sqrt_f32_e32 v43, v43
	v_sqrt_f32_e32 v44, v44
	v_ldexp_f32 v41, v43, v41
	v_ldexp_f32 v42, v44, v42
	v_cndmask_b32_e32 v43, v34, v41, vcc
	v_cmp_neq_f32_e32 vcc, s56, v12
	v_cndmask_b32_e32 v12, v34, v42, vcc
	v_add_f32_e32 v9, v43, v12
	v_mul_f32_e32 v9, 0.5, v9
	v_cmp_ngt_f32_e32 vcc, 1.0, v9
	v_cndmask_b32_e32 v9, 1.0, v9, vcc
	v_cmp_ngt_f32_e32 vcc, s57, v9
                                        ; implicit-def: $vgpr41
	s_and_saveexec_b64 s[12:13], vcc
	s_xor_b64 s[40:41], exec, s[12:13]
	s_cbranch_execz .LBB43_207
; %bb.206:                              ;   in Loop: Header=BB43_5 Depth=1
	v_fma_f32 v41, v9, v9, -1.0
	v_mul_f32_e32 v42, 0x4f800000, v41
	v_cmp_gt_f32_e32 vcc, s58, v41
	v_cndmask_b32_e32 v41, v41, v42, vcc
	v_sqrt_f32_e32 v42, v41
	v_add_u32_e32 v44, -1, v42
	v_fma_f32 v46, -v44, v42, v41
	v_add_u32_e32 v45, 1, v42
	v_cmp_ge_f32_e64 s[12:13], 0, v46
	v_cndmask_b32_e64 v44, v42, v44, s[12:13]
	v_fma_f32 v42, -v45, v42, v41
	v_cmp_lt_f32_e64 s[12:13], 0, v42
	v_cndmask_b32_e64 v42, v44, v45, s[12:13]
	v_mul_f32_e32 v44, 0x37800000, v42
	v_cndmask_b32_e32 v42, v42, v44, vcc
	v_cmp_class_f32_e32 vcc, v41, v22
	v_cndmask_b32_e32 v41, v42, v41, vcc
	v_add_f32_e32 v41, v9, v41
	v_cmp_gt_f32_e32 vcc, s60, v41
	v_cndmask_b32_e64 v42, 0, 32, vcc
	v_ldexp_f32 v41, v41, v42
	v_log_f32_e32 v41, v41
	v_mul_f32_e32 v42, 0x3f317217, v41
	v_fma_f32 v42, v41, s61, -v42
	v_fmac_f32_e32 v42, 0x3377d1cf, v41
	v_fmac_f32_e32 v42, 0x3f317217, v41
	v_cmp_lt_f32_e64 s[12:13], |v41|, s56
	v_cndmask_b32_e64 v41, v41, v42, s[12:13]
	v_cndmask_b32_e32 v42, 0, v35, vcc
	v_sub_f32_e32 v41, v41, v42
.LBB43_207:                             ;   in Loop: Header=BB43_5 Depth=1
	s_or_saveexec_b64 s[40:41], s[40:41]
	v_and_b32_e32 v42, 0x7fffffff, v2
	s_xor_b64 exec, exec, s[40:41]
	s_cbranch_execz .LBB43_229
; %bb.208:                              ;   in Loop: Header=BB43_5 Depth=1
	v_cmp_neq_f32_e64 s[12:13], |v1|, 1.0
	v_cmp_nlt_f32_e64 s[42:43], |v2|, s62
	s_or_b64 s[12:13], s[12:13], s[42:43]
                                        ; implicit-def: $vgpr41
	s_and_saveexec_b64 s[42:43], s[12:13]
	s_xor_b64 s[42:43], exec, s[42:43]
	s_cbranch_execz .LBB43_226
; %bb.209:                              ;   in Loop: Header=BB43_5 Depth=1
	v_mul_f32_e64 v41, |v10|, s63
	v_cmp_ge_f32_e64 s[12:13], |v2|, v41
                                        ; implicit-def: $vgpr41
	s_and_saveexec_b64 s[44:45], s[12:13]
	s_xor_b64 s[44:45], exec, s[44:45]
	s_cbranch_execz .LBB43_219
; %bb.210:                              ;   in Loop: Header=BB43_5 Depth=1
	v_cmp_neq_f32_e32 vcc, 0, v11
	v_mov_b32_e32 v41, v42
	s_and_saveexec_b64 s[12:13], vcc
	s_cbranch_execz .LBB43_212
; %bb.211:                              ;   in Loop: Header=BB43_5 Depth=1
	v_mul_f32_e32 v41, v2, v2
	v_add_f32_e32 v44, v11, v43
	v_div_scale_f32 v45, s[46:47], v44, v44, v41
	v_div_scale_f32 v46, vcc, v41, v44, v41
	v_rcp_f32_e32 v47, v45
	v_fma_f32 v48, -v45, v47, 1.0
	v_fmac_f32_e32 v47, v48, v47
	v_mul_f32_e32 v48, v46, v47
	v_fma_f32 v49, -v45, v48, v46
	v_fmac_f32_e32 v48, v49, v47
	v_fma_f32 v45, -v45, v48, v46
	v_div_fmas_f32 v45, v45, v47, v48
	v_div_fixup_f32 v41, v45, v44, v41
.LBB43_212:                             ;   in Loop: Header=BB43_5 Depth=1
	s_or_b64 exec, exec, s[12:13]
	v_sub_f32_e64 v45, 1.0, |v1|
	v_cmp_ngt_f32_e32 vcc, 0, v45
                                        ; implicit-def: $vgpr44
	s_and_saveexec_b64 s[12:13], vcc
	s_xor_b64 s[12:13], exec, s[12:13]
	s_cbranch_execz .LBB43_216
; %bb.213:                              ;   in Loop: Header=BB43_5 Depth=1
	v_cmp_neq_f32_e32 vcc, 0, v45
	v_mov_b32_e32 v44, v42
	s_and_saveexec_b64 s[46:47], vcc
	s_cbranch_execz .LBB43_215
; %bb.214:                              ;   in Loop: Header=BB43_5 Depth=1
	v_mul_f32_e32 v44, v2, v2
	v_add_f32_e32 v45, v45, v12
	v_div_scale_f32 v46, s[48:49], v45, v45, v44
	v_div_scale_f32 v47, vcc, v44, v45, v44
	v_rcp_f32_e32 v48, v46
	v_fma_f32 v49, -v46, v48, 1.0
	v_fmac_f32_e32 v48, v49, v48
	v_mul_f32_e32 v49, v47, v48
	v_fma_f32 v50, -v46, v49, v47
	v_fmac_f32_e32 v49, v50, v48
	v_fma_f32 v46, -v46, v49, v47
	v_div_fmas_f32 v46, v46, v48, v49
	v_div_fixup_f32 v44, v46, v45, v44
.LBB43_215:                             ;   in Loop: Header=BB43_5 Depth=1
	s_or_b64 exec, exec, s[46:47]
                                        ; implicit-def: $vgpr45
.LBB43_216:                             ;   in Loop: Header=BB43_5 Depth=1
	s_andn2_saveexec_b64 s[12:13], s[12:13]
; %bb.217:                              ;   in Loop: Header=BB43_5 Depth=1
	v_sub_f32_e32 v44, v12, v45
; %bb.218:                              ;   in Loop: Header=BB43_5 Depth=1
	s_or_b64 exec, exec, s[12:13]
	v_mul_f32_e32 v44, 0.5, v44
	v_fmac_f32_e32 v44, 0.5, v41
	v_add_f32_e32 v41, 1.0, v9
	v_mul_f32_e32 v41, v41, v44
	v_mul_f32_e32 v45, 0x4f800000, v41
	v_cmp_gt_f32_e32 vcc, s58, v41
	v_cndmask_b32_e32 v41, v41, v45, vcc
	v_sqrt_f32_e32 v45, v41
	v_add_u32_e32 v46, -1, v45
	v_fma_f32 v47, -v46, v45, v41
	v_cmp_ge_f32_e64 s[12:13], 0, v47
	v_add_u32_e32 v47, 1, v45
	v_cndmask_b32_e64 v46, v45, v46, s[12:13]
	v_fma_f32 v45, -v47, v45, v41
	v_cmp_lt_f32_e64 s[12:13], 0, v45
	v_cndmask_b32_e64 v45, v46, v47, s[12:13]
	v_mul_f32_e32 v46, 0x37800000, v45
	v_cndmask_b32_e32 v45, v45, v46, vcc
	v_cmp_class_f32_e32 vcc, v41, v22
	v_cndmask_b32_e32 v41, v45, v41, vcc
	v_add_f32_e32 v41, v44, v41
	v_add_f32_e32 v46, 1.0, v41
	v_cvt_f64_f32_e32 v[44:45], v46
	v_add_f32_e32 v47, -1.0, v46
	v_frexp_exp_i32_f64_e32 v44, v[44:45]
	v_sub_f32_e32 v45, v47, v46
	v_add_f32_e32 v45, 1.0, v45
	v_sub_f32_e32 v47, v41, v47
	v_add_f32_e32 v45, v47, v45
	v_frexp_mant_f32_e32 v47, v46
	v_cmp_gt_f32_e32 vcc, s64, v47
	v_subbrev_co_u32_e32 v44, vcc, 0, v44, vcc
	v_sub_u32_e32 v47, 0, v44
	v_ldexp_f32 v46, v46, v47
	v_ldexp_f32 v45, v45, v47
	v_add_f32_e32 v47, -1.0, v46
	v_add_f32_e32 v50, 1.0, v46
	v_add_f32_e32 v48, 1.0, v47
	v_add_f32_e32 v51, -1.0, v50
	v_sub_f32_e32 v48, v46, v48
	v_sub_f32_e32 v46, v46, v51
	v_add_f32_e32 v48, v45, v48
	v_add_f32_e32 v45, v45, v46
	;; [unrolled: 1-line block ×3, first 2 shown]
	v_rcp_f32_e32 v51, v46
	v_add_f32_e32 v49, v47, v48
	v_sub_f32_e32 v47, v49, v47
	v_sub_f32_e32 v47, v48, v47
	;; [unrolled: 1-line block ×4, first 2 shown]
	v_mul_f32_e32 v48, v49, v51
	v_mul_f32_e32 v50, v46, v48
	v_fma_f32 v52, v48, v46, -v50
	v_fmac_f32_e32 v52, v48, v45
	v_add_f32_e32 v53, v50, v52
	v_sub_f32_e32 v54, v49, v53
	v_sub_f32_e32 v49, v49, v54
	;; [unrolled: 1-line block ×4, first 2 shown]
	v_add_f32_e32 v47, v47, v49
	v_sub_f32_e32 v49, v50, v52
	v_add_f32_e32 v47, v49, v47
	v_add_f32_e32 v49, v54, v47
	v_mul_f32_e32 v50, v51, v49
	v_mul_f32_e32 v52, v46, v50
	v_fma_f32 v46, v50, v46, -v52
	v_fmac_f32_e32 v46, v50, v45
	v_sub_f32_e32 v45, v54, v49
	v_add_f32_e32 v45, v47, v45
	v_add_f32_e32 v47, v52, v46
	v_sub_f32_e32 v53, v49, v47
	v_sub_f32_e32 v49, v49, v53
	;; [unrolled: 1-line block ×4, first 2 shown]
	v_add_f32_e32 v45, v45, v47
	v_sub_f32_e32 v46, v52, v46
	v_cvt_f32_i32_e32 v44, v44
	v_add_f32_e32 v45, v46, v45
	v_add_f32_e32 v46, v48, v50
	;; [unrolled: 1-line block ×3, first 2 shown]
	v_sub_f32_e32 v47, v46, v48
	v_mul_f32_e32 v45, v51, v45
	v_sub_f32_e32 v47, v50, v47
	v_add_f32_e32 v45, v47, v45
	v_mul_f32_e32 v50, 0x3f317218, v44
	v_add_f32_e32 v47, v46, v45
	v_fma_f32 v51, v44, s65, -v50
	v_mul_f32_e32 v48, v47, v47
	v_mov_b32_e32 v49, 0x3ecc95a3
	v_fmac_f32_e32 v51, 0xb102e308, v44
	v_sub_f32_e32 v44, v47, v46
	v_fmac_f32_e32 v49, 0x3e9b6dac, v48
	v_sub_f32_e32 v44, v45, v44
	v_add_f32_e32 v45, v50, v51
	v_fma_f32 v49, v48, v49, v23
	v_sub_f32_e32 v46, v45, v50
	v_ldexp_f32 v50, v47, 1
	v_mul_f32_e32 v47, v47, v48
	v_mul_f32_e32 v47, v47, v49
	v_add_f32_e32 v48, v50, v47
	v_sub_f32_e32 v49, v48, v50
	v_ldexp_f32 v44, v44, 1
	v_sub_f32_e32 v47, v47, v49
	v_add_f32_e32 v44, v44, v47
	v_add_f32_e32 v47, v48, v44
	v_sub_f32_e32 v48, v47, v48
	v_sub_f32_e32 v44, v44, v48
	v_add_f32_e32 v48, v45, v47
	v_sub_f32_e32 v49, v48, v45
	v_sub_f32_e32 v50, v48, v49
	;; [unrolled: 1-line block ×5, first 2 shown]
	v_add_f32_e32 v45, v47, v45
	v_add_f32_e32 v47, v46, v44
	v_sub_f32_e32 v49, v47, v46
	v_sub_f32_e32 v50, v47, v49
	v_sub_f32_e32 v46, v46, v50
	v_sub_f32_e32 v44, v44, v49
	v_add_f32_e32 v45, v47, v45
	v_add_f32_e32 v44, v44, v46
	;; [unrolled: 1-line block ×3, first 2 shown]
	v_sub_f32_e32 v47, v46, v48
	v_sub_f32_e32 v45, v45, v47
	v_add_f32_e32 v44, v44, v45
	v_add_f32_e32 v44, v46, v44
	v_cmp_neq_f32_e32 vcc, s56, v41
	v_cndmask_b32_e32 v44, v34, v44, vcc
	v_cmp_ngt_f32_e32 vcc, -1.0, v41
	v_cndmask_b32_e32 v44, v36, v44, vcc
	v_cmp_neq_f32_e32 vcc, -1.0, v41
	v_cndmask_b32_e32 v44, v37, v44, vcc
	v_cmp_lt_f32_e64 vcc, |v41|, s66
	v_cndmask_b32_e32 v41, v44, v41, vcc
.LBB43_219:                             ;   in Loop: Header=BB43_5 Depth=1
	s_andn2_saveexec_b64 s[44:45], s[44:45]
	s_cbranch_execz .LBB43_225
; %bb.220:                              ;   in Loop: Header=BB43_5 Depth=1
	v_cmp_nlt_f32_e64 s[12:13], |v1|, 1.0
                                        ; implicit-def: $vgpr41
	s_and_saveexec_b64 s[46:47], s[12:13]
	s_xor_b64 s[46:47], exec, s[46:47]
	s_cbranch_execz .LBB43_222
; %bb.221:                              ;   in Loop: Header=BB43_5 Depth=1
	v_mul_f32_e32 v41, v10, v11
	v_mul_f32_e32 v44, 0x4f800000, v41
	v_cmp_gt_f32_e32 vcc, s58, v41
	v_cndmask_b32_e32 v41, v41, v44, vcc
	v_sqrt_f32_e32 v44, v41
	v_add_u32_e32 v45, -1, v44
	v_fma_f32 v47, -v45, v44, v41
	v_add_u32_e32 v46, 1, v44
	v_cmp_ge_f32_e64 s[12:13], 0, v47
	v_cndmask_b32_e64 v45, v44, v45, s[12:13]
	v_fma_f32 v44, -v46, v44, v41
	v_cmp_lt_f32_e64 s[12:13], 0, v44
	v_cndmask_b32_e64 v44, v45, v46, s[12:13]
	v_mul_f32_e32 v45, 0x37800000, v44
	v_cndmask_b32_e32 v44, v44, v45, vcc
	v_cmp_class_f32_e32 vcc, v41, v22
	v_cndmask_b32_e32 v41, v44, v41, vcc
	v_add_f32_e32 v41, v10, v41
	v_add_f32_e32 v46, 1.0, v41
	v_cvt_f64_f32_e32 v[44:45], v46
	v_add_f32_e32 v47, -1.0, v46
	v_frexp_exp_i32_f64_e32 v44, v[44:45]
	v_sub_f32_e32 v45, v47, v46
	v_add_f32_e32 v45, 1.0, v45
	v_sub_f32_e32 v47, v41, v47
	v_add_f32_e32 v45, v47, v45
	v_frexp_mant_f32_e32 v47, v46
	v_cmp_gt_f32_e32 vcc, s64, v47
	v_subbrev_co_u32_e32 v44, vcc, 0, v44, vcc
	v_sub_u32_e32 v47, 0, v44
	v_ldexp_f32 v46, v46, v47
	v_ldexp_f32 v45, v45, v47
	v_add_f32_e32 v47, -1.0, v46
	v_add_f32_e32 v50, 1.0, v46
	v_add_f32_e32 v48, 1.0, v47
	v_add_f32_e32 v51, -1.0, v50
	v_sub_f32_e32 v48, v46, v48
	v_sub_f32_e32 v46, v46, v51
	v_add_f32_e32 v48, v45, v48
	v_add_f32_e32 v45, v45, v46
	;; [unrolled: 1-line block ×3, first 2 shown]
	v_rcp_f32_e32 v51, v46
	v_add_f32_e32 v49, v47, v48
	v_sub_f32_e32 v47, v49, v47
	v_sub_f32_e32 v47, v48, v47
	;; [unrolled: 1-line block ×4, first 2 shown]
	v_mul_f32_e32 v48, v49, v51
	v_mul_f32_e32 v50, v46, v48
	v_fma_f32 v52, v48, v46, -v50
	v_fmac_f32_e32 v52, v48, v45
	v_add_f32_e32 v53, v50, v52
	v_sub_f32_e32 v54, v49, v53
	v_sub_f32_e32 v49, v49, v54
	;; [unrolled: 1-line block ×4, first 2 shown]
	v_add_f32_e32 v47, v47, v49
	v_sub_f32_e32 v49, v50, v52
	v_add_f32_e32 v47, v49, v47
	v_add_f32_e32 v49, v54, v47
	v_mul_f32_e32 v50, v51, v49
	v_mul_f32_e32 v52, v46, v50
	v_fma_f32 v46, v50, v46, -v52
	v_fmac_f32_e32 v46, v50, v45
	v_sub_f32_e32 v45, v54, v49
	v_add_f32_e32 v45, v47, v45
	v_add_f32_e32 v47, v52, v46
	v_sub_f32_e32 v53, v49, v47
	v_sub_f32_e32 v49, v49, v53
	;; [unrolled: 1-line block ×4, first 2 shown]
	v_add_f32_e32 v45, v45, v47
	v_sub_f32_e32 v46, v52, v46
	v_cvt_f32_i32_e32 v44, v44
	v_add_f32_e32 v45, v46, v45
	v_add_f32_e32 v46, v48, v50
	;; [unrolled: 1-line block ×3, first 2 shown]
	v_sub_f32_e32 v47, v46, v48
	v_mul_f32_e32 v45, v51, v45
	v_sub_f32_e32 v47, v50, v47
	v_add_f32_e32 v45, v47, v45
	v_mul_f32_e32 v50, 0x3f317218, v44
	v_add_f32_e32 v47, v46, v45
	v_fma_f32 v51, v44, s65, -v50
	v_mul_f32_e32 v48, v47, v47
	v_mov_b32_e32 v49, 0x3ecc95a3
	v_fmac_f32_e32 v51, 0xb102e308, v44
	v_sub_f32_e32 v44, v47, v46
	v_fmac_f32_e32 v49, 0x3e9b6dac, v48
	v_sub_f32_e32 v44, v45, v44
	v_add_f32_e32 v45, v50, v51
	v_fma_f32 v49, v48, v49, v23
	v_sub_f32_e32 v46, v45, v50
	v_ldexp_f32 v50, v47, 1
	v_mul_f32_e32 v47, v47, v48
	v_mul_f32_e32 v47, v47, v49
	v_add_f32_e32 v48, v50, v47
	v_sub_f32_e32 v49, v48, v50
	v_ldexp_f32 v44, v44, 1
	v_sub_f32_e32 v47, v47, v49
	v_add_f32_e32 v44, v44, v47
	v_add_f32_e32 v47, v48, v44
	v_sub_f32_e32 v48, v47, v48
	v_sub_f32_e32 v44, v44, v48
	v_add_f32_e32 v48, v45, v47
	v_sub_f32_e32 v49, v48, v45
	v_sub_f32_e32 v50, v48, v49
	;; [unrolled: 1-line block ×5, first 2 shown]
	v_add_f32_e32 v45, v47, v45
	v_add_f32_e32 v47, v46, v44
	v_sub_f32_e32 v49, v47, v46
	v_sub_f32_e32 v50, v47, v49
	;; [unrolled: 1-line block ×4, first 2 shown]
	v_add_f32_e32 v45, v47, v45
	v_add_f32_e32 v44, v44, v46
	;; [unrolled: 1-line block ×3, first 2 shown]
	v_sub_f32_e32 v47, v46, v48
	v_sub_f32_e32 v45, v45, v47
	v_add_f32_e32 v44, v44, v45
	v_add_f32_e32 v44, v46, v44
	v_cmp_neq_f32_e32 vcc, s56, v41
	v_cndmask_b32_e32 v44, v34, v44, vcc
	v_cmp_ngt_f32_e32 vcc, -1.0, v41
	v_cndmask_b32_e32 v44, v36, v44, vcc
	v_cmp_neq_f32_e32 vcc, -1.0, v41
	v_cndmask_b32_e32 v44, v37, v44, vcc
	v_cmp_lt_f32_e64 vcc, |v41|, s66
	v_cndmask_b32_e32 v41, v44, v41, vcc
.LBB43_222:                             ;   in Loop: Header=BB43_5 Depth=1
	s_andn2_saveexec_b64 s[46:47], s[46:47]
	s_cbranch_execz .LBB43_224
; %bb.223:                              ;   in Loop: Header=BB43_5 Depth=1
	v_sub_f32_e64 v41, 1.0, |v1|
	v_mul_f32_e32 v41, v41, v11
	v_mul_f32_e32 v44, 0x4f800000, v41
	v_cmp_gt_f32_e32 vcc, s58, v41
	v_cndmask_b32_e32 v41, v41, v44, vcc
	v_sqrt_f32_e32 v44, v41
	v_add_u32_e32 v45, -1, v44
	v_fma_f32 v47, -v45, v44, v41
	v_add_u32_e32 v46, 1, v44
	v_cmp_ge_f32_e64 s[12:13], 0, v47
	v_cndmask_b32_e64 v45, v44, v45, s[12:13]
	v_fma_f32 v44, -v46, v44, v41
	v_cmp_lt_f32_e64 s[12:13], 0, v44
	v_cndmask_b32_e64 v44, v45, v46, s[12:13]
	v_mul_f32_e32 v45, 0x37800000, v44
	v_cndmask_b32_e32 v44, v44, v45, vcc
	v_cmp_class_f32_e32 vcc, v41, v22
	v_cndmask_b32_e32 v41, v44, v41, vcc
	v_and_b32_e32 v44, 0x7fffffff, v2
	v_div_scale_f32 v45, s[12:13], v41, v41, v44
	v_div_scale_f32 v44, vcc, v44, v41, v44
	v_rcp_f32_e32 v46, v45
	v_fma_f32 v47, -v45, v46, 1.0
	v_fmac_f32_e32 v46, v47, v46
	v_mul_f32_e32 v47, v44, v46
	v_fma_f32 v48, -v45, v47, v44
	v_fmac_f32_e32 v47, v48, v46
	v_fma_f32 v44, -v45, v47, v44
	v_div_fmas_f32 v44, v44, v46, v47
	v_div_fixup_f32 v41, v44, v41, |v2|
.LBB43_224:                             ;   in Loop: Header=BB43_5 Depth=1
	s_or_b64 exec, exec, s[46:47]
.LBB43_225:                             ;   in Loop: Header=BB43_5 Depth=1
	s_or_b64 exec, exec, s[44:45]
.LBB43_226:                             ;   in Loop: Header=BB43_5 Depth=1
	s_andn2_saveexec_b64 s[42:43], s[42:43]
	s_cbranch_execz .LBB43_228
; %bb.227:                              ;   in Loop: Header=BB43_5 Depth=1
	v_mul_f32_e64 v41, |v2|, s59
	v_cmp_lt_f32_e64 vcc, |v2|, s58
	v_cndmask_b32_e64 v41, |v2|, v41, vcc
	v_sqrt_f32_e32 v44, v41
	v_add_u32_e32 v45, -1, v44
	v_fma_f32 v47, -v45, v44, v41
	v_add_u32_e32 v46, 1, v44
	v_cmp_ge_f32_e64 s[12:13], 0, v47
	v_cndmask_b32_e64 v45, v44, v45, s[12:13]
	v_fma_f32 v44, -v46, v44, v41
	v_cmp_lt_f32_e64 s[12:13], 0, v44
	v_cndmask_b32_e64 v44, v45, v46, s[12:13]
	v_mul_f32_e32 v45, 0x37800000, v44
	v_cndmask_b32_e32 v44, v44, v45, vcc
	v_cmp_class_f32_e32 vcc, v41, v22
	v_cndmask_b32_e32 v41, v44, v41, vcc
.LBB43_228:                             ;   in Loop: Header=BB43_5 Depth=1
	s_or_b64 exec, exec, s[42:43]
.LBB43_229:                             ;   in Loop: Header=BB43_5 Depth=1
	s_or_b64 exec, exec, s[40:41]
	v_cmp_nlt_f32_e64 s[40:41], |v1|, s67
                                        ; implicit-def: $sgpr12_sgpr13
                                        ; implicit-def: $vgpr44
                                        ; implicit-def: $vgpr46
                                        ; implicit-def: $vgpr45
	s_and_saveexec_b64 s[42:43], s[40:41]
	s_xor_b64 s[40:41], exec, s[42:43]
	s_cbranch_execz .LBB43_253
; %bb.230:                              ;   in Loop: Header=BB43_5 Depth=1
	v_and_b32_e32 v45, 0x7fffffff, v1
	v_div_scale_f32 v44, s[12:13], v9, v9, v45
	v_div_scale_f32 v46, vcc, v45, v9, v45
	s_mov_b64 s[12:13], 0
	v_rcp_f32_e32 v47, v44
	v_fma_f32 v48, -v44, v47, 1.0
	v_fmac_f32_e32 v47, v48, v47
	v_mul_f32_e32 v48, v46, v47
	v_fma_f32 v49, -v44, v48, v46
	v_fmac_f32_e32 v48, v49, v47
	v_fma_f32 v44, -v44, v48, v46
	v_div_fmas_f32 v44, v44, v47, v48
                                        ; implicit-def: $vgpr46
	v_div_fixup_f32 v44, v44, v9, |v1|
	v_cmp_lt_f32_e32 vcc, s68, v44
	s_and_saveexec_b64 s[42:43], vcc
	s_cbranch_execz .LBB43_252
; %bb.231:                              ;   in Loop: Header=BB43_5 Depth=1
	v_cmp_neq_f32_e64 s[12:13], |v1|, 1.0
	v_cmp_nlt_f32_e64 s[44:45], |v2|, s69
	s_or_b64 s[12:13], s[12:13], s[44:45]
                                        ; implicit-def: $vgpr46
	s_and_saveexec_b64 s[44:45], s[12:13]
	s_xor_b64 s[44:45], exec, s[44:45]
	s_cbranch_execz .LBB43_249
; %bb.232:                              ;   in Loop: Header=BB43_5 Depth=1
	v_mul_f32_e64 v46, |v10|, s63
	v_cmp_ge_f32_e64 s[12:13], |v2|, v46
                                        ; implicit-def: $vgpr46
	s_and_saveexec_b64 s[46:47], s[12:13]
	s_xor_b64 s[46:47], exec, s[46:47]
	s_cbranch_execz .LBB43_242
; %bb.233:                              ;   in Loop: Header=BB43_5 Depth=1
	v_cmp_neq_f32_e32 vcc, 0, v11
	v_mov_b32_e32 v46, v42
	s_and_saveexec_b64 s[12:13], vcc
	s_cbranch_execz .LBB43_235
; %bb.234:                              ;   in Loop: Header=BB43_5 Depth=1
	v_mul_f32_e32 v46, v2, v2
	v_add_f32_e32 v11, v11, v43
	v_div_scale_f32 v43, s[48:49], v11, v11, v46
	v_div_scale_f32 v47, vcc, v46, v11, v46
	v_rcp_f32_e32 v48, v43
	v_fma_f32 v49, -v43, v48, 1.0
	v_fmac_f32_e32 v48, v49, v48
	v_mul_f32_e32 v49, v47, v48
	v_fma_f32 v50, -v43, v49, v47
	v_fmac_f32_e32 v49, v50, v48
	v_fma_f32 v43, -v43, v49, v47
	v_div_fmas_f32 v43, v43, v48, v49
	v_div_fixup_f32 v46, v43, v11, v46
.LBB43_235:                             ;   in Loop: Header=BB43_5 Depth=1
	s_or_b64 exec, exec, s[12:13]
	v_cmp_ngt_f32_e32 vcc, 0, v10
	s_and_saveexec_b64 s[12:13], vcc
	s_xor_b64 s[12:13], exec, s[12:13]
	s_cbranch_execz .LBB43_239
; %bb.236:                              ;   in Loop: Header=BB43_5 Depth=1
	v_cmp_neq_f32_e32 vcc, 0, v10
	s_and_saveexec_b64 s[48:49], vcc
	s_cbranch_execz .LBB43_238
; %bb.237:                              ;   in Loop: Header=BB43_5 Depth=1
	v_mul_f32_e32 v11, v2, v2
	v_add_f32_e32 v10, v10, v12
	v_div_scale_f32 v12, s[78:79], v10, v10, v11
	v_div_scale_f32 v42, vcc, v11, v10, v11
	v_rcp_f32_e32 v43, v12
	v_fma_f32 v47, -v12, v43, 1.0
	v_fmac_f32_e32 v43, v47, v43
	v_mul_f32_e32 v47, v42, v43
	v_fma_f32 v48, -v12, v47, v42
	v_fmac_f32_e32 v47, v48, v43
	v_fma_f32 v12, -v12, v47, v42
	v_div_fmas_f32 v12, v12, v43, v47
	v_div_fixup_f32 v42, v12, v10, v11
.LBB43_238:                             ;   in Loop: Header=BB43_5 Depth=1
	s_or_b64 exec, exec, s[48:49]
                                        ; implicit-def: $vgpr12
                                        ; implicit-def: $vgpr10
.LBB43_239:                             ;   in Loop: Header=BB43_5 Depth=1
	s_andn2_saveexec_b64 s[12:13], s[12:13]
; %bb.240:                              ;   in Loop: Header=BB43_5 Depth=1
	v_sub_f32_e32 v42, v12, v10
; %bb.241:                              ;   in Loop: Header=BB43_5 Depth=1
	s_or_b64 exec, exec, s[12:13]
	v_mul_f32_e32 v10, 0.5, v42
	v_fmac_f32_e32 v10, 0.5, v46
	v_add_f32_e64 v9, |v1|, v9
	v_mul_f32_e32 v9, v9, v10
	v_mul_f32_e32 v10, 0x4f800000, v9
	v_cmp_gt_f32_e32 vcc, s58, v9
	v_cndmask_b32_e32 v9, v9, v10, vcc
	v_sqrt_f32_e32 v10, v9
	v_add_u32_e32 v11, -1, v10
	v_fma_f32 v12, -v11, v10, v9
	v_cmp_ge_f32_e64 s[12:13], 0, v12
	v_add_u32_e32 v12, 1, v10
	v_cndmask_b32_e64 v11, v10, v11, s[12:13]
	v_fma_f32 v10, -v12, v10, v9
	v_cmp_lt_f32_e64 s[12:13], 0, v10
	v_cndmask_b32_e64 v10, v11, v12, s[12:13]
	v_mul_f32_e32 v11, 0x37800000, v10
	v_cndmask_b32_e32 v10, v10, v11, vcc
	v_cmp_class_f32_e32 vcc, v9, v22
	v_cndmask_b32_e32 v46, v10, v9, vcc
                                        ; implicit-def: $vgpr11
                                        ; implicit-def: $vgpr10
.LBB43_242:                             ;   in Loop: Header=BB43_5 Depth=1
	s_andn2_saveexec_b64 s[46:47], s[46:47]
	s_cbranch_execz .LBB43_248
; %bb.243:                              ;   in Loop: Header=BB43_5 Depth=1
	v_cmp_ngt_f32_e64 s[12:13], |v1|, 1.0
                                        ; implicit-def: $vgpr46
	s_and_saveexec_b64 s[48:49], s[12:13]
	s_xor_b64 s[48:49], exec, s[48:49]
	s_cbranch_execz .LBB43_245
; %bb.244:                              ;   in Loop: Header=BB43_5 Depth=1
	v_sub_f32_e64 v9, 1.0, |v1|
	v_mul_f32_e32 v9, v9, v11
	v_mul_f32_e32 v10, 0x4f800000, v9
	v_cmp_gt_f32_e32 vcc, s58, v9
	v_cndmask_b32_e32 v9, v9, v10, vcc
	v_sqrt_f32_e32 v10, v9
	v_add_u32_e32 v11, -1, v10
	v_fma_f32 v42, -v11, v10, v9
	v_add_u32_e32 v12, 1, v10
	v_cmp_ge_f32_e64 s[12:13], 0, v42
	v_cndmask_b32_e64 v11, v10, v11, s[12:13]
	v_fma_f32 v10, -v12, v10, v9
	v_cmp_lt_f32_e64 s[12:13], 0, v10
	v_cndmask_b32_e64 v10, v11, v12, s[12:13]
	v_mul_f32_e32 v11, 0x37800000, v10
	v_cndmask_b32_e32 v10, v10, v11, vcc
	v_cmp_class_f32_e32 vcc, v9, v22
	v_cndmask_b32_e32 v46, v10, v9, vcc
                                        ; implicit-def: $vgpr11
                                        ; implicit-def: $vgpr10
.LBB43_245:                             ;   in Loop: Header=BB43_5 Depth=1
	s_andn2_saveexec_b64 s[48:49], s[48:49]
	s_cbranch_execz .LBB43_247
; %bb.246:                              ;   in Loop: Header=BB43_5 Depth=1
	v_mul_f32_e32 v9, v11, v10
	v_mul_f32_e32 v10, 0x4f800000, v9
	v_cmp_gt_f32_e32 vcc, s58, v9
	v_cndmask_b32_e32 v9, v9, v10, vcc
	v_sqrt_f32_e32 v10, v9
	v_mul_f32_e64 v11, |v2|, s70
	v_mul_f32_e64 v11, |v1|, v11
	v_add_u32_e32 v12, -1, v10
	v_fma_f32 v42, -v12, v10, v9
	v_cmp_ge_f32_e64 s[12:13], 0, v42
	v_add_u32_e32 v42, 1, v10
	v_cndmask_b32_e64 v12, v10, v12, s[12:13]
	v_fma_f32 v10, -v42, v10, v9
	v_cmp_lt_f32_e64 s[12:13], 0, v10
	v_cndmask_b32_e64 v10, v12, v42, s[12:13]
	v_mul_f32_e32 v12, 0x37800000, v10
	v_cndmask_b32_e32 v10, v10, v12, vcc
	v_cmp_class_f32_e32 vcc, v9, v22
	v_cndmask_b32_e32 v9, v10, v9, vcc
	v_div_scale_f32 v10, s[12:13], v9, v9, v11
	v_div_scale_f32 v12, vcc, v11, v9, v11
	v_rcp_f32_e32 v42, v10
	v_fma_f32 v43, -v10, v42, 1.0
	v_fmac_f32_e32 v42, v43, v42
	v_mul_f32_e32 v43, v12, v42
	v_fma_f32 v45, -v10, v43, v12
	v_fmac_f32_e32 v43, v45, v42
	v_fma_f32 v10, -v10, v43, v12
	v_div_fmas_f32 v10, v10, v42, v43
	v_mul_f32_e64 v45, |v1|, s70
	v_div_fixup_f32 v46, v10, v9, v11
.LBB43_247:                             ;   in Loop: Header=BB43_5 Depth=1
	s_or_b64 exec, exec, s[48:49]
.LBB43_248:                             ;   in Loop: Header=BB43_5 Depth=1
	s_or_b64 exec, exec, s[46:47]
                                        ; implicit-def: $vgpr9
.LBB43_249:                             ;   in Loop: Header=BB43_5 Depth=1
	s_andn2_saveexec_b64 s[44:45], s[44:45]
	s_cbranch_execz .LBB43_251
; %bb.250:                              ;   in Loop: Header=BB43_5 Depth=1
	v_mul_f32_e64 v10, |v2|, s59
	v_cmp_lt_f32_e64 vcc, |v2|, s58
	v_cndmask_b32_e64 v10, |v2|, v10, vcc
	v_sqrt_f32_e32 v11, v10
	v_add_f32_e32 v9, 1.0, v9
	v_mul_f32_e32 v9, 0.5, v9
	v_mov_b32_e32 v45, 1.0
	v_add_u32_e32 v12, -1, v11
	v_fma_f32 v43, -v12, v11, v10
	v_add_u32_e32 v42, 1, v11
	v_cmp_ge_f32_e64 s[12:13], 0, v43
	v_cndmask_b32_e64 v12, v11, v12, s[12:13]
	v_fma_f32 v11, -v42, v11, v10
	v_cmp_lt_f32_e64 s[12:13], 0, v11
	v_cndmask_b32_e64 v11, v12, v42, s[12:13]
	v_mul_f32_e32 v12, 0x37800000, v11
	v_cndmask_b32_e32 v11, v11, v12, vcc
	v_mul_f32_e32 v12, 0x4f800000, v9
	v_cmp_gt_f32_e32 vcc, s58, v9
	v_cndmask_b32_e32 v9, v9, v12, vcc
	v_sqrt_f32_e32 v12, v9
	v_cmp_class_f32_e64 s[12:13], v10, v22
	v_cndmask_b32_e64 v10, v11, v10, s[12:13]
	v_add_u32_e32 v11, -1, v12
	v_fma_f32 v42, -v11, v12, v9
	v_cmp_ge_f32_e64 s[12:13], 0, v42
	v_add_u32_e32 v42, 1, v12
	v_cndmask_b32_e64 v11, v12, v11, s[12:13]
	v_fma_f32 v12, -v42, v12, v9
	v_cmp_lt_f32_e64 s[12:13], 0, v12
	v_cndmask_b32_e64 v11, v11, v42, s[12:13]
	v_mul_f32_e32 v12, 0x37800000, v11
	v_cndmask_b32_e32 v11, v11, v12, vcc
	v_cmp_class_f32_e32 vcc, v9, v22
	v_cndmask_b32_e32 v9, v11, v9, vcc
	v_mul_f32_e32 v46, v10, v9
.LBB43_251:                             ;   in Loop: Header=BB43_5 Depth=1
	s_or_b64 exec, exec, s[44:45]
	s_mov_b64 s[12:13], exec
.LBB43_252:                             ;   in Loop: Header=BB43_5 Depth=1
	s_or_b64 exec, exec, s[42:43]
                                        ; implicit-def: $vgpr9
.LBB43_253:                             ;   in Loop: Header=BB43_5 Depth=1
	s_andn2_saveexec_b64 s[40:41], s[40:41]
; %bb.254:                              ;   in Loop: Header=BB43_5 Depth=1
	v_mul_f32_e32 v46, 0x4b800000, v9
	v_mul_f32_e64 v45, |v1|, s71
	s_or_b64 s[12:13], s[12:13], exec
                                        ; implicit-def: $vgpr44
; %bb.255:                              ;   in Loop: Header=BB43_5 Depth=1
	s_or_b64 exec, exec, s[40:41]
	s_xor_b64 s[12:13], s[12:13], -1
                                        ; implicit-def: $vgpr9
	s_and_saveexec_b64 s[40:41], s[12:13]
	s_xor_b64 s[40:41], exec, s[40:41]
	s_cbranch_execz .LBB43_261
; %bb.256:                              ;   in Loop: Header=BB43_5 Depth=1
                                        ; implicit-def: $vgpr9
	s_and_saveexec_b64 s[12:13], s[10:11]
	s_xor_b64 s[12:13], exec, s[12:13]
	s_cbranch_execz .LBB43_258
; %bb.257:                              ;   in Loop: Header=BB43_5 Depth=1
	v_fma_f32 v9, |v44|, -0.5, 0.5
	v_mul_f32_e32 v10, v44, v44
	v_cmp_gt_f32_e64 vcc, |v44|, 0.5
	v_cndmask_b32_e32 v9, v10, v9, vcc
	v_mov_b32_e32 v10, 0x3c5fc5da
	v_fmac_f32_e32 v10, 0x3d1c21a7, v9
	v_fma_f32 v10, v9, v10, v24
	v_fma_f32 v10, v9, v10, v25
	v_sqrt_f32_e32 v11, v9
	v_fma_f32 v10, v9, v10, v26
	v_fma_f32 v10, v9, v10, v27
	v_mul_f32_e32 v9, v9, v10
	v_fmac_f32_e32 v11, v11, v9
	v_fmac_f32_e32 v44, v44, v9
	v_add_f32_e32 v10, v11, v11
	v_sub_f32_e32 v9, 0x3fc90fdb, v44
	v_cndmask_b32_e32 v9, v9, v10, vcc
                                        ; implicit-def: $vgpr44
.LBB43_258:                             ;   in Loop: Header=BB43_5 Depth=1
	s_andn2_saveexec_b64 s[42:43], s[12:13]
	s_cbranch_execz .LBB43_260
; %bb.259:                              ;   in Loop: Header=BB43_5 Depth=1
	v_fma_f32 v9, |v44|, -0.5, 0.5
	v_mul_f32_e32 v10, v44, v44
	v_cmp_gt_f32_e64 vcc, |v44|, 0.5
	v_cndmask_b32_e32 v9, v10, v9, vcc
	v_mov_b32_e32 v10, 0x3c5fc5da
	v_fmac_f32_e32 v10, 0x3d1c21a7, v9
	v_fma_f32 v10, v9, v10, v24
	v_fma_f32 v10, v9, v10, v25
	v_sqrt_f32_e32 v11, v9
	v_fma_f32 v10, v9, v10, v26
	v_fma_f32 v10, v9, v10, v27
	v_mul_f32_e32 v9, v9, v10
	v_fmac_f32_e32 v11, v11, v9
	v_add_f32_e32 v10, v11, v11
	v_sub_f32_e32 v11, 0x40490fdb, v10
	v_cmp_lt_f32_e64 s[12:13], 0, v44
	v_fma_f32 v9, -v44, v9, -v44
	v_cndmask_b32_e64 v10, v10, v11, s[12:13]
	v_sub_f32_e32 v9, 0x3fc90fdb, v9
	v_cndmask_b32_e32 v9, v9, v10, vcc
.LBB43_260:                             ;   in Loop: Header=BB43_5 Depth=1
	s_or_b64 exec, exec, s[42:43]
                                        ; implicit-def: $vgpr45
                                        ; implicit-def: $vgpr46
.LBB43_261:                             ;   in Loop: Header=BB43_5 Depth=1
	s_andn2_saveexec_b64 s[12:13], s[40:41]
	s_cbranch_execz .LBB43_267
; %bb.262:                              ;   in Loop: Header=BB43_5 Depth=1
	v_max_f32_e64 v9, |v46|, |v46|
	v_max_f32_e32 v10, v45, v45
	v_min_f32_e32 v11, v10, v9
	v_max_f32_e32 v9, v10, v9
	v_frexp_mant_f32_e32 v10, v9
	v_rcp_f32_e32 v10, v10
	v_frexp_exp_i32_f32_e32 v9, v9
	v_frexp_exp_i32_f32_e32 v12, v11
	v_frexp_mant_f32_e32 v11, v11
	v_mul_f32_e32 v10, v11, v10
	v_sub_u32_e32 v9, v12, v9
	v_ldexp_f32 v9, v10, v9
	v_mul_f32_e32 v10, v9, v9
	v_mov_b32_e32 v11, 0xbc7a590c
	v_fmac_f32_e32 v11, 0x3b2d2a58, v10
	v_fma_f32 v11, v10, v11, v28
	v_fma_f32 v11, v10, v11, v29
	v_fma_f32 v11, v10, v11, v30
	v_fma_f32 v11, v10, v11, v31
	v_fma_f32 v11, v10, v11, v32
	v_fma_f32 v11, v10, v11, v33
	v_mul_f32_e32 v10, v10, v11
	v_fmac_f32_e32 v9, v9, v10
	v_sub_f32_e32 v10, 0x3fc90fdb, v9
	v_cmp_gt_f32_e64 vcc, |v46|, v45
	v_cndmask_b32_e32 v10, v9, v10, vcc
                                        ; implicit-def: $vgpr9
	s_and_saveexec_b64 s[40:41], s[10:11]
	s_xor_b64 s[10:11], exec, s[40:41]
; %bb.263:                              ;   in Loop: Header=BB43_5 Depth=1
	v_cmp_neq_f32_e32 vcc, 0, v46
	v_cndmask_b32_e32 v9, 0, v10, vcc
	v_cmp_eq_f32_e32 vcc, s56, v45
	v_cmp_class_f32_e64 s[40:41], v46, s72
	s_and_b64 vcc, vcc, s[40:41]
	v_cndmask_b32_e32 v9, v9, v38, vcc
	v_cmp_o_f32_e32 vcc, v46, v46
	v_cndmask_b32_e32 v9, v36, v9, vcc
	v_bfi_b32 v9, s55, v9, v46
                                        ; implicit-def: $vgpr10
                                        ; implicit-def: $vgpr45
                                        ; implicit-def: $vgpr46
; %bb.264:                              ;   in Loop: Header=BB43_5 Depth=1
	s_andn2_saveexec_b64 s[10:11], s[10:11]
	s_cbranch_execz .LBB43_266
; %bb.265:                              ;   in Loop: Header=BB43_5 Depth=1
	v_sub_f32_e32 v9, 0x40490fdb, v10
	v_cmp_lt_f32_e32 vcc, 0, v45
	v_cndmask_b32_e32 v9, v10, v9, vcc
	v_cmp_neq_f32_e32 vcc, 0, v46
	v_cndmask_b32_e32 v9, v39, v9, vcc
	v_cmp_eq_f32_e32 vcc, s56, v45
	v_cmp_class_f32_e64 s[40:41], v46, s72
	s_and_b64 vcc, vcc, s[40:41]
	v_cndmask_b32_e32 v9, v9, v40, vcc
	v_cmp_o_f32_e32 vcc, v46, v46
	v_cndmask_b32_e32 v9, v36, v9, vcc
	v_bfi_b32 v9, s55, v9, v46
.LBB43_266:                             ;   in Loop: Header=BB43_5 Depth=1
	s_or_b64 exec, exec, s[10:11]
.LBB43_267:                             ;   in Loop: Header=BB43_5 Depth=1
	s_or_b64 exec, exec, s[12:13]
	v_cndmask_b32_e64 v10, -v41, v41, s[6:7]
.LBB43_268:                             ;   in Loop: Header=BB43_5 Depth=1
	s_andn2_saveexec_b64 s[10:11], s[38:39]
	s_cbranch_execz .LBB43_270
; %bb.269:                              ;   in Loop: Header=BB43_5 Depth=1
	v_mov_b32_e32 v11, s20
	v_mov_b32_e32 v12, s21
	flat_load_dword v9, v[11:12] glc
	s_waitcnt vmcnt(0) lgkmcnt(0)
	v_sub_f32_e32 v9, v9, v1
	v_add_f32_e32 v9, 0x3fc90fdb, v9
.LBB43_270:                             ;   in Loop: Header=BB43_5 Depth=1
	s_or_b64 exec, exec, s[10:11]
.LBB43_271:                             ;   in Loop: Header=BB43_5 Depth=1
	s_andn2_saveexec_b64 s[10:11], s[36:37]
; %bb.272:                              ;   in Loop: Header=BB43_5 Depth=1
	v_mov_b32_e32 v9, 0
; %bb.273:                              ;   in Loop: Header=BB43_5 Depth=1
	s_or_b64 exec, exec, s[10:11]
                                        ; implicit-def: $vgpr41
                                        ; implicit-def: $vgpr12
                                        ; implicit-def: $vgpr11
.LBB43_274:                             ;   in Loop: Header=BB43_5 Depth=1
	s_andn2_saveexec_b64 s[34:35], s[34:35]
	s_cbranch_execz .LBB43_284
; %bb.275:                              ;   in Loop: Header=BB43_5 Depth=1
	v_cmp_lt_f32_e64 s[10:11], |v1|, |v2|
	v_cndmask_b32_e64 v42, |v1|, |v2|, s[10:11]
	v_cmp_nlt_f32_e32 vcc, s73, v42
                                        ; implicit-def: $vgpr10
                                        ; implicit-def: $vgpr9
	s_and_saveexec_b64 s[12:13], vcc
	s_xor_b64 s[36:37], exec, s[12:13]
	s_cbranch_execz .LBB43_281
; %bb.276:                              ;   in Loop: Header=BB43_5 Depth=1
	v_cndmask_b32_e64 v43, |v2|, |v1|, s[10:11]
	v_cmp_nlt_f32_e32 vcc, s74, v42
	v_cmp_ngt_f32_e64 s[12:13], s75, v43
	s_and_b64 s[12:13], vcc, s[12:13]
                                        ; implicit-def: $vgpr10
                                        ; implicit-def: $vgpr9
	s_and_saveexec_b64 s[38:39], s[12:13]
	s_xor_b64 s[12:13], exec, s[38:39]
	s_cbranch_execz .LBB43_278
; %bb.277:                              ;   in Loop: Header=BB43_5 Depth=1
	v_mul_f32_e32 v9, v43, v43
	v_fmac_f32_e32 v9, v42, v42
	v_cmp_gt_f32_e32 vcc, s60, v9
	v_cndmask_b32_e64 v10, 0, 32, vcc
	v_ldexp_f32 v9, v9, v10
	v_log_f32_e32 v9, v9
	v_cndmask_b32_e32 v10, 0, v35, vcc
	v_mul_f32_e32 v42, 0x3f317217, v9
	v_fma_f32 v42, v9, s61, -v42
	v_fmac_f32_e32 v42, 0x3377d1cf, v9
	v_fmac_f32_e32 v42, 0x3f317217, v9
	v_cmp_lt_f32_e64 vcc, |v9|, s56
	v_cndmask_b32_e32 v9, v9, v42, vcc
	v_sub_f32_e32 v9, v9, v10
	v_mul_f32_e32 v10, 0.5, v9
	v_min_f32_e32 v9, v41, v12
	v_frexp_mant_f32_e32 v12, v11
	v_rcp_f32_e32 v12, v12
	v_frexp_exp_i32_f32_e32 v11, v11
	v_frexp_exp_i32_f32_e32 v41, v9
	v_frexp_mant_f32_e32 v9, v9
	v_mul_f32_e32 v9, v9, v12
	v_sub_u32_e32 v11, v41, v11
	v_ldexp_f32 v9, v9, v11
	v_mul_f32_e32 v11, v9, v9
	v_mov_b32_e32 v12, 0xbc7a590c
	v_fmac_f32_e32 v12, 0x3b2d2a58, v11
	v_fma_f32 v12, v11, v12, v28
	v_fma_f32 v12, v11, v12, v29
	;; [unrolled: 1-line block ×6, first 2 shown]
	v_mul_f32_e32 v11, v11, v12
	v_fmac_f32_e32 v9, v9, v11
                                        ; implicit-def: $vgpr11
                                        ; implicit-def: $vgpr41
                                        ; implicit-def: $vgpr12
.LBB43_278:                             ;   in Loop: Header=BB43_5 Depth=1
	s_andn2_saveexec_b64 s[12:13], s[12:13]
	s_cbranch_execz .LBB43_280
; %bb.279:                              ;   in Loop: Header=BB43_5 Depth=1
	v_cvt_f64_f32_e32 v[9:10], v11
	v_cmp_neq_f32_e32 vcc, s56, v11
	v_mov_b32_e32 v42, 0xbc7a590c
	v_frexp_exp_i32_f64_e32 v9, v[9:10]
	v_min_f32_e32 v10, v41, v12
	v_frexp_exp_i32_f32_e32 v12, v11
	v_frexp_mant_f32_e32 v41, v11
	v_rcp_f32_e32 v41, v41
	v_frexp_exp_i32_f32_e32 v43, v10
	v_frexp_mant_f32_e32 v10, v10
	v_sub_u32_e32 v12, v43, v12
	v_sub_u32_e32 v44, 0, v9
	v_ldexp_f32 v45, |v1|, v44
	v_ldexp_f32 v44, |v2|, v44
	v_mul_f32_e32 v44, v44, v44
	v_fmac_f32_e32 v44, v45, v45
	v_sqrt_f32_e32 v44, v44
	v_mul_f32_e32 v10, v10, v41
	v_ldexp_f32 v9, v44, v9
	v_cndmask_b32_e32 v9, v34, v9, vcc
	v_cmp_gt_f32_e32 vcc, s60, v9
	v_cndmask_b32_e64 v11, 0, 32, vcc
	v_ldexp_f32 v9, v9, v11
	v_log_f32_e32 v11, v9
	v_ldexp_f32 v9, v10, v12
	v_mul_f32_e32 v12, v9, v9
	v_cndmask_b32_e32 v10, 0, v35, vcc
	v_mul_f32_e32 v41, 0x3f317217, v11
	v_fma_f32 v41, v11, s61, -v41
	v_fmac_f32_e32 v41, 0x3377d1cf, v11
	v_fmac_f32_e32 v41, 0x3f317217, v11
	v_cmp_lt_f32_e64 vcc, |v11|, s56
	v_cndmask_b32_e32 v11, v11, v41, vcc
	v_fmac_f32_e32 v42, 0x3b2d2a58, v12
	v_sub_f32_e32 v10, v11, v10
	v_fma_f32 v11, v12, v42, v28
	v_fma_f32 v11, v12, v11, v29
	;; [unrolled: 1-line block ×6, first 2 shown]
	v_mul_f32_e32 v11, v12, v11
	v_fmac_f32_e32 v9, v9, v11
.LBB43_280:                             ;   in Loop: Header=BB43_5 Depth=1
	s_or_b64 exec, exec, s[12:13]
                                        ; implicit-def: $vgpr41
                                        ; implicit-def: $vgpr12
                                        ; implicit-def: $vgpr11
.LBB43_281:                             ;   in Loop: Header=BB43_5 Depth=1
	s_andn2_saveexec_b64 s[36:37], s[36:37]
	s_cbranch_execz .LBB43_283
; %bb.282:                              ;   in Loop: Header=BB43_5 Depth=1
	v_div_scale_f32 v9, s[12:13], s76, s76, v1
	v_div_scale_f32 v10, s[12:13], s76, s76, v2
	v_div_scale_f32 v42, vcc, v1, s76, v1
	v_div_scale_f32 v43, s[12:13], v2, s76, v2
	v_min_f32_e32 v12, v41, v12
	v_frexp_exp_i32_f32_e32 v41, v11
	v_frexp_mant_f32_e32 v11, v11
	v_rcp_f32_e32 v11, v11
	v_rcp_f32_e32 v44, v9
	;; [unrolled: 1-line block ×3, first 2 shown]
	v_fma_f32 v46, -v9, v44, 1.0
	v_fmac_f32_e32 v44, v46, v44
	v_fma_f32 v47, -v10, v45, 1.0
	v_fmac_f32_e32 v45, v47, v45
	v_mul_f32_e32 v46, v42, v44
	v_mul_f32_e32 v47, v43, v45
	v_fma_f32 v48, -v9, v46, v42
	v_fma_f32 v49, -v10, v47, v43
	v_fmac_f32_e32 v46, v48, v44
	v_fmac_f32_e32 v47, v49, v45
	v_fma_f32 v9, -v9, v46, v42
	v_fma_f32 v10, -v10, v47, v43
	v_div_fmas_f32 v9, v9, v44, v46
	s_mov_b64 vcc, s[12:13]
	v_div_fmas_f32 v10, v10, v45, v47
	v_frexp_exp_i32_f32_e32 v46, v12
	v_frexp_mant_f32_e32 v12, v12
	v_mul_f32_e32 v11, v12, v11
	v_mov_b32_e32 v42, 0xbc7a590c
	v_div_fixup_f32 v43, v9, s76, v1
	v_div_fixup_f32 v44, v10, s76, v2
	v_max_f32_e64 v45, |v43|, |v44|
	v_cvt_f64_f32_e32 v[9:10], v45
	v_cmp_neq_f32_e32 vcc, s56, v45
	v_frexp_exp_i32_f64_e32 v10, v[9:10]
	v_sub_u32_e32 v9, v46, v41
	v_ldexp_f32 v9, v11, v9
	v_mul_f32_e32 v11, v9, v9
	v_fmac_f32_e32 v42, 0x3b2d2a58, v11
	v_fma_f32 v12, v11, v42, v28
	v_fma_f32 v12, v11, v12, v29
	v_fma_f32 v12, v11, v12, v30
	v_sub_u32_e32 v41, 0, v10
	v_ldexp_f32 v42, |v43|, v41
	v_ldexp_f32 v41, |v44|, v41
	v_mul_f32_e32 v41, v41, v41
	v_fmac_f32_e32 v41, v42, v42
	v_sqrt_f32_e32 v41, v41
	v_fma_f32 v12, v11, v12, v31
	v_fma_f32 v12, v11, v12, v32
	;; [unrolled: 1-line block ×3, first 2 shown]
	v_ldexp_f32 v10, v41, v10
	v_cndmask_b32_e32 v10, v34, v10, vcc
	v_cmp_gt_f32_e32 vcc, s60, v10
	v_cndmask_b32_e64 v41, 0, 32, vcc
	v_ldexp_f32 v10, v10, v41
	v_log_f32_e32 v10, v10
	v_mul_f32_e32 v11, v11, v12
	v_cndmask_b32_e32 v12, 0, v35, vcc
	v_fmac_f32_e32 v9, v9, v11
	v_mul_f32_e32 v41, 0x3f317217, v10
	v_fma_f32 v41, v10, s61, -v41
	v_fmac_f32_e32 v41, 0x3377d1cf, v10
	v_fmac_f32_e32 v41, 0x3f317217, v10
	v_cmp_lt_f32_e64 vcc, |v10|, s56
	v_cndmask_b32_e32 v10, v10, v41, vcc
	v_sub_f32_e32 v10, v10, v12
	v_add_f32_e32 v10, 1.0, v10
.LBB43_283:                             ;   in Loop: Header=BB43_5 Depth=1
	s_or_b64 exec, exec, s[36:37]
	v_sub_f32_e32 v11, 0x3fc90fdb, v9
	v_cndmask_b32_e64 v9, v9, v11, s[10:11]
	v_sub_f32_e32 v11, 0x40490fdb, v9
	v_cmp_gt_f32_e32 vcc, 0, v1
	v_cndmask_b32_e32 v9, v9, v11, vcc
	v_cndmask_b32_e64 v11, 0, v39, s[8:9]
	v_cndmask_b32_e32 v12, v38, v40, vcc
	v_cmp_class_f32_e64 s[8:9], v1, s72
	v_cmp_class_f32_e64 s[10:11], v2, s72
	v_cmp_eq_f32_e32 vcc, 0, v2
	v_cndmask_b32_e64 v9, |v9|, v11, vcc
	s_and_b64 vcc, s[8:9], s[10:11]
	v_add_f32_e32 v10, 0x3f317218, v10
	v_cndmask_b32_e32 v9, v9, v12, vcc
	v_cndmask_b32_e64 v10, -v10, v10, s[6:7]
.LBB43_284:                             ;   in Loop: Header=BB43_5 Depth=1
	s_or_b64 exec, exec, s[34:35]
.LBB43_285:                             ;   in Loop: Header=BB43_5 Depth=1
	s_andn2_saveexec_b64 s[6:7], s[30:31]
	s_cbranch_execz .LBB43_299
; %bb.286:                              ;   in Loop: Header=BB43_5 Depth=1
	v_cmp_neq_f32_e64 s[8:9], |v1|, s56
                                        ; implicit-def: $vgpr10
	s_and_saveexec_b64 s[10:11], s[8:9]
	s_xor_b64 s[8:9], exec, s[10:11]
	s_cbranch_execz .LBB43_296
; %bb.287:                              ;   in Loop: Header=BB43_5 Depth=1
	v_cmp_neq_f32_e64 s[10:11], |v2|, s56
	v_xor_b32_e32 v10, 0x80000000, v2
	s_and_saveexec_b64 s[12:13], s[10:11]
	s_xor_b64 s[10:11], exec, s[12:13]
	s_cbranch_execz .LBB43_293
; %bb.288:                              ;   in Loop: Header=BB43_5 Depth=1
	v_cmp_neq_f32_e32 vcc, 0, v1
                                        ; implicit-def: $vgpr10
	s_and_saveexec_b64 s[12:13], vcc
	s_xor_b64 s[12:13], exec, s[12:13]
; %bb.289:                              ;   in Loop: Header=BB43_5 Depth=1
	v_add_f32_e32 v9, 0, v2
	v_add_f32_e32 v10, v1, v9
; %bb.290:                              ;   in Loop: Header=BB43_5 Depth=1
	s_or_saveexec_b64 s[12:13], s[12:13]
	v_mov_b32_e32 v9, v10
	s_xor_b64 exec, exec, s[12:13]
	s_cbranch_execz .LBB43_292
; %bb.291:                              ;   in Loop: Header=BB43_5 Depth=1
	v_mov_b32_e32 v9, s20
	v_mov_b32_e32 v10, s21
	flat_load_dword v9, v[9:10] glc
	s_waitcnt vmcnt(0)
	v_add_f32_e32 v10, v2, v2
	s_waitcnt lgkmcnt(0)
	v_add_f32_e32 v9, 0x3fc90fdb, v9
.LBB43_292:                             ;   in Loop: Header=BB43_5 Depth=1
	s_or_b64 exec, exec, s[12:13]
.LBB43_293:                             ;   in Loop: Header=BB43_5 Depth=1
	s_andn2_saveexec_b64 s[10:11], s[10:11]
; %bb.294:                              ;   in Loop: Header=BB43_5 Depth=1
	v_add_f32_e32 v9, v1, v1
; %bb.295:                              ;   in Loop: Header=BB43_5 Depth=1
	s_or_b64 exec, exec, s[10:11]
.LBB43_296:                             ;   in Loop: Header=BB43_5 Depth=1
	s_andn2_saveexec_b64 s[8:9], s[8:9]
; %bb.297:                              ;   in Loop: Header=BB43_5 Depth=1
	v_add_f32_e32 v9, v2, v2
	v_mov_b32_e32 v10, 0xff800000
; %bb.298:                              ;   in Loop: Header=BB43_5 Depth=1
	s_or_b64 exec, exec, s[8:9]
.LBB43_299:                             ;   in Loop: Header=BB43_5 Depth=1
	s_or_b64 exec, exec, s[6:7]
	v_mov_b32_e32 v1, s20
	v_mov_b32_e32 v2, s21
	v_cmp_o_f32_e32 vcc, v3, v4
	flat_store_dword v[1:2], v20
	s_waitcnt vmcnt(0)
	s_and_saveexec_b64 s[6:7], vcc
	s_xor_b64 s[30:31], exec, s[6:7]
	s_cbranch_execz .LBB43_383
; %bb.300:                              ;   in Loop: Header=BB43_5 Depth=1
	v_max_f32_e64 v41, |v4|, |v4|
	v_max_f32_e64 v2, |v3|, |v3|
	v_max_f32_e32 v1, v2, v41
	v_cmp_gt_i32_e64 s[8:9], 0, v3
	v_cmp_lt_i32_e64 s[10:11], -1, v3
	v_cmp_gt_i32_e64 s[6:7], 0, v4
	v_cmp_nlt_f32_e32 vcc, s50, v1
	s_and_saveexec_b64 s[12:13], vcc
	s_xor_b64 s[34:35], exec, s[12:13]
	s_cbranch_execz .LBB43_372
; %bb.301:                              ;   in Loop: Header=BB43_5 Depth=1
	v_cmp_neq_f32_e32 vcc, 1.0, v3
	v_cmp_neq_f32_e64 s[12:13], 0, v4
	s_or_b64 s[12:13], vcc, s[12:13]
	v_xor_b32_e32 v12, 0x80000000, v4
	s_and_saveexec_b64 s[36:37], s[12:13]
	s_xor_b64 s[36:37], exec, s[36:37]
	s_cbranch_execz .LBB43_369
; %bb.302:                              ;   in Loop: Header=BB43_5 Depth=1
	v_mov_b32_e32 v1, s24
	v_mov_b32_e32 v2, s25
	flat_store_dword v[1:2], v21
	s_waitcnt vmcnt(0)
	flat_load_dword v1, v[1:2] glc
	s_waitcnt vmcnt(0)
	v_cmp_nlt_f32_e64 s[12:13], |v3|, s51
	v_cmp_nlt_f32_e64 s[38:39], |v4|, s51
	s_or_b64 s[12:13], s[12:13], s[38:39]
	v_xor_b32_e32 v12, 0x80000000, v4
	s_waitcnt lgkmcnt(0)
	v_add_f32_e32 v11, 1.0, v1
	v_mov_b32_e32 v1, s26
	v_mov_b32_e32 v2, s27
	flat_store_dword v[1:2], v11
	s_waitcnt vmcnt(0)
	flat_load_dword v1, v[1:2] glc
	s_waitcnt vmcnt(0)
	s_and_saveexec_b64 s[38:39], s[12:13]
	s_xor_b64 s[38:39], exec, s[38:39]
	s_cbranch_execz .LBB43_366
; %bb.303:                              ;   in Loop: Header=BB43_5 Depth=1
	v_add_f32_e64 v2, |v3|, 1.0
	v_max_f32_e32 v43, v41, v2
	s_waitcnt lgkmcnt(0)
	v_add_f32_e64 v1, |v3|, -1.0
	v_cvt_f64_f32_e32 v[11:12], v43
	v_max_f32_e64 v44, v41, |v1|
	v_cvt_f64_f32_e32 v[41:42], v44
	v_cmp_neq_f32_e32 vcc, s56, v43
	v_frexp_exp_i32_f64_e32 v11, v[11:12]
	v_frexp_exp_i32_f64_e32 v12, v[41:42]
	v_sub_u32_e32 v41, 0, v11
	v_ldexp_f32 v45, |v4|, v41
	v_sub_u32_e32 v42, 0, v12
	v_ldexp_f32 v41, v2, v41
	v_ldexp_f32 v46, |v4|, v42
	v_ldexp_f32 v42, |v1|, v42
	v_mul_f32_e32 v41, v41, v41
	v_mul_f32_e32 v42, v42, v42
	v_fmac_f32_e32 v41, v45, v45
	v_fmac_f32_e32 v42, v46, v46
	v_sqrt_f32_e32 v41, v41
	v_sqrt_f32_e32 v42, v42
	v_ldexp_f32 v11, v41, v11
	v_ldexp_f32 v12, v42, v12
	v_cndmask_b32_e32 v43, v34, v11, vcc
	v_cmp_neq_f32_e32 vcc, s56, v44
	v_cndmask_b32_e32 v12, v34, v12, vcc
	v_add_f32_e32 v11, v43, v12
	v_mul_f32_e32 v11, 0.5, v11
	v_cmp_ngt_f32_e32 vcc, 1.0, v11
	v_cndmask_b32_e32 v11, 1.0, v11, vcc
	v_cmp_ngt_f32_e32 vcc, s57, v11
                                        ; implicit-def: $vgpr41
	s_and_saveexec_b64 s[12:13], vcc
	s_xor_b64 s[40:41], exec, s[12:13]
	s_cbranch_execz .LBB43_305
; %bb.304:                              ;   in Loop: Header=BB43_5 Depth=1
	v_fma_f32 v41, v11, v11, -1.0
	v_mul_f32_e32 v42, 0x4f800000, v41
	v_cmp_gt_f32_e32 vcc, s58, v41
	v_cndmask_b32_e32 v41, v41, v42, vcc
	v_sqrt_f32_e32 v42, v41
	v_add_u32_e32 v44, -1, v42
	v_fma_f32 v46, -v44, v42, v41
	v_add_u32_e32 v45, 1, v42
	v_cmp_ge_f32_e64 s[12:13], 0, v46
	v_cndmask_b32_e64 v44, v42, v44, s[12:13]
	v_fma_f32 v42, -v45, v42, v41
	v_cmp_lt_f32_e64 s[12:13], 0, v42
	v_cndmask_b32_e64 v42, v44, v45, s[12:13]
	v_mul_f32_e32 v44, 0x37800000, v42
	v_cndmask_b32_e32 v42, v42, v44, vcc
	v_cmp_class_f32_e32 vcc, v41, v22
	v_cndmask_b32_e32 v41, v42, v41, vcc
	v_add_f32_e32 v41, v11, v41
	v_cmp_gt_f32_e32 vcc, s60, v41
	v_cndmask_b32_e64 v42, 0, 32, vcc
	v_ldexp_f32 v41, v41, v42
	v_log_f32_e32 v41, v41
	v_mul_f32_e32 v42, 0x3f317217, v41
	v_fma_f32 v42, v41, s61, -v42
	v_fmac_f32_e32 v42, 0x3377d1cf, v41
	v_fmac_f32_e32 v42, 0x3f317217, v41
	v_cmp_lt_f32_e64 s[12:13], |v41|, s56
	v_cndmask_b32_e64 v41, v41, v42, s[12:13]
	v_cndmask_b32_e32 v42, 0, v35, vcc
	v_sub_f32_e32 v41, v41, v42
.LBB43_305:                             ;   in Loop: Header=BB43_5 Depth=1
	s_or_saveexec_b64 s[40:41], s[40:41]
	v_and_b32_e32 v42, 0x7fffffff, v4
	s_xor_b64 exec, exec, s[40:41]
	s_cbranch_execz .LBB43_327
; %bb.306:                              ;   in Loop: Header=BB43_5 Depth=1
	v_cmp_neq_f32_e64 s[12:13], |v3|, 1.0
	v_cmp_nlt_f32_e64 s[42:43], |v4|, s62
	s_or_b64 s[12:13], s[12:13], s[42:43]
                                        ; implicit-def: $vgpr41
	s_and_saveexec_b64 s[42:43], s[12:13]
	s_xor_b64 s[42:43], exec, s[42:43]
	s_cbranch_execz .LBB43_324
; %bb.307:                              ;   in Loop: Header=BB43_5 Depth=1
	v_mul_f32_e64 v41, |v1|, s63
	v_cmp_ge_f32_e64 s[12:13], |v4|, v41
                                        ; implicit-def: $vgpr41
	s_and_saveexec_b64 s[44:45], s[12:13]
	s_xor_b64 s[44:45], exec, s[44:45]
	s_cbranch_execz .LBB43_317
; %bb.308:                              ;   in Loop: Header=BB43_5 Depth=1
	v_cmp_neq_f32_e32 vcc, 0, v2
	v_mov_b32_e32 v41, v42
	s_and_saveexec_b64 s[12:13], vcc
	s_cbranch_execz .LBB43_310
; %bb.309:                              ;   in Loop: Header=BB43_5 Depth=1
	v_mul_f32_e32 v41, v4, v4
	v_add_f32_e32 v44, v2, v43
	v_div_scale_f32 v45, s[46:47], v44, v44, v41
	v_div_scale_f32 v46, vcc, v41, v44, v41
	v_rcp_f32_e32 v47, v45
	v_fma_f32 v48, -v45, v47, 1.0
	v_fmac_f32_e32 v47, v48, v47
	v_mul_f32_e32 v48, v46, v47
	v_fma_f32 v49, -v45, v48, v46
	v_fmac_f32_e32 v48, v49, v47
	v_fma_f32 v45, -v45, v48, v46
	v_div_fmas_f32 v45, v45, v47, v48
	v_div_fixup_f32 v41, v45, v44, v41
.LBB43_310:                             ;   in Loop: Header=BB43_5 Depth=1
	s_or_b64 exec, exec, s[12:13]
	v_sub_f32_e64 v45, 1.0, |v3|
	v_cmp_ngt_f32_e32 vcc, 0, v45
                                        ; implicit-def: $vgpr44
	s_and_saveexec_b64 s[12:13], vcc
	s_xor_b64 s[12:13], exec, s[12:13]
	s_cbranch_execz .LBB43_314
; %bb.311:                              ;   in Loop: Header=BB43_5 Depth=1
	v_cmp_neq_f32_e32 vcc, 0, v45
	v_mov_b32_e32 v44, v42
	s_and_saveexec_b64 s[46:47], vcc
	s_cbranch_execz .LBB43_313
; %bb.312:                              ;   in Loop: Header=BB43_5 Depth=1
	v_mul_f32_e32 v44, v4, v4
	v_add_f32_e32 v45, v45, v12
	v_div_scale_f32 v46, s[48:49], v45, v45, v44
	v_div_scale_f32 v47, vcc, v44, v45, v44
	v_rcp_f32_e32 v48, v46
	v_fma_f32 v49, -v46, v48, 1.0
	v_fmac_f32_e32 v48, v49, v48
	v_mul_f32_e32 v49, v47, v48
	v_fma_f32 v50, -v46, v49, v47
	v_fmac_f32_e32 v49, v50, v48
	v_fma_f32 v46, -v46, v49, v47
	v_div_fmas_f32 v46, v46, v48, v49
	v_div_fixup_f32 v44, v46, v45, v44
.LBB43_313:                             ;   in Loop: Header=BB43_5 Depth=1
	s_or_b64 exec, exec, s[46:47]
                                        ; implicit-def: $vgpr45
.LBB43_314:                             ;   in Loop: Header=BB43_5 Depth=1
	s_andn2_saveexec_b64 s[12:13], s[12:13]
; %bb.315:                              ;   in Loop: Header=BB43_5 Depth=1
	v_sub_f32_e32 v44, v12, v45
; %bb.316:                              ;   in Loop: Header=BB43_5 Depth=1
	s_or_b64 exec, exec, s[12:13]
	v_mul_f32_e32 v44, 0.5, v44
	v_fmac_f32_e32 v44, 0.5, v41
	v_add_f32_e32 v41, 1.0, v11
	v_mul_f32_e32 v41, v41, v44
	v_mul_f32_e32 v45, 0x4f800000, v41
	v_cmp_gt_f32_e32 vcc, s58, v41
	v_cndmask_b32_e32 v41, v41, v45, vcc
	v_sqrt_f32_e32 v45, v41
	v_add_u32_e32 v46, -1, v45
	v_fma_f32 v47, -v46, v45, v41
	v_cmp_ge_f32_e64 s[12:13], 0, v47
	v_add_u32_e32 v47, 1, v45
	v_cndmask_b32_e64 v46, v45, v46, s[12:13]
	v_fma_f32 v45, -v47, v45, v41
	v_cmp_lt_f32_e64 s[12:13], 0, v45
	v_cndmask_b32_e64 v45, v46, v47, s[12:13]
	v_mul_f32_e32 v46, 0x37800000, v45
	v_cndmask_b32_e32 v45, v45, v46, vcc
	v_cmp_class_f32_e32 vcc, v41, v22
	v_cndmask_b32_e32 v41, v45, v41, vcc
	v_add_f32_e32 v41, v44, v41
	v_add_f32_e32 v46, 1.0, v41
	v_cvt_f64_f32_e32 v[44:45], v46
	v_add_f32_e32 v47, -1.0, v46
	v_frexp_exp_i32_f64_e32 v44, v[44:45]
	v_sub_f32_e32 v45, v47, v46
	v_add_f32_e32 v45, 1.0, v45
	v_sub_f32_e32 v47, v41, v47
	v_add_f32_e32 v45, v47, v45
	v_frexp_mant_f32_e32 v47, v46
	v_cmp_gt_f32_e32 vcc, s64, v47
	v_subbrev_co_u32_e32 v44, vcc, 0, v44, vcc
	v_sub_u32_e32 v47, 0, v44
	v_ldexp_f32 v46, v46, v47
	v_ldexp_f32 v45, v45, v47
	v_add_f32_e32 v47, -1.0, v46
	v_add_f32_e32 v50, 1.0, v46
	v_add_f32_e32 v48, 1.0, v47
	v_add_f32_e32 v51, -1.0, v50
	v_sub_f32_e32 v48, v46, v48
	v_sub_f32_e32 v46, v46, v51
	v_add_f32_e32 v48, v45, v48
	v_add_f32_e32 v45, v45, v46
	;; [unrolled: 1-line block ×3, first 2 shown]
	v_rcp_f32_e32 v51, v46
	v_add_f32_e32 v49, v47, v48
	v_sub_f32_e32 v47, v49, v47
	v_sub_f32_e32 v47, v48, v47
	;; [unrolled: 1-line block ×4, first 2 shown]
	v_mul_f32_e32 v48, v49, v51
	v_mul_f32_e32 v50, v46, v48
	v_fma_f32 v52, v48, v46, -v50
	v_fmac_f32_e32 v52, v48, v45
	v_add_f32_e32 v53, v50, v52
	v_sub_f32_e32 v54, v49, v53
	v_sub_f32_e32 v49, v49, v54
	;; [unrolled: 1-line block ×4, first 2 shown]
	v_add_f32_e32 v47, v47, v49
	v_sub_f32_e32 v49, v50, v52
	v_add_f32_e32 v47, v49, v47
	v_add_f32_e32 v49, v54, v47
	v_mul_f32_e32 v50, v51, v49
	v_mul_f32_e32 v52, v46, v50
	v_fma_f32 v46, v50, v46, -v52
	v_fmac_f32_e32 v46, v50, v45
	v_sub_f32_e32 v45, v54, v49
	v_add_f32_e32 v45, v47, v45
	v_add_f32_e32 v47, v52, v46
	v_sub_f32_e32 v53, v49, v47
	v_sub_f32_e32 v49, v49, v53
	;; [unrolled: 1-line block ×4, first 2 shown]
	v_add_f32_e32 v45, v45, v47
	v_sub_f32_e32 v46, v52, v46
	v_cvt_f32_i32_e32 v44, v44
	v_add_f32_e32 v45, v46, v45
	v_add_f32_e32 v46, v48, v50
	;; [unrolled: 1-line block ×3, first 2 shown]
	v_sub_f32_e32 v47, v46, v48
	v_mul_f32_e32 v45, v51, v45
	v_sub_f32_e32 v47, v50, v47
	v_add_f32_e32 v45, v47, v45
	v_mul_f32_e32 v50, 0x3f317218, v44
	v_add_f32_e32 v47, v46, v45
	v_fma_f32 v51, v44, s65, -v50
	v_mul_f32_e32 v48, v47, v47
	v_mov_b32_e32 v49, 0x3ecc95a3
	v_fmac_f32_e32 v51, 0xb102e308, v44
	v_sub_f32_e32 v44, v47, v46
	v_fmac_f32_e32 v49, 0x3e9b6dac, v48
	v_sub_f32_e32 v44, v45, v44
	v_add_f32_e32 v45, v50, v51
	v_fma_f32 v49, v48, v49, v23
	v_sub_f32_e32 v46, v45, v50
	v_ldexp_f32 v50, v47, 1
	v_mul_f32_e32 v47, v47, v48
	v_mul_f32_e32 v47, v47, v49
	v_add_f32_e32 v48, v50, v47
	v_sub_f32_e32 v49, v48, v50
	v_ldexp_f32 v44, v44, 1
	v_sub_f32_e32 v47, v47, v49
	v_add_f32_e32 v44, v44, v47
	v_add_f32_e32 v47, v48, v44
	v_sub_f32_e32 v48, v47, v48
	v_sub_f32_e32 v44, v44, v48
	v_add_f32_e32 v48, v45, v47
	v_sub_f32_e32 v49, v48, v45
	v_sub_f32_e32 v50, v48, v49
	;; [unrolled: 1-line block ×5, first 2 shown]
	v_add_f32_e32 v45, v47, v45
	v_add_f32_e32 v47, v46, v44
	v_sub_f32_e32 v49, v47, v46
	v_sub_f32_e32 v50, v47, v49
	v_sub_f32_e32 v46, v46, v50
	v_sub_f32_e32 v44, v44, v49
	v_add_f32_e32 v45, v47, v45
	v_add_f32_e32 v44, v44, v46
	;; [unrolled: 1-line block ×3, first 2 shown]
	v_sub_f32_e32 v47, v46, v48
	v_sub_f32_e32 v45, v45, v47
	v_add_f32_e32 v44, v44, v45
	v_add_f32_e32 v44, v46, v44
	v_cmp_neq_f32_e32 vcc, s56, v41
	v_cndmask_b32_e32 v44, v34, v44, vcc
	v_cmp_ngt_f32_e32 vcc, -1.0, v41
	v_cndmask_b32_e32 v44, v36, v44, vcc
	v_cmp_neq_f32_e32 vcc, -1.0, v41
	v_cndmask_b32_e32 v44, v37, v44, vcc
	v_cmp_lt_f32_e64 vcc, |v41|, s66
	v_cndmask_b32_e32 v41, v44, v41, vcc
.LBB43_317:                             ;   in Loop: Header=BB43_5 Depth=1
	s_andn2_saveexec_b64 s[44:45], s[44:45]
	s_cbranch_execz .LBB43_323
; %bb.318:                              ;   in Loop: Header=BB43_5 Depth=1
	v_cmp_nlt_f32_e64 s[12:13], |v3|, 1.0
                                        ; implicit-def: $vgpr41
	s_and_saveexec_b64 s[46:47], s[12:13]
	s_xor_b64 s[46:47], exec, s[46:47]
	s_cbranch_execz .LBB43_320
; %bb.319:                              ;   in Loop: Header=BB43_5 Depth=1
	v_mul_f32_e32 v41, v1, v2
	v_mul_f32_e32 v44, 0x4f800000, v41
	v_cmp_gt_f32_e32 vcc, s58, v41
	v_cndmask_b32_e32 v41, v41, v44, vcc
	v_sqrt_f32_e32 v44, v41
	v_add_u32_e32 v45, -1, v44
	v_fma_f32 v47, -v45, v44, v41
	v_add_u32_e32 v46, 1, v44
	v_cmp_ge_f32_e64 s[12:13], 0, v47
	v_cndmask_b32_e64 v45, v44, v45, s[12:13]
	v_fma_f32 v44, -v46, v44, v41
	v_cmp_lt_f32_e64 s[12:13], 0, v44
	v_cndmask_b32_e64 v44, v45, v46, s[12:13]
	v_mul_f32_e32 v45, 0x37800000, v44
	v_cndmask_b32_e32 v44, v44, v45, vcc
	v_cmp_class_f32_e32 vcc, v41, v22
	v_cndmask_b32_e32 v41, v44, v41, vcc
	v_add_f32_e32 v41, v1, v41
	v_add_f32_e32 v46, 1.0, v41
	v_cvt_f64_f32_e32 v[44:45], v46
	v_add_f32_e32 v47, -1.0, v46
	v_frexp_exp_i32_f64_e32 v44, v[44:45]
	v_sub_f32_e32 v45, v47, v46
	v_add_f32_e32 v45, 1.0, v45
	v_sub_f32_e32 v47, v41, v47
	v_add_f32_e32 v45, v47, v45
	v_frexp_mant_f32_e32 v47, v46
	v_cmp_gt_f32_e32 vcc, s64, v47
	v_subbrev_co_u32_e32 v44, vcc, 0, v44, vcc
	v_sub_u32_e32 v47, 0, v44
	v_ldexp_f32 v46, v46, v47
	v_ldexp_f32 v45, v45, v47
	v_add_f32_e32 v47, -1.0, v46
	v_add_f32_e32 v50, 1.0, v46
	v_add_f32_e32 v48, 1.0, v47
	v_add_f32_e32 v51, -1.0, v50
	v_sub_f32_e32 v48, v46, v48
	v_sub_f32_e32 v46, v46, v51
	v_add_f32_e32 v48, v45, v48
	v_add_f32_e32 v45, v45, v46
	;; [unrolled: 1-line block ×3, first 2 shown]
	v_rcp_f32_e32 v51, v46
	v_add_f32_e32 v49, v47, v48
	v_sub_f32_e32 v47, v49, v47
	v_sub_f32_e32 v47, v48, v47
	;; [unrolled: 1-line block ×4, first 2 shown]
	v_mul_f32_e32 v48, v49, v51
	v_mul_f32_e32 v50, v46, v48
	v_fma_f32 v52, v48, v46, -v50
	v_fmac_f32_e32 v52, v48, v45
	v_add_f32_e32 v53, v50, v52
	v_sub_f32_e32 v54, v49, v53
	v_sub_f32_e32 v49, v49, v54
	;; [unrolled: 1-line block ×4, first 2 shown]
	v_add_f32_e32 v47, v47, v49
	v_sub_f32_e32 v49, v50, v52
	v_add_f32_e32 v47, v49, v47
	v_add_f32_e32 v49, v54, v47
	v_mul_f32_e32 v50, v51, v49
	v_mul_f32_e32 v52, v46, v50
	v_fma_f32 v46, v50, v46, -v52
	v_fmac_f32_e32 v46, v50, v45
	v_sub_f32_e32 v45, v54, v49
	v_add_f32_e32 v45, v47, v45
	v_add_f32_e32 v47, v52, v46
	v_sub_f32_e32 v53, v49, v47
	v_sub_f32_e32 v49, v49, v53
	;; [unrolled: 1-line block ×4, first 2 shown]
	v_add_f32_e32 v45, v45, v47
	v_sub_f32_e32 v46, v52, v46
	v_cvt_f32_i32_e32 v44, v44
	v_add_f32_e32 v45, v46, v45
	v_add_f32_e32 v46, v48, v50
	;; [unrolled: 1-line block ×3, first 2 shown]
	v_sub_f32_e32 v47, v46, v48
	v_mul_f32_e32 v45, v51, v45
	v_sub_f32_e32 v47, v50, v47
	v_add_f32_e32 v45, v47, v45
	v_mul_f32_e32 v50, 0x3f317218, v44
	v_add_f32_e32 v47, v46, v45
	v_fma_f32 v51, v44, s65, -v50
	v_mul_f32_e32 v48, v47, v47
	v_mov_b32_e32 v49, 0x3ecc95a3
	v_fmac_f32_e32 v51, 0xb102e308, v44
	v_sub_f32_e32 v44, v47, v46
	v_fmac_f32_e32 v49, 0x3e9b6dac, v48
	v_sub_f32_e32 v44, v45, v44
	v_add_f32_e32 v45, v50, v51
	v_fma_f32 v49, v48, v49, v23
	v_sub_f32_e32 v46, v45, v50
	v_ldexp_f32 v50, v47, 1
	v_mul_f32_e32 v47, v47, v48
	v_mul_f32_e32 v47, v47, v49
	v_add_f32_e32 v48, v50, v47
	v_sub_f32_e32 v49, v48, v50
	v_ldexp_f32 v44, v44, 1
	v_sub_f32_e32 v47, v47, v49
	v_add_f32_e32 v44, v44, v47
	v_add_f32_e32 v47, v48, v44
	v_sub_f32_e32 v48, v47, v48
	v_sub_f32_e32 v44, v44, v48
	v_add_f32_e32 v48, v45, v47
	v_sub_f32_e32 v49, v48, v45
	v_sub_f32_e32 v50, v48, v49
	;; [unrolled: 1-line block ×5, first 2 shown]
	v_add_f32_e32 v45, v47, v45
	v_add_f32_e32 v47, v46, v44
	v_sub_f32_e32 v49, v47, v46
	v_sub_f32_e32 v50, v47, v49
	;; [unrolled: 1-line block ×4, first 2 shown]
	v_add_f32_e32 v45, v47, v45
	v_add_f32_e32 v44, v44, v46
	;; [unrolled: 1-line block ×3, first 2 shown]
	v_sub_f32_e32 v47, v46, v48
	v_sub_f32_e32 v45, v45, v47
	v_add_f32_e32 v44, v44, v45
	v_add_f32_e32 v44, v46, v44
	v_cmp_neq_f32_e32 vcc, s56, v41
	v_cndmask_b32_e32 v44, v34, v44, vcc
	v_cmp_ngt_f32_e32 vcc, -1.0, v41
	v_cndmask_b32_e32 v44, v36, v44, vcc
	v_cmp_neq_f32_e32 vcc, -1.0, v41
	v_cndmask_b32_e32 v44, v37, v44, vcc
	v_cmp_lt_f32_e64 vcc, |v41|, s66
	v_cndmask_b32_e32 v41, v44, v41, vcc
.LBB43_320:                             ;   in Loop: Header=BB43_5 Depth=1
	s_andn2_saveexec_b64 s[46:47], s[46:47]
	s_cbranch_execz .LBB43_322
; %bb.321:                              ;   in Loop: Header=BB43_5 Depth=1
	v_sub_f32_e64 v41, 1.0, |v3|
	v_mul_f32_e32 v41, v41, v2
	v_mul_f32_e32 v44, 0x4f800000, v41
	v_cmp_gt_f32_e32 vcc, s58, v41
	v_cndmask_b32_e32 v41, v41, v44, vcc
	v_sqrt_f32_e32 v44, v41
	v_add_u32_e32 v45, -1, v44
	v_fma_f32 v47, -v45, v44, v41
	v_add_u32_e32 v46, 1, v44
	v_cmp_ge_f32_e64 s[12:13], 0, v47
	v_cndmask_b32_e64 v45, v44, v45, s[12:13]
	v_fma_f32 v44, -v46, v44, v41
	v_cmp_lt_f32_e64 s[12:13], 0, v44
	v_cndmask_b32_e64 v44, v45, v46, s[12:13]
	v_mul_f32_e32 v45, 0x37800000, v44
	v_cndmask_b32_e32 v44, v44, v45, vcc
	v_cmp_class_f32_e32 vcc, v41, v22
	v_cndmask_b32_e32 v41, v44, v41, vcc
	v_and_b32_e32 v44, 0x7fffffff, v4
	v_div_scale_f32 v45, s[12:13], v41, v41, v44
	v_div_scale_f32 v44, vcc, v44, v41, v44
	v_rcp_f32_e32 v46, v45
	v_fma_f32 v47, -v45, v46, 1.0
	v_fmac_f32_e32 v46, v47, v46
	v_mul_f32_e32 v47, v44, v46
	v_fma_f32 v48, -v45, v47, v44
	v_fmac_f32_e32 v47, v48, v46
	v_fma_f32 v44, -v45, v47, v44
	v_div_fmas_f32 v44, v44, v46, v47
	v_div_fixup_f32 v41, v44, v41, |v4|
.LBB43_322:                             ;   in Loop: Header=BB43_5 Depth=1
	s_or_b64 exec, exec, s[46:47]
.LBB43_323:                             ;   in Loop: Header=BB43_5 Depth=1
	s_or_b64 exec, exec, s[44:45]
.LBB43_324:                             ;   in Loop: Header=BB43_5 Depth=1
	s_andn2_saveexec_b64 s[42:43], s[42:43]
	s_cbranch_execz .LBB43_326
; %bb.325:                              ;   in Loop: Header=BB43_5 Depth=1
	v_mul_f32_e64 v41, |v4|, s59
	v_cmp_lt_f32_e64 vcc, |v4|, s58
	v_cndmask_b32_e64 v41, |v4|, v41, vcc
	v_sqrt_f32_e32 v44, v41
	v_add_u32_e32 v45, -1, v44
	v_fma_f32 v47, -v45, v44, v41
	v_add_u32_e32 v46, 1, v44
	v_cmp_ge_f32_e64 s[12:13], 0, v47
	v_cndmask_b32_e64 v45, v44, v45, s[12:13]
	v_fma_f32 v44, -v46, v44, v41
	v_cmp_lt_f32_e64 s[12:13], 0, v44
	v_cndmask_b32_e64 v44, v45, v46, s[12:13]
	v_mul_f32_e32 v45, 0x37800000, v44
	v_cndmask_b32_e32 v44, v44, v45, vcc
	v_cmp_class_f32_e32 vcc, v41, v22
	v_cndmask_b32_e32 v41, v44, v41, vcc
.LBB43_326:                             ;   in Loop: Header=BB43_5 Depth=1
	s_or_b64 exec, exec, s[42:43]
.LBB43_327:                             ;   in Loop: Header=BB43_5 Depth=1
	s_or_b64 exec, exec, s[40:41]
	v_cmp_nlt_f32_e64 s[40:41], |v3|, s67
                                        ; implicit-def: $sgpr12_sgpr13
                                        ; implicit-def: $vgpr44
                                        ; implicit-def: $vgpr46
                                        ; implicit-def: $vgpr45
	s_and_saveexec_b64 s[42:43], s[40:41]
	s_xor_b64 s[40:41], exec, s[42:43]
	s_cbranch_execz .LBB43_351
; %bb.328:                              ;   in Loop: Header=BB43_5 Depth=1
	v_and_b32_e32 v45, 0x7fffffff, v3
	v_div_scale_f32 v44, s[12:13], v11, v11, v45
	v_div_scale_f32 v46, vcc, v45, v11, v45
	s_mov_b64 s[12:13], 0
	v_rcp_f32_e32 v47, v44
	v_fma_f32 v48, -v44, v47, 1.0
	v_fmac_f32_e32 v47, v48, v47
	v_mul_f32_e32 v48, v46, v47
	v_fma_f32 v49, -v44, v48, v46
	v_fmac_f32_e32 v48, v49, v47
	v_fma_f32 v44, -v44, v48, v46
	v_div_fmas_f32 v44, v44, v47, v48
                                        ; implicit-def: $vgpr46
	v_div_fixup_f32 v44, v44, v11, |v3|
	v_cmp_lt_f32_e32 vcc, s68, v44
	s_and_saveexec_b64 s[42:43], vcc
	s_cbranch_execz .LBB43_350
; %bb.329:                              ;   in Loop: Header=BB43_5 Depth=1
	v_cmp_neq_f32_e64 s[12:13], |v3|, 1.0
	v_cmp_nlt_f32_e64 s[44:45], |v4|, s69
	s_or_b64 s[12:13], s[12:13], s[44:45]
                                        ; implicit-def: $vgpr46
	s_and_saveexec_b64 s[44:45], s[12:13]
	s_xor_b64 s[44:45], exec, s[44:45]
	s_cbranch_execz .LBB43_347
; %bb.330:                              ;   in Loop: Header=BB43_5 Depth=1
	v_mul_f32_e64 v46, |v1|, s63
	v_cmp_ge_f32_e64 s[12:13], |v4|, v46
                                        ; implicit-def: $vgpr46
	s_and_saveexec_b64 s[46:47], s[12:13]
	s_xor_b64 s[46:47], exec, s[46:47]
	s_cbranch_execz .LBB43_340
; %bb.331:                              ;   in Loop: Header=BB43_5 Depth=1
	v_cmp_neq_f32_e32 vcc, 0, v2
	v_mov_b32_e32 v46, v42
	s_and_saveexec_b64 s[12:13], vcc
	s_cbranch_execz .LBB43_333
; %bb.332:                              ;   in Loop: Header=BB43_5 Depth=1
	v_mul_f32_e32 v46, v4, v4
	v_add_f32_e32 v2, v2, v43
	v_div_scale_f32 v43, s[48:49], v2, v2, v46
	v_div_scale_f32 v47, vcc, v46, v2, v46
	v_rcp_f32_e32 v48, v43
	v_fma_f32 v49, -v43, v48, 1.0
	v_fmac_f32_e32 v48, v49, v48
	v_mul_f32_e32 v49, v47, v48
	v_fma_f32 v50, -v43, v49, v47
	v_fmac_f32_e32 v49, v50, v48
	v_fma_f32 v43, -v43, v49, v47
	v_div_fmas_f32 v43, v43, v48, v49
	v_div_fixup_f32 v46, v43, v2, v46
.LBB43_333:                             ;   in Loop: Header=BB43_5 Depth=1
	s_or_b64 exec, exec, s[12:13]
	v_cmp_ngt_f32_e32 vcc, 0, v1
	s_and_saveexec_b64 s[12:13], vcc
	s_xor_b64 s[12:13], exec, s[12:13]
	s_cbranch_execz .LBB43_337
; %bb.334:                              ;   in Loop: Header=BB43_5 Depth=1
	v_cmp_neq_f32_e32 vcc, 0, v1
	s_and_saveexec_b64 s[48:49], vcc
	s_cbranch_execz .LBB43_336
; %bb.335:                              ;   in Loop: Header=BB43_5 Depth=1
	v_mul_f32_e32 v2, v4, v4
	v_add_f32_e32 v1, v1, v12
	v_div_scale_f32 v4, s[78:79], v1, v1, v2
	v_div_scale_f32 v12, vcc, v2, v1, v2
	v_rcp_f32_e32 v42, v4
	v_fma_f32 v43, -v4, v42, 1.0
	v_fmac_f32_e32 v42, v43, v42
	v_mul_f32_e32 v43, v12, v42
	v_fma_f32 v47, -v4, v43, v12
	v_fmac_f32_e32 v43, v47, v42
	v_fma_f32 v4, -v4, v43, v12
	v_div_fmas_f32 v4, v4, v42, v43
	v_div_fixup_f32 v42, v4, v1, v2
.LBB43_336:                             ;   in Loop: Header=BB43_5 Depth=1
	s_or_b64 exec, exec, s[48:49]
                                        ; implicit-def: $vgpr12
                                        ; implicit-def: $vgpr1
.LBB43_337:                             ;   in Loop: Header=BB43_5 Depth=1
	s_andn2_saveexec_b64 s[12:13], s[12:13]
; %bb.338:                              ;   in Loop: Header=BB43_5 Depth=1
	v_sub_f32_e32 v42, v12, v1
; %bb.339:                              ;   in Loop: Header=BB43_5 Depth=1
	s_or_b64 exec, exec, s[12:13]
	v_mul_f32_e32 v1, 0.5, v42
	v_fmac_f32_e32 v1, 0.5, v46
	v_add_f32_e64 v2, |v3|, v11
	v_mul_f32_e32 v1, v2, v1
	v_mul_f32_e32 v2, 0x4f800000, v1
	v_cmp_gt_f32_e32 vcc, s58, v1
	v_cndmask_b32_e32 v1, v1, v2, vcc
	v_sqrt_f32_e32 v2, v1
	v_add_u32_e32 v3, -1, v2
	v_fma_f32 v4, -v3, v2, v1
	v_cmp_ge_f32_e64 s[12:13], 0, v4
	v_add_u32_e32 v4, 1, v2
	v_cndmask_b32_e64 v3, v2, v3, s[12:13]
	v_fma_f32 v2, -v4, v2, v1
	v_cmp_lt_f32_e64 s[12:13], 0, v2
	v_cndmask_b32_e64 v2, v3, v4, s[12:13]
	v_mul_f32_e32 v3, 0x37800000, v2
	v_cndmask_b32_e32 v2, v2, v3, vcc
	v_cmp_class_f32_e32 vcc, v1, v22
	v_cndmask_b32_e32 v46, v2, v1, vcc
                                        ; implicit-def: $vgpr1_vgpr2_vgpr3_vgpr4
                                        ; implicit-def: $vgpr2
                                        ; implicit-def: $vgpr1
.LBB43_340:                             ;   in Loop: Header=BB43_5 Depth=1
	s_andn2_saveexec_b64 s[46:47], s[46:47]
	s_cbranch_execz .LBB43_346
; %bb.341:                              ;   in Loop: Header=BB43_5 Depth=1
	v_cmp_ngt_f32_e64 s[12:13], |v3|, 1.0
                                        ; implicit-def: $vgpr46
	s_and_saveexec_b64 s[48:49], s[12:13]
	s_xor_b64 s[48:49], exec, s[48:49]
	s_cbranch_execz .LBB43_343
; %bb.342:                              ;   in Loop: Header=BB43_5 Depth=1
	v_sub_f32_e64 v1, 1.0, |v3|
	v_mul_f32_e32 v1, v1, v2
	v_mul_f32_e32 v2, 0x4f800000, v1
	v_cmp_gt_f32_e32 vcc, s58, v1
	v_cndmask_b32_e32 v1, v1, v2, vcc
	v_sqrt_f32_e32 v2, v1
	v_add_u32_e32 v3, -1, v2
	v_fma_f32 v11, -v3, v2, v1
	v_add_u32_e32 v4, 1, v2
	v_cmp_ge_f32_e64 s[12:13], 0, v11
	v_cndmask_b32_e64 v3, v2, v3, s[12:13]
	v_fma_f32 v2, -v4, v2, v1
	v_cmp_lt_f32_e64 s[12:13], 0, v2
	v_cndmask_b32_e64 v2, v3, v4, s[12:13]
	v_mul_f32_e32 v3, 0x37800000, v2
	v_cndmask_b32_e32 v2, v2, v3, vcc
	v_cmp_class_f32_e32 vcc, v1, v22
	v_cndmask_b32_e32 v46, v2, v1, vcc
                                        ; implicit-def: $vgpr1_vgpr2_vgpr3_vgpr4
                                        ; implicit-def: $vgpr2
                                        ; implicit-def: $vgpr1
.LBB43_343:                             ;   in Loop: Header=BB43_5 Depth=1
	s_andn2_saveexec_b64 s[48:49], s[48:49]
	s_cbranch_execz .LBB43_345
; %bb.344:                              ;   in Loop: Header=BB43_5 Depth=1
	v_mul_f32_e32 v1, v2, v1
	v_mul_f32_e32 v2, 0x4f800000, v1
	v_cmp_gt_f32_e32 vcc, s58, v1
	v_cndmask_b32_e32 v1, v1, v2, vcc
	v_sqrt_f32_e32 v2, v1
	v_mul_f32_e64 v4, |v4|, s70
	v_mul_f32_e64 v4, |v3|, v4
	;; [unrolled: 1-line block ×3, first 2 shown]
	v_add_u32_e32 v11, -1, v2
	v_fma_f32 v12, -v11, v2, v1
	v_cmp_ge_f32_e64 s[12:13], 0, v12
	v_add_u32_e32 v12, 1, v2
	v_cndmask_b32_e64 v11, v2, v11, s[12:13]
	v_fma_f32 v2, -v12, v2, v1
	v_cmp_lt_f32_e64 s[12:13], 0, v2
	v_cndmask_b32_e64 v2, v11, v12, s[12:13]
	v_mul_f32_e32 v11, 0x37800000, v2
	v_cndmask_b32_e32 v2, v2, v11, vcc
	v_cmp_class_f32_e32 vcc, v1, v22
	v_cndmask_b32_e32 v1, v2, v1, vcc
	v_div_scale_f32 v2, s[12:13], v1, v1, v4
	v_div_scale_f32 v11, vcc, v4, v1, v4
	v_rcp_f32_e32 v12, v2
	v_fma_f32 v42, -v2, v12, 1.0
	v_fmac_f32_e32 v12, v42, v12
	v_mul_f32_e32 v42, v11, v12
	v_fma_f32 v43, -v2, v42, v11
	v_fmac_f32_e32 v42, v43, v12
	v_fma_f32 v2, -v2, v42, v11
	v_div_fmas_f32 v2, v2, v12, v42
	v_div_fixup_f32 v46, v2, v1, v4
.LBB43_345:                             ;   in Loop: Header=BB43_5 Depth=1
	s_or_b64 exec, exec, s[48:49]
.LBB43_346:                             ;   in Loop: Header=BB43_5 Depth=1
	s_or_b64 exec, exec, s[46:47]
                                        ; implicit-def: $vgpr1_vgpr2_vgpr3_vgpr4
                                        ; implicit-def: $vgpr11
.LBB43_347:                             ;   in Loop: Header=BB43_5 Depth=1
	s_andn2_saveexec_b64 s[44:45], s[44:45]
	s_cbranch_execz .LBB43_349
; %bb.348:                              ;   in Loop: Header=BB43_5 Depth=1
	v_mul_f32_e64 v1, |v4|, s59
	v_cmp_lt_f32_e64 vcc, |v4|, s58
	v_cndmask_b32_e64 v1, |v4|, v1, vcc
	v_sqrt_f32_e32 v2, v1
	v_mov_b32_e32 v45, 1.0
	v_add_u32_e32 v3, -1, v2
	v_fma_f32 v12, -v3, v2, v1
	v_add_u32_e32 v4, 1, v2
	v_cmp_ge_f32_e64 s[12:13], 0, v12
	v_cndmask_b32_e64 v3, v2, v3, s[12:13]
	v_fma_f32 v2, -v4, v2, v1
	v_cmp_lt_f32_e64 s[12:13], 0, v2
	v_cndmask_b32_e64 v2, v3, v4, s[12:13]
	v_mul_f32_e32 v3, 0x37800000, v2
	v_cndmask_b32_e32 v2, v2, v3, vcc
	v_add_f32_e32 v3, 1.0, v11
	v_mul_f32_e32 v3, 0.5, v3
	v_mul_f32_e32 v4, 0x4f800000, v3
	v_cmp_gt_f32_e32 vcc, s58, v3
	v_cndmask_b32_e32 v3, v3, v4, vcc
	v_sqrt_f32_e32 v4, v3
	v_cmp_class_f32_e64 s[12:13], v1, v22
	v_cndmask_b32_e64 v1, v2, v1, s[12:13]
	v_add_u32_e32 v2, -1, v4
	v_fma_f32 v11, -v2, v4, v3
	v_cmp_ge_f32_e64 s[12:13], 0, v11
	v_add_u32_e32 v11, 1, v4
	v_cndmask_b32_e64 v2, v4, v2, s[12:13]
	v_fma_f32 v4, -v11, v4, v3
	v_cmp_lt_f32_e64 s[12:13], 0, v4
	v_cndmask_b32_e64 v2, v2, v11, s[12:13]
	v_mul_f32_e32 v4, 0x37800000, v2
	v_cndmask_b32_e32 v2, v2, v4, vcc
	v_cmp_class_f32_e32 vcc, v3, v22
	v_cndmask_b32_e32 v2, v2, v3, vcc
	v_mul_f32_e32 v46, v1, v2
.LBB43_349:                             ;   in Loop: Header=BB43_5 Depth=1
	s_or_b64 exec, exec, s[44:45]
	s_mov_b64 s[12:13], exec
.LBB43_350:                             ;   in Loop: Header=BB43_5 Depth=1
	s_or_b64 exec, exec, s[42:43]
                                        ; implicit-def: $vgpr11
                                        ; implicit-def: $vgpr1_vgpr2_vgpr3_vgpr4
.LBB43_351:                             ;   in Loop: Header=BB43_5 Depth=1
	s_andn2_saveexec_b64 s[40:41], s[40:41]
; %bb.352:                              ;   in Loop: Header=BB43_5 Depth=1
	v_mul_f32_e32 v46, 0x4b800000, v11
	v_mul_f32_e64 v45, |v3|, s71
	s_or_b64 s[12:13], s[12:13], exec
                                        ; implicit-def: $vgpr44
; %bb.353:                              ;   in Loop: Header=BB43_5 Depth=1
	s_or_b64 exec, exec, s[40:41]
	s_xor_b64 s[12:13], s[12:13], -1
	s_and_saveexec_b64 s[40:41], s[12:13]
	s_xor_b64 s[40:41], exec, s[40:41]
	s_cbranch_execz .LBB43_359
; %bb.354:                              ;   in Loop: Header=BB43_5 Depth=1
	s_and_saveexec_b64 s[12:13], s[10:11]
	s_xor_b64 s[12:13], exec, s[12:13]
	s_cbranch_execz .LBB43_356
; %bb.355:                              ;   in Loop: Header=BB43_5 Depth=1
	v_fma_f32 v1, |v44|, -0.5, 0.5
	v_mul_f32_e32 v2, v44, v44
	v_cmp_gt_f32_e64 vcc, |v44|, 0.5
	v_cndmask_b32_e32 v1, v2, v1, vcc
	v_mov_b32_e32 v2, 0x3c5fc5da
	v_fmac_f32_e32 v2, 0x3d1c21a7, v1
	v_fma_f32 v2, v1, v2, v24
	v_fma_f32 v2, v1, v2, v25
	v_sqrt_f32_e32 v3, v1
	v_fma_f32 v2, v1, v2, v26
	v_fma_f32 v2, v1, v2, v27
	v_mul_f32_e32 v1, v1, v2
	v_fmac_f32_e32 v3, v3, v1
	v_fmac_f32_e32 v44, v44, v1
	v_add_f32_e32 v2, v3, v3
	v_sub_f32_e32 v1, 0x3fc90fdb, v44
	v_cndmask_b32_e32 v11, v1, v2, vcc
                                        ; implicit-def: $vgpr44
.LBB43_356:                             ;   in Loop: Header=BB43_5 Depth=1
	s_andn2_saveexec_b64 s[42:43], s[12:13]
	s_cbranch_execz .LBB43_358
; %bb.357:                              ;   in Loop: Header=BB43_5 Depth=1
	v_fma_f32 v1, |v44|, -0.5, 0.5
	v_mul_f32_e32 v2, v44, v44
	v_cmp_gt_f32_e64 vcc, |v44|, 0.5
	v_cndmask_b32_e32 v1, v2, v1, vcc
	v_mov_b32_e32 v2, 0x3c5fc5da
	v_fmac_f32_e32 v2, 0x3d1c21a7, v1
	v_fma_f32 v2, v1, v2, v24
	v_fma_f32 v2, v1, v2, v25
	v_sqrt_f32_e32 v3, v1
	v_fma_f32 v2, v1, v2, v26
	v_fma_f32 v2, v1, v2, v27
	v_mul_f32_e32 v1, v1, v2
	v_fmac_f32_e32 v3, v3, v1
	v_add_f32_e32 v2, v3, v3
	v_sub_f32_e32 v3, 0x40490fdb, v2
	v_cmp_lt_f32_e64 s[12:13], 0, v44
	v_fma_f32 v1, -v44, v1, -v44
	v_cndmask_b32_e64 v2, v2, v3, s[12:13]
	v_sub_f32_e32 v1, 0x3fc90fdb, v1
	v_cndmask_b32_e32 v11, v1, v2, vcc
.LBB43_358:                             ;   in Loop: Header=BB43_5 Depth=1
	s_or_b64 exec, exec, s[42:43]
                                        ; implicit-def: $vgpr45
                                        ; implicit-def: $vgpr46
.LBB43_359:                             ;   in Loop: Header=BB43_5 Depth=1
	s_andn2_saveexec_b64 s[12:13], s[40:41]
	s_cbranch_execz .LBB43_365
; %bb.360:                              ;   in Loop: Header=BB43_5 Depth=1
	v_max_f32_e64 v1, |v46|, |v46|
	v_max_f32_e32 v2, v45, v45
	v_min_f32_e32 v3, v2, v1
	v_max_f32_e32 v1, v2, v1
	v_frexp_mant_f32_e32 v2, v1
	v_rcp_f32_e32 v2, v2
	v_frexp_exp_i32_f32_e32 v1, v1
	v_frexp_exp_i32_f32_e32 v4, v3
	v_frexp_mant_f32_e32 v3, v3
	v_mul_f32_e32 v2, v3, v2
	v_sub_u32_e32 v1, v4, v1
	v_ldexp_f32 v1, v2, v1
	v_mul_f32_e32 v2, v1, v1
	v_mov_b32_e32 v3, 0xbc7a590c
	v_fmac_f32_e32 v3, 0x3b2d2a58, v2
	v_fma_f32 v3, v2, v3, v28
	v_fma_f32 v3, v2, v3, v29
	v_fma_f32 v3, v2, v3, v30
	v_fma_f32 v3, v2, v3, v31
	v_fma_f32 v3, v2, v3, v32
	v_fma_f32 v3, v2, v3, v33
	v_mul_f32_e32 v2, v2, v3
	v_fmac_f32_e32 v1, v1, v2
	v_sub_f32_e32 v2, 0x3fc90fdb, v1
	v_cmp_gt_f32_e64 vcc, |v46|, v45
	v_cndmask_b32_e32 v1, v1, v2, vcc
	s_and_saveexec_b64 s[40:41], s[10:11]
	s_xor_b64 s[10:11], exec, s[40:41]
; %bb.361:                              ;   in Loop: Header=BB43_5 Depth=1
	v_cmp_neq_f32_e32 vcc, 0, v46
	v_cndmask_b32_e32 v1, 0, v1, vcc
	v_cmp_eq_f32_e32 vcc, s56, v45
	v_cmp_class_f32_e64 s[40:41], v46, s72
	s_and_b64 vcc, vcc, s[40:41]
	v_cndmask_b32_e32 v1, v1, v38, vcc
	v_cmp_o_f32_e32 vcc, v46, v46
	v_cndmask_b32_e32 v1, v36, v1, vcc
	v_bfi_b32 v11, s55, v1, v46
                                        ; implicit-def: $vgpr1
                                        ; implicit-def: $vgpr45
                                        ; implicit-def: $vgpr46
; %bb.362:                              ;   in Loop: Header=BB43_5 Depth=1
	s_andn2_saveexec_b64 s[10:11], s[10:11]
	s_cbranch_execz .LBB43_364
; %bb.363:                              ;   in Loop: Header=BB43_5 Depth=1
	v_sub_f32_e32 v2, 0x40490fdb, v1
	v_cmp_lt_f32_e32 vcc, 0, v45
	v_cndmask_b32_e32 v1, v1, v2, vcc
	v_cmp_neq_f32_e32 vcc, 0, v46
	v_cndmask_b32_e32 v1, v39, v1, vcc
	v_cmp_eq_f32_e32 vcc, s56, v45
	v_cmp_class_f32_e64 s[40:41], v46, s72
	s_and_b64 vcc, vcc, s[40:41]
	v_cndmask_b32_e32 v1, v1, v40, vcc
	v_cmp_o_f32_e32 vcc, v46, v46
	v_cndmask_b32_e32 v1, v36, v1, vcc
	v_bfi_b32 v11, s55, v1, v46
.LBB43_364:                             ;   in Loop: Header=BB43_5 Depth=1
	s_or_b64 exec, exec, s[10:11]
.LBB43_365:                             ;   in Loop: Header=BB43_5 Depth=1
	s_or_b64 exec, exec, s[12:13]
	v_cndmask_b32_e64 v12, -v41, v41, s[6:7]
                                        ; implicit-def: $vgpr1_vgpr2_vgpr3_vgpr4
.LBB43_366:                             ;   in Loop: Header=BB43_5 Depth=1
	s_andn2_saveexec_b64 s[10:11], s[38:39]
	s_cbranch_execz .LBB43_368
; %bb.367:                              ;   in Loop: Header=BB43_5 Depth=1
	s_waitcnt lgkmcnt(0)
	v_mov_b32_e32 v1, s20
	v_mov_b32_e32 v2, s21
	flat_load_dword v1, v[1:2] glc
	s_waitcnt vmcnt(0) lgkmcnt(0)
	v_sub_f32_e32 v1, v1, v3
	v_add_f32_e32 v11, 0x3fc90fdb, v1
.LBB43_368:                             ;   in Loop: Header=BB43_5 Depth=1
	s_or_b64 exec, exec, s[10:11]
.LBB43_369:                             ;   in Loop: Header=BB43_5 Depth=1
	s_andn2_saveexec_b64 s[10:11], s[36:37]
; %bb.370:                              ;   in Loop: Header=BB43_5 Depth=1
	v_mov_b32_e32 v11, 0
; %bb.371:                              ;   in Loop: Header=BB43_5 Depth=1
	s_or_b64 exec, exec, s[10:11]
                                        ; implicit-def: $vgpr1_vgpr2_vgpr3_vgpr4
                                        ; implicit-def: $vgpr41
                                        ; implicit-def: $vgpr2
                                        ; implicit-def: $vgpr1
.LBB43_372:                             ;   in Loop: Header=BB43_5 Depth=1
	s_andn2_saveexec_b64 s[34:35], s[34:35]
	s_cbranch_execz .LBB43_382
; %bb.373:                              ;   in Loop: Header=BB43_5 Depth=1
	v_cmp_lt_f32_e64 s[10:11], |v3|, |v4|
	v_cndmask_b32_e64 v42, |v3|, |v4|, s[10:11]
	v_cmp_nlt_f32_e32 vcc, s73, v42
                                        ; implicit-def: $vgpr12
                                        ; implicit-def: $vgpr11
	s_and_saveexec_b64 s[12:13], vcc
	s_xor_b64 s[36:37], exec, s[12:13]
	s_cbranch_execz .LBB43_379
; %bb.374:                              ;   in Loop: Header=BB43_5 Depth=1
	v_cndmask_b32_e64 v43, |v4|, |v3|, s[10:11]
	v_cmp_nlt_f32_e32 vcc, s74, v42
	v_cmp_ngt_f32_e64 s[12:13], s75, v43
	s_and_b64 s[12:13], vcc, s[12:13]
                                        ; implicit-def: $vgpr12
                                        ; implicit-def: $vgpr11
	s_and_saveexec_b64 s[38:39], s[12:13]
	s_xor_b64 s[12:13], exec, s[38:39]
	s_cbranch_execz .LBB43_376
; %bb.375:                              ;   in Loop: Header=BB43_5 Depth=1
	v_mul_f32_e32 v11, v43, v43
	v_fmac_f32_e32 v11, v42, v42
	v_cmp_gt_f32_e32 vcc, s60, v11
	v_cndmask_b32_e64 v12, 0, 32, vcc
	v_ldexp_f32 v11, v11, v12
	v_log_f32_e32 v11, v11
	v_cndmask_b32_e32 v12, 0, v35, vcc
	v_min_f32_e32 v2, v2, v41
	v_frexp_exp_i32_f32_e32 v41, v2
	v_mul_f32_e32 v42, 0x3f317217, v11
	v_fma_f32 v42, v11, s61, -v42
	v_fmac_f32_e32 v42, 0x3377d1cf, v11
	v_fmac_f32_e32 v42, 0x3f317217, v11
	v_cmp_lt_f32_e64 vcc, |v11|, s56
	v_cndmask_b32_e32 v11, v11, v42, vcc
	v_sub_f32_e32 v11, v11, v12
	v_mul_f32_e32 v12, 0.5, v11
	s_waitcnt lgkmcnt(0)
	v_frexp_mant_f32_e32 v11, v1
	v_rcp_f32_e32 v11, v11
	v_frexp_exp_i32_f32_e32 v1, v1
	v_frexp_mant_f32_e32 v2, v2
	v_sub_u32_e32 v1, v41, v1
	v_mul_f32_e32 v2, v2, v11
	v_ldexp_f32 v11, v2, v1
	v_mul_f32_e32 v1, v11, v11
	v_mov_b32_e32 v2, 0xbc7a590c
	v_fmac_f32_e32 v2, 0x3b2d2a58, v1
	v_fma_f32 v2, v1, v2, v28
	v_fma_f32 v2, v1, v2, v29
	;; [unrolled: 1-line block ×6, first 2 shown]
	v_mul_f32_e32 v1, v1, v2
	v_fmac_f32_e32 v11, v11, v1
                                        ; implicit-def: $vgpr1
                                        ; implicit-def: $vgpr2
                                        ; implicit-def: $vgpr41
.LBB43_376:                             ;   in Loop: Header=BB43_5 Depth=1
	s_andn2_saveexec_b64 s[12:13], s[12:13]
	s_cbranch_execz .LBB43_378
; %bb.377:                              ;   in Loop: Header=BB43_5 Depth=1
	s_waitcnt lgkmcnt(0)
	v_cvt_f64_f32_e32 v[11:12], v1
	v_cmp_neq_f32_e32 vcc, s56, v1
	v_min_f32_e32 v2, v2, v41
	v_frexp_mant_f32_e32 v41, v1
	v_frexp_exp_i32_f64_e32 v11, v[11:12]
	v_frexp_exp_i32_f32_e32 v12, v1
	v_rcp_f32_e32 v41, v41
	v_frexp_exp_i32_f32_e32 v43, v2
	v_frexp_mant_f32_e32 v2, v2
	v_sub_u32_e32 v12, v43, v12
	v_mul_f32_e32 v2, v2, v41
	v_mov_b32_e32 v42, 0xbc7a590c
	v_sub_u32_e32 v44, 0, v11
	v_ldexp_f32 v45, |v3|, v44
	v_ldexp_f32 v44, |v4|, v44
	v_mul_f32_e32 v44, v44, v44
	v_fmac_f32_e32 v44, v45, v45
	v_sqrt_f32_e32 v44, v44
	v_ldexp_f32 v11, v44, v11
	v_cndmask_b32_e32 v1, v34, v11, vcc
	v_cmp_gt_f32_e32 vcc, s60, v1
	v_cndmask_b32_e64 v11, 0, 32, vcc
	v_ldexp_f32 v1, v1, v11
	v_log_f32_e32 v1, v1
	v_ldexp_f32 v11, v2, v12
	v_mul_f32_e32 v2, v11, v11
	v_cndmask_b32_e32 v12, 0, v35, vcc
	v_mul_f32_e32 v41, 0x3f317217, v1
	v_fma_f32 v41, v1, s61, -v41
	v_fmac_f32_e32 v41, 0x3377d1cf, v1
	v_fmac_f32_e32 v41, 0x3f317217, v1
	v_cmp_lt_f32_e64 vcc, |v1|, s56
	v_cndmask_b32_e32 v1, v1, v41, vcc
	v_fmac_f32_e32 v42, 0x3b2d2a58, v2
	v_sub_f32_e32 v12, v1, v12
	v_fma_f32 v1, v2, v42, v28
	v_fma_f32 v1, v2, v1, v29
	;; [unrolled: 1-line block ×6, first 2 shown]
	v_mul_f32_e32 v1, v2, v1
	v_fmac_f32_e32 v11, v11, v1
.LBB43_378:                             ;   in Loop: Header=BB43_5 Depth=1
	s_or_b64 exec, exec, s[12:13]
                                        ; implicit-def: $vgpr2
                                        ; implicit-def: $vgpr41
                                        ; implicit-def: $vgpr1
.LBB43_379:                             ;   in Loop: Header=BB43_5 Depth=1
	s_andn2_saveexec_b64 s[36:37], s[36:37]
	s_cbranch_execz .LBB43_381
; %bb.380:                              ;   in Loop: Header=BB43_5 Depth=1
	v_div_scale_f32 v11, s[12:13], s76, s76, v3
	v_div_scale_f32 v12, s[12:13], s76, s76, v4
	v_div_scale_f32 v42, vcc, v3, s76, v3
	v_div_scale_f32 v43, s[12:13], v4, s76, v4
	v_min_f32_e32 v41, v2, v41
	v_rcp_f32_e32 v44, v11
	v_rcp_f32_e32 v45, v12
	v_fma_f32 v46, -v11, v44, 1.0
	v_fmac_f32_e32 v44, v46, v44
	v_fma_f32 v47, -v12, v45, 1.0
	v_fmac_f32_e32 v45, v47, v45
	v_mul_f32_e32 v46, v42, v44
	v_mul_f32_e32 v47, v43, v45
	v_fma_f32 v48, -v11, v46, v42
	v_fma_f32 v49, -v12, v47, v43
	v_fmac_f32_e32 v46, v48, v44
	v_fmac_f32_e32 v47, v49, v45
	v_fma_f32 v11, -v11, v46, v42
	v_fma_f32 v12, -v12, v47, v43
	v_div_fmas_f32 v11, v11, v44, v46
	s_mov_b64 vcc, s[12:13]
	v_div_fmas_f32 v12, v12, v45, v47
	s_waitcnt lgkmcnt(0)
	v_frexp_exp_i32_f32_e32 v42, v1
	v_frexp_mant_f32_e32 v43, v1
	v_mov_b32_e32 v44, 0xbc7a590c
	v_div_fixup_f32 v45, v11, s76, v3
	v_rcp_f32_e32 v11, v43
	v_div_fixup_f32 v12, v12, s76, v4
	v_max_f32_e64 v46, |v45|, |v12|
	v_cvt_f64_f32_e32 v[1:2], v46
	v_frexp_exp_i32_f32_e32 v43, v41
	v_frexp_mant_f32_e32 v41, v41
	v_mul_f32_e32 v11, v41, v11
	v_frexp_exp_i32_f64_e32 v1, v[1:2]
	v_sub_u32_e32 v2, v43, v42
	v_cmp_neq_f32_e32 vcc, s56, v46
	v_ldexp_f32 v11, v11, v2
	v_mul_f32_e32 v2, v11, v11
	v_fmac_f32_e32 v44, 0x3b2d2a58, v2
	v_fma_f32 v41, v2, v44, v28
	v_fma_f32 v41, v2, v41, v29
	v_sub_u32_e32 v42, 0, v1
	v_ldexp_f32 v12, |v12|, v42
	v_ldexp_f32 v43, |v45|, v42
	v_mul_f32_e32 v12, v12, v12
	v_fmac_f32_e32 v12, v43, v43
	v_sqrt_f32_e32 v12, v12
	v_fma_f32 v41, v2, v41, v30
	v_fma_f32 v41, v2, v41, v31
	;; [unrolled: 1-line block ×3, first 2 shown]
	v_ldexp_f32 v1, v12, v1
	v_cndmask_b32_e32 v1, v34, v1, vcc
	v_cmp_gt_f32_e32 vcc, s60, v1
	v_cndmask_b32_e64 v12, 0, 32, vcc
	v_ldexp_f32 v1, v1, v12
	v_log_f32_e32 v1, v1
	v_fma_f32 v12, v2, v41, v33
	v_mul_f32_e32 v2, v2, v12
	v_cndmask_b32_e32 v12, 0, v35, vcc
	v_mul_f32_e32 v41, 0x3f317217, v1
	v_fma_f32 v41, v1, s61, -v41
	v_fmac_f32_e32 v41, 0x3377d1cf, v1
	v_fmac_f32_e32 v41, 0x3f317217, v1
	v_cmp_lt_f32_e64 vcc, |v1|, s56
	v_cndmask_b32_e32 v1, v1, v41, vcc
	v_sub_f32_e32 v1, v1, v12
	v_add_f32_e32 v12, 1.0, v1
	v_fmac_f32_e32 v11, v11, v2
.LBB43_381:                             ;   in Loop: Header=BB43_5 Depth=1
	s_or_b64 exec, exec, s[36:37]
	s_waitcnt lgkmcnt(0)
	v_sub_f32_e32 v1, 0x3fc90fdb, v11
	v_cndmask_b32_e64 v1, v11, v1, s[10:11]
	v_sub_f32_e32 v2, 0x40490fdb, v1
	v_cmp_gt_f32_e32 vcc, 0, v3
	v_cndmask_b32_e32 v1, v1, v2, vcc
	v_cndmask_b32_e64 v2, 0, v39, s[8:9]
	v_cndmask_b32_e32 v11, v38, v40, vcc
	v_cmp_class_f32_e64 s[8:9], v3, s72
	v_cmp_class_f32_e64 s[10:11], v4, s72
	v_cmp_eq_f32_e32 vcc, 0, v4
	v_cndmask_b32_e64 v1, |v1|, v2, vcc
	s_and_b64 vcc, s[8:9], s[10:11]
	v_cndmask_b32_e32 v11, v1, v11, vcc
	v_add_f32_e32 v1, 0x3f317218, v12
	v_cndmask_b32_e64 v12, -v1, v1, s[6:7]
.LBB43_382:                             ;   in Loop: Header=BB43_5 Depth=1
	s_or_b64 exec, exec, s[34:35]
                                        ; implicit-def: $vgpr1_vgpr2_vgpr3_vgpr4
.LBB43_383:                             ;   in Loop: Header=BB43_5 Depth=1
	s_andn2_saveexec_b64 s[6:7], s[30:31]
	s_cbranch_execz .LBB43_4
; %bb.384:                              ;   in Loop: Header=BB43_5 Depth=1
	v_cmp_neq_f32_e64 s[8:9], |v3|, s56
	s_and_saveexec_b64 s[10:11], s[8:9]
	s_xor_b64 s[8:9], exec, s[10:11]
	s_cbranch_execz .LBB43_394
; %bb.385:                              ;   in Loop: Header=BB43_5 Depth=1
	v_cmp_neq_f32_e64 s[10:11], |v4|, s56
	v_xor_b32_e32 v12, 0x80000000, v4
	s_and_saveexec_b64 s[12:13], s[10:11]
	s_xor_b64 s[10:11], exec, s[12:13]
	s_cbranch_execz .LBB43_391
; %bb.386:                              ;   in Loop: Header=BB43_5 Depth=1
	v_cmp_neq_f32_e32 vcc, 0, v3
	s_and_saveexec_b64 s[12:13], vcc
	s_xor_b64 s[12:13], exec, s[12:13]
	s_cbranch_execz .LBB43_388
; %bb.387:                              ;   in Loop: Header=BB43_5 Depth=1
	s_waitcnt lgkmcnt(0)
	v_add_f32_e32 v1, 0, v4
	v_add_f32_e32 v12, v3, v1
                                        ; implicit-def: $vgpr1_vgpr2_vgpr3_vgpr4
.LBB43_388:                             ;   in Loop: Header=BB43_5 Depth=1
	s_or_saveexec_b64 s[12:13], s[12:13]
	v_mov_b32_e32 v11, v12
	s_xor_b64 exec, exec, s[12:13]
	s_cbranch_execz .LBB43_390
; %bb.389:                              ;   in Loop: Header=BB43_5 Depth=1
	s_waitcnt lgkmcnt(0)
	v_mov_b32_e32 v1, s20
	v_mov_b32_e32 v2, s21
	flat_load_dword v1, v[1:2] glc
	s_waitcnt vmcnt(0)
	v_add_f32_e32 v12, v4, v4
	s_waitcnt lgkmcnt(0)
	v_add_f32_e32 v11, 0x3fc90fdb, v1
.LBB43_390:                             ;   in Loop: Header=BB43_5 Depth=1
	s_or_b64 exec, exec, s[12:13]
                                        ; implicit-def: $vgpr1_vgpr2_vgpr3_vgpr4
.LBB43_391:                             ;   in Loop: Header=BB43_5 Depth=1
	s_andn2_saveexec_b64 s[10:11], s[10:11]
; %bb.392:                              ;   in Loop: Header=BB43_5 Depth=1
	v_add_f32_e32 v11, v3, v3
; %bb.393:                              ;   in Loop: Header=BB43_5 Depth=1
	s_or_b64 exec, exec, s[10:11]
                                        ; implicit-def: $vgpr1_vgpr2_vgpr3_vgpr4
.LBB43_394:                             ;   in Loop: Header=BB43_5 Depth=1
	s_andn2_saveexec_b64 s[8:9], s[8:9]
	s_cbranch_execz .LBB43_3
; %bb.395:                              ;   in Loop: Header=BB43_5 Depth=1
	v_add_f32_e32 v11, v4, v4
	v_mov_b32_e32 v12, 0xff800000
	s_branch .LBB43_3
.LBB43_396:
	s_or_b64 exec, exec, s[18:19]
	s_mov_b64 s[6:7], 0
.LBB43_397:
	s_andn2_b64 vcc, exec, s[6:7]
	s_cbranch_vccnz .LBB43_809
; %bb.398:
	v_cmp_lt_i64_e64 s[6:7], s[14:15], 1
	s_and_b64 vcc, exec, s[6:7]
	s_cbranch_vccnz .LBB43_809
; %bb.399:
	v_mov_b32_e32 v1, 0x10000
	s_load_dword s6, s[4:5], 0xc5c
	v_mov_b32_e32 v2, 0
	v_cmp_lt_i64_e32 vcc, s[14:15], v[1:2]
	s_mov_b64 s[20:21], src_private_base
	s_and_b64 s[4:5], vcc, exec
	v_cmp_lt_u64_e32 vcc, s[14:15], v[1:2]
	s_cselect_b32 s23, s15, 0
	s_cselect_b32 s22, s14, 0x10000
	s_waitcnt lgkmcnt(0)
	s_and_b32 s55, s6, 0xffff
	s_and_b64 s[4:5], vcc, exec
	s_cselect_b32 s25, s15, 0
	s_cselect_b32 s24, s14, 0x10000
	s_lshl_b32 s56, s55, 1
	s_mul_i32 s57, s55, 3
	s_lshl_b32 s58, s55, 2
	s_mov_b32 s20, 8
	s_mov_b32 s26, 0
	;; [unrolled: 1-line block ×5, first 2 shown]
	s_mov_b64 s[30:31], 0
	v_mov_b32_e32 v19, 0x248d3132
	s_mov_b32 s59, 0x4b000000
	v_mov_b32_e32 v20, 0xd800000
	s_mov_b32 s60, 0x395db3d7
	s_brev_b32 s61, -2
	s_mov_b32 s62, 0x7f800000
	s_mov_b32 s63, 0x41200000
	;; [unrolled: 1-line block ×4, first 2 shown]
	v_mov_b32_e32 v21, 0x260
	s_mov_b32 s66, 0x800000
	s_mov_b32 s67, 0x3f317217
	;; [unrolled: 1-line block ×3, first 2 shown]
	s_brev_b32 s69, 44
	s_mov_b32 s70, 0x3f2aaaab
	v_mov_b32_e32 v22, 0x3f2aaada
	s_mov_b32 s71, 0x3f317218
	s_mov_b32 s72, 0x33800000
	;; [unrolled: 1-line block ×7, first 2 shown]
	v_mov_b32_e32 v23, 0x3d034c3c
	v_mov_b32_e32 v24, 0x3d3641b1
	;; [unrolled: 1-line block ×10, first 2 shown]
	s_movk_i32 s78, 0x204
	s_mov_b32 s79, 0x7effffff
	s_mov_b32 s80, 0x5e000000
	s_brev_b32 s81, 4
	s_mov_b32 s82, 0x402df854
	v_mov_b32_e32 v33, 0x7f800000
	v_mov_b32_e32 v34, 0x41b17218
	;; [unrolled: 1-line block ×7, first 2 shown]
	s_branch .LBB43_401
.LBB43_400:                             ;   in Loop: Header=BB43_401 Depth=1
	s_or_b64 exec, exec, s[4:5]
	s_add_u32 s30, s30, s58
	v_mov_b32_e32 v1, s22
	s_addc_u32 s31, s31, 0
	v_mov_b32_e32 v2, s23
	v_cmp_ge_i64_e32 vcc, s[30:31], v[1:2]
	s_cbranch_vccnz .LBB43_809
.LBB43_401:                             ; =>This Inner Loop Header: Depth=1
	v_mov_b32_e32 v2, s31
	v_add_co_u32_e32 v1, vcc, s30, v0
	v_addc_co_u32_e32 v2, vcc, 0, v2, vcc
	v_cmp_gt_u64_e64 s[4:5], s[24:25], v[1:2]
	v_mov_b32_e32 v16, 0
	v_mov_b32_e32 v15, 0
	s_and_saveexec_b64 s[6:7], s[4:5]
	s_cbranch_execz .LBB43_403
; %bb.402:                              ;   in Loop: Header=BB43_401 Depth=1
	v_lshlrev_b64 v[3:4], 3, v[1:2]
	v_mov_b32_e32 v5, s52
	v_add_co_u32_e32 v3, vcc, s33, v3
	v_addc_co_u32_e32 v4, vcc, v5, v4, vcc
	global_load_dwordx2 v[15:16], v[3:4], off
.LBB43_403:                             ;   in Loop: Header=BB43_401 Depth=1
	s_or_b64 exec, exec, s[6:7]
	v_add_co_u32_e32 v3, vcc, s55, v1
	v_addc_co_u32_e32 v4, vcc, 0, v2, vcc
	v_cmp_gt_u64_e64 s[6:7], s[24:25], v[3:4]
	v_mov_b32_e32 v14, 0
	v_mov_b32_e32 v18, 0
	;; [unrolled: 1-line block ×3, first 2 shown]
	s_and_saveexec_b64 s[8:9], s[6:7]
	s_cbranch_execz .LBB43_405
; %bb.404:                              ;   in Loop: Header=BB43_401 Depth=1
	v_lshlrev_b64 v[5:6], 3, v[3:4]
	v_mov_b32_e32 v7, s52
	v_add_co_u32_e32 v5, vcc, s33, v5
	v_addc_co_u32_e32 v6, vcc, v7, v6, vcc
	global_load_dwordx2 v[17:18], v[5:6], off
.LBB43_405:                             ;   in Loop: Header=BB43_401 Depth=1
	s_or_b64 exec, exec, s[8:9]
	v_add_co_u32_e32 v5, vcc, s56, v1
	v_addc_co_u32_e32 v6, vcc, 0, v2, vcc
	v_cmp_gt_u64_e64 s[8:9], s[24:25], v[5:6]
	v_mov_b32_e32 v13, 0
	s_and_saveexec_b64 s[10:11], s[8:9]
	s_cbranch_execz .LBB43_407
; %bb.406:                              ;   in Loop: Header=BB43_401 Depth=1
	v_lshlrev_b64 v[7:8], 3, v[5:6]
	v_mov_b32_e32 v9, s52
	v_add_co_u32_e32 v7, vcc, s33, v7
	v_addc_co_u32_e32 v8, vcc, v9, v8, vcc
	global_load_dwordx2 v[13:14], v[7:8], off
.LBB43_407:                             ;   in Loop: Header=BB43_401 Depth=1
	s_or_b64 exec, exec, s[10:11]
	v_add_co_u32_e32 v7, vcc, s57, v1
	v_addc_co_u32_e32 v8, vcc, 0, v2, vcc
	v_cmp_gt_u64_e64 s[10:11], s[24:25], v[7:8]
	v_mov_b32_e32 v10, 0
	v_mov_b32_e32 v9, 0
	s_and_saveexec_b64 s[12:13], s[10:11]
	s_cbranch_execz .LBB43_409
; %bb.408:                              ;   in Loop: Header=BB43_401 Depth=1
	v_lshlrev_b64 v[9:10], 3, v[7:8]
	v_mov_b32_e32 v11, s52
	v_add_co_u32_e32 v9, vcc, s33, v9
	v_addc_co_u32_e32 v10, vcc, v11, v10, vcc
	global_load_dwordx2 v[9:10], v[9:10], off
.LBB43_409:                             ;   in Loop: Header=BB43_401 Depth=1
	s_or_b64 exec, exec, s[12:13]
	v_mov_b32_e32 v11, s20
	v_mov_b32_e32 v12, s21
	s_waitcnt vmcnt(0)
	v_cmp_o_f32_e32 vcc, v15, v16
	flat_store_dword v[11:12], v19
	s_waitcnt vmcnt(0)
                                        ; implicit-def: $vgpr12
	s_and_saveexec_b64 s[12:13], vcc
	s_xor_b64 s[34:35], exec, s[12:13]
	s_cbranch_execz .LBB43_493
; %bb.410:                              ;   in Loop: Header=BB43_401 Depth=1
	v_max_f32_e64 v42, |v15|, |v15|
	v_max_f32_e64 v41, |v16|, |v16|
	v_max_f32_e32 v40, v41, v42
	v_cmp_gt_i32_e64 s[14:15], 0, v15
	v_cmp_lt_i32_e64 s[16:17], -1, v15
	v_cmp_gt_i32_e64 s[12:13], 0, v16
	v_cmp_nlt_f32_e32 vcc, s59, v40
                                        ; implicit-def: $vgpr12
	s_and_saveexec_b64 s[18:19], vcc
	s_xor_b64 s[36:37], exec, s[18:19]
	s_cbranch_execz .LBB43_482
; %bb.411:                              ;   in Loop: Header=BB43_401 Depth=1
	v_cmp_neq_f32_e32 vcc, 1.0, v15
	v_cmp_neq_f32_e64 s[18:19], 0, v16
	s_or_b64 s[18:19], s[18:19], vcc
	v_xor_b32_e32 v12, 0x80000000, v16
	s_and_saveexec_b64 s[38:39], s[18:19]
	s_xor_b64 s[38:39], exec, s[38:39]
	s_cbranch_execz .LBB43_479
; %bb.412:                              ;   in Loop: Header=BB43_401 Depth=1
	v_mov_b32_e32 v11, s26
	v_mov_b32_e32 v12, s27
	flat_store_dword v[11:12], v20
	s_waitcnt vmcnt(0)
	flat_load_dword v11, v[11:12] glc
	s_waitcnt vmcnt(0)
	v_cmp_nlt_f32_e64 s[18:19], |v15|, s60
	v_cmp_nlt_f32_e64 s[40:41], |v16|, s60
	s_or_b64 s[18:19], s[40:41], s[18:19]
	s_waitcnt lgkmcnt(0)
	v_add_f32_e32 v40, 1.0, v11
	v_mov_b32_e32 v11, s28
	v_mov_b32_e32 v12, s29
	flat_store_dword v[11:12], v40
	s_waitcnt vmcnt(0)
	flat_load_dword v11, v[11:12] glc
	s_waitcnt vmcnt(0) lgkmcnt(0)
	v_xor_b32_e32 v12, 0x80000000, v16
	s_and_saveexec_b64 s[40:41], s[18:19]
	s_xor_b64 s[40:41], exec, s[40:41]
	s_cbranch_execz .LBB43_476
; %bb.413:                              ;   in Loop: Header=BB43_401 Depth=1
	v_add_f32_e64 v40, |v15|, 1.0
	v_max_f32_e32 v11, v41, v40
	v_add_f32_e64 v12, |v15|, -1.0
	v_cvt_f64_f32_e32 v[42:43], v11
	v_max_f32_e64 v41, v41, |v12|
	v_cvt_f64_f32_e32 v[44:45], v41
	v_cmp_neq_f32_e32 vcc, s62, v11
	v_frexp_exp_i32_f64_e32 v42, v[42:43]
	v_frexp_exp_i32_f64_e32 v43, v[44:45]
	v_sub_u32_e32 v44, 0, v42
	v_ldexp_f32 v46, |v16|, v44
	v_sub_u32_e32 v45, 0, v43
	v_ldexp_f32 v44, v40, v44
	v_ldexp_f32 v47, |v16|, v45
	v_ldexp_f32 v45, |v12|, v45
	v_mul_f32_e32 v44, v44, v44
	v_mul_f32_e32 v45, v45, v45
	v_fmac_f32_e32 v44, v46, v46
	v_fmac_f32_e32 v45, v47, v47
	v_sqrt_f32_e32 v44, v44
	v_sqrt_f32_e32 v45, v45
	v_ldexp_f32 v42, v44, v42
	v_ldexp_f32 v43, v45, v43
	v_cndmask_b32_e32 v44, v33, v42, vcc
	v_cmp_neq_f32_e32 vcc, s62, v41
	v_cndmask_b32_e32 v41, v33, v43, vcc
	v_add_f32_e32 v11, v44, v41
	v_mul_f32_e32 v11, 0.5, v11
	v_cmp_ngt_f32_e32 vcc, 1.0, v11
	v_cndmask_b32_e32 v11, 1.0, v11, vcc
	v_cmp_ngt_f32_e32 vcc, s63, v11
                                        ; implicit-def: $vgpr42
	s_and_saveexec_b64 s[18:19], vcc
	s_xor_b64 s[42:43], exec, s[18:19]
	s_cbranch_execz .LBB43_415
; %bb.414:                              ;   in Loop: Header=BB43_401 Depth=1
	v_fma_f32 v42, v11, v11, -1.0
	v_mul_f32_e32 v43, 0x4f800000, v42
	v_cmp_gt_f32_e32 vcc, s64, v42
	v_cndmask_b32_e32 v42, v42, v43, vcc
	v_sqrt_f32_e32 v43, v42
	v_add_u32_e32 v45, -1, v43
	v_fma_f32 v47, -v45, v43, v42
	v_add_u32_e32 v46, 1, v43
	v_cmp_ge_f32_e64 s[18:19], 0, v47
	v_cndmask_b32_e64 v45, v43, v45, s[18:19]
	v_fma_f32 v43, -v46, v43, v42
	v_cmp_lt_f32_e64 s[18:19], 0, v43
	v_cndmask_b32_e64 v43, v45, v46, s[18:19]
	v_mul_f32_e32 v45, 0x37800000, v43
	v_cndmask_b32_e32 v43, v43, v45, vcc
	v_cmp_class_f32_e32 vcc, v42, v21
	v_cndmask_b32_e32 v42, v43, v42, vcc
	v_add_f32_e32 v42, v11, v42
	v_cmp_gt_f32_e32 vcc, s66, v42
	v_cndmask_b32_e64 v43, 0, 32, vcc
	v_ldexp_f32 v42, v42, v43
	v_log_f32_e32 v42, v42
	v_mul_f32_e32 v43, 0x3f317217, v42
	v_fma_f32 v43, v42, s67, -v43
	v_fmac_f32_e32 v43, 0x3377d1cf, v42
	v_fmac_f32_e32 v43, 0x3f317217, v42
	v_cmp_lt_f32_e64 s[18:19], |v42|, s62
	v_cndmask_b32_e64 v42, v42, v43, s[18:19]
	v_cndmask_b32_e32 v43, 0, v34, vcc
	v_sub_f32_e32 v42, v42, v43
.LBB43_415:                             ;   in Loop: Header=BB43_401 Depth=1
	s_or_saveexec_b64 s[42:43], s[42:43]
	v_and_b32_e32 v43, 0x7fffffff, v16
	s_xor_b64 exec, exec, s[42:43]
	s_cbranch_execz .LBB43_437
; %bb.416:                              ;   in Loop: Header=BB43_401 Depth=1
	v_cmp_neq_f32_e64 s[18:19], |v15|, 1.0
	v_cmp_nlt_f32_e64 s[44:45], |v16|, s68
	s_or_b64 s[18:19], s[44:45], s[18:19]
                                        ; implicit-def: $vgpr42
	s_and_saveexec_b64 s[44:45], s[18:19]
	s_xor_b64 s[44:45], exec, s[44:45]
	s_cbranch_execz .LBB43_434
; %bb.417:                              ;   in Loop: Header=BB43_401 Depth=1
	v_mul_f32_e64 v42, |v12|, s69
	v_cmp_ge_f32_e64 s[18:19], |v16|, v42
                                        ; implicit-def: $vgpr42
	s_and_saveexec_b64 s[46:47], s[18:19]
	s_xor_b64 s[46:47], exec, s[46:47]
	s_cbranch_execz .LBB43_427
; %bb.418:                              ;   in Loop: Header=BB43_401 Depth=1
	v_cmp_neq_f32_e32 vcc, 0, v40
	v_mov_b32_e32 v42, v43
	s_and_saveexec_b64 s[18:19], vcc
	s_cbranch_execz .LBB43_420
; %bb.419:                              ;   in Loop: Header=BB43_401 Depth=1
	v_mul_f32_e32 v42, v16, v16
	v_add_f32_e32 v45, v40, v44
	v_div_scale_f32 v46, s[48:49], v45, v45, v42
	v_div_scale_f32 v47, vcc, v42, v45, v42
	v_rcp_f32_e32 v48, v46
	v_fma_f32 v49, -v46, v48, 1.0
	v_fmac_f32_e32 v48, v49, v48
	v_mul_f32_e32 v49, v47, v48
	v_fma_f32 v50, -v46, v49, v47
	v_fmac_f32_e32 v49, v50, v48
	v_fma_f32 v46, -v46, v49, v47
	v_div_fmas_f32 v46, v46, v48, v49
	v_div_fixup_f32 v42, v46, v45, v42
.LBB43_420:                             ;   in Loop: Header=BB43_401 Depth=1
	s_or_b64 exec, exec, s[18:19]
	v_sub_f32_e64 v46, 1.0, |v15|
	v_cmp_ngt_f32_e32 vcc, 0, v46
                                        ; implicit-def: $vgpr45
	s_and_saveexec_b64 s[18:19], vcc
	s_xor_b64 s[18:19], exec, s[18:19]
	s_cbranch_execz .LBB43_424
; %bb.421:                              ;   in Loop: Header=BB43_401 Depth=1
	v_cmp_neq_f32_e32 vcc, 0, v46
	v_mov_b32_e32 v45, v43
	s_and_saveexec_b64 s[48:49], vcc
	s_cbranch_execz .LBB43_423
; %bb.422:                              ;   in Loop: Header=BB43_401 Depth=1
	v_mul_f32_e32 v45, v16, v16
	v_add_f32_e32 v46, v46, v41
	v_div_scale_f32 v47, s[50:51], v46, v46, v45
	v_div_scale_f32 v48, vcc, v45, v46, v45
	v_rcp_f32_e32 v49, v47
	v_fma_f32 v50, -v47, v49, 1.0
	v_fmac_f32_e32 v49, v50, v49
	v_mul_f32_e32 v50, v48, v49
	v_fma_f32 v51, -v47, v50, v48
	v_fmac_f32_e32 v50, v51, v49
	v_fma_f32 v47, -v47, v50, v48
	v_div_fmas_f32 v47, v47, v49, v50
	v_div_fixup_f32 v45, v47, v46, v45
.LBB43_423:                             ;   in Loop: Header=BB43_401 Depth=1
	s_or_b64 exec, exec, s[48:49]
                                        ; implicit-def: $vgpr46
.LBB43_424:                             ;   in Loop: Header=BB43_401 Depth=1
	s_andn2_saveexec_b64 s[18:19], s[18:19]
; %bb.425:                              ;   in Loop: Header=BB43_401 Depth=1
	v_sub_f32_e32 v45, v41, v46
; %bb.426:                              ;   in Loop: Header=BB43_401 Depth=1
	s_or_b64 exec, exec, s[18:19]
	v_mul_f32_e32 v45, 0.5, v45
	v_fmac_f32_e32 v45, 0.5, v42
	v_add_f32_e32 v42, 1.0, v11
	v_mul_f32_e32 v42, v42, v45
	v_mul_f32_e32 v46, 0x4f800000, v42
	v_cmp_gt_f32_e32 vcc, s64, v42
	v_cndmask_b32_e32 v42, v42, v46, vcc
	v_sqrt_f32_e32 v46, v42
	v_add_u32_e32 v47, -1, v46
	v_fma_f32 v48, -v47, v46, v42
	v_cmp_ge_f32_e64 s[18:19], 0, v48
	v_add_u32_e32 v48, 1, v46
	v_cndmask_b32_e64 v47, v46, v47, s[18:19]
	v_fma_f32 v46, -v48, v46, v42
	v_cmp_lt_f32_e64 s[18:19], 0, v46
	v_cndmask_b32_e64 v46, v47, v48, s[18:19]
	v_mul_f32_e32 v47, 0x37800000, v46
	v_cndmask_b32_e32 v46, v46, v47, vcc
	v_cmp_class_f32_e32 vcc, v42, v21
	v_cndmask_b32_e32 v42, v46, v42, vcc
	v_add_f32_e32 v42, v45, v42
	v_add_f32_e32 v47, 1.0, v42
	v_cvt_f64_f32_e32 v[45:46], v47
	v_add_f32_e32 v48, -1.0, v47
	v_frexp_exp_i32_f64_e32 v45, v[45:46]
	v_sub_f32_e32 v46, v48, v47
	v_add_f32_e32 v46, 1.0, v46
	v_sub_f32_e32 v48, v42, v48
	v_add_f32_e32 v46, v48, v46
	v_frexp_mant_f32_e32 v48, v47
	v_cmp_gt_f32_e32 vcc, s70, v48
	v_subbrev_co_u32_e32 v45, vcc, 0, v45, vcc
	v_sub_u32_e32 v48, 0, v45
	v_ldexp_f32 v47, v47, v48
	v_ldexp_f32 v46, v46, v48
	v_add_f32_e32 v48, -1.0, v47
	v_add_f32_e32 v51, 1.0, v47
	v_add_f32_e32 v49, 1.0, v48
	v_add_f32_e32 v52, -1.0, v51
	v_sub_f32_e32 v49, v47, v49
	v_sub_f32_e32 v47, v47, v52
	v_add_f32_e32 v49, v46, v49
	v_add_f32_e32 v46, v46, v47
	;; [unrolled: 1-line block ×3, first 2 shown]
	v_rcp_f32_e32 v52, v47
	v_add_f32_e32 v50, v48, v49
	v_sub_f32_e32 v48, v50, v48
	v_sub_f32_e32 v48, v49, v48
	;; [unrolled: 1-line block ×4, first 2 shown]
	v_mul_f32_e32 v49, v50, v52
	v_mul_f32_e32 v51, v47, v49
	v_fma_f32 v53, v49, v47, -v51
	v_fmac_f32_e32 v53, v49, v46
	v_add_f32_e32 v54, v51, v53
	v_sub_f32_e32 v55, v50, v54
	v_sub_f32_e32 v50, v50, v55
	;; [unrolled: 1-line block ×4, first 2 shown]
	v_add_f32_e32 v48, v48, v50
	v_sub_f32_e32 v50, v51, v53
	v_add_f32_e32 v48, v50, v48
	v_add_f32_e32 v50, v55, v48
	v_mul_f32_e32 v51, v52, v50
	v_mul_f32_e32 v53, v47, v51
	v_fma_f32 v47, v51, v47, -v53
	v_fmac_f32_e32 v47, v51, v46
	v_sub_f32_e32 v46, v55, v50
	v_add_f32_e32 v46, v48, v46
	v_add_f32_e32 v48, v53, v47
	v_sub_f32_e32 v54, v50, v48
	v_sub_f32_e32 v50, v50, v54
	;; [unrolled: 1-line block ×4, first 2 shown]
	v_add_f32_e32 v46, v46, v48
	v_sub_f32_e32 v47, v53, v47
	v_cvt_f32_i32_e32 v45, v45
	v_add_f32_e32 v46, v47, v46
	v_add_f32_e32 v47, v49, v51
	v_add_f32_e32 v46, v54, v46
	v_sub_f32_e32 v48, v47, v49
	v_mul_f32_e32 v46, v52, v46
	v_sub_f32_e32 v48, v51, v48
	v_add_f32_e32 v46, v48, v46
	v_mul_f32_e32 v51, 0x3f317218, v45
	v_add_f32_e32 v48, v47, v46
	v_fma_f32 v52, v45, s71, -v51
	v_mul_f32_e32 v49, v48, v48
	v_mov_b32_e32 v50, 0x3ecc95a3
	v_fmac_f32_e32 v52, 0xb102e308, v45
	v_sub_f32_e32 v45, v48, v47
	v_fmac_f32_e32 v50, 0x3e9b6dac, v49
	v_sub_f32_e32 v45, v46, v45
	v_add_f32_e32 v46, v51, v52
	v_fma_f32 v50, v49, v50, v22
	v_sub_f32_e32 v47, v46, v51
	v_ldexp_f32 v51, v48, 1
	v_mul_f32_e32 v48, v48, v49
	v_mul_f32_e32 v48, v48, v50
	v_add_f32_e32 v49, v51, v48
	v_sub_f32_e32 v50, v49, v51
	v_ldexp_f32 v45, v45, 1
	v_sub_f32_e32 v48, v48, v50
	v_add_f32_e32 v45, v45, v48
	v_add_f32_e32 v48, v49, v45
	v_sub_f32_e32 v49, v48, v49
	v_sub_f32_e32 v45, v45, v49
	v_add_f32_e32 v49, v46, v48
	v_sub_f32_e32 v50, v49, v46
	v_sub_f32_e32 v51, v49, v50
	v_sub_f32_e32 v47, v52, v47
	v_sub_f32_e32 v46, v46, v51
	v_sub_f32_e32 v48, v48, v50
	v_add_f32_e32 v46, v48, v46
	v_add_f32_e32 v48, v47, v45
	v_sub_f32_e32 v50, v48, v47
	v_sub_f32_e32 v51, v48, v50
	;; [unrolled: 1-line block ×4, first 2 shown]
	v_add_f32_e32 v46, v48, v46
	v_add_f32_e32 v45, v45, v47
	;; [unrolled: 1-line block ×3, first 2 shown]
	v_sub_f32_e32 v48, v47, v49
	v_sub_f32_e32 v46, v46, v48
	v_add_f32_e32 v45, v45, v46
	v_add_f32_e32 v45, v47, v45
	v_cmp_neq_f32_e32 vcc, s62, v42
	v_cndmask_b32_e32 v45, v33, v45, vcc
	v_cmp_ngt_f32_e32 vcc, -1.0, v42
	v_cndmask_b32_e32 v45, v35, v45, vcc
	v_cmp_neq_f32_e32 vcc, -1.0, v42
	v_cndmask_b32_e32 v45, v36, v45, vcc
	v_cmp_lt_f32_e64 vcc, |v42|, s72
	v_cndmask_b32_e32 v42, v45, v42, vcc
.LBB43_427:                             ;   in Loop: Header=BB43_401 Depth=1
	s_andn2_saveexec_b64 s[46:47], s[46:47]
	s_cbranch_execz .LBB43_433
; %bb.428:                              ;   in Loop: Header=BB43_401 Depth=1
	v_cmp_nlt_f32_e64 s[18:19], |v15|, 1.0
                                        ; implicit-def: $vgpr42
	s_and_saveexec_b64 s[48:49], s[18:19]
	s_xor_b64 s[48:49], exec, s[48:49]
	s_cbranch_execz .LBB43_430
; %bb.429:                              ;   in Loop: Header=BB43_401 Depth=1
	v_mul_f32_e32 v42, v12, v40
	v_mul_f32_e32 v45, 0x4f800000, v42
	v_cmp_gt_f32_e32 vcc, s64, v42
	v_cndmask_b32_e32 v42, v42, v45, vcc
	v_sqrt_f32_e32 v45, v42
	v_add_u32_e32 v46, -1, v45
	v_fma_f32 v48, -v46, v45, v42
	v_add_u32_e32 v47, 1, v45
	v_cmp_ge_f32_e64 s[18:19], 0, v48
	v_cndmask_b32_e64 v46, v45, v46, s[18:19]
	v_fma_f32 v45, -v47, v45, v42
	v_cmp_lt_f32_e64 s[18:19], 0, v45
	v_cndmask_b32_e64 v45, v46, v47, s[18:19]
	v_mul_f32_e32 v46, 0x37800000, v45
	v_cndmask_b32_e32 v45, v45, v46, vcc
	v_cmp_class_f32_e32 vcc, v42, v21
	v_cndmask_b32_e32 v42, v45, v42, vcc
	v_add_f32_e32 v42, v12, v42
	v_add_f32_e32 v47, 1.0, v42
	v_cvt_f64_f32_e32 v[45:46], v47
	v_add_f32_e32 v48, -1.0, v47
	v_frexp_exp_i32_f64_e32 v45, v[45:46]
	v_sub_f32_e32 v46, v48, v47
	v_add_f32_e32 v46, 1.0, v46
	v_sub_f32_e32 v48, v42, v48
	v_add_f32_e32 v46, v48, v46
	v_frexp_mant_f32_e32 v48, v47
	v_cmp_gt_f32_e32 vcc, s70, v48
	v_subbrev_co_u32_e32 v45, vcc, 0, v45, vcc
	v_sub_u32_e32 v48, 0, v45
	v_ldexp_f32 v47, v47, v48
	v_ldexp_f32 v46, v46, v48
	v_add_f32_e32 v48, -1.0, v47
	v_add_f32_e32 v51, 1.0, v47
	v_add_f32_e32 v49, 1.0, v48
	v_add_f32_e32 v52, -1.0, v51
	v_sub_f32_e32 v49, v47, v49
	v_sub_f32_e32 v47, v47, v52
	v_add_f32_e32 v49, v46, v49
	v_add_f32_e32 v46, v46, v47
	v_add_f32_e32 v47, v51, v46
	v_rcp_f32_e32 v52, v47
	v_add_f32_e32 v50, v48, v49
	v_sub_f32_e32 v48, v50, v48
	v_sub_f32_e32 v48, v49, v48
	v_sub_f32_e32 v49, v47, v51
	v_sub_f32_e32 v46, v46, v49
	v_mul_f32_e32 v49, v50, v52
	v_mul_f32_e32 v51, v47, v49
	v_fma_f32 v53, v49, v47, -v51
	v_fmac_f32_e32 v53, v49, v46
	v_add_f32_e32 v54, v51, v53
	v_sub_f32_e32 v55, v50, v54
	v_sub_f32_e32 v50, v50, v55
	;; [unrolled: 1-line block ×4, first 2 shown]
	v_add_f32_e32 v48, v48, v50
	v_sub_f32_e32 v50, v51, v53
	v_add_f32_e32 v48, v50, v48
	v_add_f32_e32 v50, v55, v48
	v_mul_f32_e32 v51, v52, v50
	v_mul_f32_e32 v53, v47, v51
	v_fma_f32 v47, v51, v47, -v53
	v_fmac_f32_e32 v47, v51, v46
	v_sub_f32_e32 v46, v55, v50
	v_add_f32_e32 v46, v48, v46
	v_add_f32_e32 v48, v53, v47
	v_sub_f32_e32 v54, v50, v48
	v_sub_f32_e32 v50, v50, v54
	;; [unrolled: 1-line block ×4, first 2 shown]
	v_add_f32_e32 v46, v46, v48
	v_sub_f32_e32 v47, v53, v47
	v_cvt_f32_i32_e32 v45, v45
	v_add_f32_e32 v46, v47, v46
	v_add_f32_e32 v47, v49, v51
	;; [unrolled: 1-line block ×3, first 2 shown]
	v_sub_f32_e32 v48, v47, v49
	v_mul_f32_e32 v46, v52, v46
	v_sub_f32_e32 v48, v51, v48
	v_add_f32_e32 v46, v48, v46
	v_mul_f32_e32 v51, 0x3f317218, v45
	v_add_f32_e32 v48, v47, v46
	v_fma_f32 v52, v45, s71, -v51
	v_mul_f32_e32 v49, v48, v48
	v_mov_b32_e32 v50, 0x3ecc95a3
	v_fmac_f32_e32 v52, 0xb102e308, v45
	v_sub_f32_e32 v45, v48, v47
	v_fmac_f32_e32 v50, 0x3e9b6dac, v49
	v_sub_f32_e32 v45, v46, v45
	v_add_f32_e32 v46, v51, v52
	v_fma_f32 v50, v49, v50, v22
	v_sub_f32_e32 v47, v46, v51
	v_ldexp_f32 v51, v48, 1
	v_mul_f32_e32 v48, v48, v49
	v_mul_f32_e32 v48, v48, v50
	v_add_f32_e32 v49, v51, v48
	v_sub_f32_e32 v50, v49, v51
	v_ldexp_f32 v45, v45, 1
	v_sub_f32_e32 v48, v48, v50
	v_add_f32_e32 v45, v45, v48
	v_add_f32_e32 v48, v49, v45
	v_sub_f32_e32 v49, v48, v49
	v_sub_f32_e32 v45, v45, v49
	v_add_f32_e32 v49, v46, v48
	v_sub_f32_e32 v50, v49, v46
	v_sub_f32_e32 v51, v49, v50
	;; [unrolled: 1-line block ×5, first 2 shown]
	v_add_f32_e32 v46, v48, v46
	v_add_f32_e32 v48, v47, v45
	v_sub_f32_e32 v50, v48, v47
	v_sub_f32_e32 v51, v48, v50
	;; [unrolled: 1-line block ×4, first 2 shown]
	v_add_f32_e32 v46, v48, v46
	v_add_f32_e32 v45, v45, v47
	;; [unrolled: 1-line block ×3, first 2 shown]
	v_sub_f32_e32 v48, v47, v49
	v_sub_f32_e32 v46, v46, v48
	v_add_f32_e32 v45, v45, v46
	v_add_f32_e32 v45, v47, v45
	v_cmp_neq_f32_e32 vcc, s62, v42
	v_cndmask_b32_e32 v45, v33, v45, vcc
	v_cmp_ngt_f32_e32 vcc, -1.0, v42
	v_cndmask_b32_e32 v45, v35, v45, vcc
	v_cmp_neq_f32_e32 vcc, -1.0, v42
	v_cndmask_b32_e32 v45, v36, v45, vcc
	v_cmp_lt_f32_e64 vcc, |v42|, s72
	v_cndmask_b32_e32 v42, v45, v42, vcc
.LBB43_430:                             ;   in Loop: Header=BB43_401 Depth=1
	s_andn2_saveexec_b64 s[48:49], s[48:49]
	s_cbranch_execz .LBB43_432
; %bb.431:                              ;   in Loop: Header=BB43_401 Depth=1
	v_sub_f32_e64 v42, 1.0, |v15|
	v_mul_f32_e32 v42, v42, v40
	v_mul_f32_e32 v45, 0x4f800000, v42
	v_cmp_gt_f32_e32 vcc, s64, v42
	v_cndmask_b32_e32 v42, v42, v45, vcc
	v_sqrt_f32_e32 v45, v42
	v_add_u32_e32 v46, -1, v45
	v_fma_f32 v48, -v46, v45, v42
	v_add_u32_e32 v47, 1, v45
	v_cmp_ge_f32_e64 s[18:19], 0, v48
	v_cndmask_b32_e64 v46, v45, v46, s[18:19]
	v_fma_f32 v45, -v47, v45, v42
	v_cmp_lt_f32_e64 s[18:19], 0, v45
	v_cndmask_b32_e64 v45, v46, v47, s[18:19]
	v_mul_f32_e32 v46, 0x37800000, v45
	v_cndmask_b32_e32 v45, v45, v46, vcc
	v_cmp_class_f32_e32 vcc, v42, v21
	v_cndmask_b32_e32 v42, v45, v42, vcc
	v_and_b32_e32 v45, 0x7fffffff, v16
	v_div_scale_f32 v46, s[18:19], v42, v42, v45
	v_div_scale_f32 v45, vcc, v45, v42, v45
	v_rcp_f32_e32 v47, v46
	v_fma_f32 v48, -v46, v47, 1.0
	v_fmac_f32_e32 v47, v48, v47
	v_mul_f32_e32 v48, v45, v47
	v_fma_f32 v49, -v46, v48, v45
	v_fmac_f32_e32 v48, v49, v47
	v_fma_f32 v45, -v46, v48, v45
	v_div_fmas_f32 v45, v45, v47, v48
	v_div_fixup_f32 v42, v45, v42, |v16|
.LBB43_432:                             ;   in Loop: Header=BB43_401 Depth=1
	s_or_b64 exec, exec, s[48:49]
.LBB43_433:                             ;   in Loop: Header=BB43_401 Depth=1
	s_or_b64 exec, exec, s[46:47]
.LBB43_434:                             ;   in Loop: Header=BB43_401 Depth=1
	s_andn2_saveexec_b64 s[44:45], s[44:45]
	s_cbranch_execz .LBB43_436
; %bb.435:                              ;   in Loop: Header=BB43_401 Depth=1
	v_mul_f32_e64 v42, |v16|, s65
	v_cmp_lt_f32_e64 vcc, |v16|, s64
	v_cndmask_b32_e64 v42, |v16|, v42, vcc
	v_sqrt_f32_e32 v45, v42
	v_add_u32_e32 v46, -1, v45
	v_fma_f32 v48, -v46, v45, v42
	v_add_u32_e32 v47, 1, v45
	v_cmp_ge_f32_e64 s[18:19], 0, v48
	v_cndmask_b32_e64 v46, v45, v46, s[18:19]
	v_fma_f32 v45, -v47, v45, v42
	v_cmp_lt_f32_e64 s[18:19], 0, v45
	v_cndmask_b32_e64 v45, v46, v47, s[18:19]
	v_mul_f32_e32 v46, 0x37800000, v45
	v_cndmask_b32_e32 v45, v45, v46, vcc
	v_cmp_class_f32_e32 vcc, v42, v21
	v_cndmask_b32_e32 v42, v45, v42, vcc
.LBB43_436:                             ;   in Loop: Header=BB43_401 Depth=1
	s_or_b64 exec, exec, s[44:45]
.LBB43_437:                             ;   in Loop: Header=BB43_401 Depth=1
	s_or_b64 exec, exec, s[42:43]
	v_cmp_nlt_f32_e64 s[42:43], |v15|, s73
                                        ; implicit-def: $sgpr18_sgpr19
                                        ; implicit-def: $vgpr45
                                        ; implicit-def: $vgpr47
                                        ; implicit-def: $vgpr46
	s_and_saveexec_b64 s[44:45], s[42:43]
	s_xor_b64 s[42:43], exec, s[44:45]
	s_cbranch_execz .LBB43_461
; %bb.438:                              ;   in Loop: Header=BB43_401 Depth=1
	v_and_b32_e32 v46, 0x7fffffff, v15
	v_div_scale_f32 v45, s[18:19], v11, v11, v46
	v_div_scale_f32 v47, vcc, v46, v11, v46
	s_mov_b64 s[18:19], 0
	v_rcp_f32_e32 v48, v45
	v_fma_f32 v49, -v45, v48, 1.0
	v_fmac_f32_e32 v48, v49, v48
	v_mul_f32_e32 v49, v47, v48
	v_fma_f32 v50, -v45, v49, v47
	v_fmac_f32_e32 v49, v50, v48
	v_fma_f32 v45, -v45, v49, v47
	v_div_fmas_f32 v45, v45, v48, v49
                                        ; implicit-def: $vgpr47
	v_div_fixup_f32 v45, v45, v11, |v15|
	v_cmp_lt_f32_e32 vcc, s74, v45
	s_and_saveexec_b64 s[44:45], vcc
	s_cbranch_execz .LBB43_460
; %bb.439:                              ;   in Loop: Header=BB43_401 Depth=1
	v_cmp_neq_f32_e64 s[18:19], |v15|, 1.0
	v_cmp_nlt_f32_e64 s[46:47], |v16|, s75
	s_or_b64 s[18:19], s[46:47], s[18:19]
                                        ; implicit-def: $vgpr47
	s_and_saveexec_b64 s[46:47], s[18:19]
	s_xor_b64 s[46:47], exec, s[46:47]
	s_cbranch_execz .LBB43_457
; %bb.440:                              ;   in Loop: Header=BB43_401 Depth=1
	v_mul_f32_e64 v47, |v12|, s69
	v_cmp_ge_f32_e64 s[18:19], |v16|, v47
                                        ; implicit-def: $vgpr47
	s_and_saveexec_b64 s[48:49], s[18:19]
	s_xor_b64 s[48:49], exec, s[48:49]
	s_cbranch_execz .LBB43_450
; %bb.441:                              ;   in Loop: Header=BB43_401 Depth=1
	v_cmp_neq_f32_e32 vcc, 0, v40
	v_mov_b32_e32 v47, v43
	s_and_saveexec_b64 s[18:19], vcc
	s_cbranch_execz .LBB43_443
; %bb.442:                              ;   in Loop: Header=BB43_401 Depth=1
	v_mul_f32_e32 v47, v16, v16
	v_add_f32_e32 v40, v40, v44
	v_div_scale_f32 v44, s[50:51], v40, v40, v47
	v_div_scale_f32 v48, vcc, v47, v40, v47
	v_rcp_f32_e32 v49, v44
	v_fma_f32 v50, -v44, v49, 1.0
	v_fmac_f32_e32 v49, v50, v49
	v_mul_f32_e32 v50, v48, v49
	v_fma_f32 v51, -v44, v50, v48
	v_fmac_f32_e32 v50, v51, v49
	v_fma_f32 v44, -v44, v50, v48
	v_div_fmas_f32 v44, v44, v49, v50
	v_div_fixup_f32 v47, v44, v40, v47
.LBB43_443:                             ;   in Loop: Header=BB43_401 Depth=1
	s_or_b64 exec, exec, s[18:19]
	v_cmp_ngt_f32_e32 vcc, 0, v12
	s_and_saveexec_b64 s[18:19], vcc
	s_xor_b64 s[18:19], exec, s[18:19]
	s_cbranch_execz .LBB43_447
; %bb.444:                              ;   in Loop: Header=BB43_401 Depth=1
	v_cmp_neq_f32_e32 vcc, 0, v12
	s_and_saveexec_b64 s[50:51], vcc
	s_cbranch_execz .LBB43_446
; %bb.445:                              ;   in Loop: Header=BB43_401 Depth=1
	v_mul_f32_e32 v16, v16, v16
	v_add_f32_e32 v12, v12, v41
	v_div_scale_f32 v40, s[84:85], v12, v12, v16
	v_div_scale_f32 v41, vcc, v16, v12, v16
	v_rcp_f32_e32 v43, v40
	v_fma_f32 v44, -v40, v43, 1.0
	v_fmac_f32_e32 v43, v44, v43
	v_mul_f32_e32 v44, v41, v43
	v_fma_f32 v48, -v40, v44, v41
	v_fmac_f32_e32 v44, v48, v43
	v_fma_f32 v40, -v40, v44, v41
	v_div_fmas_f32 v40, v40, v43, v44
	v_div_fixup_f32 v43, v40, v12, v16
.LBB43_446:                             ;   in Loop: Header=BB43_401 Depth=1
	s_or_b64 exec, exec, s[50:51]
                                        ; implicit-def: $vgpr41
                                        ; implicit-def: $vgpr12
.LBB43_447:                             ;   in Loop: Header=BB43_401 Depth=1
	s_andn2_saveexec_b64 s[18:19], s[18:19]
; %bb.448:                              ;   in Loop: Header=BB43_401 Depth=1
	v_sub_f32_e32 v43, v41, v12
; %bb.449:                              ;   in Loop: Header=BB43_401 Depth=1
	s_or_b64 exec, exec, s[18:19]
	v_mul_f32_e32 v12, 0.5, v43
	v_fmac_f32_e32 v12, 0.5, v47
	v_add_f32_e64 v11, |v15|, v11
	v_mul_f32_e32 v11, v11, v12
	v_mul_f32_e32 v12, 0x4f800000, v11
	v_cmp_gt_f32_e32 vcc, s64, v11
	v_cndmask_b32_e32 v11, v11, v12, vcc
	v_sqrt_f32_e32 v12, v11
                                        ; implicit-def: $vgpr40
	v_add_u32_e32 v15, -1, v12
	v_fma_f32 v16, -v15, v12, v11
	v_cmp_ge_f32_e64 s[18:19], 0, v16
	v_add_u32_e32 v16, 1, v12
	v_cndmask_b32_e64 v15, v12, v15, s[18:19]
	v_fma_f32 v12, -v16, v12, v11
	v_cmp_lt_f32_e64 s[18:19], 0, v12
	v_cndmask_b32_e64 v12, v15, v16, s[18:19]
	v_mul_f32_e32 v15, 0x37800000, v12
	v_cndmask_b32_e32 v12, v12, v15, vcc
	v_cmp_class_f32_e32 vcc, v11, v21
	v_cndmask_b32_e32 v47, v12, v11, vcc
                                        ; implicit-def: $vgpr16
                                        ; implicit-def: $vgpr12
.LBB43_450:                             ;   in Loop: Header=BB43_401 Depth=1
	s_andn2_saveexec_b64 s[48:49], s[48:49]
	s_cbranch_execz .LBB43_456
; %bb.451:                              ;   in Loop: Header=BB43_401 Depth=1
	v_cmp_ngt_f32_e64 s[18:19], |v15|, 1.0
                                        ; implicit-def: $vgpr47
	s_and_saveexec_b64 s[50:51], s[18:19]
	s_xor_b64 s[50:51], exec, s[50:51]
	s_cbranch_execz .LBB43_453
; %bb.452:                              ;   in Loop: Header=BB43_401 Depth=1
	v_sub_f32_e64 v11, 1.0, |v15|
	v_mul_f32_e32 v11, v11, v40
	v_mul_f32_e32 v12, 0x4f800000, v11
	v_cmp_gt_f32_e32 vcc, s64, v11
	v_cndmask_b32_e32 v11, v11, v12, vcc
	v_sqrt_f32_e32 v12, v11
	v_add_u32_e32 v15, -1, v12
	v_fma_f32 v40, -v15, v12, v11
	v_add_u32_e32 v16, 1, v12
	v_cmp_ge_f32_e64 s[18:19], 0, v40
	v_cndmask_b32_e64 v15, v12, v15, s[18:19]
	v_fma_f32 v12, -v16, v12, v11
	v_cmp_lt_f32_e64 s[18:19], 0, v12
	v_cndmask_b32_e64 v12, v15, v16, s[18:19]
	v_mul_f32_e32 v15, 0x37800000, v12
	v_cndmask_b32_e32 v12, v12, v15, vcc
	v_cmp_class_f32_e32 vcc, v11, v21
	v_cndmask_b32_e32 v47, v12, v11, vcc
                                        ; implicit-def: $vgpr16
                                        ; implicit-def: $vgpr40
                                        ; implicit-def: $vgpr12
.LBB43_453:                             ;   in Loop: Header=BB43_401 Depth=1
	s_andn2_saveexec_b64 s[50:51], s[50:51]
	s_cbranch_execz .LBB43_455
; %bb.454:                              ;   in Loop: Header=BB43_401 Depth=1
	v_mul_f32_e32 v11, v40, v12
	v_mul_f32_e32 v12, 0x4f800000, v11
	v_cmp_gt_f32_e32 vcc, s64, v11
	v_cndmask_b32_e32 v11, v11, v12, vcc
	v_sqrt_f32_e32 v12, v11
	v_mul_f32_e64 v16, |v16|, s76
	v_mul_f32_e64 v16, |v15|, v16
	;; [unrolled: 1-line block ×3, first 2 shown]
	v_add_u32_e32 v40, -1, v12
	v_fma_f32 v41, -v40, v12, v11
	v_cmp_ge_f32_e64 s[18:19], 0, v41
	v_add_u32_e32 v41, 1, v12
	v_cndmask_b32_e64 v40, v12, v40, s[18:19]
	v_fma_f32 v12, -v41, v12, v11
	v_cmp_lt_f32_e64 s[18:19], 0, v12
	v_cndmask_b32_e64 v12, v40, v41, s[18:19]
	v_mul_f32_e32 v40, 0x37800000, v12
	v_cndmask_b32_e32 v12, v12, v40, vcc
	v_cmp_class_f32_e32 vcc, v11, v21
	v_cndmask_b32_e32 v11, v12, v11, vcc
	v_div_scale_f32 v12, s[18:19], v11, v11, v16
	v_div_scale_f32 v40, vcc, v16, v11, v16
	v_rcp_f32_e32 v41, v12
	v_fma_f32 v43, -v12, v41, 1.0
	v_fmac_f32_e32 v41, v43, v41
	v_mul_f32_e32 v43, v40, v41
	v_fma_f32 v44, -v12, v43, v40
	v_fmac_f32_e32 v43, v44, v41
	v_fma_f32 v12, -v12, v43, v40
	v_div_fmas_f32 v12, v12, v41, v43
	v_div_fixup_f32 v47, v12, v11, v16
.LBB43_455:                             ;   in Loop: Header=BB43_401 Depth=1
	s_or_b64 exec, exec, s[50:51]
.LBB43_456:                             ;   in Loop: Header=BB43_401 Depth=1
	s_or_b64 exec, exec, s[48:49]
                                        ; implicit-def: $vgpr16
                                        ; implicit-def: $vgpr11
.LBB43_457:                             ;   in Loop: Header=BB43_401 Depth=1
	s_andn2_saveexec_b64 s[46:47], s[46:47]
	s_cbranch_execz .LBB43_459
; %bb.458:                              ;   in Loop: Header=BB43_401 Depth=1
	v_mul_f32_e64 v12, |v16|, s65
	v_cmp_lt_f32_e64 vcc, |v16|, s64
	v_cndmask_b32_e64 v12, |v16|, v12, vcc
	v_sqrt_f32_e32 v15, v12
	v_add_f32_e32 v11, 1.0, v11
	v_mul_f32_e32 v11, 0.5, v11
	v_mov_b32_e32 v46, 1.0
	v_add_u32_e32 v16, -1, v15
	v_fma_f32 v41, -v16, v15, v12
	v_add_u32_e32 v40, 1, v15
	v_cmp_ge_f32_e64 s[18:19], 0, v41
	v_cndmask_b32_e64 v16, v15, v16, s[18:19]
	v_fma_f32 v15, -v40, v15, v12
	v_cmp_lt_f32_e64 s[18:19], 0, v15
	v_cndmask_b32_e64 v15, v16, v40, s[18:19]
	v_mul_f32_e32 v16, 0x37800000, v15
	v_cndmask_b32_e32 v15, v15, v16, vcc
	v_mul_f32_e32 v16, 0x4f800000, v11
	v_cmp_gt_f32_e32 vcc, s64, v11
	v_cndmask_b32_e32 v11, v11, v16, vcc
	v_sqrt_f32_e32 v16, v11
	v_cmp_class_f32_e64 s[18:19], v12, v21
	v_cndmask_b32_e64 v12, v15, v12, s[18:19]
	v_add_u32_e32 v15, -1, v16
	v_fma_f32 v40, -v15, v16, v11
	v_cmp_ge_f32_e64 s[18:19], 0, v40
	v_add_u32_e32 v40, 1, v16
	v_cndmask_b32_e64 v15, v16, v15, s[18:19]
	v_fma_f32 v16, -v40, v16, v11
	v_cmp_lt_f32_e64 s[18:19], 0, v16
	v_cndmask_b32_e64 v15, v15, v40, s[18:19]
	v_mul_f32_e32 v16, 0x37800000, v15
	v_cndmask_b32_e32 v15, v15, v16, vcc
	v_cmp_class_f32_e32 vcc, v11, v21
	v_cndmask_b32_e32 v11, v15, v11, vcc
	v_mul_f32_e32 v47, v12, v11
.LBB43_459:                             ;   in Loop: Header=BB43_401 Depth=1
	s_or_b64 exec, exec, s[46:47]
	s_mov_b64 s[18:19], exec
.LBB43_460:                             ;   in Loop: Header=BB43_401 Depth=1
	s_or_b64 exec, exec, s[44:45]
                                        ; implicit-def: $vgpr11
                                        ; implicit-def: $vgpr15
.LBB43_461:                             ;   in Loop: Header=BB43_401 Depth=1
	s_andn2_saveexec_b64 s[42:43], s[42:43]
; %bb.462:                              ;   in Loop: Header=BB43_401 Depth=1
	v_mul_f32_e32 v47, 0x4b800000, v11
	v_mul_f32_e64 v46, |v15|, s77
	s_or_b64 s[18:19], s[18:19], exec
                                        ; implicit-def: $vgpr45
; %bb.463:                              ;   in Loop: Header=BB43_401 Depth=1
	s_or_b64 exec, exec, s[42:43]
	s_xor_b64 s[18:19], s[18:19], -1
                                        ; implicit-def: $vgpr11
	s_and_saveexec_b64 s[42:43], s[18:19]
	s_xor_b64 s[42:43], exec, s[42:43]
	s_cbranch_execz .LBB43_469
; %bb.464:                              ;   in Loop: Header=BB43_401 Depth=1
                                        ; implicit-def: $vgpr11
	s_and_saveexec_b64 s[18:19], s[16:17]
	s_xor_b64 s[18:19], exec, s[18:19]
	s_cbranch_execz .LBB43_466
; %bb.465:                              ;   in Loop: Header=BB43_401 Depth=1
	v_fma_f32 v11, |v45|, -0.5, 0.5
	v_mul_f32_e32 v12, v45, v45
	v_cmp_gt_f32_e64 vcc, |v45|, 0.5
	v_cndmask_b32_e32 v11, v12, v11, vcc
	v_mov_b32_e32 v12, 0x3c5fc5da
	v_fmac_f32_e32 v12, 0x3d1c21a7, v11
	v_fma_f32 v12, v11, v12, v23
	v_fma_f32 v12, v11, v12, v24
	v_sqrt_f32_e32 v15, v11
	v_fma_f32 v12, v11, v12, v25
	v_fma_f32 v12, v11, v12, v26
	v_mul_f32_e32 v11, v11, v12
	v_fmac_f32_e32 v15, v15, v11
	v_fmac_f32_e32 v45, v45, v11
	v_add_f32_e32 v12, v15, v15
	v_sub_f32_e32 v11, 0x3fc90fdb, v45
	v_cndmask_b32_e32 v11, v11, v12, vcc
                                        ; implicit-def: $vgpr45
.LBB43_466:                             ;   in Loop: Header=BB43_401 Depth=1
	s_andn2_saveexec_b64 s[44:45], s[18:19]
	s_cbranch_execz .LBB43_468
; %bb.467:                              ;   in Loop: Header=BB43_401 Depth=1
	v_fma_f32 v11, |v45|, -0.5, 0.5
	v_mul_f32_e32 v12, v45, v45
	v_cmp_gt_f32_e64 vcc, |v45|, 0.5
	v_cndmask_b32_e32 v11, v12, v11, vcc
	v_mov_b32_e32 v12, 0x3c5fc5da
	v_fmac_f32_e32 v12, 0x3d1c21a7, v11
	v_fma_f32 v12, v11, v12, v23
	v_fma_f32 v12, v11, v12, v24
	v_sqrt_f32_e32 v15, v11
	v_fma_f32 v12, v11, v12, v25
	v_fma_f32 v12, v11, v12, v26
	v_mul_f32_e32 v11, v11, v12
	v_fmac_f32_e32 v15, v15, v11
	v_add_f32_e32 v12, v15, v15
	v_sub_f32_e32 v15, 0x40490fdb, v12
	v_cmp_lt_f32_e64 s[18:19], 0, v45
	v_fma_f32 v11, -v45, v11, -v45
	v_cndmask_b32_e64 v12, v12, v15, s[18:19]
	v_sub_f32_e32 v11, 0x3fc90fdb, v11
	v_cndmask_b32_e32 v11, v11, v12, vcc
.LBB43_468:                             ;   in Loop: Header=BB43_401 Depth=1
	s_or_b64 exec, exec, s[44:45]
                                        ; implicit-def: $vgpr46
                                        ; implicit-def: $vgpr47
.LBB43_469:                             ;   in Loop: Header=BB43_401 Depth=1
	s_andn2_saveexec_b64 s[18:19], s[42:43]
	s_cbranch_execz .LBB43_475
; %bb.470:                              ;   in Loop: Header=BB43_401 Depth=1
	v_max_f32_e64 v11, |v47|, |v47|
	v_max_f32_e32 v12, v46, v46
	v_min_f32_e32 v15, v12, v11
	v_max_f32_e32 v11, v12, v11
	v_frexp_mant_f32_e32 v12, v11
	v_rcp_f32_e32 v12, v12
	v_frexp_exp_i32_f32_e32 v11, v11
	v_frexp_exp_i32_f32_e32 v16, v15
	v_frexp_mant_f32_e32 v15, v15
	v_mul_f32_e32 v12, v15, v12
	v_sub_u32_e32 v11, v16, v11
	v_ldexp_f32 v11, v12, v11
	v_mul_f32_e32 v12, v11, v11
	v_mov_b32_e32 v15, 0xbc7a590c
	v_fmac_f32_e32 v15, 0x3b2d2a58, v12
	v_fma_f32 v15, v12, v15, v27
	v_fma_f32 v15, v12, v15, v28
	;; [unrolled: 1-line block ×6, first 2 shown]
	v_mul_f32_e32 v12, v12, v15
	v_fmac_f32_e32 v11, v11, v12
	v_sub_f32_e32 v12, 0x3fc90fdb, v11
	v_cmp_gt_f32_e64 vcc, |v47|, v46
	v_cndmask_b32_e32 v12, v11, v12, vcc
                                        ; implicit-def: $vgpr11
	s_and_saveexec_b64 s[42:43], s[16:17]
	s_xor_b64 s[16:17], exec, s[42:43]
; %bb.471:                              ;   in Loop: Header=BB43_401 Depth=1
	v_cmp_neq_f32_e32 vcc, 0, v47
	v_cndmask_b32_e32 v11, 0, v12, vcc
	v_cmp_eq_f32_e32 vcc, s62, v46
	v_cmp_class_f32_e64 s[42:43], v47, s78
	s_and_b64 vcc, vcc, s[42:43]
	v_cndmask_b32_e32 v11, v11, v37, vcc
	v_cmp_o_f32_e32 vcc, v47, v47
	v_cndmask_b32_e32 v11, v35, v11, vcc
	v_bfi_b32 v11, s61, v11, v47
                                        ; implicit-def: $vgpr12
                                        ; implicit-def: $vgpr46
                                        ; implicit-def: $vgpr47
; %bb.472:                              ;   in Loop: Header=BB43_401 Depth=1
	s_andn2_saveexec_b64 s[16:17], s[16:17]
	s_cbranch_execz .LBB43_474
; %bb.473:                              ;   in Loop: Header=BB43_401 Depth=1
	v_sub_f32_e32 v11, 0x40490fdb, v12
	v_cmp_lt_f32_e32 vcc, 0, v46
	v_cndmask_b32_e32 v11, v12, v11, vcc
	v_cmp_neq_f32_e32 vcc, 0, v47
	v_cndmask_b32_e32 v11, v38, v11, vcc
	v_cmp_eq_f32_e32 vcc, s62, v46
	v_cmp_class_f32_e64 s[42:43], v47, s78
	s_and_b64 vcc, vcc, s[42:43]
	v_cndmask_b32_e32 v11, v11, v39, vcc
	v_cmp_o_f32_e32 vcc, v47, v47
	v_cndmask_b32_e32 v11, v35, v11, vcc
	v_bfi_b32 v11, s61, v11, v47
.LBB43_474:                             ;   in Loop: Header=BB43_401 Depth=1
	s_or_b64 exec, exec, s[16:17]
.LBB43_475:                             ;   in Loop: Header=BB43_401 Depth=1
	s_or_b64 exec, exec, s[18:19]
	v_cndmask_b32_e64 v12, -v42, v42, s[12:13]
                                        ; implicit-def: $vgpr15
.LBB43_476:                             ;   in Loop: Header=BB43_401 Depth=1
	s_andn2_saveexec_b64 s[16:17], s[40:41]
	s_cbranch_execz .LBB43_478
; %bb.477:                              ;   in Loop: Header=BB43_401 Depth=1
	v_mov_b32_e32 v41, s21
	v_mov_b32_e32 v40, s20
	flat_load_dword v11, v[40:41] glc
	s_waitcnt vmcnt(0) lgkmcnt(0)
	v_sub_f32_e32 v11, v11, v15
	v_add_f32_e32 v11, 0x3fc90fdb, v11
.LBB43_478:                             ;   in Loop: Header=BB43_401 Depth=1
	s_or_b64 exec, exec, s[16:17]
.LBB43_479:                             ;   in Loop: Header=BB43_401 Depth=1
	s_andn2_saveexec_b64 s[16:17], s[38:39]
; %bb.480:                              ;   in Loop: Header=BB43_401 Depth=1
	v_mov_b32_e32 v11, 0
; %bb.481:                              ;   in Loop: Header=BB43_401 Depth=1
	s_or_b64 exec, exec, s[16:17]
                                        ; implicit-def: $vgpr15
                                        ; implicit-def: $vgpr42
                                        ; implicit-def: $vgpr41
                                        ; implicit-def: $vgpr40
.LBB43_482:                             ;   in Loop: Header=BB43_401 Depth=1
	s_andn2_saveexec_b64 s[36:37], s[36:37]
	s_cbranch_execz .LBB43_492
; %bb.483:                              ;   in Loop: Header=BB43_401 Depth=1
	v_cmp_lt_f32_e64 s[16:17], |v15|, |v16|
	v_cndmask_b32_e64 v43, |v15|, |v16|, s[16:17]
	v_cmp_nlt_f32_e32 vcc, s79, v43
                                        ; implicit-def: $vgpr12
                                        ; implicit-def: $vgpr11
	s_and_saveexec_b64 s[18:19], vcc
	s_xor_b64 s[38:39], exec, s[18:19]
	s_cbranch_execz .LBB43_489
; %bb.484:                              ;   in Loop: Header=BB43_401 Depth=1
	v_cndmask_b32_e64 v44, |v16|, |v15|, s[16:17]
	v_cmp_nlt_f32_e32 vcc, s80, v43
	v_cmp_ngt_f32_e64 s[18:19], s81, v44
	s_and_b64 s[18:19], vcc, s[18:19]
                                        ; implicit-def: $vgpr12
                                        ; implicit-def: $vgpr11
	s_and_saveexec_b64 s[40:41], s[18:19]
	s_xor_b64 s[18:19], exec, s[40:41]
	s_cbranch_execz .LBB43_486
; %bb.485:                              ;   in Loop: Header=BB43_401 Depth=1
	v_mul_f32_e32 v11, v44, v44
	v_fmac_f32_e32 v11, v43, v43
	v_cmp_gt_f32_e32 vcc, s66, v11
	v_cndmask_b32_e64 v12, 0, 32, vcc
	v_ldexp_f32 v11, v11, v12
	v_log_f32_e32 v11, v11
	v_cndmask_b32_e32 v12, 0, v34, vcc
	v_mul_f32_e32 v43, 0x3f317217, v11
	v_fma_f32 v43, v11, s67, -v43
	v_fmac_f32_e32 v43, 0x3377d1cf, v11
	v_fmac_f32_e32 v43, 0x3f317217, v11
	v_cmp_lt_f32_e64 vcc, |v11|, s62
	v_cndmask_b32_e32 v11, v11, v43, vcc
	v_sub_f32_e32 v11, v11, v12
	v_mul_f32_e32 v12, 0.5, v11
	v_min_f32_e32 v11, v42, v41
	v_frexp_mant_f32_e32 v41, v40
	v_rcp_f32_e32 v41, v41
	v_frexp_exp_i32_f32_e32 v40, v40
	v_frexp_exp_i32_f32_e32 v42, v11
	v_frexp_mant_f32_e32 v11, v11
	v_mul_f32_e32 v11, v11, v41
	v_sub_u32_e32 v40, v42, v40
	v_ldexp_f32 v11, v11, v40
	v_mul_f32_e32 v40, v11, v11
	v_mov_b32_e32 v41, 0xbc7a590c
	v_fmac_f32_e32 v41, 0x3b2d2a58, v40
	v_fma_f32 v41, v40, v41, v27
	v_fma_f32 v41, v40, v41, v28
	;; [unrolled: 1-line block ×6, first 2 shown]
	v_mul_f32_e32 v40, v40, v41
	v_fmac_f32_e32 v11, v11, v40
                                        ; implicit-def: $vgpr40
                                        ; implicit-def: $vgpr42
                                        ; implicit-def: $vgpr41
.LBB43_486:                             ;   in Loop: Header=BB43_401 Depth=1
	s_andn2_saveexec_b64 s[18:19], s[18:19]
	s_cbranch_execz .LBB43_488
; %bb.487:                              ;   in Loop: Header=BB43_401 Depth=1
	v_cvt_f64_f32_e32 v[11:12], v40
	v_cmp_neq_f32_e32 vcc, s62, v40
	v_mov_b32_e32 v43, 0xbc7a590c
	v_frexp_exp_i32_f64_e32 v11, v[11:12]
	v_min_f32_e32 v12, v42, v41
	v_frexp_exp_i32_f32_e32 v41, v40
	v_frexp_mant_f32_e32 v42, v40
	v_rcp_f32_e32 v42, v42
	v_frexp_exp_i32_f32_e32 v44, v12
	v_frexp_mant_f32_e32 v12, v12
	v_sub_u32_e32 v41, v44, v41
	v_sub_u32_e32 v45, 0, v11
	v_ldexp_f32 v46, |v15|, v45
	v_ldexp_f32 v45, |v16|, v45
	v_mul_f32_e32 v45, v45, v45
	v_fmac_f32_e32 v45, v46, v46
	v_sqrt_f32_e32 v45, v45
	v_mul_f32_e32 v12, v12, v42
	v_ldexp_f32 v11, v45, v11
	v_cndmask_b32_e32 v11, v33, v11, vcc
	v_cmp_gt_f32_e32 vcc, s66, v11
	v_cndmask_b32_e64 v40, 0, 32, vcc
	v_ldexp_f32 v11, v11, v40
	v_log_f32_e32 v40, v11
	v_ldexp_f32 v11, v12, v41
	v_mul_f32_e32 v41, v11, v11
	v_cndmask_b32_e32 v12, 0, v34, vcc
	v_mul_f32_e32 v42, 0x3f317217, v40
	v_fma_f32 v42, v40, s67, -v42
	v_fmac_f32_e32 v42, 0x3377d1cf, v40
	v_fmac_f32_e32 v42, 0x3f317217, v40
	v_cmp_lt_f32_e64 vcc, |v40|, s62
	v_cndmask_b32_e32 v40, v40, v42, vcc
	v_fmac_f32_e32 v43, 0x3b2d2a58, v41
	v_sub_f32_e32 v12, v40, v12
	v_fma_f32 v40, v41, v43, v27
	v_fma_f32 v40, v41, v40, v28
	;; [unrolled: 1-line block ×6, first 2 shown]
	v_mul_f32_e32 v40, v41, v40
	v_fmac_f32_e32 v11, v11, v40
.LBB43_488:                             ;   in Loop: Header=BB43_401 Depth=1
	s_or_b64 exec, exec, s[18:19]
                                        ; implicit-def: $vgpr42
                                        ; implicit-def: $vgpr41
                                        ; implicit-def: $vgpr40
.LBB43_489:                             ;   in Loop: Header=BB43_401 Depth=1
	s_andn2_saveexec_b64 s[38:39], s[38:39]
	s_cbranch_execz .LBB43_491
; %bb.490:                              ;   in Loop: Header=BB43_401 Depth=1
	v_div_scale_f32 v11, s[18:19], s82, s82, v15
	v_div_scale_f32 v12, s[18:19], s82, s82, v16
	v_div_scale_f32 v43, vcc, v15, s82, v15
	v_div_scale_f32 v44, s[18:19], v16, s82, v16
	v_min_f32_e32 v41, v42, v41
	v_frexp_exp_i32_f32_e32 v42, v40
	v_frexp_mant_f32_e32 v40, v40
	v_rcp_f32_e32 v40, v40
	v_rcp_f32_e32 v45, v11
	;; [unrolled: 1-line block ×3, first 2 shown]
	v_fma_f32 v47, -v11, v45, 1.0
	v_fmac_f32_e32 v45, v47, v45
	v_fma_f32 v48, -v12, v46, 1.0
	v_fmac_f32_e32 v46, v48, v46
	v_mul_f32_e32 v47, v43, v45
	v_mul_f32_e32 v48, v44, v46
	v_fma_f32 v49, -v11, v47, v43
	v_fma_f32 v50, -v12, v48, v44
	v_fmac_f32_e32 v47, v49, v45
	v_fmac_f32_e32 v48, v50, v46
	v_fma_f32 v11, -v11, v47, v43
	v_fma_f32 v12, -v12, v48, v44
	v_div_fmas_f32 v11, v11, v45, v47
	s_mov_b64 vcc, s[18:19]
	v_div_fmas_f32 v12, v12, v46, v48
	v_frexp_exp_i32_f32_e32 v47, v41
	v_frexp_mant_f32_e32 v41, v41
	v_mul_f32_e32 v40, v41, v40
	v_mov_b32_e32 v43, 0xbc7a590c
	v_div_fixup_f32 v44, v11, s82, v15
	v_div_fixup_f32 v45, v12, s82, v16
	v_max_f32_e64 v46, |v44|, |v45|
	v_cvt_f64_f32_e32 v[11:12], v46
	v_cmp_neq_f32_e32 vcc, s62, v46
	v_frexp_exp_i32_f64_e32 v12, v[11:12]
	v_sub_u32_e32 v11, v47, v42
	v_ldexp_f32 v11, v40, v11
	v_mul_f32_e32 v40, v11, v11
	v_fmac_f32_e32 v43, 0x3b2d2a58, v40
	v_fma_f32 v41, v40, v43, v27
	v_fma_f32 v41, v40, v41, v28
	;; [unrolled: 1-line block ×3, first 2 shown]
	v_sub_u32_e32 v42, 0, v12
	v_ldexp_f32 v43, |v44|, v42
	v_ldexp_f32 v42, |v45|, v42
	v_mul_f32_e32 v42, v42, v42
	v_fmac_f32_e32 v42, v43, v43
	v_sqrt_f32_e32 v42, v42
	v_fma_f32 v41, v40, v41, v30
	v_fma_f32 v41, v40, v41, v31
	;; [unrolled: 1-line block ×3, first 2 shown]
	v_ldexp_f32 v12, v42, v12
	v_cndmask_b32_e32 v12, v33, v12, vcc
	v_cmp_gt_f32_e32 vcc, s66, v12
	v_cndmask_b32_e64 v42, 0, 32, vcc
	v_ldexp_f32 v12, v12, v42
	v_log_f32_e32 v12, v12
	v_mul_f32_e32 v40, v40, v41
	v_cndmask_b32_e32 v41, 0, v34, vcc
	v_fmac_f32_e32 v11, v11, v40
	v_mul_f32_e32 v42, 0x3f317217, v12
	v_fma_f32 v42, v12, s67, -v42
	v_fmac_f32_e32 v42, 0x3377d1cf, v12
	v_fmac_f32_e32 v42, 0x3f317217, v12
	v_cmp_lt_f32_e64 vcc, |v12|, s62
	v_cndmask_b32_e32 v12, v12, v42, vcc
	v_sub_f32_e32 v12, v12, v41
	v_add_f32_e32 v12, 1.0, v12
.LBB43_491:                             ;   in Loop: Header=BB43_401 Depth=1
	s_or_b64 exec, exec, s[38:39]
	v_sub_f32_e32 v40, 0x3fc90fdb, v11
	v_cndmask_b32_e64 v11, v11, v40, s[16:17]
	v_sub_f32_e32 v40, 0x40490fdb, v11
	v_cmp_gt_f32_e32 vcc, 0, v15
	v_cndmask_b32_e32 v11, v11, v40, vcc
	v_cndmask_b32_e64 v40, 0, v38, s[14:15]
	v_cndmask_b32_e32 v41, v37, v39, vcc
	v_cmp_class_f32_e64 s[14:15], v15, s78
	v_cmp_class_f32_e64 s[16:17], v16, s78
	v_cmp_eq_f32_e32 vcc, 0, v16
	v_cndmask_b32_e64 v11, |v11|, v40, vcc
	s_and_b64 vcc, s[16:17], s[14:15]
	v_add_f32_e32 v12, 0x3f317218, v12
	v_cndmask_b32_e32 v11, v11, v41, vcc
	v_cndmask_b32_e64 v12, -v12, v12, s[12:13]
.LBB43_492:                             ;   in Loop: Header=BB43_401 Depth=1
	s_or_b64 exec, exec, s[36:37]
                                        ; implicit-def: $vgpr16
.LBB43_493:                             ;   in Loop: Header=BB43_401 Depth=1
	s_andn2_saveexec_b64 s[12:13], s[34:35]
	s_cbranch_execz .LBB43_507
; %bb.494:                              ;   in Loop: Header=BB43_401 Depth=1
	v_cmp_neq_f32_e64 s[14:15], |v15|, s62
                                        ; implicit-def: $vgpr12
	s_and_saveexec_b64 s[16:17], s[14:15]
	s_xor_b64 s[14:15], exec, s[16:17]
	s_cbranch_execz .LBB43_504
; %bb.495:                              ;   in Loop: Header=BB43_401 Depth=1
	v_cmp_neq_f32_e64 s[16:17], |v16|, s62
	v_xor_b32_e32 v12, 0x80000000, v16
	s_and_saveexec_b64 s[18:19], s[16:17]
	s_xor_b64 s[16:17], exec, s[18:19]
	s_cbranch_execz .LBB43_501
; %bb.496:                              ;   in Loop: Header=BB43_401 Depth=1
	v_cmp_neq_f32_e32 vcc, 0, v15
                                        ; implicit-def: $vgpr12
	s_and_saveexec_b64 s[18:19], vcc
	s_xor_b64 s[18:19], exec, s[18:19]
; %bb.497:                              ;   in Loop: Header=BB43_401 Depth=1
	v_add_f32_e32 v11, 0, v16
	v_add_f32_e32 v12, v11, v15
                                        ; implicit-def: $vgpr16
; %bb.498:                              ;   in Loop: Header=BB43_401 Depth=1
	s_or_saveexec_b64 s[18:19], s[18:19]
	v_mov_b32_e32 v11, v12
	s_xor_b64 exec, exec, s[18:19]
	s_cbranch_execz .LBB43_500
; %bb.499:                              ;   in Loop: Header=BB43_401 Depth=1
	v_mov_b32_e32 v11, s20
	v_mov_b32_e32 v12, s21
	flat_load_dword v11, v[11:12] glc
	s_waitcnt vmcnt(0)
	v_add_f32_e32 v12, v16, v16
	s_waitcnt lgkmcnt(0)
	v_add_f32_e32 v11, 0x3fc90fdb, v11
.LBB43_500:                             ;   in Loop: Header=BB43_401 Depth=1
	s_or_b64 exec, exec, s[18:19]
                                        ; implicit-def: $vgpr15
.LBB43_501:                             ;   in Loop: Header=BB43_401 Depth=1
	s_andn2_saveexec_b64 s[16:17], s[16:17]
; %bb.502:                              ;   in Loop: Header=BB43_401 Depth=1
	v_add_f32_e32 v11, v15, v15
; %bb.503:                              ;   in Loop: Header=BB43_401 Depth=1
	s_or_b64 exec, exec, s[16:17]
                                        ; implicit-def: $vgpr16
.LBB43_504:                             ;   in Loop: Header=BB43_401 Depth=1
	s_andn2_saveexec_b64 s[14:15], s[14:15]
; %bb.505:                              ;   in Loop: Header=BB43_401 Depth=1
	v_add_f32_e32 v11, v16, v16
	v_mov_b32_e32 v12, 0xff800000
; %bb.506:                              ;   in Loop: Header=BB43_401 Depth=1
	s_or_b64 exec, exec, s[14:15]
.LBB43_507:                             ;   in Loop: Header=BB43_401 Depth=1
	s_or_b64 exec, exec, s[12:13]
	v_mov_b32_e32 v15, s20
	v_mov_b32_e32 v16, s21
	v_cmp_o_f32_e32 vcc, v17, v18
	flat_store_dword v[15:16], v19
	s_waitcnt vmcnt(0)
                                        ; implicit-def: $vgpr16
	s_and_saveexec_b64 s[12:13], vcc
	s_xor_b64 s[34:35], exec, s[12:13]
	s_cbranch_execz .LBB43_591
; %bb.508:                              ;   in Loop: Header=BB43_401 Depth=1
	v_max_f32_e64 v42, |v17|, |v17|
	v_max_f32_e64 v41, |v18|, |v18|
	v_max_f32_e32 v40, v41, v42
	v_cmp_gt_i32_e64 s[14:15], 0, v17
	v_cmp_lt_i32_e64 s[16:17], -1, v17
	v_cmp_gt_i32_e64 s[12:13], 0, v18
	v_cmp_nlt_f32_e32 vcc, s59, v40
                                        ; implicit-def: $vgpr16
	s_and_saveexec_b64 s[18:19], vcc
	s_xor_b64 s[36:37], exec, s[18:19]
	s_cbranch_execz .LBB43_580
; %bb.509:                              ;   in Loop: Header=BB43_401 Depth=1
	v_cmp_neq_f32_e32 vcc, 1.0, v17
	v_cmp_neq_f32_e64 s[18:19], 0, v18
	s_or_b64 s[18:19], s[18:19], vcc
	v_xor_b32_e32 v16, 0x80000000, v18
	s_and_saveexec_b64 s[38:39], s[18:19]
	s_xor_b64 s[38:39], exec, s[38:39]
	s_cbranch_execz .LBB43_577
; %bb.510:                              ;   in Loop: Header=BB43_401 Depth=1
	v_mov_b32_e32 v15, s26
	v_mov_b32_e32 v16, s27
	flat_store_dword v[15:16], v20
	s_waitcnt vmcnt(0)
	flat_load_dword v15, v[15:16] glc
	s_waitcnt vmcnt(0)
	v_cmp_nlt_f32_e64 s[18:19], |v17|, s60
	v_cmp_nlt_f32_e64 s[40:41], |v18|, s60
	s_or_b64 s[18:19], s[40:41], s[18:19]
	s_waitcnt lgkmcnt(0)
	v_add_f32_e32 v40, 1.0, v15
	v_mov_b32_e32 v15, s28
	v_mov_b32_e32 v16, s29
	flat_store_dword v[15:16], v40
	s_waitcnt vmcnt(0)
	flat_load_dword v15, v[15:16] glc
	s_waitcnt vmcnt(0) lgkmcnt(0)
	v_xor_b32_e32 v16, 0x80000000, v18
	s_and_saveexec_b64 s[40:41], s[18:19]
	s_xor_b64 s[40:41], exec, s[40:41]
	s_cbranch_execz .LBB43_574
; %bb.511:                              ;   in Loop: Header=BB43_401 Depth=1
	v_add_f32_e64 v40, |v17|, 1.0
	v_max_f32_e32 v15, v41, v40
	v_add_f32_e64 v16, |v17|, -1.0
	v_cvt_f64_f32_e32 v[42:43], v15
	v_max_f32_e64 v41, v41, |v16|
	v_cvt_f64_f32_e32 v[44:45], v41
	v_cmp_neq_f32_e32 vcc, s62, v15
	v_frexp_exp_i32_f64_e32 v42, v[42:43]
	v_frexp_exp_i32_f64_e32 v43, v[44:45]
	v_sub_u32_e32 v44, 0, v42
	v_ldexp_f32 v46, |v18|, v44
	v_sub_u32_e32 v45, 0, v43
	v_ldexp_f32 v44, v40, v44
	v_ldexp_f32 v47, |v18|, v45
	v_ldexp_f32 v45, |v16|, v45
	v_mul_f32_e32 v44, v44, v44
	v_mul_f32_e32 v45, v45, v45
	v_fmac_f32_e32 v44, v46, v46
	v_fmac_f32_e32 v45, v47, v47
	v_sqrt_f32_e32 v44, v44
	v_sqrt_f32_e32 v45, v45
	v_ldexp_f32 v42, v44, v42
	v_ldexp_f32 v43, v45, v43
	v_cndmask_b32_e32 v44, v33, v42, vcc
	v_cmp_neq_f32_e32 vcc, s62, v41
	v_cndmask_b32_e32 v41, v33, v43, vcc
	v_add_f32_e32 v15, v44, v41
	v_mul_f32_e32 v15, 0.5, v15
	v_cmp_ngt_f32_e32 vcc, 1.0, v15
	v_cndmask_b32_e32 v15, 1.0, v15, vcc
	v_cmp_ngt_f32_e32 vcc, s63, v15
                                        ; implicit-def: $vgpr42
	s_and_saveexec_b64 s[18:19], vcc
	s_xor_b64 s[42:43], exec, s[18:19]
	s_cbranch_execz .LBB43_513
; %bb.512:                              ;   in Loop: Header=BB43_401 Depth=1
	v_fma_f32 v42, v15, v15, -1.0
	v_mul_f32_e32 v43, 0x4f800000, v42
	v_cmp_gt_f32_e32 vcc, s64, v42
	v_cndmask_b32_e32 v42, v42, v43, vcc
	v_sqrt_f32_e32 v43, v42
	v_add_u32_e32 v45, -1, v43
	v_fma_f32 v47, -v45, v43, v42
	v_add_u32_e32 v46, 1, v43
	v_cmp_ge_f32_e64 s[18:19], 0, v47
	v_cndmask_b32_e64 v45, v43, v45, s[18:19]
	v_fma_f32 v43, -v46, v43, v42
	v_cmp_lt_f32_e64 s[18:19], 0, v43
	v_cndmask_b32_e64 v43, v45, v46, s[18:19]
	v_mul_f32_e32 v45, 0x37800000, v43
	v_cndmask_b32_e32 v43, v43, v45, vcc
	v_cmp_class_f32_e32 vcc, v42, v21
	v_cndmask_b32_e32 v42, v43, v42, vcc
	v_add_f32_e32 v42, v15, v42
	v_cmp_gt_f32_e32 vcc, s66, v42
	v_cndmask_b32_e64 v43, 0, 32, vcc
	v_ldexp_f32 v42, v42, v43
	v_log_f32_e32 v42, v42
	v_mul_f32_e32 v43, 0x3f317217, v42
	v_fma_f32 v43, v42, s67, -v43
	v_fmac_f32_e32 v43, 0x3377d1cf, v42
	v_fmac_f32_e32 v43, 0x3f317217, v42
	v_cmp_lt_f32_e64 s[18:19], |v42|, s62
	v_cndmask_b32_e64 v42, v42, v43, s[18:19]
	v_cndmask_b32_e32 v43, 0, v34, vcc
	v_sub_f32_e32 v42, v42, v43
.LBB43_513:                             ;   in Loop: Header=BB43_401 Depth=1
	s_or_saveexec_b64 s[42:43], s[42:43]
	v_and_b32_e32 v43, 0x7fffffff, v18
	s_xor_b64 exec, exec, s[42:43]
	s_cbranch_execz .LBB43_535
; %bb.514:                              ;   in Loop: Header=BB43_401 Depth=1
	v_cmp_neq_f32_e64 s[18:19], |v17|, 1.0
	v_cmp_nlt_f32_e64 s[44:45], |v18|, s68
	s_or_b64 s[18:19], s[44:45], s[18:19]
                                        ; implicit-def: $vgpr42
	s_and_saveexec_b64 s[44:45], s[18:19]
	s_xor_b64 s[44:45], exec, s[44:45]
	s_cbranch_execz .LBB43_532
; %bb.515:                              ;   in Loop: Header=BB43_401 Depth=1
	v_mul_f32_e64 v42, |v16|, s69
	v_cmp_ge_f32_e64 s[18:19], |v18|, v42
                                        ; implicit-def: $vgpr42
	s_and_saveexec_b64 s[46:47], s[18:19]
	s_xor_b64 s[46:47], exec, s[46:47]
	s_cbranch_execz .LBB43_525
; %bb.516:                              ;   in Loop: Header=BB43_401 Depth=1
	v_cmp_neq_f32_e32 vcc, 0, v40
	v_mov_b32_e32 v42, v43
	s_and_saveexec_b64 s[18:19], vcc
	s_cbranch_execz .LBB43_518
; %bb.517:                              ;   in Loop: Header=BB43_401 Depth=1
	v_mul_f32_e32 v42, v18, v18
	v_add_f32_e32 v45, v40, v44
	v_div_scale_f32 v46, s[48:49], v45, v45, v42
	v_div_scale_f32 v47, vcc, v42, v45, v42
	v_rcp_f32_e32 v48, v46
	v_fma_f32 v49, -v46, v48, 1.0
	v_fmac_f32_e32 v48, v49, v48
	v_mul_f32_e32 v49, v47, v48
	v_fma_f32 v50, -v46, v49, v47
	v_fmac_f32_e32 v49, v50, v48
	v_fma_f32 v46, -v46, v49, v47
	v_div_fmas_f32 v46, v46, v48, v49
	v_div_fixup_f32 v42, v46, v45, v42
.LBB43_518:                             ;   in Loop: Header=BB43_401 Depth=1
	s_or_b64 exec, exec, s[18:19]
	v_sub_f32_e64 v46, 1.0, |v17|
	v_cmp_ngt_f32_e32 vcc, 0, v46
                                        ; implicit-def: $vgpr45
	s_and_saveexec_b64 s[18:19], vcc
	s_xor_b64 s[18:19], exec, s[18:19]
	s_cbranch_execz .LBB43_522
; %bb.519:                              ;   in Loop: Header=BB43_401 Depth=1
	v_cmp_neq_f32_e32 vcc, 0, v46
	v_mov_b32_e32 v45, v43
	s_and_saveexec_b64 s[48:49], vcc
	s_cbranch_execz .LBB43_521
; %bb.520:                              ;   in Loop: Header=BB43_401 Depth=1
	v_mul_f32_e32 v45, v18, v18
	v_add_f32_e32 v46, v46, v41
	v_div_scale_f32 v47, s[50:51], v46, v46, v45
	v_div_scale_f32 v48, vcc, v45, v46, v45
	v_rcp_f32_e32 v49, v47
	v_fma_f32 v50, -v47, v49, 1.0
	v_fmac_f32_e32 v49, v50, v49
	v_mul_f32_e32 v50, v48, v49
	v_fma_f32 v51, -v47, v50, v48
	v_fmac_f32_e32 v50, v51, v49
	v_fma_f32 v47, -v47, v50, v48
	v_div_fmas_f32 v47, v47, v49, v50
	v_div_fixup_f32 v45, v47, v46, v45
.LBB43_521:                             ;   in Loop: Header=BB43_401 Depth=1
	s_or_b64 exec, exec, s[48:49]
                                        ; implicit-def: $vgpr46
.LBB43_522:                             ;   in Loop: Header=BB43_401 Depth=1
	s_andn2_saveexec_b64 s[18:19], s[18:19]
; %bb.523:                              ;   in Loop: Header=BB43_401 Depth=1
	v_sub_f32_e32 v45, v41, v46
; %bb.524:                              ;   in Loop: Header=BB43_401 Depth=1
	s_or_b64 exec, exec, s[18:19]
	v_mul_f32_e32 v45, 0.5, v45
	v_fmac_f32_e32 v45, 0.5, v42
	v_add_f32_e32 v42, 1.0, v15
	v_mul_f32_e32 v42, v42, v45
	v_mul_f32_e32 v46, 0x4f800000, v42
	v_cmp_gt_f32_e32 vcc, s64, v42
	v_cndmask_b32_e32 v42, v42, v46, vcc
	v_sqrt_f32_e32 v46, v42
	v_add_u32_e32 v47, -1, v46
	v_fma_f32 v48, -v47, v46, v42
	v_cmp_ge_f32_e64 s[18:19], 0, v48
	v_add_u32_e32 v48, 1, v46
	v_cndmask_b32_e64 v47, v46, v47, s[18:19]
	v_fma_f32 v46, -v48, v46, v42
	v_cmp_lt_f32_e64 s[18:19], 0, v46
	v_cndmask_b32_e64 v46, v47, v48, s[18:19]
	v_mul_f32_e32 v47, 0x37800000, v46
	v_cndmask_b32_e32 v46, v46, v47, vcc
	v_cmp_class_f32_e32 vcc, v42, v21
	v_cndmask_b32_e32 v42, v46, v42, vcc
	v_add_f32_e32 v42, v45, v42
	v_add_f32_e32 v47, 1.0, v42
	v_cvt_f64_f32_e32 v[45:46], v47
	v_add_f32_e32 v48, -1.0, v47
	v_frexp_exp_i32_f64_e32 v45, v[45:46]
	v_sub_f32_e32 v46, v48, v47
	v_add_f32_e32 v46, 1.0, v46
	v_sub_f32_e32 v48, v42, v48
	v_add_f32_e32 v46, v48, v46
	v_frexp_mant_f32_e32 v48, v47
	v_cmp_gt_f32_e32 vcc, s70, v48
	v_subbrev_co_u32_e32 v45, vcc, 0, v45, vcc
	v_sub_u32_e32 v48, 0, v45
	v_ldexp_f32 v47, v47, v48
	v_ldexp_f32 v46, v46, v48
	v_add_f32_e32 v48, -1.0, v47
	v_add_f32_e32 v51, 1.0, v47
	v_add_f32_e32 v49, 1.0, v48
	v_add_f32_e32 v52, -1.0, v51
	v_sub_f32_e32 v49, v47, v49
	v_sub_f32_e32 v47, v47, v52
	v_add_f32_e32 v49, v46, v49
	v_add_f32_e32 v46, v46, v47
	;; [unrolled: 1-line block ×3, first 2 shown]
	v_rcp_f32_e32 v52, v47
	v_add_f32_e32 v50, v48, v49
	v_sub_f32_e32 v48, v50, v48
	v_sub_f32_e32 v48, v49, v48
	;; [unrolled: 1-line block ×4, first 2 shown]
	v_mul_f32_e32 v49, v50, v52
	v_mul_f32_e32 v51, v47, v49
	v_fma_f32 v53, v49, v47, -v51
	v_fmac_f32_e32 v53, v49, v46
	v_add_f32_e32 v54, v51, v53
	v_sub_f32_e32 v55, v50, v54
	v_sub_f32_e32 v50, v50, v55
	v_sub_f32_e32 v51, v54, v51
	v_sub_f32_e32 v50, v50, v54
	v_add_f32_e32 v48, v48, v50
	v_sub_f32_e32 v50, v51, v53
	v_add_f32_e32 v48, v50, v48
	v_add_f32_e32 v50, v55, v48
	v_mul_f32_e32 v51, v52, v50
	v_mul_f32_e32 v53, v47, v51
	v_fma_f32 v47, v51, v47, -v53
	v_fmac_f32_e32 v47, v51, v46
	v_sub_f32_e32 v46, v55, v50
	v_add_f32_e32 v46, v48, v46
	v_add_f32_e32 v48, v53, v47
	v_sub_f32_e32 v54, v50, v48
	v_sub_f32_e32 v50, v50, v54
	;; [unrolled: 1-line block ×4, first 2 shown]
	v_add_f32_e32 v46, v46, v48
	v_sub_f32_e32 v47, v53, v47
	v_cvt_f32_i32_e32 v45, v45
	v_add_f32_e32 v46, v47, v46
	v_add_f32_e32 v47, v49, v51
	;; [unrolled: 1-line block ×3, first 2 shown]
	v_sub_f32_e32 v48, v47, v49
	v_mul_f32_e32 v46, v52, v46
	v_sub_f32_e32 v48, v51, v48
	v_add_f32_e32 v46, v48, v46
	v_mul_f32_e32 v51, 0x3f317218, v45
	v_add_f32_e32 v48, v47, v46
	v_fma_f32 v52, v45, s71, -v51
	v_mul_f32_e32 v49, v48, v48
	v_mov_b32_e32 v50, 0x3ecc95a3
	v_fmac_f32_e32 v52, 0xb102e308, v45
	v_sub_f32_e32 v45, v48, v47
	v_fmac_f32_e32 v50, 0x3e9b6dac, v49
	v_sub_f32_e32 v45, v46, v45
	v_add_f32_e32 v46, v51, v52
	v_fma_f32 v50, v49, v50, v22
	v_sub_f32_e32 v47, v46, v51
	v_ldexp_f32 v51, v48, 1
	v_mul_f32_e32 v48, v48, v49
	v_mul_f32_e32 v48, v48, v50
	v_add_f32_e32 v49, v51, v48
	v_sub_f32_e32 v50, v49, v51
	v_ldexp_f32 v45, v45, 1
	v_sub_f32_e32 v48, v48, v50
	v_add_f32_e32 v45, v45, v48
	v_add_f32_e32 v48, v49, v45
	v_sub_f32_e32 v49, v48, v49
	v_sub_f32_e32 v45, v45, v49
	v_add_f32_e32 v49, v46, v48
	v_sub_f32_e32 v50, v49, v46
	v_sub_f32_e32 v51, v49, v50
	;; [unrolled: 1-line block ×5, first 2 shown]
	v_add_f32_e32 v46, v48, v46
	v_add_f32_e32 v48, v47, v45
	v_sub_f32_e32 v50, v48, v47
	v_sub_f32_e32 v51, v48, v50
	;; [unrolled: 1-line block ×4, first 2 shown]
	v_add_f32_e32 v46, v48, v46
	v_add_f32_e32 v45, v45, v47
	v_add_f32_e32 v47, v49, v46
	v_sub_f32_e32 v48, v47, v49
	v_sub_f32_e32 v46, v46, v48
	v_add_f32_e32 v45, v45, v46
	v_add_f32_e32 v45, v47, v45
	v_cmp_neq_f32_e32 vcc, s62, v42
	v_cndmask_b32_e32 v45, v33, v45, vcc
	v_cmp_ngt_f32_e32 vcc, -1.0, v42
	v_cndmask_b32_e32 v45, v35, v45, vcc
	v_cmp_neq_f32_e32 vcc, -1.0, v42
	v_cndmask_b32_e32 v45, v36, v45, vcc
	v_cmp_lt_f32_e64 vcc, |v42|, s72
	v_cndmask_b32_e32 v42, v45, v42, vcc
.LBB43_525:                             ;   in Loop: Header=BB43_401 Depth=1
	s_andn2_saveexec_b64 s[46:47], s[46:47]
	s_cbranch_execz .LBB43_531
; %bb.526:                              ;   in Loop: Header=BB43_401 Depth=1
	v_cmp_nlt_f32_e64 s[18:19], |v17|, 1.0
                                        ; implicit-def: $vgpr42
	s_and_saveexec_b64 s[48:49], s[18:19]
	s_xor_b64 s[48:49], exec, s[48:49]
	s_cbranch_execz .LBB43_528
; %bb.527:                              ;   in Loop: Header=BB43_401 Depth=1
	v_mul_f32_e32 v42, v16, v40
	v_mul_f32_e32 v45, 0x4f800000, v42
	v_cmp_gt_f32_e32 vcc, s64, v42
	v_cndmask_b32_e32 v42, v42, v45, vcc
	v_sqrt_f32_e32 v45, v42
	v_add_u32_e32 v46, -1, v45
	v_fma_f32 v48, -v46, v45, v42
	v_add_u32_e32 v47, 1, v45
	v_cmp_ge_f32_e64 s[18:19], 0, v48
	v_cndmask_b32_e64 v46, v45, v46, s[18:19]
	v_fma_f32 v45, -v47, v45, v42
	v_cmp_lt_f32_e64 s[18:19], 0, v45
	v_cndmask_b32_e64 v45, v46, v47, s[18:19]
	v_mul_f32_e32 v46, 0x37800000, v45
	v_cndmask_b32_e32 v45, v45, v46, vcc
	v_cmp_class_f32_e32 vcc, v42, v21
	v_cndmask_b32_e32 v42, v45, v42, vcc
	v_add_f32_e32 v42, v16, v42
	v_add_f32_e32 v47, 1.0, v42
	v_cvt_f64_f32_e32 v[45:46], v47
	v_add_f32_e32 v48, -1.0, v47
	v_frexp_exp_i32_f64_e32 v45, v[45:46]
	v_sub_f32_e32 v46, v48, v47
	v_add_f32_e32 v46, 1.0, v46
	v_sub_f32_e32 v48, v42, v48
	v_add_f32_e32 v46, v48, v46
	v_frexp_mant_f32_e32 v48, v47
	v_cmp_gt_f32_e32 vcc, s70, v48
	v_subbrev_co_u32_e32 v45, vcc, 0, v45, vcc
	v_sub_u32_e32 v48, 0, v45
	v_ldexp_f32 v47, v47, v48
	v_ldexp_f32 v46, v46, v48
	v_add_f32_e32 v48, -1.0, v47
	v_add_f32_e32 v51, 1.0, v47
	v_add_f32_e32 v49, 1.0, v48
	v_add_f32_e32 v52, -1.0, v51
	v_sub_f32_e32 v49, v47, v49
	v_sub_f32_e32 v47, v47, v52
	v_add_f32_e32 v49, v46, v49
	v_add_f32_e32 v46, v46, v47
	;; [unrolled: 1-line block ×3, first 2 shown]
	v_rcp_f32_e32 v52, v47
	v_add_f32_e32 v50, v48, v49
	v_sub_f32_e32 v48, v50, v48
	v_sub_f32_e32 v48, v49, v48
	v_sub_f32_e32 v49, v47, v51
	v_sub_f32_e32 v46, v46, v49
	v_mul_f32_e32 v49, v50, v52
	v_mul_f32_e32 v51, v47, v49
	v_fma_f32 v53, v49, v47, -v51
	v_fmac_f32_e32 v53, v49, v46
	v_add_f32_e32 v54, v51, v53
	v_sub_f32_e32 v55, v50, v54
	v_sub_f32_e32 v50, v50, v55
	;; [unrolled: 1-line block ×4, first 2 shown]
	v_add_f32_e32 v48, v48, v50
	v_sub_f32_e32 v50, v51, v53
	v_add_f32_e32 v48, v50, v48
	v_add_f32_e32 v50, v55, v48
	v_mul_f32_e32 v51, v52, v50
	v_mul_f32_e32 v53, v47, v51
	v_fma_f32 v47, v51, v47, -v53
	v_fmac_f32_e32 v47, v51, v46
	v_sub_f32_e32 v46, v55, v50
	v_add_f32_e32 v46, v48, v46
	v_add_f32_e32 v48, v53, v47
	v_sub_f32_e32 v54, v50, v48
	v_sub_f32_e32 v50, v50, v54
	;; [unrolled: 1-line block ×4, first 2 shown]
	v_add_f32_e32 v46, v46, v48
	v_sub_f32_e32 v47, v53, v47
	v_cvt_f32_i32_e32 v45, v45
	v_add_f32_e32 v46, v47, v46
	v_add_f32_e32 v47, v49, v51
	;; [unrolled: 1-line block ×3, first 2 shown]
	v_sub_f32_e32 v48, v47, v49
	v_mul_f32_e32 v46, v52, v46
	v_sub_f32_e32 v48, v51, v48
	v_add_f32_e32 v46, v48, v46
	v_mul_f32_e32 v51, 0x3f317218, v45
	v_add_f32_e32 v48, v47, v46
	v_fma_f32 v52, v45, s71, -v51
	v_mul_f32_e32 v49, v48, v48
	v_mov_b32_e32 v50, 0x3ecc95a3
	v_fmac_f32_e32 v52, 0xb102e308, v45
	v_sub_f32_e32 v45, v48, v47
	v_fmac_f32_e32 v50, 0x3e9b6dac, v49
	v_sub_f32_e32 v45, v46, v45
	v_add_f32_e32 v46, v51, v52
	v_fma_f32 v50, v49, v50, v22
	v_sub_f32_e32 v47, v46, v51
	v_ldexp_f32 v51, v48, 1
	v_mul_f32_e32 v48, v48, v49
	v_mul_f32_e32 v48, v48, v50
	v_add_f32_e32 v49, v51, v48
	v_sub_f32_e32 v50, v49, v51
	v_ldexp_f32 v45, v45, 1
	v_sub_f32_e32 v48, v48, v50
	v_add_f32_e32 v45, v45, v48
	v_add_f32_e32 v48, v49, v45
	v_sub_f32_e32 v49, v48, v49
	v_sub_f32_e32 v45, v45, v49
	v_add_f32_e32 v49, v46, v48
	v_sub_f32_e32 v50, v49, v46
	v_sub_f32_e32 v51, v49, v50
	;; [unrolled: 1-line block ×5, first 2 shown]
	v_add_f32_e32 v46, v48, v46
	v_add_f32_e32 v48, v47, v45
	v_sub_f32_e32 v50, v48, v47
	v_sub_f32_e32 v51, v48, v50
	;; [unrolled: 1-line block ×4, first 2 shown]
	v_add_f32_e32 v46, v48, v46
	v_add_f32_e32 v45, v45, v47
	;; [unrolled: 1-line block ×3, first 2 shown]
	v_sub_f32_e32 v48, v47, v49
	v_sub_f32_e32 v46, v46, v48
	v_add_f32_e32 v45, v45, v46
	v_add_f32_e32 v45, v47, v45
	v_cmp_neq_f32_e32 vcc, s62, v42
	v_cndmask_b32_e32 v45, v33, v45, vcc
	v_cmp_ngt_f32_e32 vcc, -1.0, v42
	v_cndmask_b32_e32 v45, v35, v45, vcc
	v_cmp_neq_f32_e32 vcc, -1.0, v42
	v_cndmask_b32_e32 v45, v36, v45, vcc
	v_cmp_lt_f32_e64 vcc, |v42|, s72
	v_cndmask_b32_e32 v42, v45, v42, vcc
.LBB43_528:                             ;   in Loop: Header=BB43_401 Depth=1
	s_andn2_saveexec_b64 s[48:49], s[48:49]
	s_cbranch_execz .LBB43_530
; %bb.529:                              ;   in Loop: Header=BB43_401 Depth=1
	v_sub_f32_e64 v42, 1.0, |v17|
	v_mul_f32_e32 v42, v42, v40
	v_mul_f32_e32 v45, 0x4f800000, v42
	v_cmp_gt_f32_e32 vcc, s64, v42
	v_cndmask_b32_e32 v42, v42, v45, vcc
	v_sqrt_f32_e32 v45, v42
	v_add_u32_e32 v46, -1, v45
	v_fma_f32 v48, -v46, v45, v42
	v_add_u32_e32 v47, 1, v45
	v_cmp_ge_f32_e64 s[18:19], 0, v48
	v_cndmask_b32_e64 v46, v45, v46, s[18:19]
	v_fma_f32 v45, -v47, v45, v42
	v_cmp_lt_f32_e64 s[18:19], 0, v45
	v_cndmask_b32_e64 v45, v46, v47, s[18:19]
	v_mul_f32_e32 v46, 0x37800000, v45
	v_cndmask_b32_e32 v45, v45, v46, vcc
	v_cmp_class_f32_e32 vcc, v42, v21
	v_cndmask_b32_e32 v42, v45, v42, vcc
	v_and_b32_e32 v45, 0x7fffffff, v18
	v_div_scale_f32 v46, s[18:19], v42, v42, v45
	v_div_scale_f32 v45, vcc, v45, v42, v45
	v_rcp_f32_e32 v47, v46
	v_fma_f32 v48, -v46, v47, 1.0
	v_fmac_f32_e32 v47, v48, v47
	v_mul_f32_e32 v48, v45, v47
	v_fma_f32 v49, -v46, v48, v45
	v_fmac_f32_e32 v48, v49, v47
	v_fma_f32 v45, -v46, v48, v45
	v_div_fmas_f32 v45, v45, v47, v48
	v_div_fixup_f32 v42, v45, v42, |v18|
.LBB43_530:                             ;   in Loop: Header=BB43_401 Depth=1
	s_or_b64 exec, exec, s[48:49]
.LBB43_531:                             ;   in Loop: Header=BB43_401 Depth=1
	s_or_b64 exec, exec, s[46:47]
.LBB43_532:                             ;   in Loop: Header=BB43_401 Depth=1
	s_andn2_saveexec_b64 s[44:45], s[44:45]
	s_cbranch_execz .LBB43_534
; %bb.533:                              ;   in Loop: Header=BB43_401 Depth=1
	v_mul_f32_e64 v42, |v18|, s65
	v_cmp_lt_f32_e64 vcc, |v18|, s64
	v_cndmask_b32_e64 v42, |v18|, v42, vcc
	v_sqrt_f32_e32 v45, v42
	v_add_u32_e32 v46, -1, v45
	v_fma_f32 v48, -v46, v45, v42
	v_add_u32_e32 v47, 1, v45
	v_cmp_ge_f32_e64 s[18:19], 0, v48
	v_cndmask_b32_e64 v46, v45, v46, s[18:19]
	v_fma_f32 v45, -v47, v45, v42
	v_cmp_lt_f32_e64 s[18:19], 0, v45
	v_cndmask_b32_e64 v45, v46, v47, s[18:19]
	v_mul_f32_e32 v46, 0x37800000, v45
	v_cndmask_b32_e32 v45, v45, v46, vcc
	v_cmp_class_f32_e32 vcc, v42, v21
	v_cndmask_b32_e32 v42, v45, v42, vcc
.LBB43_534:                             ;   in Loop: Header=BB43_401 Depth=1
	s_or_b64 exec, exec, s[44:45]
.LBB43_535:                             ;   in Loop: Header=BB43_401 Depth=1
	s_or_b64 exec, exec, s[42:43]
	v_cmp_nlt_f32_e64 s[42:43], |v17|, s73
                                        ; implicit-def: $sgpr18_sgpr19
                                        ; implicit-def: $vgpr45
                                        ; implicit-def: $vgpr47
                                        ; implicit-def: $vgpr46
	s_and_saveexec_b64 s[44:45], s[42:43]
	s_xor_b64 s[42:43], exec, s[44:45]
	s_cbranch_execz .LBB43_559
; %bb.536:                              ;   in Loop: Header=BB43_401 Depth=1
	v_and_b32_e32 v46, 0x7fffffff, v17
	v_div_scale_f32 v45, s[18:19], v15, v15, v46
	v_div_scale_f32 v47, vcc, v46, v15, v46
	s_mov_b64 s[18:19], 0
	v_rcp_f32_e32 v48, v45
	v_fma_f32 v49, -v45, v48, 1.0
	v_fmac_f32_e32 v48, v49, v48
	v_mul_f32_e32 v49, v47, v48
	v_fma_f32 v50, -v45, v49, v47
	v_fmac_f32_e32 v49, v50, v48
	v_fma_f32 v45, -v45, v49, v47
	v_div_fmas_f32 v45, v45, v48, v49
                                        ; implicit-def: $vgpr47
	v_div_fixup_f32 v45, v45, v15, |v17|
	v_cmp_lt_f32_e32 vcc, s74, v45
	s_and_saveexec_b64 s[44:45], vcc
	s_cbranch_execz .LBB43_558
; %bb.537:                              ;   in Loop: Header=BB43_401 Depth=1
	v_cmp_neq_f32_e64 s[18:19], |v17|, 1.0
	v_cmp_nlt_f32_e64 s[46:47], |v18|, s75
	s_or_b64 s[18:19], s[46:47], s[18:19]
                                        ; implicit-def: $vgpr47
	s_and_saveexec_b64 s[46:47], s[18:19]
	s_xor_b64 s[46:47], exec, s[46:47]
	s_cbranch_execz .LBB43_555
; %bb.538:                              ;   in Loop: Header=BB43_401 Depth=1
	v_mul_f32_e64 v47, |v16|, s69
	v_cmp_ge_f32_e64 s[18:19], |v18|, v47
                                        ; implicit-def: $vgpr47
	s_and_saveexec_b64 s[48:49], s[18:19]
	s_xor_b64 s[48:49], exec, s[48:49]
	s_cbranch_execz .LBB43_548
; %bb.539:                              ;   in Loop: Header=BB43_401 Depth=1
	v_cmp_neq_f32_e32 vcc, 0, v40
	v_mov_b32_e32 v47, v43
	s_and_saveexec_b64 s[18:19], vcc
	s_cbranch_execz .LBB43_541
; %bb.540:                              ;   in Loop: Header=BB43_401 Depth=1
	v_mul_f32_e32 v47, v18, v18
	v_add_f32_e32 v40, v40, v44
	v_div_scale_f32 v44, s[50:51], v40, v40, v47
	v_div_scale_f32 v48, vcc, v47, v40, v47
	v_rcp_f32_e32 v49, v44
	v_fma_f32 v50, -v44, v49, 1.0
	v_fmac_f32_e32 v49, v50, v49
	v_mul_f32_e32 v50, v48, v49
	v_fma_f32 v51, -v44, v50, v48
	v_fmac_f32_e32 v50, v51, v49
	v_fma_f32 v44, -v44, v50, v48
	v_div_fmas_f32 v44, v44, v49, v50
	v_div_fixup_f32 v47, v44, v40, v47
.LBB43_541:                             ;   in Loop: Header=BB43_401 Depth=1
	s_or_b64 exec, exec, s[18:19]
	v_cmp_ngt_f32_e32 vcc, 0, v16
	s_and_saveexec_b64 s[18:19], vcc
	s_xor_b64 s[18:19], exec, s[18:19]
	s_cbranch_execz .LBB43_545
; %bb.542:                              ;   in Loop: Header=BB43_401 Depth=1
	v_cmp_neq_f32_e32 vcc, 0, v16
	s_and_saveexec_b64 s[50:51], vcc
	s_cbranch_execz .LBB43_544
; %bb.543:                              ;   in Loop: Header=BB43_401 Depth=1
	v_mul_f32_e32 v18, v18, v18
	v_add_f32_e32 v16, v16, v41
	v_div_scale_f32 v40, s[84:85], v16, v16, v18
	v_div_scale_f32 v41, vcc, v18, v16, v18
	v_rcp_f32_e32 v43, v40
	v_fma_f32 v44, -v40, v43, 1.0
	v_fmac_f32_e32 v43, v44, v43
	v_mul_f32_e32 v44, v41, v43
	v_fma_f32 v48, -v40, v44, v41
	v_fmac_f32_e32 v44, v48, v43
	v_fma_f32 v40, -v40, v44, v41
	v_div_fmas_f32 v40, v40, v43, v44
	v_div_fixup_f32 v43, v40, v16, v18
.LBB43_544:                             ;   in Loop: Header=BB43_401 Depth=1
	s_or_b64 exec, exec, s[50:51]
                                        ; implicit-def: $vgpr41
                                        ; implicit-def: $vgpr16
.LBB43_545:                             ;   in Loop: Header=BB43_401 Depth=1
	s_andn2_saveexec_b64 s[18:19], s[18:19]
; %bb.546:                              ;   in Loop: Header=BB43_401 Depth=1
	v_sub_f32_e32 v43, v41, v16
; %bb.547:                              ;   in Loop: Header=BB43_401 Depth=1
	s_or_b64 exec, exec, s[18:19]
	v_mul_f32_e32 v16, 0.5, v43
	v_fmac_f32_e32 v16, 0.5, v47
	v_add_f32_e64 v15, |v17|, v15
	v_mul_f32_e32 v15, v15, v16
	v_mul_f32_e32 v16, 0x4f800000, v15
	v_cmp_gt_f32_e32 vcc, s64, v15
	v_cndmask_b32_e32 v15, v15, v16, vcc
	v_sqrt_f32_e32 v16, v15
                                        ; implicit-def: $vgpr40
	v_add_u32_e32 v17, -1, v16
	v_fma_f32 v18, -v17, v16, v15
	v_cmp_ge_f32_e64 s[18:19], 0, v18
	v_add_u32_e32 v18, 1, v16
	v_cndmask_b32_e64 v17, v16, v17, s[18:19]
	v_fma_f32 v16, -v18, v16, v15
	v_cmp_lt_f32_e64 s[18:19], 0, v16
	v_cndmask_b32_e64 v16, v17, v18, s[18:19]
	v_mul_f32_e32 v17, 0x37800000, v16
	v_cndmask_b32_e32 v16, v16, v17, vcc
	v_cmp_class_f32_e32 vcc, v15, v21
	v_cndmask_b32_e32 v47, v16, v15, vcc
                                        ; implicit-def: $vgpr18
                                        ; implicit-def: $vgpr16
.LBB43_548:                             ;   in Loop: Header=BB43_401 Depth=1
	s_andn2_saveexec_b64 s[48:49], s[48:49]
	s_cbranch_execz .LBB43_554
; %bb.549:                              ;   in Loop: Header=BB43_401 Depth=1
	v_cmp_ngt_f32_e64 s[18:19], |v17|, 1.0
                                        ; implicit-def: $vgpr47
	s_and_saveexec_b64 s[50:51], s[18:19]
	s_xor_b64 s[50:51], exec, s[50:51]
	s_cbranch_execz .LBB43_551
; %bb.550:                              ;   in Loop: Header=BB43_401 Depth=1
	v_sub_f32_e64 v15, 1.0, |v17|
	v_mul_f32_e32 v15, v15, v40
	v_mul_f32_e32 v16, 0x4f800000, v15
	v_cmp_gt_f32_e32 vcc, s64, v15
	v_cndmask_b32_e32 v15, v15, v16, vcc
	v_sqrt_f32_e32 v16, v15
	v_add_u32_e32 v17, -1, v16
	v_fma_f32 v40, -v17, v16, v15
	v_add_u32_e32 v18, 1, v16
	v_cmp_ge_f32_e64 s[18:19], 0, v40
	v_cndmask_b32_e64 v17, v16, v17, s[18:19]
	v_fma_f32 v16, -v18, v16, v15
	v_cmp_lt_f32_e64 s[18:19], 0, v16
	v_cndmask_b32_e64 v16, v17, v18, s[18:19]
	v_mul_f32_e32 v17, 0x37800000, v16
	v_cndmask_b32_e32 v16, v16, v17, vcc
	v_cmp_class_f32_e32 vcc, v15, v21
	v_cndmask_b32_e32 v47, v16, v15, vcc
                                        ; implicit-def: $vgpr18
                                        ; implicit-def: $vgpr40
                                        ; implicit-def: $vgpr16
.LBB43_551:                             ;   in Loop: Header=BB43_401 Depth=1
	s_andn2_saveexec_b64 s[50:51], s[50:51]
	s_cbranch_execz .LBB43_553
; %bb.552:                              ;   in Loop: Header=BB43_401 Depth=1
	v_mul_f32_e32 v15, v40, v16
	v_mul_f32_e32 v16, 0x4f800000, v15
	v_cmp_gt_f32_e32 vcc, s64, v15
	v_cndmask_b32_e32 v15, v15, v16, vcc
	v_sqrt_f32_e32 v16, v15
	v_mul_f32_e64 v18, |v18|, s76
	v_mul_f32_e64 v18, |v17|, v18
	;; [unrolled: 1-line block ×3, first 2 shown]
	v_add_u32_e32 v40, -1, v16
	v_fma_f32 v41, -v40, v16, v15
	v_cmp_ge_f32_e64 s[18:19], 0, v41
	v_add_u32_e32 v41, 1, v16
	v_cndmask_b32_e64 v40, v16, v40, s[18:19]
	v_fma_f32 v16, -v41, v16, v15
	v_cmp_lt_f32_e64 s[18:19], 0, v16
	v_cndmask_b32_e64 v16, v40, v41, s[18:19]
	v_mul_f32_e32 v40, 0x37800000, v16
	v_cndmask_b32_e32 v16, v16, v40, vcc
	v_cmp_class_f32_e32 vcc, v15, v21
	v_cndmask_b32_e32 v15, v16, v15, vcc
	v_div_scale_f32 v16, s[18:19], v15, v15, v18
	v_div_scale_f32 v40, vcc, v18, v15, v18
	v_rcp_f32_e32 v41, v16
	v_fma_f32 v43, -v16, v41, 1.0
	v_fmac_f32_e32 v41, v43, v41
	v_mul_f32_e32 v43, v40, v41
	v_fma_f32 v44, -v16, v43, v40
	v_fmac_f32_e32 v43, v44, v41
	v_fma_f32 v16, -v16, v43, v40
	v_div_fmas_f32 v16, v16, v41, v43
	v_div_fixup_f32 v47, v16, v15, v18
.LBB43_553:                             ;   in Loop: Header=BB43_401 Depth=1
	s_or_b64 exec, exec, s[50:51]
.LBB43_554:                             ;   in Loop: Header=BB43_401 Depth=1
	s_or_b64 exec, exec, s[48:49]
                                        ; implicit-def: $vgpr18
                                        ; implicit-def: $vgpr15
.LBB43_555:                             ;   in Loop: Header=BB43_401 Depth=1
	s_andn2_saveexec_b64 s[46:47], s[46:47]
	s_cbranch_execz .LBB43_557
; %bb.556:                              ;   in Loop: Header=BB43_401 Depth=1
	v_mul_f32_e64 v16, |v18|, s65
	v_cmp_lt_f32_e64 vcc, |v18|, s64
	v_cndmask_b32_e64 v16, |v18|, v16, vcc
	v_sqrt_f32_e32 v17, v16
	v_add_f32_e32 v15, 1.0, v15
	v_mul_f32_e32 v15, 0.5, v15
	v_mov_b32_e32 v46, 1.0
	v_add_u32_e32 v18, -1, v17
	v_fma_f32 v41, -v18, v17, v16
	v_add_u32_e32 v40, 1, v17
	v_cmp_ge_f32_e64 s[18:19], 0, v41
	v_cndmask_b32_e64 v18, v17, v18, s[18:19]
	v_fma_f32 v17, -v40, v17, v16
	v_cmp_lt_f32_e64 s[18:19], 0, v17
	v_cndmask_b32_e64 v17, v18, v40, s[18:19]
	v_mul_f32_e32 v18, 0x37800000, v17
	v_cndmask_b32_e32 v17, v17, v18, vcc
	v_mul_f32_e32 v18, 0x4f800000, v15
	v_cmp_gt_f32_e32 vcc, s64, v15
	v_cndmask_b32_e32 v15, v15, v18, vcc
	v_sqrt_f32_e32 v18, v15
	v_cmp_class_f32_e64 s[18:19], v16, v21
	v_cndmask_b32_e64 v16, v17, v16, s[18:19]
	v_add_u32_e32 v17, -1, v18
	v_fma_f32 v40, -v17, v18, v15
	v_cmp_ge_f32_e64 s[18:19], 0, v40
	v_add_u32_e32 v40, 1, v18
	v_cndmask_b32_e64 v17, v18, v17, s[18:19]
	v_fma_f32 v18, -v40, v18, v15
	v_cmp_lt_f32_e64 s[18:19], 0, v18
	v_cndmask_b32_e64 v17, v17, v40, s[18:19]
	v_mul_f32_e32 v18, 0x37800000, v17
	v_cndmask_b32_e32 v17, v17, v18, vcc
	v_cmp_class_f32_e32 vcc, v15, v21
	v_cndmask_b32_e32 v15, v17, v15, vcc
	v_mul_f32_e32 v47, v16, v15
.LBB43_557:                             ;   in Loop: Header=BB43_401 Depth=1
	s_or_b64 exec, exec, s[46:47]
	s_mov_b64 s[18:19], exec
.LBB43_558:                             ;   in Loop: Header=BB43_401 Depth=1
	s_or_b64 exec, exec, s[44:45]
                                        ; implicit-def: $vgpr15
                                        ; implicit-def: $vgpr17
.LBB43_559:                             ;   in Loop: Header=BB43_401 Depth=1
	s_andn2_saveexec_b64 s[42:43], s[42:43]
; %bb.560:                              ;   in Loop: Header=BB43_401 Depth=1
	v_mul_f32_e32 v47, 0x4b800000, v15
	v_mul_f32_e64 v46, |v17|, s77
	s_or_b64 s[18:19], s[18:19], exec
                                        ; implicit-def: $vgpr45
; %bb.561:                              ;   in Loop: Header=BB43_401 Depth=1
	s_or_b64 exec, exec, s[42:43]
	s_xor_b64 s[18:19], s[18:19], -1
                                        ; implicit-def: $vgpr15
	s_and_saveexec_b64 s[42:43], s[18:19]
	s_xor_b64 s[42:43], exec, s[42:43]
	s_cbranch_execz .LBB43_567
; %bb.562:                              ;   in Loop: Header=BB43_401 Depth=1
                                        ; implicit-def: $vgpr15
	s_and_saveexec_b64 s[18:19], s[16:17]
	s_xor_b64 s[18:19], exec, s[18:19]
	s_cbranch_execz .LBB43_564
; %bb.563:                              ;   in Loop: Header=BB43_401 Depth=1
	v_fma_f32 v15, |v45|, -0.5, 0.5
	v_mul_f32_e32 v16, v45, v45
	v_cmp_gt_f32_e64 vcc, |v45|, 0.5
	v_cndmask_b32_e32 v15, v16, v15, vcc
	v_mov_b32_e32 v16, 0x3c5fc5da
	v_fmac_f32_e32 v16, 0x3d1c21a7, v15
	v_fma_f32 v16, v15, v16, v23
	v_fma_f32 v16, v15, v16, v24
	v_sqrt_f32_e32 v17, v15
	v_fma_f32 v16, v15, v16, v25
	v_fma_f32 v16, v15, v16, v26
	v_mul_f32_e32 v15, v15, v16
	v_fmac_f32_e32 v17, v17, v15
	v_fmac_f32_e32 v45, v45, v15
	v_add_f32_e32 v16, v17, v17
	v_sub_f32_e32 v15, 0x3fc90fdb, v45
	v_cndmask_b32_e32 v15, v15, v16, vcc
                                        ; implicit-def: $vgpr45
.LBB43_564:                             ;   in Loop: Header=BB43_401 Depth=1
	s_andn2_saveexec_b64 s[44:45], s[18:19]
	s_cbranch_execz .LBB43_566
; %bb.565:                              ;   in Loop: Header=BB43_401 Depth=1
	v_fma_f32 v15, |v45|, -0.5, 0.5
	v_mul_f32_e32 v16, v45, v45
	v_cmp_gt_f32_e64 vcc, |v45|, 0.5
	v_cndmask_b32_e32 v15, v16, v15, vcc
	v_mov_b32_e32 v16, 0x3c5fc5da
	v_fmac_f32_e32 v16, 0x3d1c21a7, v15
	v_fma_f32 v16, v15, v16, v23
	v_fma_f32 v16, v15, v16, v24
	v_sqrt_f32_e32 v17, v15
	v_fma_f32 v16, v15, v16, v25
	v_fma_f32 v16, v15, v16, v26
	v_mul_f32_e32 v15, v15, v16
	v_fmac_f32_e32 v17, v17, v15
	v_add_f32_e32 v16, v17, v17
	v_sub_f32_e32 v17, 0x40490fdb, v16
	v_cmp_lt_f32_e64 s[18:19], 0, v45
	v_fma_f32 v15, -v45, v15, -v45
	v_cndmask_b32_e64 v16, v16, v17, s[18:19]
	v_sub_f32_e32 v15, 0x3fc90fdb, v15
	v_cndmask_b32_e32 v15, v15, v16, vcc
.LBB43_566:                             ;   in Loop: Header=BB43_401 Depth=1
	s_or_b64 exec, exec, s[44:45]
                                        ; implicit-def: $vgpr46
                                        ; implicit-def: $vgpr47
.LBB43_567:                             ;   in Loop: Header=BB43_401 Depth=1
	s_andn2_saveexec_b64 s[18:19], s[42:43]
	s_cbranch_execz .LBB43_573
; %bb.568:                              ;   in Loop: Header=BB43_401 Depth=1
	v_max_f32_e64 v15, |v47|, |v47|
	v_max_f32_e32 v16, v46, v46
	v_min_f32_e32 v17, v16, v15
	v_max_f32_e32 v15, v16, v15
	v_frexp_mant_f32_e32 v16, v15
	v_rcp_f32_e32 v16, v16
	v_frexp_exp_i32_f32_e32 v15, v15
	v_frexp_exp_i32_f32_e32 v18, v17
	v_frexp_mant_f32_e32 v17, v17
	v_mul_f32_e32 v16, v17, v16
	v_sub_u32_e32 v15, v18, v15
	v_ldexp_f32 v15, v16, v15
	v_mul_f32_e32 v16, v15, v15
	v_mov_b32_e32 v17, 0xbc7a590c
	v_fmac_f32_e32 v17, 0x3b2d2a58, v16
	v_fma_f32 v17, v16, v17, v27
	v_fma_f32 v17, v16, v17, v28
	;; [unrolled: 1-line block ×6, first 2 shown]
	v_mul_f32_e32 v16, v16, v17
	v_fmac_f32_e32 v15, v15, v16
	v_sub_f32_e32 v16, 0x3fc90fdb, v15
	v_cmp_gt_f32_e64 vcc, |v47|, v46
	v_cndmask_b32_e32 v16, v15, v16, vcc
                                        ; implicit-def: $vgpr15
	s_and_saveexec_b64 s[42:43], s[16:17]
	s_xor_b64 s[16:17], exec, s[42:43]
; %bb.569:                              ;   in Loop: Header=BB43_401 Depth=1
	v_cmp_neq_f32_e32 vcc, 0, v47
	v_cndmask_b32_e32 v15, 0, v16, vcc
	v_cmp_eq_f32_e32 vcc, s62, v46
	v_cmp_class_f32_e64 s[42:43], v47, s78
	s_and_b64 vcc, vcc, s[42:43]
	v_cndmask_b32_e32 v15, v15, v37, vcc
	v_cmp_o_f32_e32 vcc, v47, v47
	v_cndmask_b32_e32 v15, v35, v15, vcc
	v_bfi_b32 v15, s61, v15, v47
                                        ; implicit-def: $vgpr16
                                        ; implicit-def: $vgpr46
                                        ; implicit-def: $vgpr47
; %bb.570:                              ;   in Loop: Header=BB43_401 Depth=1
	s_andn2_saveexec_b64 s[16:17], s[16:17]
	s_cbranch_execz .LBB43_572
; %bb.571:                              ;   in Loop: Header=BB43_401 Depth=1
	v_sub_f32_e32 v15, 0x40490fdb, v16
	v_cmp_lt_f32_e32 vcc, 0, v46
	v_cndmask_b32_e32 v15, v16, v15, vcc
	v_cmp_neq_f32_e32 vcc, 0, v47
	v_cndmask_b32_e32 v15, v38, v15, vcc
	v_cmp_eq_f32_e32 vcc, s62, v46
	v_cmp_class_f32_e64 s[42:43], v47, s78
	s_and_b64 vcc, vcc, s[42:43]
	v_cndmask_b32_e32 v15, v15, v39, vcc
	v_cmp_o_f32_e32 vcc, v47, v47
	v_cndmask_b32_e32 v15, v35, v15, vcc
	v_bfi_b32 v15, s61, v15, v47
.LBB43_572:                             ;   in Loop: Header=BB43_401 Depth=1
	s_or_b64 exec, exec, s[16:17]
.LBB43_573:                             ;   in Loop: Header=BB43_401 Depth=1
	s_or_b64 exec, exec, s[18:19]
	v_cndmask_b32_e64 v16, -v42, v42, s[12:13]
                                        ; implicit-def: $vgpr17
.LBB43_574:                             ;   in Loop: Header=BB43_401 Depth=1
	s_andn2_saveexec_b64 s[16:17], s[40:41]
	s_cbranch_execz .LBB43_576
; %bb.575:                              ;   in Loop: Header=BB43_401 Depth=1
	v_mov_b32_e32 v41, s21
	v_mov_b32_e32 v40, s20
	flat_load_dword v15, v[40:41] glc
	s_waitcnt vmcnt(0) lgkmcnt(0)
	v_sub_f32_e32 v15, v15, v17
	v_add_f32_e32 v15, 0x3fc90fdb, v15
.LBB43_576:                             ;   in Loop: Header=BB43_401 Depth=1
	s_or_b64 exec, exec, s[16:17]
.LBB43_577:                             ;   in Loop: Header=BB43_401 Depth=1
	s_andn2_saveexec_b64 s[16:17], s[38:39]
; %bb.578:                              ;   in Loop: Header=BB43_401 Depth=1
	v_mov_b32_e32 v15, 0
; %bb.579:                              ;   in Loop: Header=BB43_401 Depth=1
	s_or_b64 exec, exec, s[16:17]
                                        ; implicit-def: $vgpr17
                                        ; implicit-def: $vgpr42
                                        ; implicit-def: $vgpr41
                                        ; implicit-def: $vgpr40
.LBB43_580:                             ;   in Loop: Header=BB43_401 Depth=1
	s_andn2_saveexec_b64 s[36:37], s[36:37]
	s_cbranch_execz .LBB43_590
; %bb.581:                              ;   in Loop: Header=BB43_401 Depth=1
	v_cmp_lt_f32_e64 s[16:17], |v17|, |v18|
	v_cndmask_b32_e64 v43, |v17|, |v18|, s[16:17]
	v_cmp_nlt_f32_e32 vcc, s79, v43
                                        ; implicit-def: $vgpr16
                                        ; implicit-def: $vgpr15
	s_and_saveexec_b64 s[18:19], vcc
	s_xor_b64 s[38:39], exec, s[18:19]
	s_cbranch_execz .LBB43_587
; %bb.582:                              ;   in Loop: Header=BB43_401 Depth=1
	v_cndmask_b32_e64 v44, |v18|, |v17|, s[16:17]
	v_cmp_nlt_f32_e32 vcc, s80, v43
	v_cmp_ngt_f32_e64 s[18:19], s81, v44
	s_and_b64 s[18:19], vcc, s[18:19]
                                        ; implicit-def: $vgpr16
                                        ; implicit-def: $vgpr15
	s_and_saveexec_b64 s[40:41], s[18:19]
	s_xor_b64 s[18:19], exec, s[40:41]
	s_cbranch_execz .LBB43_584
; %bb.583:                              ;   in Loop: Header=BB43_401 Depth=1
	v_mul_f32_e32 v15, v44, v44
	v_fmac_f32_e32 v15, v43, v43
	v_cmp_gt_f32_e32 vcc, s66, v15
	v_cndmask_b32_e64 v16, 0, 32, vcc
	v_ldexp_f32 v15, v15, v16
	v_log_f32_e32 v15, v15
	v_cndmask_b32_e32 v16, 0, v34, vcc
	v_mul_f32_e32 v43, 0x3f317217, v15
	v_fma_f32 v43, v15, s67, -v43
	v_fmac_f32_e32 v43, 0x3377d1cf, v15
	v_fmac_f32_e32 v43, 0x3f317217, v15
	v_cmp_lt_f32_e64 vcc, |v15|, s62
	v_cndmask_b32_e32 v15, v15, v43, vcc
	v_sub_f32_e32 v15, v15, v16
	v_mul_f32_e32 v16, 0.5, v15
	v_min_f32_e32 v15, v42, v41
	v_frexp_mant_f32_e32 v41, v40
	v_rcp_f32_e32 v41, v41
	v_frexp_exp_i32_f32_e32 v40, v40
	v_frexp_exp_i32_f32_e32 v42, v15
	v_frexp_mant_f32_e32 v15, v15
	v_mul_f32_e32 v15, v15, v41
	v_sub_u32_e32 v40, v42, v40
	v_ldexp_f32 v15, v15, v40
	v_mul_f32_e32 v40, v15, v15
	v_mov_b32_e32 v41, 0xbc7a590c
	v_fmac_f32_e32 v41, 0x3b2d2a58, v40
	v_fma_f32 v41, v40, v41, v27
	v_fma_f32 v41, v40, v41, v28
	;; [unrolled: 1-line block ×6, first 2 shown]
	v_mul_f32_e32 v40, v40, v41
	v_fmac_f32_e32 v15, v15, v40
                                        ; implicit-def: $vgpr40
                                        ; implicit-def: $vgpr42
                                        ; implicit-def: $vgpr41
.LBB43_584:                             ;   in Loop: Header=BB43_401 Depth=1
	s_andn2_saveexec_b64 s[18:19], s[18:19]
	s_cbranch_execz .LBB43_586
; %bb.585:                              ;   in Loop: Header=BB43_401 Depth=1
	v_cvt_f64_f32_e32 v[15:16], v40
	v_cmp_neq_f32_e32 vcc, s62, v40
	v_mov_b32_e32 v43, 0xbc7a590c
	v_frexp_exp_i32_f64_e32 v15, v[15:16]
	v_min_f32_e32 v16, v42, v41
	v_frexp_exp_i32_f32_e32 v41, v40
	v_frexp_mant_f32_e32 v42, v40
	v_rcp_f32_e32 v42, v42
	v_frexp_exp_i32_f32_e32 v44, v16
	v_frexp_mant_f32_e32 v16, v16
	v_sub_u32_e32 v41, v44, v41
	v_sub_u32_e32 v45, 0, v15
	v_ldexp_f32 v46, |v17|, v45
	v_ldexp_f32 v45, |v18|, v45
	v_mul_f32_e32 v45, v45, v45
	v_fmac_f32_e32 v45, v46, v46
	v_sqrt_f32_e32 v45, v45
	v_mul_f32_e32 v16, v16, v42
	v_ldexp_f32 v15, v45, v15
	v_cndmask_b32_e32 v15, v33, v15, vcc
	v_cmp_gt_f32_e32 vcc, s66, v15
	v_cndmask_b32_e64 v40, 0, 32, vcc
	v_ldexp_f32 v15, v15, v40
	v_log_f32_e32 v40, v15
	v_ldexp_f32 v15, v16, v41
	v_mul_f32_e32 v41, v15, v15
	v_cndmask_b32_e32 v16, 0, v34, vcc
	v_mul_f32_e32 v42, 0x3f317217, v40
	v_fma_f32 v42, v40, s67, -v42
	v_fmac_f32_e32 v42, 0x3377d1cf, v40
	v_fmac_f32_e32 v42, 0x3f317217, v40
	v_cmp_lt_f32_e64 vcc, |v40|, s62
	v_cndmask_b32_e32 v40, v40, v42, vcc
	v_fmac_f32_e32 v43, 0x3b2d2a58, v41
	v_sub_f32_e32 v16, v40, v16
	v_fma_f32 v40, v41, v43, v27
	v_fma_f32 v40, v41, v40, v28
	v_fma_f32 v40, v41, v40, v29
	v_fma_f32 v40, v41, v40, v30
	v_fma_f32 v40, v41, v40, v31
	v_fma_f32 v40, v41, v40, v32
	v_mul_f32_e32 v40, v41, v40
	v_fmac_f32_e32 v15, v15, v40
.LBB43_586:                             ;   in Loop: Header=BB43_401 Depth=1
	s_or_b64 exec, exec, s[18:19]
                                        ; implicit-def: $vgpr42
                                        ; implicit-def: $vgpr41
                                        ; implicit-def: $vgpr40
.LBB43_587:                             ;   in Loop: Header=BB43_401 Depth=1
	s_andn2_saveexec_b64 s[38:39], s[38:39]
	s_cbranch_execz .LBB43_589
; %bb.588:                              ;   in Loop: Header=BB43_401 Depth=1
	v_div_scale_f32 v15, s[18:19], s82, s82, v17
	v_div_scale_f32 v16, s[18:19], s82, s82, v18
	v_div_scale_f32 v43, vcc, v17, s82, v17
	v_div_scale_f32 v44, s[18:19], v18, s82, v18
	v_min_f32_e32 v41, v42, v41
	v_frexp_exp_i32_f32_e32 v42, v40
	v_frexp_mant_f32_e32 v40, v40
	v_rcp_f32_e32 v40, v40
	v_rcp_f32_e32 v45, v15
	;; [unrolled: 1-line block ×3, first 2 shown]
	v_fma_f32 v47, -v15, v45, 1.0
	v_fmac_f32_e32 v45, v47, v45
	v_fma_f32 v48, -v16, v46, 1.0
	v_fmac_f32_e32 v46, v48, v46
	v_mul_f32_e32 v47, v43, v45
	v_mul_f32_e32 v48, v44, v46
	v_fma_f32 v49, -v15, v47, v43
	v_fma_f32 v50, -v16, v48, v44
	v_fmac_f32_e32 v47, v49, v45
	v_fmac_f32_e32 v48, v50, v46
	v_fma_f32 v15, -v15, v47, v43
	v_fma_f32 v16, -v16, v48, v44
	v_div_fmas_f32 v15, v15, v45, v47
	s_mov_b64 vcc, s[18:19]
	v_div_fmas_f32 v16, v16, v46, v48
	v_frexp_exp_i32_f32_e32 v47, v41
	v_frexp_mant_f32_e32 v41, v41
	v_mul_f32_e32 v40, v41, v40
	v_mov_b32_e32 v43, 0xbc7a590c
	v_div_fixup_f32 v44, v15, s82, v17
	v_div_fixup_f32 v45, v16, s82, v18
	v_max_f32_e64 v46, |v44|, |v45|
	v_cvt_f64_f32_e32 v[15:16], v46
	v_cmp_neq_f32_e32 vcc, s62, v46
	v_frexp_exp_i32_f64_e32 v16, v[15:16]
	v_sub_u32_e32 v15, v47, v42
	v_ldexp_f32 v15, v40, v15
	v_mul_f32_e32 v40, v15, v15
	v_fmac_f32_e32 v43, 0x3b2d2a58, v40
	v_fma_f32 v41, v40, v43, v27
	v_fma_f32 v41, v40, v41, v28
	;; [unrolled: 1-line block ×3, first 2 shown]
	v_sub_u32_e32 v42, 0, v16
	v_ldexp_f32 v43, |v44|, v42
	v_ldexp_f32 v42, |v45|, v42
	v_mul_f32_e32 v42, v42, v42
	v_fmac_f32_e32 v42, v43, v43
	v_sqrt_f32_e32 v42, v42
	v_fma_f32 v41, v40, v41, v30
	v_fma_f32 v41, v40, v41, v31
	v_fma_f32 v41, v40, v41, v32
	v_ldexp_f32 v16, v42, v16
	v_cndmask_b32_e32 v16, v33, v16, vcc
	v_cmp_gt_f32_e32 vcc, s66, v16
	v_cndmask_b32_e64 v42, 0, 32, vcc
	v_ldexp_f32 v16, v16, v42
	v_log_f32_e32 v16, v16
	v_mul_f32_e32 v40, v40, v41
	v_cndmask_b32_e32 v41, 0, v34, vcc
	v_fmac_f32_e32 v15, v15, v40
	v_mul_f32_e32 v42, 0x3f317217, v16
	v_fma_f32 v42, v16, s67, -v42
	v_fmac_f32_e32 v42, 0x3377d1cf, v16
	v_fmac_f32_e32 v42, 0x3f317217, v16
	v_cmp_lt_f32_e64 vcc, |v16|, s62
	v_cndmask_b32_e32 v16, v16, v42, vcc
	v_sub_f32_e32 v16, v16, v41
	v_add_f32_e32 v16, 1.0, v16
.LBB43_589:                             ;   in Loop: Header=BB43_401 Depth=1
	s_or_b64 exec, exec, s[38:39]
	v_sub_f32_e32 v40, 0x3fc90fdb, v15
	v_cndmask_b32_e64 v15, v15, v40, s[16:17]
	v_sub_f32_e32 v40, 0x40490fdb, v15
	v_cmp_gt_f32_e32 vcc, 0, v17
	v_cndmask_b32_e32 v15, v15, v40, vcc
	v_cndmask_b32_e64 v40, 0, v38, s[14:15]
	v_cndmask_b32_e32 v41, v37, v39, vcc
	v_cmp_class_f32_e64 s[14:15], v17, s78
	v_cmp_class_f32_e64 s[16:17], v18, s78
	v_cmp_eq_f32_e32 vcc, 0, v18
	v_cndmask_b32_e64 v15, |v15|, v40, vcc
	s_and_b64 vcc, s[16:17], s[14:15]
	v_add_f32_e32 v16, 0x3f317218, v16
	v_cndmask_b32_e32 v15, v15, v41, vcc
	v_cndmask_b32_e64 v16, -v16, v16, s[12:13]
.LBB43_590:                             ;   in Loop: Header=BB43_401 Depth=1
	s_or_b64 exec, exec, s[36:37]
                                        ; implicit-def: $vgpr18
.LBB43_591:                             ;   in Loop: Header=BB43_401 Depth=1
	s_andn2_saveexec_b64 s[12:13], s[34:35]
	s_cbranch_execz .LBB43_605
; %bb.592:                              ;   in Loop: Header=BB43_401 Depth=1
	v_cmp_neq_f32_e64 s[14:15], |v17|, s62
                                        ; implicit-def: $vgpr16
	s_and_saveexec_b64 s[16:17], s[14:15]
	s_xor_b64 s[14:15], exec, s[16:17]
	s_cbranch_execz .LBB43_602
; %bb.593:                              ;   in Loop: Header=BB43_401 Depth=1
	v_cmp_neq_f32_e64 s[16:17], |v18|, s62
	v_xor_b32_e32 v16, 0x80000000, v18
	s_and_saveexec_b64 s[18:19], s[16:17]
	s_xor_b64 s[16:17], exec, s[18:19]
	s_cbranch_execz .LBB43_599
; %bb.594:                              ;   in Loop: Header=BB43_401 Depth=1
	v_cmp_neq_f32_e32 vcc, 0, v17
                                        ; implicit-def: $vgpr16
	s_and_saveexec_b64 s[18:19], vcc
	s_xor_b64 s[18:19], exec, s[18:19]
; %bb.595:                              ;   in Loop: Header=BB43_401 Depth=1
	v_add_f32_e32 v15, 0, v18
	v_add_f32_e32 v16, v15, v17
                                        ; implicit-def: $vgpr18
; %bb.596:                              ;   in Loop: Header=BB43_401 Depth=1
	s_or_saveexec_b64 s[18:19], s[18:19]
	v_mov_b32_e32 v15, v16
	s_xor_b64 exec, exec, s[18:19]
	s_cbranch_execz .LBB43_598
; %bb.597:                              ;   in Loop: Header=BB43_401 Depth=1
	v_mov_b32_e32 v15, s20
	v_mov_b32_e32 v16, s21
	flat_load_dword v15, v[15:16] glc
	s_waitcnt vmcnt(0)
	v_add_f32_e32 v16, v18, v18
	s_waitcnt lgkmcnt(0)
	v_add_f32_e32 v15, 0x3fc90fdb, v15
.LBB43_598:                             ;   in Loop: Header=BB43_401 Depth=1
	s_or_b64 exec, exec, s[18:19]
                                        ; implicit-def: $vgpr17
.LBB43_599:                             ;   in Loop: Header=BB43_401 Depth=1
	s_andn2_saveexec_b64 s[16:17], s[16:17]
; %bb.600:                              ;   in Loop: Header=BB43_401 Depth=1
	v_add_f32_e32 v15, v17, v17
; %bb.601:                              ;   in Loop: Header=BB43_401 Depth=1
	s_or_b64 exec, exec, s[16:17]
                                        ; implicit-def: $vgpr18
.LBB43_602:                             ;   in Loop: Header=BB43_401 Depth=1
	s_andn2_saveexec_b64 s[14:15], s[14:15]
; %bb.603:                              ;   in Loop: Header=BB43_401 Depth=1
	v_add_f32_e32 v15, v18, v18
	v_mov_b32_e32 v16, 0xff800000
; %bb.604:                              ;   in Loop: Header=BB43_401 Depth=1
	s_or_b64 exec, exec, s[14:15]
.LBB43_605:                             ;   in Loop: Header=BB43_401 Depth=1
	s_or_b64 exec, exec, s[12:13]
	v_mov_b32_e32 v17, s20
	v_mov_b32_e32 v18, s21
	v_cmp_o_f32_e32 vcc, v13, v14
	flat_store_dword v[17:18], v19
	s_waitcnt vmcnt(0)
                                        ; implicit-def: $vgpr18
	s_and_saveexec_b64 s[12:13], vcc
	s_xor_b64 s[34:35], exec, s[12:13]
	s_cbranch_execz .LBB43_689
; %bb.606:                              ;   in Loop: Header=BB43_401 Depth=1
	v_max_f32_e64 v42, |v13|, |v13|
	v_max_f32_e64 v41, |v14|, |v14|
	v_max_f32_e32 v40, v41, v42
	v_cmp_gt_i32_e64 s[14:15], 0, v13
	v_cmp_lt_i32_e64 s[16:17], -1, v13
	v_cmp_gt_i32_e64 s[12:13], 0, v14
	v_cmp_nlt_f32_e32 vcc, s59, v40
                                        ; implicit-def: $vgpr18
	s_and_saveexec_b64 s[18:19], vcc
	s_xor_b64 s[36:37], exec, s[18:19]
	s_cbranch_execz .LBB43_678
; %bb.607:                              ;   in Loop: Header=BB43_401 Depth=1
	v_cmp_neq_f32_e32 vcc, 1.0, v13
	v_cmp_neq_f32_e64 s[18:19], 0, v14
	s_or_b64 s[18:19], s[18:19], vcc
	v_xor_b32_e32 v18, 0x80000000, v14
	s_and_saveexec_b64 s[38:39], s[18:19]
	s_xor_b64 s[38:39], exec, s[38:39]
	s_cbranch_execz .LBB43_675
; %bb.608:                              ;   in Loop: Header=BB43_401 Depth=1
	v_mov_b32_e32 v17, s26
	v_mov_b32_e32 v18, s27
	flat_store_dword v[17:18], v20
	s_waitcnt vmcnt(0)
	flat_load_dword v17, v[17:18] glc
	s_waitcnt vmcnt(0)
	v_cmp_nlt_f32_e64 s[18:19], |v13|, s60
	v_cmp_nlt_f32_e64 s[40:41], |v14|, s60
	s_or_b64 s[18:19], s[40:41], s[18:19]
	s_waitcnt lgkmcnt(0)
	v_add_f32_e32 v40, 1.0, v17
	v_mov_b32_e32 v17, s28
	v_mov_b32_e32 v18, s29
	flat_store_dword v[17:18], v40
	s_waitcnt vmcnt(0)
	flat_load_dword v17, v[17:18] glc
	s_waitcnt vmcnt(0) lgkmcnt(0)
	v_xor_b32_e32 v18, 0x80000000, v14
	s_and_saveexec_b64 s[40:41], s[18:19]
	s_xor_b64 s[40:41], exec, s[40:41]
	s_cbranch_execz .LBB43_672
; %bb.609:                              ;   in Loop: Header=BB43_401 Depth=1
	v_add_f32_e64 v40, |v13|, 1.0
	v_max_f32_e32 v17, v41, v40
	v_add_f32_e64 v18, |v13|, -1.0
	v_cvt_f64_f32_e32 v[42:43], v17
	v_max_f32_e64 v41, v41, |v18|
	v_cvt_f64_f32_e32 v[44:45], v41
	v_cmp_neq_f32_e32 vcc, s62, v17
	v_frexp_exp_i32_f64_e32 v42, v[42:43]
	v_frexp_exp_i32_f64_e32 v43, v[44:45]
	v_sub_u32_e32 v44, 0, v42
	v_ldexp_f32 v46, |v14|, v44
	v_sub_u32_e32 v45, 0, v43
	v_ldexp_f32 v44, v40, v44
	v_ldexp_f32 v47, |v14|, v45
	v_ldexp_f32 v45, |v18|, v45
	v_mul_f32_e32 v44, v44, v44
	v_mul_f32_e32 v45, v45, v45
	v_fmac_f32_e32 v44, v46, v46
	v_fmac_f32_e32 v45, v47, v47
	v_sqrt_f32_e32 v44, v44
	v_sqrt_f32_e32 v45, v45
	v_ldexp_f32 v42, v44, v42
	v_ldexp_f32 v43, v45, v43
	v_cndmask_b32_e32 v44, v33, v42, vcc
	v_cmp_neq_f32_e32 vcc, s62, v41
	v_cndmask_b32_e32 v41, v33, v43, vcc
	v_add_f32_e32 v17, v44, v41
	v_mul_f32_e32 v17, 0.5, v17
	v_cmp_ngt_f32_e32 vcc, 1.0, v17
	v_cndmask_b32_e32 v17, 1.0, v17, vcc
	v_cmp_ngt_f32_e32 vcc, s63, v17
                                        ; implicit-def: $vgpr42
	s_and_saveexec_b64 s[18:19], vcc
	s_xor_b64 s[42:43], exec, s[18:19]
	s_cbranch_execz .LBB43_611
; %bb.610:                              ;   in Loop: Header=BB43_401 Depth=1
	v_fma_f32 v42, v17, v17, -1.0
	v_mul_f32_e32 v43, 0x4f800000, v42
	v_cmp_gt_f32_e32 vcc, s64, v42
	v_cndmask_b32_e32 v42, v42, v43, vcc
	v_sqrt_f32_e32 v43, v42
	v_add_u32_e32 v45, -1, v43
	v_fma_f32 v47, -v45, v43, v42
	v_add_u32_e32 v46, 1, v43
	v_cmp_ge_f32_e64 s[18:19], 0, v47
	v_cndmask_b32_e64 v45, v43, v45, s[18:19]
	v_fma_f32 v43, -v46, v43, v42
	v_cmp_lt_f32_e64 s[18:19], 0, v43
	v_cndmask_b32_e64 v43, v45, v46, s[18:19]
	v_mul_f32_e32 v45, 0x37800000, v43
	v_cndmask_b32_e32 v43, v43, v45, vcc
	v_cmp_class_f32_e32 vcc, v42, v21
	v_cndmask_b32_e32 v42, v43, v42, vcc
	v_add_f32_e32 v42, v17, v42
	v_cmp_gt_f32_e32 vcc, s66, v42
	v_cndmask_b32_e64 v43, 0, 32, vcc
	v_ldexp_f32 v42, v42, v43
	v_log_f32_e32 v42, v42
	v_mul_f32_e32 v43, 0x3f317217, v42
	v_fma_f32 v43, v42, s67, -v43
	v_fmac_f32_e32 v43, 0x3377d1cf, v42
	v_fmac_f32_e32 v43, 0x3f317217, v42
	v_cmp_lt_f32_e64 s[18:19], |v42|, s62
	v_cndmask_b32_e64 v42, v42, v43, s[18:19]
	v_cndmask_b32_e32 v43, 0, v34, vcc
	v_sub_f32_e32 v42, v42, v43
.LBB43_611:                             ;   in Loop: Header=BB43_401 Depth=1
	s_or_saveexec_b64 s[42:43], s[42:43]
	v_and_b32_e32 v43, 0x7fffffff, v14
	s_xor_b64 exec, exec, s[42:43]
	s_cbranch_execz .LBB43_633
; %bb.612:                              ;   in Loop: Header=BB43_401 Depth=1
	v_cmp_neq_f32_e64 s[18:19], |v13|, 1.0
	v_cmp_nlt_f32_e64 s[44:45], |v14|, s68
	s_or_b64 s[18:19], s[44:45], s[18:19]
                                        ; implicit-def: $vgpr42
	s_and_saveexec_b64 s[44:45], s[18:19]
	s_xor_b64 s[44:45], exec, s[44:45]
	s_cbranch_execz .LBB43_630
; %bb.613:                              ;   in Loop: Header=BB43_401 Depth=1
	v_mul_f32_e64 v42, |v18|, s69
	v_cmp_ge_f32_e64 s[18:19], |v14|, v42
                                        ; implicit-def: $vgpr42
	s_and_saveexec_b64 s[46:47], s[18:19]
	s_xor_b64 s[46:47], exec, s[46:47]
	s_cbranch_execz .LBB43_623
; %bb.614:                              ;   in Loop: Header=BB43_401 Depth=1
	v_cmp_neq_f32_e32 vcc, 0, v40
	v_mov_b32_e32 v42, v43
	s_and_saveexec_b64 s[18:19], vcc
	s_cbranch_execz .LBB43_616
; %bb.615:                              ;   in Loop: Header=BB43_401 Depth=1
	v_mul_f32_e32 v42, v14, v14
	v_add_f32_e32 v45, v40, v44
	v_div_scale_f32 v46, s[48:49], v45, v45, v42
	v_div_scale_f32 v47, vcc, v42, v45, v42
	v_rcp_f32_e32 v48, v46
	v_fma_f32 v49, -v46, v48, 1.0
	v_fmac_f32_e32 v48, v49, v48
	v_mul_f32_e32 v49, v47, v48
	v_fma_f32 v50, -v46, v49, v47
	v_fmac_f32_e32 v49, v50, v48
	v_fma_f32 v46, -v46, v49, v47
	v_div_fmas_f32 v46, v46, v48, v49
	v_div_fixup_f32 v42, v46, v45, v42
.LBB43_616:                             ;   in Loop: Header=BB43_401 Depth=1
	s_or_b64 exec, exec, s[18:19]
	v_sub_f32_e64 v46, 1.0, |v13|
	v_cmp_ngt_f32_e32 vcc, 0, v46
                                        ; implicit-def: $vgpr45
	s_and_saveexec_b64 s[18:19], vcc
	s_xor_b64 s[18:19], exec, s[18:19]
	s_cbranch_execz .LBB43_620
; %bb.617:                              ;   in Loop: Header=BB43_401 Depth=1
	v_cmp_neq_f32_e32 vcc, 0, v46
	v_mov_b32_e32 v45, v43
	s_and_saveexec_b64 s[48:49], vcc
	s_cbranch_execz .LBB43_619
; %bb.618:                              ;   in Loop: Header=BB43_401 Depth=1
	v_mul_f32_e32 v45, v14, v14
	v_add_f32_e32 v46, v46, v41
	v_div_scale_f32 v47, s[50:51], v46, v46, v45
	v_div_scale_f32 v48, vcc, v45, v46, v45
	v_rcp_f32_e32 v49, v47
	v_fma_f32 v50, -v47, v49, 1.0
	v_fmac_f32_e32 v49, v50, v49
	v_mul_f32_e32 v50, v48, v49
	v_fma_f32 v51, -v47, v50, v48
	v_fmac_f32_e32 v50, v51, v49
	v_fma_f32 v47, -v47, v50, v48
	v_div_fmas_f32 v47, v47, v49, v50
	v_div_fixup_f32 v45, v47, v46, v45
.LBB43_619:                             ;   in Loop: Header=BB43_401 Depth=1
	s_or_b64 exec, exec, s[48:49]
                                        ; implicit-def: $vgpr46
.LBB43_620:                             ;   in Loop: Header=BB43_401 Depth=1
	s_andn2_saveexec_b64 s[18:19], s[18:19]
; %bb.621:                              ;   in Loop: Header=BB43_401 Depth=1
	v_sub_f32_e32 v45, v41, v46
; %bb.622:                              ;   in Loop: Header=BB43_401 Depth=1
	s_or_b64 exec, exec, s[18:19]
	v_mul_f32_e32 v45, 0.5, v45
	v_fmac_f32_e32 v45, 0.5, v42
	v_add_f32_e32 v42, 1.0, v17
	v_mul_f32_e32 v42, v42, v45
	v_mul_f32_e32 v46, 0x4f800000, v42
	v_cmp_gt_f32_e32 vcc, s64, v42
	v_cndmask_b32_e32 v42, v42, v46, vcc
	v_sqrt_f32_e32 v46, v42
	v_add_u32_e32 v47, -1, v46
	v_fma_f32 v48, -v47, v46, v42
	v_cmp_ge_f32_e64 s[18:19], 0, v48
	v_add_u32_e32 v48, 1, v46
	v_cndmask_b32_e64 v47, v46, v47, s[18:19]
	v_fma_f32 v46, -v48, v46, v42
	v_cmp_lt_f32_e64 s[18:19], 0, v46
	v_cndmask_b32_e64 v46, v47, v48, s[18:19]
	v_mul_f32_e32 v47, 0x37800000, v46
	v_cndmask_b32_e32 v46, v46, v47, vcc
	v_cmp_class_f32_e32 vcc, v42, v21
	v_cndmask_b32_e32 v42, v46, v42, vcc
	v_add_f32_e32 v42, v45, v42
	v_add_f32_e32 v47, 1.0, v42
	v_cvt_f64_f32_e32 v[45:46], v47
	v_add_f32_e32 v48, -1.0, v47
	v_frexp_exp_i32_f64_e32 v45, v[45:46]
	v_sub_f32_e32 v46, v48, v47
	v_add_f32_e32 v46, 1.0, v46
	v_sub_f32_e32 v48, v42, v48
	v_add_f32_e32 v46, v48, v46
	v_frexp_mant_f32_e32 v48, v47
	v_cmp_gt_f32_e32 vcc, s70, v48
	v_subbrev_co_u32_e32 v45, vcc, 0, v45, vcc
	v_sub_u32_e32 v48, 0, v45
	v_ldexp_f32 v47, v47, v48
	v_ldexp_f32 v46, v46, v48
	v_add_f32_e32 v48, -1.0, v47
	v_add_f32_e32 v51, 1.0, v47
	v_add_f32_e32 v49, 1.0, v48
	v_add_f32_e32 v52, -1.0, v51
	v_sub_f32_e32 v49, v47, v49
	v_sub_f32_e32 v47, v47, v52
	v_add_f32_e32 v49, v46, v49
	v_add_f32_e32 v46, v46, v47
	;; [unrolled: 1-line block ×3, first 2 shown]
	v_rcp_f32_e32 v52, v47
	v_add_f32_e32 v50, v48, v49
	v_sub_f32_e32 v48, v50, v48
	v_sub_f32_e32 v48, v49, v48
	v_sub_f32_e32 v49, v47, v51
	v_sub_f32_e32 v46, v46, v49
	v_mul_f32_e32 v49, v50, v52
	v_mul_f32_e32 v51, v47, v49
	v_fma_f32 v53, v49, v47, -v51
	v_fmac_f32_e32 v53, v49, v46
	v_add_f32_e32 v54, v51, v53
	v_sub_f32_e32 v55, v50, v54
	v_sub_f32_e32 v50, v50, v55
	;; [unrolled: 1-line block ×4, first 2 shown]
	v_add_f32_e32 v48, v48, v50
	v_sub_f32_e32 v50, v51, v53
	v_add_f32_e32 v48, v50, v48
	v_add_f32_e32 v50, v55, v48
	v_mul_f32_e32 v51, v52, v50
	v_mul_f32_e32 v53, v47, v51
	v_fma_f32 v47, v51, v47, -v53
	v_fmac_f32_e32 v47, v51, v46
	v_sub_f32_e32 v46, v55, v50
	v_add_f32_e32 v46, v48, v46
	v_add_f32_e32 v48, v53, v47
	v_sub_f32_e32 v54, v50, v48
	v_sub_f32_e32 v50, v50, v54
	v_sub_f32_e32 v53, v48, v53
	v_sub_f32_e32 v48, v50, v48
	v_add_f32_e32 v46, v46, v48
	v_sub_f32_e32 v47, v53, v47
	v_cvt_f32_i32_e32 v45, v45
	v_add_f32_e32 v46, v47, v46
	v_add_f32_e32 v47, v49, v51
	;; [unrolled: 1-line block ×3, first 2 shown]
	v_sub_f32_e32 v48, v47, v49
	v_mul_f32_e32 v46, v52, v46
	v_sub_f32_e32 v48, v51, v48
	v_add_f32_e32 v46, v48, v46
	v_mul_f32_e32 v51, 0x3f317218, v45
	v_add_f32_e32 v48, v47, v46
	v_fma_f32 v52, v45, s71, -v51
	v_mul_f32_e32 v49, v48, v48
	v_mov_b32_e32 v50, 0x3ecc95a3
	v_fmac_f32_e32 v52, 0xb102e308, v45
	v_sub_f32_e32 v45, v48, v47
	v_fmac_f32_e32 v50, 0x3e9b6dac, v49
	v_sub_f32_e32 v45, v46, v45
	v_add_f32_e32 v46, v51, v52
	v_fma_f32 v50, v49, v50, v22
	v_sub_f32_e32 v47, v46, v51
	v_ldexp_f32 v51, v48, 1
	v_mul_f32_e32 v48, v48, v49
	v_mul_f32_e32 v48, v48, v50
	v_add_f32_e32 v49, v51, v48
	v_sub_f32_e32 v50, v49, v51
	v_ldexp_f32 v45, v45, 1
	v_sub_f32_e32 v48, v48, v50
	v_add_f32_e32 v45, v45, v48
	v_add_f32_e32 v48, v49, v45
	v_sub_f32_e32 v49, v48, v49
	v_sub_f32_e32 v45, v45, v49
	v_add_f32_e32 v49, v46, v48
	v_sub_f32_e32 v50, v49, v46
	v_sub_f32_e32 v51, v49, v50
	;; [unrolled: 1-line block ×5, first 2 shown]
	v_add_f32_e32 v46, v48, v46
	v_add_f32_e32 v48, v47, v45
	v_sub_f32_e32 v50, v48, v47
	v_sub_f32_e32 v51, v48, v50
	v_sub_f32_e32 v47, v47, v51
	v_sub_f32_e32 v45, v45, v50
	v_add_f32_e32 v46, v48, v46
	v_add_f32_e32 v45, v45, v47
	;; [unrolled: 1-line block ×3, first 2 shown]
	v_sub_f32_e32 v48, v47, v49
	v_sub_f32_e32 v46, v46, v48
	v_add_f32_e32 v45, v45, v46
	v_add_f32_e32 v45, v47, v45
	v_cmp_neq_f32_e32 vcc, s62, v42
	v_cndmask_b32_e32 v45, v33, v45, vcc
	v_cmp_ngt_f32_e32 vcc, -1.0, v42
	v_cndmask_b32_e32 v45, v35, v45, vcc
	v_cmp_neq_f32_e32 vcc, -1.0, v42
	v_cndmask_b32_e32 v45, v36, v45, vcc
	v_cmp_lt_f32_e64 vcc, |v42|, s72
	v_cndmask_b32_e32 v42, v45, v42, vcc
.LBB43_623:                             ;   in Loop: Header=BB43_401 Depth=1
	s_andn2_saveexec_b64 s[46:47], s[46:47]
	s_cbranch_execz .LBB43_629
; %bb.624:                              ;   in Loop: Header=BB43_401 Depth=1
	v_cmp_nlt_f32_e64 s[18:19], |v13|, 1.0
                                        ; implicit-def: $vgpr42
	s_and_saveexec_b64 s[48:49], s[18:19]
	s_xor_b64 s[48:49], exec, s[48:49]
	s_cbranch_execz .LBB43_626
; %bb.625:                              ;   in Loop: Header=BB43_401 Depth=1
	v_mul_f32_e32 v42, v18, v40
	v_mul_f32_e32 v45, 0x4f800000, v42
	v_cmp_gt_f32_e32 vcc, s64, v42
	v_cndmask_b32_e32 v42, v42, v45, vcc
	v_sqrt_f32_e32 v45, v42
	v_add_u32_e32 v46, -1, v45
	v_fma_f32 v48, -v46, v45, v42
	v_add_u32_e32 v47, 1, v45
	v_cmp_ge_f32_e64 s[18:19], 0, v48
	v_cndmask_b32_e64 v46, v45, v46, s[18:19]
	v_fma_f32 v45, -v47, v45, v42
	v_cmp_lt_f32_e64 s[18:19], 0, v45
	v_cndmask_b32_e64 v45, v46, v47, s[18:19]
	v_mul_f32_e32 v46, 0x37800000, v45
	v_cndmask_b32_e32 v45, v45, v46, vcc
	v_cmp_class_f32_e32 vcc, v42, v21
	v_cndmask_b32_e32 v42, v45, v42, vcc
	v_add_f32_e32 v42, v18, v42
	v_add_f32_e32 v47, 1.0, v42
	v_cvt_f64_f32_e32 v[45:46], v47
	v_add_f32_e32 v48, -1.0, v47
	v_frexp_exp_i32_f64_e32 v45, v[45:46]
	v_sub_f32_e32 v46, v48, v47
	v_add_f32_e32 v46, 1.0, v46
	v_sub_f32_e32 v48, v42, v48
	v_add_f32_e32 v46, v48, v46
	v_frexp_mant_f32_e32 v48, v47
	v_cmp_gt_f32_e32 vcc, s70, v48
	v_subbrev_co_u32_e32 v45, vcc, 0, v45, vcc
	v_sub_u32_e32 v48, 0, v45
	v_ldexp_f32 v47, v47, v48
	v_ldexp_f32 v46, v46, v48
	v_add_f32_e32 v48, -1.0, v47
	v_add_f32_e32 v51, 1.0, v47
	v_add_f32_e32 v49, 1.0, v48
	v_add_f32_e32 v52, -1.0, v51
	v_sub_f32_e32 v49, v47, v49
	v_sub_f32_e32 v47, v47, v52
	v_add_f32_e32 v49, v46, v49
	v_add_f32_e32 v46, v46, v47
	;; [unrolled: 1-line block ×3, first 2 shown]
	v_rcp_f32_e32 v52, v47
	v_add_f32_e32 v50, v48, v49
	v_sub_f32_e32 v48, v50, v48
	v_sub_f32_e32 v48, v49, v48
	;; [unrolled: 1-line block ×4, first 2 shown]
	v_mul_f32_e32 v49, v50, v52
	v_mul_f32_e32 v51, v47, v49
	v_fma_f32 v53, v49, v47, -v51
	v_fmac_f32_e32 v53, v49, v46
	v_add_f32_e32 v54, v51, v53
	v_sub_f32_e32 v55, v50, v54
	v_sub_f32_e32 v50, v50, v55
	;; [unrolled: 1-line block ×4, first 2 shown]
	v_add_f32_e32 v48, v48, v50
	v_sub_f32_e32 v50, v51, v53
	v_add_f32_e32 v48, v50, v48
	v_add_f32_e32 v50, v55, v48
	v_mul_f32_e32 v51, v52, v50
	v_mul_f32_e32 v53, v47, v51
	v_fma_f32 v47, v51, v47, -v53
	v_fmac_f32_e32 v47, v51, v46
	v_sub_f32_e32 v46, v55, v50
	v_add_f32_e32 v46, v48, v46
	v_add_f32_e32 v48, v53, v47
	v_sub_f32_e32 v54, v50, v48
	v_sub_f32_e32 v50, v50, v54
	;; [unrolled: 1-line block ×4, first 2 shown]
	v_add_f32_e32 v46, v46, v48
	v_sub_f32_e32 v47, v53, v47
	v_cvt_f32_i32_e32 v45, v45
	v_add_f32_e32 v46, v47, v46
	v_add_f32_e32 v47, v49, v51
	;; [unrolled: 1-line block ×3, first 2 shown]
	v_sub_f32_e32 v48, v47, v49
	v_mul_f32_e32 v46, v52, v46
	v_sub_f32_e32 v48, v51, v48
	v_add_f32_e32 v46, v48, v46
	v_mul_f32_e32 v51, 0x3f317218, v45
	v_add_f32_e32 v48, v47, v46
	v_fma_f32 v52, v45, s71, -v51
	v_mul_f32_e32 v49, v48, v48
	v_mov_b32_e32 v50, 0x3ecc95a3
	v_fmac_f32_e32 v52, 0xb102e308, v45
	v_sub_f32_e32 v45, v48, v47
	v_fmac_f32_e32 v50, 0x3e9b6dac, v49
	v_sub_f32_e32 v45, v46, v45
	v_add_f32_e32 v46, v51, v52
	v_fma_f32 v50, v49, v50, v22
	v_sub_f32_e32 v47, v46, v51
	v_ldexp_f32 v51, v48, 1
	v_mul_f32_e32 v48, v48, v49
	v_mul_f32_e32 v48, v48, v50
	v_add_f32_e32 v49, v51, v48
	v_sub_f32_e32 v50, v49, v51
	v_ldexp_f32 v45, v45, 1
	v_sub_f32_e32 v48, v48, v50
	v_add_f32_e32 v45, v45, v48
	v_add_f32_e32 v48, v49, v45
	v_sub_f32_e32 v49, v48, v49
	v_sub_f32_e32 v45, v45, v49
	v_add_f32_e32 v49, v46, v48
	v_sub_f32_e32 v50, v49, v46
	v_sub_f32_e32 v51, v49, v50
	v_sub_f32_e32 v47, v52, v47
	v_sub_f32_e32 v46, v46, v51
	v_sub_f32_e32 v48, v48, v50
	v_add_f32_e32 v46, v48, v46
	v_add_f32_e32 v48, v47, v45
	v_sub_f32_e32 v50, v48, v47
	v_sub_f32_e32 v51, v48, v50
	;; [unrolled: 1-line block ×4, first 2 shown]
	v_add_f32_e32 v46, v48, v46
	v_add_f32_e32 v45, v45, v47
	;; [unrolled: 1-line block ×3, first 2 shown]
	v_sub_f32_e32 v48, v47, v49
	v_sub_f32_e32 v46, v46, v48
	v_add_f32_e32 v45, v45, v46
	v_add_f32_e32 v45, v47, v45
	v_cmp_neq_f32_e32 vcc, s62, v42
	v_cndmask_b32_e32 v45, v33, v45, vcc
	v_cmp_ngt_f32_e32 vcc, -1.0, v42
	v_cndmask_b32_e32 v45, v35, v45, vcc
	v_cmp_neq_f32_e32 vcc, -1.0, v42
	v_cndmask_b32_e32 v45, v36, v45, vcc
	v_cmp_lt_f32_e64 vcc, |v42|, s72
	v_cndmask_b32_e32 v42, v45, v42, vcc
.LBB43_626:                             ;   in Loop: Header=BB43_401 Depth=1
	s_andn2_saveexec_b64 s[48:49], s[48:49]
	s_cbranch_execz .LBB43_628
; %bb.627:                              ;   in Loop: Header=BB43_401 Depth=1
	v_sub_f32_e64 v42, 1.0, |v13|
	v_mul_f32_e32 v42, v42, v40
	v_mul_f32_e32 v45, 0x4f800000, v42
	v_cmp_gt_f32_e32 vcc, s64, v42
	v_cndmask_b32_e32 v42, v42, v45, vcc
	v_sqrt_f32_e32 v45, v42
	v_add_u32_e32 v46, -1, v45
	v_fma_f32 v48, -v46, v45, v42
	v_add_u32_e32 v47, 1, v45
	v_cmp_ge_f32_e64 s[18:19], 0, v48
	v_cndmask_b32_e64 v46, v45, v46, s[18:19]
	v_fma_f32 v45, -v47, v45, v42
	v_cmp_lt_f32_e64 s[18:19], 0, v45
	v_cndmask_b32_e64 v45, v46, v47, s[18:19]
	v_mul_f32_e32 v46, 0x37800000, v45
	v_cndmask_b32_e32 v45, v45, v46, vcc
	v_cmp_class_f32_e32 vcc, v42, v21
	v_cndmask_b32_e32 v42, v45, v42, vcc
	v_and_b32_e32 v45, 0x7fffffff, v14
	v_div_scale_f32 v46, s[18:19], v42, v42, v45
	v_div_scale_f32 v45, vcc, v45, v42, v45
	v_rcp_f32_e32 v47, v46
	v_fma_f32 v48, -v46, v47, 1.0
	v_fmac_f32_e32 v47, v48, v47
	v_mul_f32_e32 v48, v45, v47
	v_fma_f32 v49, -v46, v48, v45
	v_fmac_f32_e32 v48, v49, v47
	v_fma_f32 v45, -v46, v48, v45
	v_div_fmas_f32 v45, v45, v47, v48
	v_div_fixup_f32 v42, v45, v42, |v14|
.LBB43_628:                             ;   in Loop: Header=BB43_401 Depth=1
	s_or_b64 exec, exec, s[48:49]
.LBB43_629:                             ;   in Loop: Header=BB43_401 Depth=1
	s_or_b64 exec, exec, s[46:47]
.LBB43_630:                             ;   in Loop: Header=BB43_401 Depth=1
	s_andn2_saveexec_b64 s[44:45], s[44:45]
	s_cbranch_execz .LBB43_632
; %bb.631:                              ;   in Loop: Header=BB43_401 Depth=1
	v_mul_f32_e64 v42, |v14|, s65
	v_cmp_lt_f32_e64 vcc, |v14|, s64
	v_cndmask_b32_e64 v42, |v14|, v42, vcc
	v_sqrt_f32_e32 v45, v42
	v_add_u32_e32 v46, -1, v45
	v_fma_f32 v48, -v46, v45, v42
	v_add_u32_e32 v47, 1, v45
	v_cmp_ge_f32_e64 s[18:19], 0, v48
	v_cndmask_b32_e64 v46, v45, v46, s[18:19]
	v_fma_f32 v45, -v47, v45, v42
	v_cmp_lt_f32_e64 s[18:19], 0, v45
	v_cndmask_b32_e64 v45, v46, v47, s[18:19]
	v_mul_f32_e32 v46, 0x37800000, v45
	v_cndmask_b32_e32 v45, v45, v46, vcc
	v_cmp_class_f32_e32 vcc, v42, v21
	v_cndmask_b32_e32 v42, v45, v42, vcc
.LBB43_632:                             ;   in Loop: Header=BB43_401 Depth=1
	s_or_b64 exec, exec, s[44:45]
.LBB43_633:                             ;   in Loop: Header=BB43_401 Depth=1
	s_or_b64 exec, exec, s[42:43]
	v_cmp_nlt_f32_e64 s[42:43], |v13|, s73
                                        ; implicit-def: $sgpr18_sgpr19
                                        ; implicit-def: $vgpr45
                                        ; implicit-def: $vgpr47
                                        ; implicit-def: $vgpr46
	s_and_saveexec_b64 s[44:45], s[42:43]
	s_xor_b64 s[42:43], exec, s[44:45]
	s_cbranch_execz .LBB43_657
; %bb.634:                              ;   in Loop: Header=BB43_401 Depth=1
	v_and_b32_e32 v46, 0x7fffffff, v13
	v_div_scale_f32 v45, s[18:19], v17, v17, v46
	v_div_scale_f32 v47, vcc, v46, v17, v46
	s_mov_b64 s[18:19], 0
	v_rcp_f32_e32 v48, v45
	v_fma_f32 v49, -v45, v48, 1.0
	v_fmac_f32_e32 v48, v49, v48
	v_mul_f32_e32 v49, v47, v48
	v_fma_f32 v50, -v45, v49, v47
	v_fmac_f32_e32 v49, v50, v48
	v_fma_f32 v45, -v45, v49, v47
	v_div_fmas_f32 v45, v45, v48, v49
                                        ; implicit-def: $vgpr47
	v_div_fixup_f32 v45, v45, v17, |v13|
	v_cmp_lt_f32_e32 vcc, s74, v45
	s_and_saveexec_b64 s[44:45], vcc
	s_cbranch_execz .LBB43_656
; %bb.635:                              ;   in Loop: Header=BB43_401 Depth=1
	v_cmp_neq_f32_e64 s[18:19], |v13|, 1.0
	v_cmp_nlt_f32_e64 s[46:47], |v14|, s75
	s_or_b64 s[18:19], s[46:47], s[18:19]
                                        ; implicit-def: $vgpr47
	s_and_saveexec_b64 s[46:47], s[18:19]
	s_xor_b64 s[46:47], exec, s[46:47]
	s_cbranch_execz .LBB43_653
; %bb.636:                              ;   in Loop: Header=BB43_401 Depth=1
	v_mul_f32_e64 v47, |v18|, s69
	v_cmp_ge_f32_e64 s[18:19], |v14|, v47
                                        ; implicit-def: $vgpr47
	s_and_saveexec_b64 s[48:49], s[18:19]
	s_xor_b64 s[48:49], exec, s[48:49]
	s_cbranch_execz .LBB43_646
; %bb.637:                              ;   in Loop: Header=BB43_401 Depth=1
	v_cmp_neq_f32_e32 vcc, 0, v40
	v_mov_b32_e32 v47, v43
	s_and_saveexec_b64 s[18:19], vcc
	s_cbranch_execz .LBB43_639
; %bb.638:                              ;   in Loop: Header=BB43_401 Depth=1
	v_mul_f32_e32 v47, v14, v14
	v_add_f32_e32 v40, v40, v44
	v_div_scale_f32 v44, s[50:51], v40, v40, v47
	v_div_scale_f32 v48, vcc, v47, v40, v47
	v_rcp_f32_e32 v49, v44
	v_fma_f32 v50, -v44, v49, 1.0
	v_fmac_f32_e32 v49, v50, v49
	v_mul_f32_e32 v50, v48, v49
	v_fma_f32 v51, -v44, v50, v48
	v_fmac_f32_e32 v50, v51, v49
	v_fma_f32 v44, -v44, v50, v48
	v_div_fmas_f32 v44, v44, v49, v50
	v_div_fixup_f32 v47, v44, v40, v47
.LBB43_639:                             ;   in Loop: Header=BB43_401 Depth=1
	s_or_b64 exec, exec, s[18:19]
	v_cmp_ngt_f32_e32 vcc, 0, v18
	s_and_saveexec_b64 s[18:19], vcc
	s_xor_b64 s[18:19], exec, s[18:19]
	s_cbranch_execz .LBB43_643
; %bb.640:                              ;   in Loop: Header=BB43_401 Depth=1
	v_cmp_neq_f32_e32 vcc, 0, v18
	s_and_saveexec_b64 s[50:51], vcc
	s_cbranch_execz .LBB43_642
; %bb.641:                              ;   in Loop: Header=BB43_401 Depth=1
	v_mul_f32_e32 v14, v14, v14
	v_add_f32_e32 v18, v18, v41
	v_div_scale_f32 v40, s[84:85], v18, v18, v14
	v_div_scale_f32 v41, vcc, v14, v18, v14
	v_rcp_f32_e32 v43, v40
	v_fma_f32 v44, -v40, v43, 1.0
	v_fmac_f32_e32 v43, v44, v43
	v_mul_f32_e32 v44, v41, v43
	v_fma_f32 v48, -v40, v44, v41
	v_fmac_f32_e32 v44, v48, v43
	v_fma_f32 v40, -v40, v44, v41
	v_div_fmas_f32 v40, v40, v43, v44
	v_div_fixup_f32 v43, v40, v18, v14
.LBB43_642:                             ;   in Loop: Header=BB43_401 Depth=1
	s_or_b64 exec, exec, s[50:51]
                                        ; implicit-def: $vgpr41
                                        ; implicit-def: $vgpr18
.LBB43_643:                             ;   in Loop: Header=BB43_401 Depth=1
	s_andn2_saveexec_b64 s[18:19], s[18:19]
; %bb.644:                              ;   in Loop: Header=BB43_401 Depth=1
	v_sub_f32_e32 v43, v41, v18
; %bb.645:                              ;   in Loop: Header=BB43_401 Depth=1
	s_or_b64 exec, exec, s[18:19]
	v_mul_f32_e32 v14, 0.5, v43
	v_fmac_f32_e32 v14, 0.5, v47
	v_add_f32_e64 v13, |v13|, v17
	v_mul_f32_e32 v13, v13, v14
	v_mul_f32_e32 v14, 0x4f800000, v13
	v_cmp_gt_f32_e32 vcc, s64, v13
	v_cndmask_b32_e32 v13, v13, v14, vcc
	v_sqrt_f32_e32 v14, v13
                                        ; implicit-def: $vgpr40
	v_add_u32_e32 v17, -1, v14
	v_fma_f32 v18, -v17, v14, v13
	v_cmp_ge_f32_e64 s[18:19], 0, v18
	v_add_u32_e32 v18, 1, v14
	v_cndmask_b32_e64 v17, v14, v17, s[18:19]
	v_fma_f32 v14, -v18, v14, v13
	v_cmp_lt_f32_e64 s[18:19], 0, v14
	v_cndmask_b32_e64 v14, v17, v18, s[18:19]
	v_mul_f32_e32 v17, 0x37800000, v14
	v_cndmask_b32_e32 v14, v14, v17, vcc
	v_cmp_class_f32_e32 vcc, v13, v21
	v_cndmask_b32_e32 v47, v14, v13, vcc
                                        ; implicit-def: $vgpr14
                                        ; implicit-def: $vgpr18
.LBB43_646:                             ;   in Loop: Header=BB43_401 Depth=1
	s_andn2_saveexec_b64 s[48:49], s[48:49]
	s_cbranch_execz .LBB43_652
; %bb.647:                              ;   in Loop: Header=BB43_401 Depth=1
	v_cmp_ngt_f32_e64 s[18:19], |v13|, 1.0
                                        ; implicit-def: $vgpr47
	s_and_saveexec_b64 s[50:51], s[18:19]
	s_xor_b64 s[50:51], exec, s[50:51]
	s_cbranch_execz .LBB43_649
; %bb.648:                              ;   in Loop: Header=BB43_401 Depth=1
	v_sub_f32_e64 v13, 1.0, |v13|
	v_mul_f32_e32 v13, v13, v40
	v_mul_f32_e32 v14, 0x4f800000, v13
	v_cmp_gt_f32_e32 vcc, s64, v13
	v_cndmask_b32_e32 v13, v13, v14, vcc
	v_sqrt_f32_e32 v14, v13
	v_add_u32_e32 v17, -1, v14
	v_fma_f32 v40, -v17, v14, v13
	v_add_u32_e32 v18, 1, v14
	v_cmp_ge_f32_e64 s[18:19], 0, v40
	v_cndmask_b32_e64 v17, v14, v17, s[18:19]
	v_fma_f32 v14, -v18, v14, v13
	v_cmp_lt_f32_e64 s[18:19], 0, v14
	v_cndmask_b32_e64 v14, v17, v18, s[18:19]
	v_mul_f32_e32 v17, 0x37800000, v14
	v_cndmask_b32_e32 v14, v14, v17, vcc
	v_cmp_class_f32_e32 vcc, v13, v21
	v_cndmask_b32_e32 v47, v14, v13, vcc
                                        ; implicit-def: $vgpr14
                                        ; implicit-def: $vgpr40
                                        ; implicit-def: $vgpr18
.LBB43_649:                             ;   in Loop: Header=BB43_401 Depth=1
	s_andn2_saveexec_b64 s[50:51], s[50:51]
	s_cbranch_execz .LBB43_651
; %bb.650:                              ;   in Loop: Header=BB43_401 Depth=1
	v_mul_f32_e32 v17, v40, v18
	v_mul_f32_e32 v18, 0x4f800000, v17
	v_cmp_gt_f32_e32 vcc, s64, v17
	v_cndmask_b32_e32 v17, v17, v18, vcc
	v_sqrt_f32_e32 v18, v17
	v_mul_f32_e64 v14, |v14|, s76
	v_mul_f32_e64 v14, |v13|, v14
	;; [unrolled: 1-line block ×3, first 2 shown]
	v_add_u32_e32 v40, -1, v18
	v_fma_f32 v41, -v40, v18, v17
	v_cmp_ge_f32_e64 s[18:19], 0, v41
	v_add_u32_e32 v41, 1, v18
	v_cndmask_b32_e64 v40, v18, v40, s[18:19]
	v_fma_f32 v18, -v41, v18, v17
	v_cmp_lt_f32_e64 s[18:19], 0, v18
	v_cndmask_b32_e64 v18, v40, v41, s[18:19]
	v_mul_f32_e32 v40, 0x37800000, v18
	v_cndmask_b32_e32 v18, v18, v40, vcc
	v_cmp_class_f32_e32 vcc, v17, v21
	v_cndmask_b32_e32 v17, v18, v17, vcc
	v_div_scale_f32 v18, s[18:19], v17, v17, v14
	v_div_scale_f32 v40, vcc, v14, v17, v14
	v_rcp_f32_e32 v41, v18
	v_fma_f32 v43, -v18, v41, 1.0
	v_fmac_f32_e32 v41, v43, v41
	v_mul_f32_e32 v43, v40, v41
	v_fma_f32 v44, -v18, v43, v40
	v_fmac_f32_e32 v43, v44, v41
	v_fma_f32 v18, -v18, v43, v40
	v_div_fmas_f32 v18, v18, v41, v43
	v_div_fixup_f32 v47, v18, v17, v14
.LBB43_651:                             ;   in Loop: Header=BB43_401 Depth=1
	s_or_b64 exec, exec, s[50:51]
.LBB43_652:                             ;   in Loop: Header=BB43_401 Depth=1
	s_or_b64 exec, exec, s[48:49]
                                        ; implicit-def: $vgpr14
                                        ; implicit-def: $vgpr17
.LBB43_653:                             ;   in Loop: Header=BB43_401 Depth=1
	s_andn2_saveexec_b64 s[46:47], s[46:47]
	s_cbranch_execz .LBB43_655
; %bb.654:                              ;   in Loop: Header=BB43_401 Depth=1
	v_mul_f32_e64 v13, |v14|, s65
	v_cmp_lt_f32_e64 vcc, |v14|, s64
	v_cndmask_b32_e64 v13, |v14|, v13, vcc
	v_sqrt_f32_e32 v14, v13
	v_add_f32_e32 v17, 1.0, v17
	v_mul_f32_e32 v17, 0.5, v17
	v_mov_b32_e32 v46, 1.0
	v_add_u32_e32 v18, -1, v14
	v_fma_f32 v41, -v18, v14, v13
	v_add_u32_e32 v40, 1, v14
	v_cmp_ge_f32_e64 s[18:19], 0, v41
	v_cndmask_b32_e64 v18, v14, v18, s[18:19]
	v_fma_f32 v14, -v40, v14, v13
	v_cmp_lt_f32_e64 s[18:19], 0, v14
	v_cndmask_b32_e64 v14, v18, v40, s[18:19]
	v_mul_f32_e32 v18, 0x37800000, v14
	v_cndmask_b32_e32 v14, v14, v18, vcc
	v_mul_f32_e32 v18, 0x4f800000, v17
	v_cmp_gt_f32_e32 vcc, s64, v17
	v_cndmask_b32_e32 v17, v17, v18, vcc
	v_sqrt_f32_e32 v18, v17
	v_cmp_class_f32_e64 s[18:19], v13, v21
	v_cndmask_b32_e64 v13, v14, v13, s[18:19]
	v_add_u32_e32 v14, -1, v18
	v_fma_f32 v40, -v14, v18, v17
	v_cmp_ge_f32_e64 s[18:19], 0, v40
	v_add_u32_e32 v40, 1, v18
	v_cndmask_b32_e64 v14, v18, v14, s[18:19]
	v_fma_f32 v18, -v40, v18, v17
	v_cmp_lt_f32_e64 s[18:19], 0, v18
	v_cndmask_b32_e64 v14, v14, v40, s[18:19]
	v_mul_f32_e32 v18, 0x37800000, v14
	v_cndmask_b32_e32 v14, v14, v18, vcc
	v_cmp_class_f32_e32 vcc, v17, v21
	v_cndmask_b32_e32 v14, v14, v17, vcc
	v_mul_f32_e32 v47, v13, v14
.LBB43_655:                             ;   in Loop: Header=BB43_401 Depth=1
	s_or_b64 exec, exec, s[46:47]
	s_mov_b64 s[18:19], exec
.LBB43_656:                             ;   in Loop: Header=BB43_401 Depth=1
	s_or_b64 exec, exec, s[44:45]
                                        ; implicit-def: $vgpr17
                                        ; implicit-def: $vgpr13
.LBB43_657:                             ;   in Loop: Header=BB43_401 Depth=1
	s_andn2_saveexec_b64 s[42:43], s[42:43]
; %bb.658:                              ;   in Loop: Header=BB43_401 Depth=1
	v_mul_f32_e32 v47, 0x4b800000, v17
	v_mul_f32_e64 v46, |v13|, s77
	s_or_b64 s[18:19], s[18:19], exec
                                        ; implicit-def: $vgpr45
; %bb.659:                              ;   in Loop: Header=BB43_401 Depth=1
	s_or_b64 exec, exec, s[42:43]
	s_xor_b64 s[18:19], s[18:19], -1
                                        ; implicit-def: $vgpr17
	s_and_saveexec_b64 s[42:43], s[18:19]
	s_xor_b64 s[42:43], exec, s[42:43]
	s_cbranch_execz .LBB43_665
; %bb.660:                              ;   in Loop: Header=BB43_401 Depth=1
                                        ; implicit-def: $vgpr17
	s_and_saveexec_b64 s[18:19], s[16:17]
	s_xor_b64 s[18:19], exec, s[18:19]
	s_cbranch_execz .LBB43_662
; %bb.661:                              ;   in Loop: Header=BB43_401 Depth=1
	v_fma_f32 v13, |v45|, -0.5, 0.5
	v_mul_f32_e32 v14, v45, v45
	v_cmp_gt_f32_e64 vcc, |v45|, 0.5
	v_cndmask_b32_e32 v13, v14, v13, vcc
	v_mov_b32_e32 v14, 0x3c5fc5da
	v_fmac_f32_e32 v14, 0x3d1c21a7, v13
	v_fma_f32 v14, v13, v14, v23
	v_fma_f32 v14, v13, v14, v24
	v_sqrt_f32_e32 v17, v13
	v_fma_f32 v14, v13, v14, v25
	v_fma_f32 v14, v13, v14, v26
	v_mul_f32_e32 v13, v13, v14
	v_fmac_f32_e32 v17, v17, v13
	v_fmac_f32_e32 v45, v45, v13
	v_add_f32_e32 v14, v17, v17
	v_sub_f32_e32 v13, 0x3fc90fdb, v45
	v_cndmask_b32_e32 v17, v13, v14, vcc
                                        ; implicit-def: $vgpr45
.LBB43_662:                             ;   in Loop: Header=BB43_401 Depth=1
	s_andn2_saveexec_b64 s[44:45], s[18:19]
	s_cbranch_execz .LBB43_664
; %bb.663:                              ;   in Loop: Header=BB43_401 Depth=1
	v_fma_f32 v13, |v45|, -0.5, 0.5
	v_mul_f32_e32 v14, v45, v45
	v_cmp_gt_f32_e64 vcc, |v45|, 0.5
	v_cndmask_b32_e32 v13, v14, v13, vcc
	v_mov_b32_e32 v14, 0x3c5fc5da
	v_fmac_f32_e32 v14, 0x3d1c21a7, v13
	v_fma_f32 v14, v13, v14, v23
	v_fma_f32 v14, v13, v14, v24
	v_sqrt_f32_e32 v17, v13
	v_fma_f32 v14, v13, v14, v25
	v_fma_f32 v14, v13, v14, v26
	v_mul_f32_e32 v13, v13, v14
	v_fmac_f32_e32 v17, v17, v13
	v_add_f32_e32 v14, v17, v17
	v_sub_f32_e32 v17, 0x40490fdb, v14
	v_cmp_lt_f32_e64 s[18:19], 0, v45
	v_fma_f32 v13, -v45, v13, -v45
	v_cndmask_b32_e64 v14, v14, v17, s[18:19]
	v_sub_f32_e32 v13, 0x3fc90fdb, v13
	v_cndmask_b32_e32 v17, v13, v14, vcc
.LBB43_664:                             ;   in Loop: Header=BB43_401 Depth=1
	s_or_b64 exec, exec, s[44:45]
                                        ; implicit-def: $vgpr46
                                        ; implicit-def: $vgpr47
.LBB43_665:                             ;   in Loop: Header=BB43_401 Depth=1
	s_andn2_saveexec_b64 s[18:19], s[42:43]
	s_cbranch_execz .LBB43_671
; %bb.666:                              ;   in Loop: Header=BB43_401 Depth=1
	v_max_f32_e64 v13, |v47|, |v47|
	v_max_f32_e32 v14, v46, v46
	v_min_f32_e32 v17, v14, v13
	v_max_f32_e32 v13, v14, v13
	v_frexp_mant_f32_e32 v14, v13
	v_rcp_f32_e32 v14, v14
	v_frexp_exp_i32_f32_e32 v13, v13
	v_frexp_exp_i32_f32_e32 v18, v17
	v_frexp_mant_f32_e32 v17, v17
	v_mul_f32_e32 v14, v17, v14
	v_sub_u32_e32 v13, v18, v13
	v_ldexp_f32 v13, v14, v13
	v_mul_f32_e32 v14, v13, v13
	v_mov_b32_e32 v17, 0xbc7a590c
	v_fmac_f32_e32 v17, 0x3b2d2a58, v14
	v_fma_f32 v17, v14, v17, v27
	v_fma_f32 v17, v14, v17, v28
	;; [unrolled: 1-line block ×6, first 2 shown]
	v_mul_f32_e32 v14, v14, v17
	v_fmac_f32_e32 v13, v13, v14
	v_sub_f32_e32 v14, 0x3fc90fdb, v13
	v_cmp_gt_f32_e64 vcc, |v47|, v46
	v_cndmask_b32_e32 v13, v13, v14, vcc
                                        ; implicit-def: $vgpr17
	s_and_saveexec_b64 s[42:43], s[16:17]
	s_xor_b64 s[16:17], exec, s[42:43]
; %bb.667:                              ;   in Loop: Header=BB43_401 Depth=1
	v_cmp_neq_f32_e32 vcc, 0, v47
	v_cndmask_b32_e32 v13, 0, v13, vcc
	v_cmp_eq_f32_e32 vcc, s62, v46
	v_cmp_class_f32_e64 s[42:43], v47, s78
	s_and_b64 vcc, vcc, s[42:43]
	v_cndmask_b32_e32 v13, v13, v37, vcc
	v_cmp_o_f32_e32 vcc, v47, v47
	v_cndmask_b32_e32 v13, v35, v13, vcc
	v_bfi_b32 v17, s61, v13, v47
                                        ; implicit-def: $vgpr13
                                        ; implicit-def: $vgpr46
                                        ; implicit-def: $vgpr47
; %bb.668:                              ;   in Loop: Header=BB43_401 Depth=1
	s_andn2_saveexec_b64 s[16:17], s[16:17]
	s_cbranch_execz .LBB43_670
; %bb.669:                              ;   in Loop: Header=BB43_401 Depth=1
	v_sub_f32_e32 v14, 0x40490fdb, v13
	v_cmp_lt_f32_e32 vcc, 0, v46
	v_cndmask_b32_e32 v13, v13, v14, vcc
	v_cmp_neq_f32_e32 vcc, 0, v47
	v_cndmask_b32_e32 v13, v38, v13, vcc
	v_cmp_eq_f32_e32 vcc, s62, v46
	v_cmp_class_f32_e64 s[42:43], v47, s78
	s_and_b64 vcc, vcc, s[42:43]
	v_cndmask_b32_e32 v13, v13, v39, vcc
	v_cmp_o_f32_e32 vcc, v47, v47
	v_cndmask_b32_e32 v13, v35, v13, vcc
	v_bfi_b32 v17, s61, v13, v47
.LBB43_670:                             ;   in Loop: Header=BB43_401 Depth=1
	s_or_b64 exec, exec, s[16:17]
.LBB43_671:                             ;   in Loop: Header=BB43_401 Depth=1
	s_or_b64 exec, exec, s[18:19]
	v_cndmask_b32_e64 v18, -v42, v42, s[12:13]
                                        ; implicit-def: $vgpr13
.LBB43_672:                             ;   in Loop: Header=BB43_401 Depth=1
	s_andn2_saveexec_b64 s[16:17], s[40:41]
	s_cbranch_execz .LBB43_674
; %bb.673:                              ;   in Loop: Header=BB43_401 Depth=1
	v_mov_b32_e32 v41, s21
	v_mov_b32_e32 v40, s20
	flat_load_dword v14, v[40:41] glc
	s_waitcnt vmcnt(0) lgkmcnt(0)
	v_sub_f32_e32 v13, v14, v13
	v_add_f32_e32 v17, 0x3fc90fdb, v13
.LBB43_674:                             ;   in Loop: Header=BB43_401 Depth=1
	s_or_b64 exec, exec, s[16:17]
.LBB43_675:                             ;   in Loop: Header=BB43_401 Depth=1
	s_andn2_saveexec_b64 s[16:17], s[38:39]
; %bb.676:                              ;   in Loop: Header=BB43_401 Depth=1
	v_mov_b32_e32 v17, 0
; %bb.677:                              ;   in Loop: Header=BB43_401 Depth=1
	s_or_b64 exec, exec, s[16:17]
                                        ; implicit-def: $vgpr13
                                        ; implicit-def: $vgpr42
                                        ; implicit-def: $vgpr41
                                        ; implicit-def: $vgpr40
.LBB43_678:                             ;   in Loop: Header=BB43_401 Depth=1
	s_andn2_saveexec_b64 s[36:37], s[36:37]
	s_cbranch_execz .LBB43_688
; %bb.679:                              ;   in Loop: Header=BB43_401 Depth=1
	v_cmp_lt_f32_e64 s[16:17], |v13|, |v14|
	v_cndmask_b32_e64 v43, |v13|, |v14|, s[16:17]
	v_cmp_nlt_f32_e32 vcc, s79, v43
                                        ; implicit-def: $vgpr18
                                        ; implicit-def: $vgpr17
	s_and_saveexec_b64 s[18:19], vcc
	s_xor_b64 s[38:39], exec, s[18:19]
	s_cbranch_execz .LBB43_685
; %bb.680:                              ;   in Loop: Header=BB43_401 Depth=1
	v_cndmask_b32_e64 v44, |v14|, |v13|, s[16:17]
	v_cmp_nlt_f32_e32 vcc, s80, v43
	v_cmp_ngt_f32_e64 s[18:19], s81, v44
	s_and_b64 s[18:19], vcc, s[18:19]
                                        ; implicit-def: $vgpr18
                                        ; implicit-def: $vgpr17
	s_and_saveexec_b64 s[40:41], s[18:19]
	s_xor_b64 s[18:19], exec, s[40:41]
	s_cbranch_execz .LBB43_682
; %bb.681:                              ;   in Loop: Header=BB43_401 Depth=1
	v_mul_f32_e32 v17, v44, v44
	v_fmac_f32_e32 v17, v43, v43
	v_cmp_gt_f32_e32 vcc, s66, v17
	v_cndmask_b32_e64 v18, 0, 32, vcc
	v_ldexp_f32 v17, v17, v18
	v_log_f32_e32 v17, v17
	v_cndmask_b32_e32 v18, 0, v34, vcc
	v_mul_f32_e32 v43, 0x3f317217, v17
	v_fma_f32 v43, v17, s67, -v43
	v_fmac_f32_e32 v43, 0x3377d1cf, v17
	v_fmac_f32_e32 v43, 0x3f317217, v17
	v_cmp_lt_f32_e64 vcc, |v17|, s62
	v_cndmask_b32_e32 v17, v17, v43, vcc
	v_sub_f32_e32 v17, v17, v18
	v_mul_f32_e32 v18, 0.5, v17
	v_min_f32_e32 v17, v42, v41
	v_frexp_mant_f32_e32 v41, v40
	v_rcp_f32_e32 v41, v41
	v_frexp_exp_i32_f32_e32 v40, v40
	v_frexp_exp_i32_f32_e32 v42, v17
	v_frexp_mant_f32_e32 v17, v17
	v_mul_f32_e32 v17, v17, v41
	v_sub_u32_e32 v40, v42, v40
	v_ldexp_f32 v17, v17, v40
	v_mul_f32_e32 v40, v17, v17
	v_mov_b32_e32 v41, 0xbc7a590c
	v_fmac_f32_e32 v41, 0x3b2d2a58, v40
	v_fma_f32 v41, v40, v41, v27
	v_fma_f32 v41, v40, v41, v28
	;; [unrolled: 1-line block ×6, first 2 shown]
	v_mul_f32_e32 v40, v40, v41
	v_fmac_f32_e32 v17, v17, v40
                                        ; implicit-def: $vgpr40
                                        ; implicit-def: $vgpr42
                                        ; implicit-def: $vgpr41
.LBB43_682:                             ;   in Loop: Header=BB43_401 Depth=1
	s_andn2_saveexec_b64 s[18:19], s[18:19]
	s_cbranch_execz .LBB43_684
; %bb.683:                              ;   in Loop: Header=BB43_401 Depth=1
	v_cvt_f64_f32_e32 v[17:18], v40
	v_cmp_neq_f32_e32 vcc, s62, v40
	v_mov_b32_e32 v43, 0xbc7a590c
	v_frexp_exp_i32_f64_e32 v17, v[17:18]
	v_min_f32_e32 v18, v42, v41
	v_frexp_exp_i32_f32_e32 v41, v40
	v_frexp_mant_f32_e32 v42, v40
	v_rcp_f32_e32 v42, v42
	v_frexp_exp_i32_f32_e32 v44, v18
	v_frexp_mant_f32_e32 v18, v18
	v_sub_u32_e32 v41, v44, v41
	v_sub_u32_e32 v45, 0, v17
	v_ldexp_f32 v46, |v13|, v45
	v_ldexp_f32 v45, |v14|, v45
	v_mul_f32_e32 v45, v45, v45
	v_fmac_f32_e32 v45, v46, v46
	v_sqrt_f32_e32 v45, v45
	v_mul_f32_e32 v18, v18, v42
	v_ldexp_f32 v17, v45, v17
	v_cndmask_b32_e32 v17, v33, v17, vcc
	v_cmp_gt_f32_e32 vcc, s66, v17
	v_cndmask_b32_e64 v40, 0, 32, vcc
	v_ldexp_f32 v17, v17, v40
	v_log_f32_e32 v40, v17
	v_ldexp_f32 v17, v18, v41
	v_mul_f32_e32 v41, v17, v17
	v_cndmask_b32_e32 v18, 0, v34, vcc
	v_mul_f32_e32 v42, 0x3f317217, v40
	v_fma_f32 v42, v40, s67, -v42
	v_fmac_f32_e32 v42, 0x3377d1cf, v40
	v_fmac_f32_e32 v42, 0x3f317217, v40
	v_cmp_lt_f32_e64 vcc, |v40|, s62
	v_cndmask_b32_e32 v40, v40, v42, vcc
	v_fmac_f32_e32 v43, 0x3b2d2a58, v41
	v_sub_f32_e32 v18, v40, v18
	v_fma_f32 v40, v41, v43, v27
	v_fma_f32 v40, v41, v40, v28
	;; [unrolled: 1-line block ×6, first 2 shown]
	v_mul_f32_e32 v40, v41, v40
	v_fmac_f32_e32 v17, v17, v40
.LBB43_684:                             ;   in Loop: Header=BB43_401 Depth=1
	s_or_b64 exec, exec, s[18:19]
                                        ; implicit-def: $vgpr42
                                        ; implicit-def: $vgpr41
                                        ; implicit-def: $vgpr40
.LBB43_685:                             ;   in Loop: Header=BB43_401 Depth=1
	s_andn2_saveexec_b64 s[38:39], s[38:39]
	s_cbranch_execz .LBB43_687
; %bb.686:                              ;   in Loop: Header=BB43_401 Depth=1
	v_div_scale_f32 v17, s[18:19], s82, s82, v13
	v_div_scale_f32 v18, s[18:19], s82, s82, v14
	v_div_scale_f32 v43, vcc, v13, s82, v13
	v_div_scale_f32 v44, s[18:19], v14, s82, v14
	v_min_f32_e32 v41, v42, v41
	v_frexp_exp_i32_f32_e32 v42, v40
	v_frexp_mant_f32_e32 v40, v40
	v_rcp_f32_e32 v40, v40
	v_rcp_f32_e32 v45, v17
	;; [unrolled: 1-line block ×3, first 2 shown]
	v_fma_f32 v47, -v17, v45, 1.0
	v_fmac_f32_e32 v45, v47, v45
	v_fma_f32 v48, -v18, v46, 1.0
	v_fmac_f32_e32 v46, v48, v46
	v_mul_f32_e32 v47, v43, v45
	v_mul_f32_e32 v48, v44, v46
	v_fma_f32 v49, -v17, v47, v43
	v_fma_f32 v50, -v18, v48, v44
	v_fmac_f32_e32 v47, v49, v45
	v_fmac_f32_e32 v48, v50, v46
	v_fma_f32 v17, -v17, v47, v43
	v_fma_f32 v18, -v18, v48, v44
	v_div_fmas_f32 v17, v17, v45, v47
	s_mov_b64 vcc, s[18:19]
	v_div_fmas_f32 v18, v18, v46, v48
	v_frexp_exp_i32_f32_e32 v47, v41
	v_frexp_mant_f32_e32 v41, v41
	v_mul_f32_e32 v40, v41, v40
	v_mov_b32_e32 v43, 0xbc7a590c
	v_div_fixup_f32 v44, v17, s82, v13
	v_div_fixup_f32 v45, v18, s82, v14
	v_max_f32_e64 v46, |v44|, |v45|
	v_cvt_f64_f32_e32 v[17:18], v46
	v_cmp_neq_f32_e32 vcc, s62, v46
	v_frexp_exp_i32_f64_e32 v18, v[17:18]
	v_sub_u32_e32 v17, v47, v42
	v_ldexp_f32 v17, v40, v17
	v_mul_f32_e32 v40, v17, v17
	v_fmac_f32_e32 v43, 0x3b2d2a58, v40
	v_fma_f32 v41, v40, v43, v27
	v_fma_f32 v41, v40, v41, v28
	;; [unrolled: 1-line block ×3, first 2 shown]
	v_sub_u32_e32 v42, 0, v18
	v_ldexp_f32 v43, |v44|, v42
	v_ldexp_f32 v42, |v45|, v42
	v_mul_f32_e32 v42, v42, v42
	v_fmac_f32_e32 v42, v43, v43
	v_sqrt_f32_e32 v42, v42
	v_fma_f32 v41, v40, v41, v30
	v_fma_f32 v41, v40, v41, v31
	;; [unrolled: 1-line block ×3, first 2 shown]
	v_ldexp_f32 v18, v42, v18
	v_cndmask_b32_e32 v18, v33, v18, vcc
	v_cmp_gt_f32_e32 vcc, s66, v18
	v_cndmask_b32_e64 v42, 0, 32, vcc
	v_ldexp_f32 v18, v18, v42
	v_log_f32_e32 v18, v18
	v_mul_f32_e32 v40, v40, v41
	v_cndmask_b32_e32 v41, 0, v34, vcc
	v_fmac_f32_e32 v17, v17, v40
	v_mul_f32_e32 v42, 0x3f317217, v18
	v_fma_f32 v42, v18, s67, -v42
	v_fmac_f32_e32 v42, 0x3377d1cf, v18
	v_fmac_f32_e32 v42, 0x3f317217, v18
	v_cmp_lt_f32_e64 vcc, |v18|, s62
	v_cndmask_b32_e32 v18, v18, v42, vcc
	v_sub_f32_e32 v18, v18, v41
	v_add_f32_e32 v18, 1.0, v18
.LBB43_687:                             ;   in Loop: Header=BB43_401 Depth=1
	s_or_b64 exec, exec, s[38:39]
	v_sub_f32_e32 v40, 0x3fc90fdb, v17
	v_cndmask_b32_e64 v17, v17, v40, s[16:17]
	v_sub_f32_e32 v40, 0x40490fdb, v17
	v_cmp_gt_f32_e32 vcc, 0, v13
	v_cndmask_b32_e32 v17, v17, v40, vcc
	v_cndmask_b32_e64 v40, 0, v38, s[14:15]
	v_cndmask_b32_e32 v41, v37, v39, vcc
	v_cmp_class_f32_e64 s[14:15], v13, s78
	v_cmp_class_f32_e64 s[16:17], v14, s78
	v_cmp_eq_f32_e32 vcc, 0, v14
	v_cndmask_b32_e64 v13, |v17|, v40, vcc
	s_and_b64 vcc, s[16:17], s[14:15]
	v_cndmask_b32_e32 v17, v13, v41, vcc
	v_add_f32_e32 v13, 0x3f317218, v18
	v_cndmask_b32_e64 v18, -v13, v13, s[12:13]
.LBB43_688:                             ;   in Loop: Header=BB43_401 Depth=1
	s_or_b64 exec, exec, s[36:37]
                                        ; implicit-def: $vgpr14
.LBB43_689:                             ;   in Loop: Header=BB43_401 Depth=1
	s_andn2_saveexec_b64 s[12:13], s[34:35]
	s_cbranch_execz .LBB43_703
; %bb.690:                              ;   in Loop: Header=BB43_401 Depth=1
	v_cmp_neq_f32_e64 s[14:15], |v13|, s62
                                        ; implicit-def: $vgpr18
	s_and_saveexec_b64 s[16:17], s[14:15]
	s_xor_b64 s[14:15], exec, s[16:17]
	s_cbranch_execz .LBB43_700
; %bb.691:                              ;   in Loop: Header=BB43_401 Depth=1
	v_cmp_neq_f32_e64 s[16:17], |v14|, s62
	v_xor_b32_e32 v18, 0x80000000, v14
	s_and_saveexec_b64 s[18:19], s[16:17]
	s_xor_b64 s[16:17], exec, s[18:19]
	s_cbranch_execz .LBB43_697
; %bb.692:                              ;   in Loop: Header=BB43_401 Depth=1
	v_cmp_neq_f32_e32 vcc, 0, v13
                                        ; implicit-def: $vgpr18
	s_and_saveexec_b64 s[18:19], vcc
	s_xor_b64 s[18:19], exec, s[18:19]
; %bb.693:                              ;   in Loop: Header=BB43_401 Depth=1
	v_add_f32_e32 v14, 0, v14
	v_add_f32_e32 v18, v14, v13
                                        ; implicit-def: $vgpr14
; %bb.694:                              ;   in Loop: Header=BB43_401 Depth=1
	s_or_saveexec_b64 s[18:19], s[18:19]
	v_mov_b32_e32 v17, v18
	s_xor_b64 exec, exec, s[18:19]
	s_cbranch_execz .LBB43_696
; %bb.695:                              ;   in Loop: Header=BB43_401 Depth=1
	v_mov_b32_e32 v17, s20
	v_mov_b32_e32 v18, s21
	flat_load_dword v13, v[17:18] glc
	s_waitcnt vmcnt(0)
	v_add_f32_e32 v18, v14, v14
	s_waitcnt lgkmcnt(0)
	v_add_f32_e32 v17, 0x3fc90fdb, v13
.LBB43_696:                             ;   in Loop: Header=BB43_401 Depth=1
	s_or_b64 exec, exec, s[18:19]
                                        ; implicit-def: $vgpr13
.LBB43_697:                             ;   in Loop: Header=BB43_401 Depth=1
	s_andn2_saveexec_b64 s[16:17], s[16:17]
; %bb.698:                              ;   in Loop: Header=BB43_401 Depth=1
	v_add_f32_e32 v17, v13, v13
; %bb.699:                              ;   in Loop: Header=BB43_401 Depth=1
	s_or_b64 exec, exec, s[16:17]
                                        ; implicit-def: $vgpr14
.LBB43_700:                             ;   in Loop: Header=BB43_401 Depth=1
	s_andn2_saveexec_b64 s[14:15], s[14:15]
; %bb.701:                              ;   in Loop: Header=BB43_401 Depth=1
	v_add_f32_e32 v17, v14, v14
	v_mov_b32_e32 v18, 0xff800000
; %bb.702:                              ;   in Loop: Header=BB43_401 Depth=1
	s_or_b64 exec, exec, s[14:15]
.LBB43_703:                             ;   in Loop: Header=BB43_401 Depth=1
	s_or_b64 exec, exec, s[12:13]
	v_mov_b32_e32 v13, s20
	v_mov_b32_e32 v14, s21
	v_cmp_o_f32_e32 vcc, v9, v10
	flat_store_dword v[13:14], v19
	s_waitcnt vmcnt(0)
                                        ; implicit-def: $vgpr14
	s_and_saveexec_b64 s[12:13], vcc
	s_xor_b64 s[34:35], exec, s[12:13]
	s_cbranch_execnz .LBB43_709
; %bb.704:                              ;   in Loop: Header=BB43_401 Depth=1
	s_andn2_saveexec_b64 s[12:13], s[34:35]
	s_cbranch_execnz .LBB43_792
.LBB43_705:                             ;   in Loop: Header=BB43_401 Depth=1
	s_or_b64 exec, exec, s[12:13]
	s_and_saveexec_b64 s[12:13], s[4:5]
	s_xor_b64 s[4:5], exec, s[12:13]
	s_cbranch_execnz .LBB43_805
.LBB43_706:                             ;   in Loop: Header=BB43_401 Depth=1
	s_or_b64 exec, exec, s[4:5]
	s_and_saveexec_b64 s[4:5], s[6:7]
	s_cbranch_execnz .LBB43_806
.LBB43_707:                             ;   in Loop: Header=BB43_401 Depth=1
	s_or_b64 exec, exec, s[4:5]
	s_and_saveexec_b64 s[4:5], s[8:9]
	s_cbranch_execnz .LBB43_807
.LBB43_708:                             ;   in Loop: Header=BB43_401 Depth=1
	s_or_b64 exec, exec, s[4:5]
	s_and_saveexec_b64 s[4:5], s[10:11]
	s_cbranch_execz .LBB43_400
	s_branch .LBB43_808
.LBB43_709:                             ;   in Loop: Header=BB43_401 Depth=1
	v_max_f32_e64 v42, |v9|, |v9|
	v_max_f32_e64 v41, |v10|, |v10|
	v_max_f32_e32 v40, v41, v42
	v_cmp_gt_i32_e64 s[14:15], 0, v9
	v_cmp_lt_i32_e64 s[16:17], -1, v9
	v_cmp_gt_i32_e64 s[12:13], 0, v10
	v_cmp_nlt_f32_e32 vcc, s59, v40
                                        ; implicit-def: $vgpr14
	s_and_saveexec_b64 s[18:19], vcc
	s_xor_b64 s[36:37], exec, s[18:19]
	s_cbranch_execz .LBB43_781
; %bb.710:                              ;   in Loop: Header=BB43_401 Depth=1
	v_cmp_neq_f32_e32 vcc, 1.0, v9
	v_cmp_neq_f32_e64 s[18:19], 0, v10
	s_or_b64 s[18:19], s[18:19], vcc
	v_xor_b32_e32 v14, 0x80000000, v10
	s_and_saveexec_b64 s[38:39], s[18:19]
	s_xor_b64 s[38:39], exec, s[38:39]
	s_cbranch_execz .LBB43_778
; %bb.711:                              ;   in Loop: Header=BB43_401 Depth=1
	v_mov_b32_e32 v13, s26
	v_mov_b32_e32 v14, s27
	flat_store_dword v[13:14], v20
	s_waitcnt vmcnt(0)
	flat_load_dword v13, v[13:14] glc
	s_waitcnt vmcnt(0)
	v_cmp_nlt_f32_e64 s[18:19], |v9|, s60
	v_cmp_nlt_f32_e64 s[40:41], |v10|, s60
	s_or_b64 s[18:19], s[40:41], s[18:19]
	s_waitcnt lgkmcnt(0)
	v_add_f32_e32 v40, 1.0, v13
	v_mov_b32_e32 v13, s28
	v_mov_b32_e32 v14, s29
	flat_store_dword v[13:14], v40
	s_waitcnt vmcnt(0)
	flat_load_dword v13, v[13:14] glc
	s_waitcnt vmcnt(0) lgkmcnt(0)
	v_xor_b32_e32 v14, 0x80000000, v10
	s_and_saveexec_b64 s[40:41], s[18:19]
	s_xor_b64 s[40:41], exec, s[40:41]
	s_cbranch_execz .LBB43_775
; %bb.712:                              ;   in Loop: Header=BB43_401 Depth=1
	v_add_f32_e64 v40, |v9|, 1.0
	v_max_f32_e32 v13, v41, v40
	v_add_f32_e64 v14, |v9|, -1.0
	v_cvt_f64_f32_e32 v[42:43], v13
	v_max_f32_e64 v41, v41, |v14|
	v_cvt_f64_f32_e32 v[44:45], v41
	v_cmp_neq_f32_e32 vcc, s62, v13
	v_frexp_exp_i32_f64_e32 v42, v[42:43]
	v_frexp_exp_i32_f64_e32 v43, v[44:45]
	v_sub_u32_e32 v44, 0, v42
	v_ldexp_f32 v46, |v10|, v44
	v_sub_u32_e32 v45, 0, v43
	v_ldexp_f32 v44, v40, v44
	v_ldexp_f32 v47, |v10|, v45
	v_ldexp_f32 v45, |v14|, v45
	v_mul_f32_e32 v44, v44, v44
	v_mul_f32_e32 v45, v45, v45
	v_fmac_f32_e32 v44, v46, v46
	v_fmac_f32_e32 v45, v47, v47
	v_sqrt_f32_e32 v44, v44
	v_sqrt_f32_e32 v45, v45
	v_ldexp_f32 v42, v44, v42
	v_ldexp_f32 v43, v45, v43
	v_cndmask_b32_e32 v44, v33, v42, vcc
	v_cmp_neq_f32_e32 vcc, s62, v41
	v_cndmask_b32_e32 v41, v33, v43, vcc
	v_add_f32_e32 v13, v44, v41
	v_mul_f32_e32 v13, 0.5, v13
	v_cmp_ngt_f32_e32 vcc, 1.0, v13
	v_cndmask_b32_e32 v13, 1.0, v13, vcc
	v_cmp_ngt_f32_e32 vcc, s63, v13
                                        ; implicit-def: $vgpr42
	s_and_saveexec_b64 s[18:19], vcc
	s_xor_b64 s[42:43], exec, s[18:19]
	s_cbranch_execz .LBB43_714
; %bb.713:                              ;   in Loop: Header=BB43_401 Depth=1
	v_fma_f32 v42, v13, v13, -1.0
	v_mul_f32_e32 v43, 0x4f800000, v42
	v_cmp_gt_f32_e32 vcc, s64, v42
	v_cndmask_b32_e32 v42, v42, v43, vcc
	v_sqrt_f32_e32 v43, v42
	v_add_u32_e32 v45, -1, v43
	v_fma_f32 v47, -v45, v43, v42
	v_add_u32_e32 v46, 1, v43
	v_cmp_ge_f32_e64 s[18:19], 0, v47
	v_cndmask_b32_e64 v45, v43, v45, s[18:19]
	v_fma_f32 v43, -v46, v43, v42
	v_cmp_lt_f32_e64 s[18:19], 0, v43
	v_cndmask_b32_e64 v43, v45, v46, s[18:19]
	v_mul_f32_e32 v45, 0x37800000, v43
	v_cndmask_b32_e32 v43, v43, v45, vcc
	v_cmp_class_f32_e32 vcc, v42, v21
	v_cndmask_b32_e32 v42, v43, v42, vcc
	v_add_f32_e32 v42, v13, v42
	v_cmp_gt_f32_e32 vcc, s66, v42
	v_cndmask_b32_e64 v43, 0, 32, vcc
	v_ldexp_f32 v42, v42, v43
	v_log_f32_e32 v42, v42
	v_mul_f32_e32 v43, 0x3f317217, v42
	v_fma_f32 v43, v42, s67, -v43
	v_fmac_f32_e32 v43, 0x3377d1cf, v42
	v_fmac_f32_e32 v43, 0x3f317217, v42
	v_cmp_lt_f32_e64 s[18:19], |v42|, s62
	v_cndmask_b32_e64 v42, v42, v43, s[18:19]
	v_cndmask_b32_e32 v43, 0, v34, vcc
	v_sub_f32_e32 v42, v42, v43
.LBB43_714:                             ;   in Loop: Header=BB43_401 Depth=1
	s_or_saveexec_b64 s[42:43], s[42:43]
	v_and_b32_e32 v43, 0x7fffffff, v10
	s_xor_b64 exec, exec, s[42:43]
	s_cbranch_execz .LBB43_736
; %bb.715:                              ;   in Loop: Header=BB43_401 Depth=1
	v_cmp_neq_f32_e64 s[18:19], |v9|, 1.0
	v_cmp_nlt_f32_e64 s[44:45], |v10|, s68
	s_or_b64 s[18:19], s[44:45], s[18:19]
                                        ; implicit-def: $vgpr42
	s_and_saveexec_b64 s[44:45], s[18:19]
	s_xor_b64 s[44:45], exec, s[44:45]
	s_cbranch_execz .LBB43_733
; %bb.716:                              ;   in Loop: Header=BB43_401 Depth=1
	v_mul_f32_e64 v42, |v14|, s69
	v_cmp_ge_f32_e64 s[18:19], |v10|, v42
                                        ; implicit-def: $vgpr42
	s_and_saveexec_b64 s[46:47], s[18:19]
	s_xor_b64 s[46:47], exec, s[46:47]
	s_cbranch_execz .LBB43_726
; %bb.717:                              ;   in Loop: Header=BB43_401 Depth=1
	v_cmp_neq_f32_e32 vcc, 0, v40
	v_mov_b32_e32 v42, v43
	s_and_saveexec_b64 s[18:19], vcc
	s_cbranch_execz .LBB43_719
; %bb.718:                              ;   in Loop: Header=BB43_401 Depth=1
	v_mul_f32_e32 v42, v10, v10
	v_add_f32_e32 v45, v40, v44
	v_div_scale_f32 v46, s[48:49], v45, v45, v42
	v_div_scale_f32 v47, vcc, v42, v45, v42
	v_rcp_f32_e32 v48, v46
	v_fma_f32 v49, -v46, v48, 1.0
	v_fmac_f32_e32 v48, v49, v48
	v_mul_f32_e32 v49, v47, v48
	v_fma_f32 v50, -v46, v49, v47
	v_fmac_f32_e32 v49, v50, v48
	v_fma_f32 v46, -v46, v49, v47
	v_div_fmas_f32 v46, v46, v48, v49
	v_div_fixup_f32 v42, v46, v45, v42
.LBB43_719:                             ;   in Loop: Header=BB43_401 Depth=1
	s_or_b64 exec, exec, s[18:19]
	v_sub_f32_e64 v46, 1.0, |v9|
	v_cmp_ngt_f32_e32 vcc, 0, v46
                                        ; implicit-def: $vgpr45
	s_and_saveexec_b64 s[18:19], vcc
	s_xor_b64 s[18:19], exec, s[18:19]
	s_cbranch_execz .LBB43_723
; %bb.720:                              ;   in Loop: Header=BB43_401 Depth=1
	v_cmp_neq_f32_e32 vcc, 0, v46
	v_mov_b32_e32 v45, v43
	s_and_saveexec_b64 s[48:49], vcc
	s_cbranch_execz .LBB43_722
; %bb.721:                              ;   in Loop: Header=BB43_401 Depth=1
	v_mul_f32_e32 v45, v10, v10
	v_add_f32_e32 v46, v46, v41
	v_div_scale_f32 v47, s[50:51], v46, v46, v45
	v_div_scale_f32 v48, vcc, v45, v46, v45
	v_rcp_f32_e32 v49, v47
	v_fma_f32 v50, -v47, v49, 1.0
	v_fmac_f32_e32 v49, v50, v49
	v_mul_f32_e32 v50, v48, v49
	v_fma_f32 v51, -v47, v50, v48
	v_fmac_f32_e32 v50, v51, v49
	v_fma_f32 v47, -v47, v50, v48
	v_div_fmas_f32 v47, v47, v49, v50
	v_div_fixup_f32 v45, v47, v46, v45
.LBB43_722:                             ;   in Loop: Header=BB43_401 Depth=1
	s_or_b64 exec, exec, s[48:49]
                                        ; implicit-def: $vgpr46
.LBB43_723:                             ;   in Loop: Header=BB43_401 Depth=1
	s_andn2_saveexec_b64 s[18:19], s[18:19]
; %bb.724:                              ;   in Loop: Header=BB43_401 Depth=1
	v_sub_f32_e32 v45, v41, v46
; %bb.725:                              ;   in Loop: Header=BB43_401 Depth=1
	s_or_b64 exec, exec, s[18:19]
	v_mul_f32_e32 v45, 0.5, v45
	v_fmac_f32_e32 v45, 0.5, v42
	v_add_f32_e32 v42, 1.0, v13
	v_mul_f32_e32 v42, v42, v45
	v_mul_f32_e32 v46, 0x4f800000, v42
	v_cmp_gt_f32_e32 vcc, s64, v42
	v_cndmask_b32_e32 v42, v42, v46, vcc
	v_sqrt_f32_e32 v46, v42
	v_add_u32_e32 v47, -1, v46
	v_fma_f32 v48, -v47, v46, v42
	v_cmp_ge_f32_e64 s[18:19], 0, v48
	v_add_u32_e32 v48, 1, v46
	v_cndmask_b32_e64 v47, v46, v47, s[18:19]
	v_fma_f32 v46, -v48, v46, v42
	v_cmp_lt_f32_e64 s[18:19], 0, v46
	v_cndmask_b32_e64 v46, v47, v48, s[18:19]
	v_mul_f32_e32 v47, 0x37800000, v46
	v_cndmask_b32_e32 v46, v46, v47, vcc
	v_cmp_class_f32_e32 vcc, v42, v21
	v_cndmask_b32_e32 v42, v46, v42, vcc
	v_add_f32_e32 v42, v45, v42
	v_add_f32_e32 v47, 1.0, v42
	v_cvt_f64_f32_e32 v[45:46], v47
	v_add_f32_e32 v48, -1.0, v47
	v_frexp_exp_i32_f64_e32 v45, v[45:46]
	v_sub_f32_e32 v46, v48, v47
	v_add_f32_e32 v46, 1.0, v46
	v_sub_f32_e32 v48, v42, v48
	v_add_f32_e32 v46, v48, v46
	v_frexp_mant_f32_e32 v48, v47
	v_cmp_gt_f32_e32 vcc, s70, v48
	v_subbrev_co_u32_e32 v45, vcc, 0, v45, vcc
	v_sub_u32_e32 v48, 0, v45
	v_ldexp_f32 v47, v47, v48
	v_ldexp_f32 v46, v46, v48
	v_add_f32_e32 v48, -1.0, v47
	v_add_f32_e32 v51, 1.0, v47
	v_add_f32_e32 v49, 1.0, v48
	v_add_f32_e32 v52, -1.0, v51
	v_sub_f32_e32 v49, v47, v49
	v_sub_f32_e32 v47, v47, v52
	v_add_f32_e32 v49, v46, v49
	v_add_f32_e32 v46, v46, v47
	;; [unrolled: 1-line block ×3, first 2 shown]
	v_rcp_f32_e32 v52, v47
	v_add_f32_e32 v50, v48, v49
	v_sub_f32_e32 v48, v50, v48
	v_sub_f32_e32 v48, v49, v48
	;; [unrolled: 1-line block ×4, first 2 shown]
	v_mul_f32_e32 v49, v50, v52
	v_mul_f32_e32 v51, v47, v49
	v_fma_f32 v53, v49, v47, -v51
	v_fmac_f32_e32 v53, v49, v46
	v_add_f32_e32 v54, v51, v53
	v_sub_f32_e32 v55, v50, v54
	v_sub_f32_e32 v50, v50, v55
	;; [unrolled: 1-line block ×4, first 2 shown]
	v_add_f32_e32 v48, v48, v50
	v_sub_f32_e32 v50, v51, v53
	v_add_f32_e32 v48, v50, v48
	v_add_f32_e32 v50, v55, v48
	v_mul_f32_e32 v51, v52, v50
	v_mul_f32_e32 v53, v47, v51
	v_fma_f32 v47, v51, v47, -v53
	v_fmac_f32_e32 v47, v51, v46
	v_sub_f32_e32 v46, v55, v50
	v_add_f32_e32 v46, v48, v46
	v_add_f32_e32 v48, v53, v47
	v_sub_f32_e32 v54, v50, v48
	v_sub_f32_e32 v50, v50, v54
	;; [unrolled: 1-line block ×4, first 2 shown]
	v_add_f32_e32 v46, v46, v48
	v_sub_f32_e32 v47, v53, v47
	v_cvt_f32_i32_e32 v45, v45
	v_add_f32_e32 v46, v47, v46
	v_add_f32_e32 v47, v49, v51
	;; [unrolled: 1-line block ×3, first 2 shown]
	v_sub_f32_e32 v48, v47, v49
	v_mul_f32_e32 v46, v52, v46
	v_sub_f32_e32 v48, v51, v48
	v_add_f32_e32 v46, v48, v46
	v_mul_f32_e32 v51, 0x3f317218, v45
	v_add_f32_e32 v48, v47, v46
	v_fma_f32 v52, v45, s71, -v51
	v_mul_f32_e32 v49, v48, v48
	v_mov_b32_e32 v50, 0x3ecc95a3
	v_fmac_f32_e32 v52, 0xb102e308, v45
	v_sub_f32_e32 v45, v48, v47
	v_fmac_f32_e32 v50, 0x3e9b6dac, v49
	v_sub_f32_e32 v45, v46, v45
	v_add_f32_e32 v46, v51, v52
	v_fma_f32 v50, v49, v50, v22
	v_sub_f32_e32 v47, v46, v51
	v_ldexp_f32 v51, v48, 1
	v_mul_f32_e32 v48, v48, v49
	v_mul_f32_e32 v48, v48, v50
	v_add_f32_e32 v49, v51, v48
	v_sub_f32_e32 v50, v49, v51
	v_ldexp_f32 v45, v45, 1
	v_sub_f32_e32 v48, v48, v50
	v_add_f32_e32 v45, v45, v48
	v_add_f32_e32 v48, v49, v45
	v_sub_f32_e32 v49, v48, v49
	v_sub_f32_e32 v45, v45, v49
	v_add_f32_e32 v49, v46, v48
	v_sub_f32_e32 v50, v49, v46
	v_sub_f32_e32 v51, v49, v50
	;; [unrolled: 1-line block ×5, first 2 shown]
	v_add_f32_e32 v46, v48, v46
	v_add_f32_e32 v48, v47, v45
	v_sub_f32_e32 v50, v48, v47
	v_sub_f32_e32 v51, v48, v50
	;; [unrolled: 1-line block ×4, first 2 shown]
	v_add_f32_e32 v46, v48, v46
	v_add_f32_e32 v45, v45, v47
	;; [unrolled: 1-line block ×3, first 2 shown]
	v_sub_f32_e32 v48, v47, v49
	v_sub_f32_e32 v46, v46, v48
	v_add_f32_e32 v45, v45, v46
	v_add_f32_e32 v45, v47, v45
	v_cmp_neq_f32_e32 vcc, s62, v42
	v_cndmask_b32_e32 v45, v33, v45, vcc
	v_cmp_ngt_f32_e32 vcc, -1.0, v42
	v_cndmask_b32_e32 v45, v35, v45, vcc
	v_cmp_neq_f32_e32 vcc, -1.0, v42
	v_cndmask_b32_e32 v45, v36, v45, vcc
	v_cmp_lt_f32_e64 vcc, |v42|, s72
	v_cndmask_b32_e32 v42, v45, v42, vcc
.LBB43_726:                             ;   in Loop: Header=BB43_401 Depth=1
	s_andn2_saveexec_b64 s[46:47], s[46:47]
	s_cbranch_execz .LBB43_732
; %bb.727:                              ;   in Loop: Header=BB43_401 Depth=1
	v_cmp_nlt_f32_e64 s[18:19], |v9|, 1.0
                                        ; implicit-def: $vgpr42
	s_and_saveexec_b64 s[48:49], s[18:19]
	s_xor_b64 s[48:49], exec, s[48:49]
	s_cbranch_execz .LBB43_729
; %bb.728:                              ;   in Loop: Header=BB43_401 Depth=1
	v_mul_f32_e32 v42, v14, v40
	v_mul_f32_e32 v45, 0x4f800000, v42
	v_cmp_gt_f32_e32 vcc, s64, v42
	v_cndmask_b32_e32 v42, v42, v45, vcc
	v_sqrt_f32_e32 v45, v42
	v_add_u32_e32 v46, -1, v45
	v_fma_f32 v48, -v46, v45, v42
	v_add_u32_e32 v47, 1, v45
	v_cmp_ge_f32_e64 s[18:19], 0, v48
	v_cndmask_b32_e64 v46, v45, v46, s[18:19]
	v_fma_f32 v45, -v47, v45, v42
	v_cmp_lt_f32_e64 s[18:19], 0, v45
	v_cndmask_b32_e64 v45, v46, v47, s[18:19]
	v_mul_f32_e32 v46, 0x37800000, v45
	v_cndmask_b32_e32 v45, v45, v46, vcc
	v_cmp_class_f32_e32 vcc, v42, v21
	v_cndmask_b32_e32 v42, v45, v42, vcc
	v_add_f32_e32 v42, v14, v42
	v_add_f32_e32 v47, 1.0, v42
	v_cvt_f64_f32_e32 v[45:46], v47
	v_add_f32_e32 v48, -1.0, v47
	v_frexp_exp_i32_f64_e32 v45, v[45:46]
	v_sub_f32_e32 v46, v48, v47
	v_add_f32_e32 v46, 1.0, v46
	v_sub_f32_e32 v48, v42, v48
	v_add_f32_e32 v46, v48, v46
	v_frexp_mant_f32_e32 v48, v47
	v_cmp_gt_f32_e32 vcc, s70, v48
	v_subbrev_co_u32_e32 v45, vcc, 0, v45, vcc
	v_sub_u32_e32 v48, 0, v45
	v_ldexp_f32 v47, v47, v48
	v_ldexp_f32 v46, v46, v48
	v_add_f32_e32 v48, -1.0, v47
	v_add_f32_e32 v51, 1.0, v47
	v_add_f32_e32 v49, 1.0, v48
	v_add_f32_e32 v52, -1.0, v51
	v_sub_f32_e32 v49, v47, v49
	v_sub_f32_e32 v47, v47, v52
	v_add_f32_e32 v49, v46, v49
	v_add_f32_e32 v46, v46, v47
	;; [unrolled: 1-line block ×3, first 2 shown]
	v_rcp_f32_e32 v52, v47
	v_add_f32_e32 v50, v48, v49
	v_sub_f32_e32 v48, v50, v48
	v_sub_f32_e32 v48, v49, v48
	;; [unrolled: 1-line block ×4, first 2 shown]
	v_mul_f32_e32 v49, v50, v52
	v_mul_f32_e32 v51, v47, v49
	v_fma_f32 v53, v49, v47, -v51
	v_fmac_f32_e32 v53, v49, v46
	v_add_f32_e32 v54, v51, v53
	v_sub_f32_e32 v55, v50, v54
	v_sub_f32_e32 v50, v50, v55
	;; [unrolled: 1-line block ×4, first 2 shown]
	v_add_f32_e32 v48, v48, v50
	v_sub_f32_e32 v50, v51, v53
	v_add_f32_e32 v48, v50, v48
	v_add_f32_e32 v50, v55, v48
	v_mul_f32_e32 v51, v52, v50
	v_mul_f32_e32 v53, v47, v51
	v_fma_f32 v47, v51, v47, -v53
	v_fmac_f32_e32 v47, v51, v46
	v_sub_f32_e32 v46, v55, v50
	v_add_f32_e32 v46, v48, v46
	v_add_f32_e32 v48, v53, v47
	v_sub_f32_e32 v54, v50, v48
	v_sub_f32_e32 v50, v50, v54
	v_sub_f32_e32 v53, v48, v53
	v_sub_f32_e32 v48, v50, v48
	v_add_f32_e32 v46, v46, v48
	v_sub_f32_e32 v47, v53, v47
	v_cvt_f32_i32_e32 v45, v45
	v_add_f32_e32 v46, v47, v46
	v_add_f32_e32 v47, v49, v51
	;; [unrolled: 1-line block ×3, first 2 shown]
	v_sub_f32_e32 v48, v47, v49
	v_mul_f32_e32 v46, v52, v46
	v_sub_f32_e32 v48, v51, v48
	v_add_f32_e32 v46, v48, v46
	v_mul_f32_e32 v51, 0x3f317218, v45
	v_add_f32_e32 v48, v47, v46
	v_fma_f32 v52, v45, s71, -v51
	v_mul_f32_e32 v49, v48, v48
	v_mov_b32_e32 v50, 0x3ecc95a3
	v_fmac_f32_e32 v52, 0xb102e308, v45
	v_sub_f32_e32 v45, v48, v47
	v_fmac_f32_e32 v50, 0x3e9b6dac, v49
	v_sub_f32_e32 v45, v46, v45
	v_add_f32_e32 v46, v51, v52
	v_fma_f32 v50, v49, v50, v22
	v_sub_f32_e32 v47, v46, v51
	v_ldexp_f32 v51, v48, 1
	v_mul_f32_e32 v48, v48, v49
	v_mul_f32_e32 v48, v48, v50
	v_add_f32_e32 v49, v51, v48
	v_sub_f32_e32 v50, v49, v51
	v_ldexp_f32 v45, v45, 1
	v_sub_f32_e32 v48, v48, v50
	v_add_f32_e32 v45, v45, v48
	v_add_f32_e32 v48, v49, v45
	v_sub_f32_e32 v49, v48, v49
	v_sub_f32_e32 v45, v45, v49
	v_add_f32_e32 v49, v46, v48
	v_sub_f32_e32 v50, v49, v46
	v_sub_f32_e32 v51, v49, v50
	;; [unrolled: 1-line block ×5, first 2 shown]
	v_add_f32_e32 v46, v48, v46
	v_add_f32_e32 v48, v47, v45
	v_sub_f32_e32 v50, v48, v47
	v_sub_f32_e32 v51, v48, v50
	;; [unrolled: 1-line block ×4, first 2 shown]
	v_add_f32_e32 v46, v48, v46
	v_add_f32_e32 v45, v45, v47
	;; [unrolled: 1-line block ×3, first 2 shown]
	v_sub_f32_e32 v48, v47, v49
	v_sub_f32_e32 v46, v46, v48
	v_add_f32_e32 v45, v45, v46
	v_add_f32_e32 v45, v47, v45
	v_cmp_neq_f32_e32 vcc, s62, v42
	v_cndmask_b32_e32 v45, v33, v45, vcc
	v_cmp_ngt_f32_e32 vcc, -1.0, v42
	v_cndmask_b32_e32 v45, v35, v45, vcc
	v_cmp_neq_f32_e32 vcc, -1.0, v42
	v_cndmask_b32_e32 v45, v36, v45, vcc
	v_cmp_lt_f32_e64 vcc, |v42|, s72
	v_cndmask_b32_e32 v42, v45, v42, vcc
.LBB43_729:                             ;   in Loop: Header=BB43_401 Depth=1
	s_andn2_saveexec_b64 s[48:49], s[48:49]
	s_cbranch_execz .LBB43_731
; %bb.730:                              ;   in Loop: Header=BB43_401 Depth=1
	v_sub_f32_e64 v42, 1.0, |v9|
	v_mul_f32_e32 v42, v42, v40
	v_mul_f32_e32 v45, 0x4f800000, v42
	v_cmp_gt_f32_e32 vcc, s64, v42
	v_cndmask_b32_e32 v42, v42, v45, vcc
	v_sqrt_f32_e32 v45, v42
	v_add_u32_e32 v46, -1, v45
	v_fma_f32 v48, -v46, v45, v42
	v_add_u32_e32 v47, 1, v45
	v_cmp_ge_f32_e64 s[18:19], 0, v48
	v_cndmask_b32_e64 v46, v45, v46, s[18:19]
	v_fma_f32 v45, -v47, v45, v42
	v_cmp_lt_f32_e64 s[18:19], 0, v45
	v_cndmask_b32_e64 v45, v46, v47, s[18:19]
	v_mul_f32_e32 v46, 0x37800000, v45
	v_cndmask_b32_e32 v45, v45, v46, vcc
	v_cmp_class_f32_e32 vcc, v42, v21
	v_cndmask_b32_e32 v42, v45, v42, vcc
	v_and_b32_e32 v45, 0x7fffffff, v10
	v_div_scale_f32 v46, s[18:19], v42, v42, v45
	v_div_scale_f32 v45, vcc, v45, v42, v45
	v_rcp_f32_e32 v47, v46
	v_fma_f32 v48, -v46, v47, 1.0
	v_fmac_f32_e32 v47, v48, v47
	v_mul_f32_e32 v48, v45, v47
	v_fma_f32 v49, -v46, v48, v45
	v_fmac_f32_e32 v48, v49, v47
	v_fma_f32 v45, -v46, v48, v45
	v_div_fmas_f32 v45, v45, v47, v48
	v_div_fixup_f32 v42, v45, v42, |v10|
.LBB43_731:                             ;   in Loop: Header=BB43_401 Depth=1
	s_or_b64 exec, exec, s[48:49]
.LBB43_732:                             ;   in Loop: Header=BB43_401 Depth=1
	s_or_b64 exec, exec, s[46:47]
.LBB43_733:                             ;   in Loop: Header=BB43_401 Depth=1
	s_andn2_saveexec_b64 s[44:45], s[44:45]
	s_cbranch_execz .LBB43_735
; %bb.734:                              ;   in Loop: Header=BB43_401 Depth=1
	v_mul_f32_e64 v42, |v10|, s65
	v_cmp_lt_f32_e64 vcc, |v10|, s64
	v_cndmask_b32_e64 v42, |v10|, v42, vcc
	v_sqrt_f32_e32 v45, v42
	v_add_u32_e32 v46, -1, v45
	v_fma_f32 v48, -v46, v45, v42
	v_add_u32_e32 v47, 1, v45
	v_cmp_ge_f32_e64 s[18:19], 0, v48
	v_cndmask_b32_e64 v46, v45, v46, s[18:19]
	v_fma_f32 v45, -v47, v45, v42
	v_cmp_lt_f32_e64 s[18:19], 0, v45
	v_cndmask_b32_e64 v45, v46, v47, s[18:19]
	v_mul_f32_e32 v46, 0x37800000, v45
	v_cndmask_b32_e32 v45, v45, v46, vcc
	v_cmp_class_f32_e32 vcc, v42, v21
	v_cndmask_b32_e32 v42, v45, v42, vcc
.LBB43_735:                             ;   in Loop: Header=BB43_401 Depth=1
	s_or_b64 exec, exec, s[44:45]
.LBB43_736:                             ;   in Loop: Header=BB43_401 Depth=1
	s_or_b64 exec, exec, s[42:43]
	v_cmp_nlt_f32_e64 s[42:43], |v9|, s73
                                        ; implicit-def: $sgpr18_sgpr19
                                        ; implicit-def: $vgpr45
                                        ; implicit-def: $vgpr47
                                        ; implicit-def: $vgpr46
	s_and_saveexec_b64 s[44:45], s[42:43]
	s_xor_b64 s[42:43], exec, s[44:45]
	s_cbranch_execz .LBB43_760
; %bb.737:                              ;   in Loop: Header=BB43_401 Depth=1
	v_and_b32_e32 v46, 0x7fffffff, v9
	v_div_scale_f32 v45, s[18:19], v13, v13, v46
	v_div_scale_f32 v47, vcc, v46, v13, v46
	s_mov_b64 s[18:19], 0
	v_rcp_f32_e32 v48, v45
	v_fma_f32 v49, -v45, v48, 1.0
	v_fmac_f32_e32 v48, v49, v48
	v_mul_f32_e32 v49, v47, v48
	v_fma_f32 v50, -v45, v49, v47
	v_fmac_f32_e32 v49, v50, v48
	v_fma_f32 v45, -v45, v49, v47
	v_div_fmas_f32 v45, v45, v48, v49
                                        ; implicit-def: $vgpr47
	v_div_fixup_f32 v45, v45, v13, |v9|
	v_cmp_lt_f32_e32 vcc, s74, v45
	s_and_saveexec_b64 s[44:45], vcc
	s_cbranch_execz .LBB43_759
; %bb.738:                              ;   in Loop: Header=BB43_401 Depth=1
	v_cmp_neq_f32_e64 s[18:19], |v9|, 1.0
	v_cmp_nlt_f32_e64 s[46:47], |v10|, s75
	s_or_b64 s[18:19], s[46:47], s[18:19]
                                        ; implicit-def: $vgpr47
	s_and_saveexec_b64 s[46:47], s[18:19]
	s_xor_b64 s[46:47], exec, s[46:47]
	s_cbranch_execz .LBB43_756
; %bb.739:                              ;   in Loop: Header=BB43_401 Depth=1
	v_mul_f32_e64 v47, |v14|, s69
	v_cmp_ge_f32_e64 s[18:19], |v10|, v47
                                        ; implicit-def: $vgpr47
	s_and_saveexec_b64 s[48:49], s[18:19]
	s_xor_b64 s[48:49], exec, s[48:49]
	s_cbranch_execz .LBB43_749
; %bb.740:                              ;   in Loop: Header=BB43_401 Depth=1
	v_cmp_neq_f32_e32 vcc, 0, v40
	v_mov_b32_e32 v47, v43
	s_and_saveexec_b64 s[18:19], vcc
	s_cbranch_execz .LBB43_742
; %bb.741:                              ;   in Loop: Header=BB43_401 Depth=1
	v_mul_f32_e32 v47, v10, v10
	v_add_f32_e32 v40, v40, v44
	v_div_scale_f32 v44, s[50:51], v40, v40, v47
	v_div_scale_f32 v48, vcc, v47, v40, v47
	v_rcp_f32_e32 v49, v44
	v_fma_f32 v50, -v44, v49, 1.0
	v_fmac_f32_e32 v49, v50, v49
	v_mul_f32_e32 v50, v48, v49
	v_fma_f32 v51, -v44, v50, v48
	v_fmac_f32_e32 v50, v51, v49
	v_fma_f32 v44, -v44, v50, v48
	v_div_fmas_f32 v44, v44, v49, v50
	v_div_fixup_f32 v47, v44, v40, v47
.LBB43_742:                             ;   in Loop: Header=BB43_401 Depth=1
	s_or_b64 exec, exec, s[18:19]
	v_cmp_ngt_f32_e32 vcc, 0, v14
	s_and_saveexec_b64 s[18:19], vcc
	s_xor_b64 s[18:19], exec, s[18:19]
	s_cbranch_execz .LBB43_746
; %bb.743:                              ;   in Loop: Header=BB43_401 Depth=1
	v_cmp_neq_f32_e32 vcc, 0, v14
	s_and_saveexec_b64 s[50:51], vcc
	s_cbranch_execz .LBB43_745
; %bb.744:                              ;   in Loop: Header=BB43_401 Depth=1
	v_mul_f32_e32 v10, v10, v10
	v_add_f32_e32 v14, v14, v41
	v_div_scale_f32 v40, s[84:85], v14, v14, v10
	v_div_scale_f32 v41, vcc, v10, v14, v10
	v_rcp_f32_e32 v43, v40
	v_fma_f32 v44, -v40, v43, 1.0
	v_fmac_f32_e32 v43, v44, v43
	v_mul_f32_e32 v44, v41, v43
	v_fma_f32 v48, -v40, v44, v41
	v_fmac_f32_e32 v44, v48, v43
	v_fma_f32 v40, -v40, v44, v41
	v_div_fmas_f32 v40, v40, v43, v44
	v_div_fixup_f32 v43, v40, v14, v10
.LBB43_745:                             ;   in Loop: Header=BB43_401 Depth=1
	s_or_b64 exec, exec, s[50:51]
                                        ; implicit-def: $vgpr41
                                        ; implicit-def: $vgpr14
.LBB43_746:                             ;   in Loop: Header=BB43_401 Depth=1
	s_andn2_saveexec_b64 s[18:19], s[18:19]
; %bb.747:                              ;   in Loop: Header=BB43_401 Depth=1
	v_sub_f32_e32 v43, v41, v14
; %bb.748:                              ;   in Loop: Header=BB43_401 Depth=1
	s_or_b64 exec, exec, s[18:19]
	v_mul_f32_e32 v10, 0.5, v43
	v_fmac_f32_e32 v10, 0.5, v47
	v_add_f32_e64 v9, |v9|, v13
	v_mul_f32_e32 v9, v9, v10
	v_mul_f32_e32 v10, 0x4f800000, v9
	v_cmp_gt_f32_e32 vcc, s64, v9
	v_cndmask_b32_e32 v9, v9, v10, vcc
	v_sqrt_f32_e32 v10, v9
                                        ; implicit-def: $vgpr40
	v_add_u32_e32 v13, -1, v10
	v_fma_f32 v14, -v13, v10, v9
	v_cmp_ge_f32_e64 s[18:19], 0, v14
	v_add_u32_e32 v14, 1, v10
	v_cndmask_b32_e64 v13, v10, v13, s[18:19]
	v_fma_f32 v10, -v14, v10, v9
	v_cmp_lt_f32_e64 s[18:19], 0, v10
	v_cndmask_b32_e64 v10, v13, v14, s[18:19]
	v_mul_f32_e32 v13, 0x37800000, v10
	v_cndmask_b32_e32 v10, v10, v13, vcc
	v_cmp_class_f32_e32 vcc, v9, v21
	v_cndmask_b32_e32 v47, v10, v9, vcc
                                        ; implicit-def: $vgpr10
                                        ; implicit-def: $vgpr14
.LBB43_749:                             ;   in Loop: Header=BB43_401 Depth=1
	s_andn2_saveexec_b64 s[48:49], s[48:49]
	s_cbranch_execz .LBB43_755
; %bb.750:                              ;   in Loop: Header=BB43_401 Depth=1
	v_cmp_ngt_f32_e64 s[18:19], |v9|, 1.0
                                        ; implicit-def: $vgpr47
	s_and_saveexec_b64 s[50:51], s[18:19]
	s_xor_b64 s[50:51], exec, s[50:51]
	s_cbranch_execz .LBB43_752
; %bb.751:                              ;   in Loop: Header=BB43_401 Depth=1
	v_sub_f32_e64 v9, 1.0, |v9|
	v_mul_f32_e32 v9, v9, v40
	v_mul_f32_e32 v10, 0x4f800000, v9
	v_cmp_gt_f32_e32 vcc, s64, v9
	v_cndmask_b32_e32 v9, v9, v10, vcc
	v_sqrt_f32_e32 v10, v9
	v_add_u32_e32 v13, -1, v10
	v_fma_f32 v40, -v13, v10, v9
	v_add_u32_e32 v14, 1, v10
	v_cmp_ge_f32_e64 s[18:19], 0, v40
	v_cndmask_b32_e64 v13, v10, v13, s[18:19]
	v_fma_f32 v10, -v14, v10, v9
	v_cmp_lt_f32_e64 s[18:19], 0, v10
	v_cndmask_b32_e64 v10, v13, v14, s[18:19]
	v_mul_f32_e32 v13, 0x37800000, v10
	v_cndmask_b32_e32 v10, v10, v13, vcc
	v_cmp_class_f32_e32 vcc, v9, v21
	v_cndmask_b32_e32 v47, v10, v9, vcc
                                        ; implicit-def: $vgpr10
                                        ; implicit-def: $vgpr40
                                        ; implicit-def: $vgpr14
.LBB43_752:                             ;   in Loop: Header=BB43_401 Depth=1
	s_andn2_saveexec_b64 s[50:51], s[50:51]
	s_cbranch_execz .LBB43_754
; %bb.753:                              ;   in Loop: Header=BB43_401 Depth=1
	v_mul_f32_e32 v13, v40, v14
	v_mul_f32_e32 v14, 0x4f800000, v13
	v_cmp_gt_f32_e32 vcc, s64, v13
	v_cndmask_b32_e32 v13, v13, v14, vcc
	v_sqrt_f32_e32 v14, v13
	v_mul_f32_e64 v10, |v10|, s76
	v_mul_f32_e64 v10, |v9|, v10
	;; [unrolled: 1-line block ×3, first 2 shown]
	v_add_u32_e32 v40, -1, v14
	v_fma_f32 v41, -v40, v14, v13
	v_cmp_ge_f32_e64 s[18:19], 0, v41
	v_add_u32_e32 v41, 1, v14
	v_cndmask_b32_e64 v40, v14, v40, s[18:19]
	v_fma_f32 v14, -v41, v14, v13
	v_cmp_lt_f32_e64 s[18:19], 0, v14
	v_cndmask_b32_e64 v14, v40, v41, s[18:19]
	v_mul_f32_e32 v40, 0x37800000, v14
	v_cndmask_b32_e32 v14, v14, v40, vcc
	v_cmp_class_f32_e32 vcc, v13, v21
	v_cndmask_b32_e32 v13, v14, v13, vcc
	v_div_scale_f32 v14, s[18:19], v13, v13, v10
	v_div_scale_f32 v40, vcc, v10, v13, v10
	v_rcp_f32_e32 v41, v14
	v_fma_f32 v43, -v14, v41, 1.0
	v_fmac_f32_e32 v41, v43, v41
	v_mul_f32_e32 v43, v40, v41
	v_fma_f32 v44, -v14, v43, v40
	v_fmac_f32_e32 v43, v44, v41
	v_fma_f32 v14, -v14, v43, v40
	v_div_fmas_f32 v14, v14, v41, v43
	v_div_fixup_f32 v47, v14, v13, v10
.LBB43_754:                             ;   in Loop: Header=BB43_401 Depth=1
	s_or_b64 exec, exec, s[50:51]
.LBB43_755:                             ;   in Loop: Header=BB43_401 Depth=1
	s_or_b64 exec, exec, s[48:49]
                                        ; implicit-def: $vgpr10
                                        ; implicit-def: $vgpr13
.LBB43_756:                             ;   in Loop: Header=BB43_401 Depth=1
	s_andn2_saveexec_b64 s[46:47], s[46:47]
	s_cbranch_execz .LBB43_758
; %bb.757:                              ;   in Loop: Header=BB43_401 Depth=1
	v_mul_f32_e64 v9, |v10|, s65
	v_cmp_lt_f32_e64 vcc, |v10|, s64
	v_cndmask_b32_e64 v9, |v10|, v9, vcc
	v_sqrt_f32_e32 v10, v9
	v_add_f32_e32 v13, 1.0, v13
	v_mul_f32_e32 v13, 0.5, v13
	v_mov_b32_e32 v46, 1.0
	v_add_u32_e32 v14, -1, v10
	v_fma_f32 v41, -v14, v10, v9
	v_add_u32_e32 v40, 1, v10
	v_cmp_ge_f32_e64 s[18:19], 0, v41
	v_cndmask_b32_e64 v14, v10, v14, s[18:19]
	v_fma_f32 v10, -v40, v10, v9
	v_cmp_lt_f32_e64 s[18:19], 0, v10
	v_cndmask_b32_e64 v10, v14, v40, s[18:19]
	v_mul_f32_e32 v14, 0x37800000, v10
	v_cndmask_b32_e32 v10, v10, v14, vcc
	v_mul_f32_e32 v14, 0x4f800000, v13
	v_cmp_gt_f32_e32 vcc, s64, v13
	v_cndmask_b32_e32 v13, v13, v14, vcc
	v_sqrt_f32_e32 v14, v13
	v_cmp_class_f32_e64 s[18:19], v9, v21
	v_cndmask_b32_e64 v9, v10, v9, s[18:19]
	v_add_u32_e32 v10, -1, v14
	v_fma_f32 v40, -v10, v14, v13
	v_cmp_ge_f32_e64 s[18:19], 0, v40
	v_add_u32_e32 v40, 1, v14
	v_cndmask_b32_e64 v10, v14, v10, s[18:19]
	v_fma_f32 v14, -v40, v14, v13
	v_cmp_lt_f32_e64 s[18:19], 0, v14
	v_cndmask_b32_e64 v10, v10, v40, s[18:19]
	v_mul_f32_e32 v14, 0x37800000, v10
	v_cndmask_b32_e32 v10, v10, v14, vcc
	v_cmp_class_f32_e32 vcc, v13, v21
	v_cndmask_b32_e32 v10, v10, v13, vcc
	v_mul_f32_e32 v47, v9, v10
.LBB43_758:                             ;   in Loop: Header=BB43_401 Depth=1
	s_or_b64 exec, exec, s[46:47]
	s_mov_b64 s[18:19], exec
.LBB43_759:                             ;   in Loop: Header=BB43_401 Depth=1
	s_or_b64 exec, exec, s[44:45]
                                        ; implicit-def: $vgpr13
                                        ; implicit-def: $vgpr9
.LBB43_760:                             ;   in Loop: Header=BB43_401 Depth=1
	s_andn2_saveexec_b64 s[42:43], s[42:43]
; %bb.761:                              ;   in Loop: Header=BB43_401 Depth=1
	v_mul_f32_e32 v47, 0x4b800000, v13
	v_mul_f32_e64 v46, |v9|, s77
	s_or_b64 s[18:19], s[18:19], exec
                                        ; implicit-def: $vgpr45
; %bb.762:                              ;   in Loop: Header=BB43_401 Depth=1
	s_or_b64 exec, exec, s[42:43]
	s_xor_b64 s[18:19], s[18:19], -1
                                        ; implicit-def: $vgpr13
	s_and_saveexec_b64 s[42:43], s[18:19]
	s_xor_b64 s[42:43], exec, s[42:43]
	s_cbranch_execz .LBB43_768
; %bb.763:                              ;   in Loop: Header=BB43_401 Depth=1
                                        ; implicit-def: $vgpr13
	s_and_saveexec_b64 s[18:19], s[16:17]
	s_xor_b64 s[18:19], exec, s[18:19]
	s_cbranch_execz .LBB43_765
; %bb.764:                              ;   in Loop: Header=BB43_401 Depth=1
	v_fma_f32 v9, |v45|, -0.5, 0.5
	v_mul_f32_e32 v10, v45, v45
	v_cmp_gt_f32_e64 vcc, |v45|, 0.5
	v_cndmask_b32_e32 v9, v10, v9, vcc
	v_mov_b32_e32 v10, 0x3c5fc5da
	v_fmac_f32_e32 v10, 0x3d1c21a7, v9
	v_fma_f32 v10, v9, v10, v23
	v_fma_f32 v10, v9, v10, v24
	v_sqrt_f32_e32 v13, v9
	v_fma_f32 v10, v9, v10, v25
	v_fma_f32 v10, v9, v10, v26
	v_mul_f32_e32 v9, v9, v10
	v_fmac_f32_e32 v13, v13, v9
	v_fmac_f32_e32 v45, v45, v9
	v_add_f32_e32 v10, v13, v13
	v_sub_f32_e32 v9, 0x3fc90fdb, v45
	v_cndmask_b32_e32 v13, v9, v10, vcc
                                        ; implicit-def: $vgpr45
.LBB43_765:                             ;   in Loop: Header=BB43_401 Depth=1
	s_andn2_saveexec_b64 s[44:45], s[18:19]
	s_cbranch_execz .LBB43_767
; %bb.766:                              ;   in Loop: Header=BB43_401 Depth=1
	v_fma_f32 v9, |v45|, -0.5, 0.5
	v_mul_f32_e32 v10, v45, v45
	v_cmp_gt_f32_e64 vcc, |v45|, 0.5
	v_cndmask_b32_e32 v9, v10, v9, vcc
	v_mov_b32_e32 v10, 0x3c5fc5da
	v_fmac_f32_e32 v10, 0x3d1c21a7, v9
	v_fma_f32 v10, v9, v10, v23
	v_fma_f32 v10, v9, v10, v24
	v_sqrt_f32_e32 v13, v9
	v_fma_f32 v10, v9, v10, v25
	v_fma_f32 v10, v9, v10, v26
	v_mul_f32_e32 v9, v9, v10
	v_fmac_f32_e32 v13, v13, v9
	v_add_f32_e32 v10, v13, v13
	v_sub_f32_e32 v13, 0x40490fdb, v10
	v_cmp_lt_f32_e64 s[18:19], 0, v45
	v_fma_f32 v9, -v45, v9, -v45
	v_cndmask_b32_e64 v10, v10, v13, s[18:19]
	v_sub_f32_e32 v9, 0x3fc90fdb, v9
	v_cndmask_b32_e32 v13, v9, v10, vcc
.LBB43_767:                             ;   in Loop: Header=BB43_401 Depth=1
	s_or_b64 exec, exec, s[44:45]
                                        ; implicit-def: $vgpr46
                                        ; implicit-def: $vgpr47
.LBB43_768:                             ;   in Loop: Header=BB43_401 Depth=1
	s_andn2_saveexec_b64 s[18:19], s[42:43]
	s_cbranch_execz .LBB43_774
; %bb.769:                              ;   in Loop: Header=BB43_401 Depth=1
	v_max_f32_e64 v9, |v47|, |v47|
	v_max_f32_e32 v10, v46, v46
	v_min_f32_e32 v13, v10, v9
	v_max_f32_e32 v9, v10, v9
	v_frexp_mant_f32_e32 v10, v9
	v_rcp_f32_e32 v10, v10
	v_frexp_exp_i32_f32_e32 v9, v9
	v_frexp_exp_i32_f32_e32 v14, v13
	v_frexp_mant_f32_e32 v13, v13
	v_mul_f32_e32 v10, v13, v10
	v_sub_u32_e32 v9, v14, v9
	v_ldexp_f32 v9, v10, v9
	v_mul_f32_e32 v10, v9, v9
	v_mov_b32_e32 v13, 0xbc7a590c
	v_fmac_f32_e32 v13, 0x3b2d2a58, v10
	v_fma_f32 v13, v10, v13, v27
	v_fma_f32 v13, v10, v13, v28
	;; [unrolled: 1-line block ×6, first 2 shown]
	v_mul_f32_e32 v10, v10, v13
	v_fmac_f32_e32 v9, v9, v10
	v_sub_f32_e32 v10, 0x3fc90fdb, v9
	v_cmp_gt_f32_e64 vcc, |v47|, v46
	v_cndmask_b32_e32 v9, v9, v10, vcc
                                        ; implicit-def: $vgpr13
	s_and_saveexec_b64 s[42:43], s[16:17]
	s_xor_b64 s[16:17], exec, s[42:43]
; %bb.770:                              ;   in Loop: Header=BB43_401 Depth=1
	v_cmp_neq_f32_e32 vcc, 0, v47
	v_cndmask_b32_e32 v9, 0, v9, vcc
	v_cmp_eq_f32_e32 vcc, s62, v46
	v_cmp_class_f32_e64 s[42:43], v47, s78
	s_and_b64 vcc, vcc, s[42:43]
	v_cndmask_b32_e32 v9, v9, v37, vcc
	v_cmp_o_f32_e32 vcc, v47, v47
	v_cndmask_b32_e32 v9, v35, v9, vcc
	v_bfi_b32 v13, s61, v9, v47
                                        ; implicit-def: $vgpr9
                                        ; implicit-def: $vgpr46
                                        ; implicit-def: $vgpr47
; %bb.771:                              ;   in Loop: Header=BB43_401 Depth=1
	s_andn2_saveexec_b64 s[16:17], s[16:17]
	s_cbranch_execz .LBB43_773
; %bb.772:                              ;   in Loop: Header=BB43_401 Depth=1
	v_sub_f32_e32 v10, 0x40490fdb, v9
	v_cmp_lt_f32_e32 vcc, 0, v46
	v_cndmask_b32_e32 v9, v9, v10, vcc
	v_cmp_neq_f32_e32 vcc, 0, v47
	v_cndmask_b32_e32 v9, v38, v9, vcc
	v_cmp_eq_f32_e32 vcc, s62, v46
	v_cmp_class_f32_e64 s[42:43], v47, s78
	s_and_b64 vcc, vcc, s[42:43]
	v_cndmask_b32_e32 v9, v9, v39, vcc
	v_cmp_o_f32_e32 vcc, v47, v47
	v_cndmask_b32_e32 v9, v35, v9, vcc
	v_bfi_b32 v13, s61, v9, v47
.LBB43_773:                             ;   in Loop: Header=BB43_401 Depth=1
	s_or_b64 exec, exec, s[16:17]
.LBB43_774:                             ;   in Loop: Header=BB43_401 Depth=1
	s_or_b64 exec, exec, s[18:19]
	v_cndmask_b32_e64 v14, -v42, v42, s[12:13]
                                        ; implicit-def: $vgpr9
.LBB43_775:                             ;   in Loop: Header=BB43_401 Depth=1
	s_andn2_saveexec_b64 s[16:17], s[40:41]
	s_cbranch_execz .LBB43_777
; %bb.776:                              ;   in Loop: Header=BB43_401 Depth=1
	v_mov_b32_e32 v41, s21
	v_mov_b32_e32 v40, s20
	flat_load_dword v10, v[40:41] glc
	s_waitcnt vmcnt(0) lgkmcnt(0)
	v_sub_f32_e32 v9, v10, v9
	v_add_f32_e32 v13, 0x3fc90fdb, v9
.LBB43_777:                             ;   in Loop: Header=BB43_401 Depth=1
	s_or_b64 exec, exec, s[16:17]
.LBB43_778:                             ;   in Loop: Header=BB43_401 Depth=1
	s_andn2_saveexec_b64 s[16:17], s[38:39]
; %bb.779:                              ;   in Loop: Header=BB43_401 Depth=1
	v_mov_b32_e32 v13, 0
; %bb.780:                              ;   in Loop: Header=BB43_401 Depth=1
	s_or_b64 exec, exec, s[16:17]
                                        ; implicit-def: $vgpr9
                                        ; implicit-def: $vgpr42
                                        ; implicit-def: $vgpr41
                                        ; implicit-def: $vgpr40
.LBB43_781:                             ;   in Loop: Header=BB43_401 Depth=1
	s_andn2_saveexec_b64 s[36:37], s[36:37]
	s_cbranch_execz .LBB43_791
; %bb.782:                              ;   in Loop: Header=BB43_401 Depth=1
	v_cmp_lt_f32_e64 s[16:17], |v9|, |v10|
	v_cndmask_b32_e64 v43, |v9|, |v10|, s[16:17]
	v_cmp_nlt_f32_e32 vcc, s79, v43
                                        ; implicit-def: $vgpr14
                                        ; implicit-def: $vgpr13
	s_and_saveexec_b64 s[18:19], vcc
	s_xor_b64 s[38:39], exec, s[18:19]
	s_cbranch_execz .LBB43_788
; %bb.783:                              ;   in Loop: Header=BB43_401 Depth=1
	v_cndmask_b32_e64 v44, |v10|, |v9|, s[16:17]
	v_cmp_nlt_f32_e32 vcc, s80, v43
	v_cmp_ngt_f32_e64 s[18:19], s81, v44
	s_and_b64 s[18:19], vcc, s[18:19]
                                        ; implicit-def: $vgpr14
                                        ; implicit-def: $vgpr13
	s_and_saveexec_b64 s[40:41], s[18:19]
	s_xor_b64 s[18:19], exec, s[40:41]
	s_cbranch_execz .LBB43_785
; %bb.784:                              ;   in Loop: Header=BB43_401 Depth=1
	v_mul_f32_e32 v13, v44, v44
	v_fmac_f32_e32 v13, v43, v43
	v_cmp_gt_f32_e32 vcc, s66, v13
	v_cndmask_b32_e64 v14, 0, 32, vcc
	v_ldexp_f32 v13, v13, v14
	v_log_f32_e32 v13, v13
	v_cndmask_b32_e32 v14, 0, v34, vcc
	v_mul_f32_e32 v43, 0x3f317217, v13
	v_fma_f32 v43, v13, s67, -v43
	v_fmac_f32_e32 v43, 0x3377d1cf, v13
	v_fmac_f32_e32 v43, 0x3f317217, v13
	v_cmp_lt_f32_e64 vcc, |v13|, s62
	v_cndmask_b32_e32 v13, v13, v43, vcc
	v_sub_f32_e32 v13, v13, v14
	v_mul_f32_e32 v14, 0.5, v13
	v_min_f32_e32 v13, v42, v41
	v_frexp_mant_f32_e32 v41, v40
	v_rcp_f32_e32 v41, v41
	v_frexp_exp_i32_f32_e32 v40, v40
	v_frexp_exp_i32_f32_e32 v42, v13
	v_frexp_mant_f32_e32 v13, v13
	v_mul_f32_e32 v13, v13, v41
	v_sub_u32_e32 v40, v42, v40
	v_ldexp_f32 v13, v13, v40
	v_mul_f32_e32 v40, v13, v13
	v_mov_b32_e32 v41, 0xbc7a590c
	v_fmac_f32_e32 v41, 0x3b2d2a58, v40
	v_fma_f32 v41, v40, v41, v27
	v_fma_f32 v41, v40, v41, v28
	;; [unrolled: 1-line block ×6, first 2 shown]
	v_mul_f32_e32 v40, v40, v41
	v_fmac_f32_e32 v13, v13, v40
                                        ; implicit-def: $vgpr40
                                        ; implicit-def: $vgpr42
                                        ; implicit-def: $vgpr41
.LBB43_785:                             ;   in Loop: Header=BB43_401 Depth=1
	s_andn2_saveexec_b64 s[18:19], s[18:19]
	s_cbranch_execz .LBB43_787
; %bb.786:                              ;   in Loop: Header=BB43_401 Depth=1
	v_cvt_f64_f32_e32 v[13:14], v40
	v_cmp_neq_f32_e32 vcc, s62, v40
	v_mov_b32_e32 v43, 0xbc7a590c
	v_frexp_exp_i32_f64_e32 v13, v[13:14]
	v_min_f32_e32 v14, v42, v41
	v_frexp_exp_i32_f32_e32 v41, v40
	v_frexp_mant_f32_e32 v42, v40
	v_rcp_f32_e32 v42, v42
	v_frexp_exp_i32_f32_e32 v44, v14
	v_frexp_mant_f32_e32 v14, v14
	v_sub_u32_e32 v41, v44, v41
	v_sub_u32_e32 v45, 0, v13
	v_ldexp_f32 v46, |v9|, v45
	v_ldexp_f32 v45, |v10|, v45
	v_mul_f32_e32 v45, v45, v45
	v_fmac_f32_e32 v45, v46, v46
	v_sqrt_f32_e32 v45, v45
	v_mul_f32_e32 v14, v14, v42
	v_ldexp_f32 v13, v45, v13
	v_cndmask_b32_e32 v13, v33, v13, vcc
	v_cmp_gt_f32_e32 vcc, s66, v13
	v_cndmask_b32_e64 v40, 0, 32, vcc
	v_ldexp_f32 v13, v13, v40
	v_log_f32_e32 v40, v13
	v_ldexp_f32 v13, v14, v41
	v_mul_f32_e32 v41, v13, v13
	v_cndmask_b32_e32 v14, 0, v34, vcc
	v_mul_f32_e32 v42, 0x3f317217, v40
	v_fma_f32 v42, v40, s67, -v42
	v_fmac_f32_e32 v42, 0x3377d1cf, v40
	v_fmac_f32_e32 v42, 0x3f317217, v40
	v_cmp_lt_f32_e64 vcc, |v40|, s62
	v_cndmask_b32_e32 v40, v40, v42, vcc
	v_fmac_f32_e32 v43, 0x3b2d2a58, v41
	v_sub_f32_e32 v14, v40, v14
	v_fma_f32 v40, v41, v43, v27
	v_fma_f32 v40, v41, v40, v28
	v_fma_f32 v40, v41, v40, v29
	v_fma_f32 v40, v41, v40, v30
	v_fma_f32 v40, v41, v40, v31
	v_fma_f32 v40, v41, v40, v32
	v_mul_f32_e32 v40, v41, v40
	v_fmac_f32_e32 v13, v13, v40
.LBB43_787:                             ;   in Loop: Header=BB43_401 Depth=1
	s_or_b64 exec, exec, s[18:19]
                                        ; implicit-def: $vgpr42
                                        ; implicit-def: $vgpr41
                                        ; implicit-def: $vgpr40
.LBB43_788:                             ;   in Loop: Header=BB43_401 Depth=1
	s_andn2_saveexec_b64 s[38:39], s[38:39]
	s_cbranch_execz .LBB43_790
; %bb.789:                              ;   in Loop: Header=BB43_401 Depth=1
	v_div_scale_f32 v13, s[18:19], s82, s82, v9
	v_div_scale_f32 v14, s[18:19], s82, s82, v10
	v_div_scale_f32 v43, vcc, v9, s82, v9
	v_div_scale_f32 v44, s[18:19], v10, s82, v10
	v_min_f32_e32 v41, v42, v41
	v_frexp_exp_i32_f32_e32 v42, v40
	v_frexp_mant_f32_e32 v40, v40
	v_rcp_f32_e32 v40, v40
	v_rcp_f32_e32 v45, v13
	;; [unrolled: 1-line block ×3, first 2 shown]
	v_fma_f32 v47, -v13, v45, 1.0
	v_fmac_f32_e32 v45, v47, v45
	v_fma_f32 v48, -v14, v46, 1.0
	v_fmac_f32_e32 v46, v48, v46
	v_mul_f32_e32 v47, v43, v45
	v_mul_f32_e32 v48, v44, v46
	v_fma_f32 v49, -v13, v47, v43
	v_fma_f32 v50, -v14, v48, v44
	v_fmac_f32_e32 v47, v49, v45
	v_fmac_f32_e32 v48, v50, v46
	v_fma_f32 v13, -v13, v47, v43
	v_fma_f32 v14, -v14, v48, v44
	v_div_fmas_f32 v13, v13, v45, v47
	s_mov_b64 vcc, s[18:19]
	v_div_fmas_f32 v14, v14, v46, v48
	v_frexp_exp_i32_f32_e32 v47, v41
	v_frexp_mant_f32_e32 v41, v41
	v_mul_f32_e32 v40, v41, v40
	v_mov_b32_e32 v43, 0xbc7a590c
	v_div_fixup_f32 v44, v13, s82, v9
	v_div_fixup_f32 v45, v14, s82, v10
	v_max_f32_e64 v46, |v44|, |v45|
	v_cvt_f64_f32_e32 v[13:14], v46
	v_cmp_neq_f32_e32 vcc, s62, v46
	v_frexp_exp_i32_f64_e32 v14, v[13:14]
	v_sub_u32_e32 v13, v47, v42
	v_ldexp_f32 v13, v40, v13
	v_mul_f32_e32 v40, v13, v13
	v_fmac_f32_e32 v43, 0x3b2d2a58, v40
	v_fma_f32 v41, v40, v43, v27
	v_fma_f32 v41, v40, v41, v28
	;; [unrolled: 1-line block ×3, first 2 shown]
	v_sub_u32_e32 v42, 0, v14
	v_ldexp_f32 v43, |v44|, v42
	v_ldexp_f32 v42, |v45|, v42
	v_mul_f32_e32 v42, v42, v42
	v_fmac_f32_e32 v42, v43, v43
	v_sqrt_f32_e32 v42, v42
	v_fma_f32 v41, v40, v41, v30
	v_fma_f32 v41, v40, v41, v31
	;; [unrolled: 1-line block ×3, first 2 shown]
	v_ldexp_f32 v14, v42, v14
	v_cndmask_b32_e32 v14, v33, v14, vcc
	v_cmp_gt_f32_e32 vcc, s66, v14
	v_cndmask_b32_e64 v42, 0, 32, vcc
	v_ldexp_f32 v14, v14, v42
	v_log_f32_e32 v14, v14
	v_mul_f32_e32 v40, v40, v41
	v_cndmask_b32_e32 v41, 0, v34, vcc
	v_fmac_f32_e32 v13, v13, v40
	v_mul_f32_e32 v42, 0x3f317217, v14
	v_fma_f32 v42, v14, s67, -v42
	v_fmac_f32_e32 v42, 0x3377d1cf, v14
	v_fmac_f32_e32 v42, 0x3f317217, v14
	v_cmp_lt_f32_e64 vcc, |v14|, s62
	v_cndmask_b32_e32 v14, v14, v42, vcc
	v_sub_f32_e32 v14, v14, v41
	v_add_f32_e32 v14, 1.0, v14
.LBB43_790:                             ;   in Loop: Header=BB43_401 Depth=1
	s_or_b64 exec, exec, s[38:39]
	v_sub_f32_e32 v40, 0x3fc90fdb, v13
	v_cndmask_b32_e64 v13, v13, v40, s[16:17]
	v_sub_f32_e32 v40, 0x40490fdb, v13
	v_cmp_gt_f32_e32 vcc, 0, v9
	v_cndmask_b32_e32 v13, v13, v40, vcc
	v_cndmask_b32_e64 v40, 0, v38, s[14:15]
	v_cndmask_b32_e32 v41, v37, v39, vcc
	v_cmp_class_f32_e64 s[14:15], v9, s78
	v_cmp_class_f32_e64 s[16:17], v10, s78
	v_cmp_eq_f32_e32 vcc, 0, v10
	v_cndmask_b32_e64 v9, |v13|, v40, vcc
	s_and_b64 vcc, s[16:17], s[14:15]
	v_cndmask_b32_e32 v13, v9, v41, vcc
	v_add_f32_e32 v9, 0x3f317218, v14
	v_cndmask_b32_e64 v14, -v9, v9, s[12:13]
.LBB43_791:                             ;   in Loop: Header=BB43_401 Depth=1
	s_or_b64 exec, exec, s[36:37]
                                        ; implicit-def: $vgpr10
	s_andn2_saveexec_b64 s[12:13], s[34:35]
	s_cbranch_execz .LBB43_705
.LBB43_792:                             ;   in Loop: Header=BB43_401 Depth=1
	v_cmp_neq_f32_e64 s[14:15], |v9|, s62
                                        ; implicit-def: $vgpr14
	s_and_saveexec_b64 s[16:17], s[14:15]
	s_xor_b64 s[14:15], exec, s[16:17]
	s_cbranch_execz .LBB43_802
; %bb.793:                              ;   in Loop: Header=BB43_401 Depth=1
	v_cmp_neq_f32_e64 s[16:17], |v10|, s62
	v_xor_b32_e32 v14, 0x80000000, v10
	s_and_saveexec_b64 s[18:19], s[16:17]
	s_xor_b64 s[16:17], exec, s[18:19]
	s_cbranch_execz .LBB43_799
; %bb.794:                              ;   in Loop: Header=BB43_401 Depth=1
	v_cmp_neq_f32_e32 vcc, 0, v9
                                        ; implicit-def: $vgpr14
	s_and_saveexec_b64 s[18:19], vcc
	s_xor_b64 s[18:19], exec, s[18:19]
; %bb.795:                              ;   in Loop: Header=BB43_401 Depth=1
	v_add_f32_e32 v10, 0, v10
	v_add_f32_e32 v14, v10, v9
                                        ; implicit-def: $vgpr10
; %bb.796:                              ;   in Loop: Header=BB43_401 Depth=1
	s_or_saveexec_b64 s[18:19], s[18:19]
	v_mov_b32_e32 v13, v14
	s_xor_b64 exec, exec, s[18:19]
	s_cbranch_execz .LBB43_798
; %bb.797:                              ;   in Loop: Header=BB43_401 Depth=1
	v_mov_b32_e32 v13, s20
	v_mov_b32_e32 v14, s21
	flat_load_dword v9, v[13:14] glc
	s_waitcnt vmcnt(0)
	v_add_f32_e32 v14, v10, v10
	s_waitcnt lgkmcnt(0)
	v_add_f32_e32 v13, 0x3fc90fdb, v9
.LBB43_798:                             ;   in Loop: Header=BB43_401 Depth=1
	s_or_b64 exec, exec, s[18:19]
                                        ; implicit-def: $vgpr9
.LBB43_799:                             ;   in Loop: Header=BB43_401 Depth=1
	s_andn2_saveexec_b64 s[16:17], s[16:17]
; %bb.800:                              ;   in Loop: Header=BB43_401 Depth=1
	v_add_f32_e32 v13, v9, v9
; %bb.801:                              ;   in Loop: Header=BB43_401 Depth=1
	s_or_b64 exec, exec, s[16:17]
                                        ; implicit-def: $vgpr10
.LBB43_802:                             ;   in Loop: Header=BB43_401 Depth=1
	s_andn2_saveexec_b64 s[14:15], s[14:15]
; %bb.803:                              ;   in Loop: Header=BB43_401 Depth=1
	v_add_f32_e32 v13, v10, v10
	v_mov_b32_e32 v14, 0xff800000
; %bb.804:                              ;   in Loop: Header=BB43_401 Depth=1
	s_or_b64 exec, exec, s[14:15]
	s_or_b64 exec, exec, s[12:13]
	s_and_saveexec_b64 s[12:13], s[4:5]
	s_xor_b64 s[4:5], exec, s[12:13]
	s_cbranch_execz .LBB43_706
.LBB43_805:                             ;   in Loop: Header=BB43_401 Depth=1
	v_lshlrev_b64 v[1:2], 3, v[1:2]
	v_mov_b32_e32 v9, s54
	v_add_co_u32_e32 v1, vcc, s53, v1
	v_addc_co_u32_e32 v2, vcc, v9, v2, vcc
	global_store_dwordx2 v[1:2], v[11:12], off
	s_or_b64 exec, exec, s[4:5]
	s_and_saveexec_b64 s[4:5], s[6:7]
	s_cbranch_execz .LBB43_707
.LBB43_806:                             ;   in Loop: Header=BB43_401 Depth=1
	v_lshlrev_b64 v[1:2], 3, v[3:4]
	v_mov_b32_e32 v3, s54
	v_add_co_u32_e32 v1, vcc, s53, v1
	v_addc_co_u32_e32 v2, vcc, v3, v2, vcc
	global_store_dwordx2 v[1:2], v[15:16], off
	s_or_b64 exec, exec, s[4:5]
	s_and_saveexec_b64 s[4:5], s[8:9]
	s_cbranch_execz .LBB43_708
.LBB43_807:                             ;   in Loop: Header=BB43_401 Depth=1
	v_lshlrev_b64 v[1:2], 3, v[5:6]
	v_mov_b32_e32 v3, s54
	v_add_co_u32_e32 v1, vcc, s53, v1
	v_addc_co_u32_e32 v2, vcc, v3, v2, vcc
	global_store_dwordx2 v[1:2], v[17:18], off
	s_or_b64 exec, exec, s[4:5]
	s_and_saveexec_b64 s[4:5], s[10:11]
	s_cbranch_execz .LBB43_400
.LBB43_808:                             ;   in Loop: Header=BB43_401 Depth=1
	v_lshlrev_b64 v[1:2], 3, v[7:8]
	v_mov_b32_e32 v3, s54
	v_add_co_u32_e32 v1, vcc, s53, v1
	v_addc_co_u32_e32 v2, vcc, v3, v2, vcc
	global_store_dwordx2 v[1:2], v[13:14], off
	s_branch .LBB43_400
.LBB43_809:
	s_endpgm
	.section	.rodata,"a",@progbits
	.p2align	6, 0x0
	.amdhsa_kernel _ZN2at6native12_GLOBAL__N_125multi_tensor_apply_kernelINS1_18TensorListMetadataILi2EEENS1_14UnaryOpFunctorIN3c107complexIfEELi2ELi1ELi1EEEJNS0_4AcosIS8_EEEEEvT_T0_DpT1_
		.amdhsa_group_segment_fixed_size 0
		.amdhsa_private_segment_fixed_size 16
		.amdhsa_kernarg_size 3408
		.amdhsa_user_sgpr_count 8
		.amdhsa_user_sgpr_private_segment_buffer 1
		.amdhsa_user_sgpr_dispatch_ptr 0
		.amdhsa_user_sgpr_queue_ptr 0
		.amdhsa_user_sgpr_kernarg_segment_ptr 1
		.amdhsa_user_sgpr_dispatch_id 0
		.amdhsa_user_sgpr_flat_scratch_init 1
		.amdhsa_user_sgpr_private_segment_size 0
		.amdhsa_uses_dynamic_stack 0
		.amdhsa_system_sgpr_private_segment_wavefront_offset 1
		.amdhsa_system_sgpr_workgroup_id_x 1
		.amdhsa_system_sgpr_workgroup_id_y 0
		.amdhsa_system_sgpr_workgroup_id_z 0
		.amdhsa_system_sgpr_workgroup_info 0
		.amdhsa_system_vgpr_workitem_id 0
		.amdhsa_next_free_vgpr 56
		.amdhsa_next_free_sgpr 86
		.amdhsa_reserve_vcc 1
		.amdhsa_reserve_flat_scratch 1
		.amdhsa_float_round_mode_32 0
		.amdhsa_float_round_mode_16_64 0
		.amdhsa_float_denorm_mode_32 3
		.amdhsa_float_denorm_mode_16_64 3
		.amdhsa_dx10_clamp 1
		.amdhsa_ieee_mode 1
		.amdhsa_fp16_overflow 0
		.amdhsa_exception_fp_ieee_invalid_op 0
		.amdhsa_exception_fp_denorm_src 0
		.amdhsa_exception_fp_ieee_div_zero 0
		.amdhsa_exception_fp_ieee_overflow 0
		.amdhsa_exception_fp_ieee_underflow 0
		.amdhsa_exception_fp_ieee_inexact 0
		.amdhsa_exception_int_div_zero 0
	.end_amdhsa_kernel
	.section	.text._ZN2at6native12_GLOBAL__N_125multi_tensor_apply_kernelINS1_18TensorListMetadataILi2EEENS1_14UnaryOpFunctorIN3c107complexIfEELi2ELi1ELi1EEEJNS0_4AcosIS8_EEEEEvT_T0_DpT1_,"axG",@progbits,_ZN2at6native12_GLOBAL__N_125multi_tensor_apply_kernelINS1_18TensorListMetadataILi2EEENS1_14UnaryOpFunctorIN3c107complexIfEELi2ELi1ELi1EEEJNS0_4AcosIS8_EEEEEvT_T0_DpT1_,comdat
.Lfunc_end43:
	.size	_ZN2at6native12_GLOBAL__N_125multi_tensor_apply_kernelINS1_18TensorListMetadataILi2EEENS1_14UnaryOpFunctorIN3c107complexIfEELi2ELi1ELi1EEEJNS0_4AcosIS8_EEEEEvT_T0_DpT1_, .Lfunc_end43-_ZN2at6native12_GLOBAL__N_125multi_tensor_apply_kernelINS1_18TensorListMetadataILi2EEENS1_14UnaryOpFunctorIN3c107complexIfEELi2ELi1ELi1EEEJNS0_4AcosIS8_EEEEEvT_T0_DpT1_
                                        ; -- End function
	.set _ZN2at6native12_GLOBAL__N_125multi_tensor_apply_kernelINS1_18TensorListMetadataILi2EEENS1_14UnaryOpFunctorIN3c107complexIfEELi2ELi1ELi1EEEJNS0_4AcosIS8_EEEEEvT_T0_DpT1_.num_vgpr, 56
	.set _ZN2at6native12_GLOBAL__N_125multi_tensor_apply_kernelINS1_18TensorListMetadataILi2EEENS1_14UnaryOpFunctorIN3c107complexIfEELi2ELi1ELi1EEEJNS0_4AcosIS8_EEEEEvT_T0_DpT1_.num_agpr, 0
	.set _ZN2at6native12_GLOBAL__N_125multi_tensor_apply_kernelINS1_18TensorListMetadataILi2EEENS1_14UnaryOpFunctorIN3c107complexIfEELi2ELi1ELi1EEEJNS0_4AcosIS8_EEEEEvT_T0_DpT1_.numbered_sgpr, 86
	.set _ZN2at6native12_GLOBAL__N_125multi_tensor_apply_kernelINS1_18TensorListMetadataILi2EEENS1_14UnaryOpFunctorIN3c107complexIfEELi2ELi1ELi1EEEJNS0_4AcosIS8_EEEEEvT_T0_DpT1_.num_named_barrier, 0
	.set _ZN2at6native12_GLOBAL__N_125multi_tensor_apply_kernelINS1_18TensorListMetadataILi2EEENS1_14UnaryOpFunctorIN3c107complexIfEELi2ELi1ELi1EEEJNS0_4AcosIS8_EEEEEvT_T0_DpT1_.private_seg_size, 16
	.set _ZN2at6native12_GLOBAL__N_125multi_tensor_apply_kernelINS1_18TensorListMetadataILi2EEENS1_14UnaryOpFunctorIN3c107complexIfEELi2ELi1ELi1EEEJNS0_4AcosIS8_EEEEEvT_T0_DpT1_.uses_vcc, 1
	.set _ZN2at6native12_GLOBAL__N_125multi_tensor_apply_kernelINS1_18TensorListMetadataILi2EEENS1_14UnaryOpFunctorIN3c107complexIfEELi2ELi1ELi1EEEJNS0_4AcosIS8_EEEEEvT_T0_DpT1_.uses_flat_scratch, 1
	.set _ZN2at6native12_GLOBAL__N_125multi_tensor_apply_kernelINS1_18TensorListMetadataILi2EEENS1_14UnaryOpFunctorIN3c107complexIfEELi2ELi1ELi1EEEJNS0_4AcosIS8_EEEEEvT_T0_DpT1_.has_dyn_sized_stack, 0
	.set _ZN2at6native12_GLOBAL__N_125multi_tensor_apply_kernelINS1_18TensorListMetadataILi2EEENS1_14UnaryOpFunctorIN3c107complexIfEELi2ELi1ELi1EEEJNS0_4AcosIS8_EEEEEvT_T0_DpT1_.has_recursion, 0
	.set _ZN2at6native12_GLOBAL__N_125multi_tensor_apply_kernelINS1_18TensorListMetadataILi2EEENS1_14UnaryOpFunctorIN3c107complexIfEELi2ELi1ELi1EEEJNS0_4AcosIS8_EEEEEvT_T0_DpT1_.has_indirect_call, 0
	.section	.AMDGPU.csdata,"",@progbits
; Kernel info:
; codeLenInByte = 45816
; TotalNumSgprs: 92
; NumVgprs: 56
; ScratchSize: 16
; MemoryBound: 0
; FloatMode: 240
; IeeeMode: 1
; LDSByteSize: 0 bytes/workgroup (compile time only)
; SGPRBlocks: 11
; VGPRBlocks: 13
; NumSGPRsForWavesPerEU: 92
; NumVGPRsForWavesPerEU: 56
; Occupancy: 4
; WaveLimiterHint : 0
; COMPUTE_PGM_RSRC2:SCRATCH_EN: 1
; COMPUTE_PGM_RSRC2:USER_SGPR: 8
; COMPUTE_PGM_RSRC2:TRAP_HANDLER: 0
; COMPUTE_PGM_RSRC2:TGID_X_EN: 1
; COMPUTE_PGM_RSRC2:TGID_Y_EN: 0
; COMPUTE_PGM_RSRC2:TGID_Z_EN: 0
; COMPUTE_PGM_RSRC2:TIDIG_COMP_CNT: 0
	.section	.text._ZN2at6native12_GLOBAL__N_125multi_tensor_apply_kernelINS1_18TensorListMetadataILi2EEENS1_14UnaryOpFunctorIN3c104HalfELi2ELi1ELi1EEEJNS0_4AcosIfEEEEEvT_T0_DpT1_,"axG",@progbits,_ZN2at6native12_GLOBAL__N_125multi_tensor_apply_kernelINS1_18TensorListMetadataILi2EEENS1_14UnaryOpFunctorIN3c104HalfELi2ELi1ELi1EEEJNS0_4AcosIfEEEEEvT_T0_DpT1_,comdat
	.globl	_ZN2at6native12_GLOBAL__N_125multi_tensor_apply_kernelINS1_18TensorListMetadataILi2EEENS1_14UnaryOpFunctorIN3c104HalfELi2ELi1ELi1EEEJNS0_4AcosIfEEEEEvT_T0_DpT1_ ; -- Begin function _ZN2at6native12_GLOBAL__N_125multi_tensor_apply_kernelINS1_18TensorListMetadataILi2EEENS1_14UnaryOpFunctorIN3c104HalfELi2ELi1ELi1EEEJNS0_4AcosIfEEEEEvT_T0_DpT1_
	.p2align	8
	.type	_ZN2at6native12_GLOBAL__N_125multi_tensor_apply_kernelINS1_18TensorListMetadataILi2EEENS1_14UnaryOpFunctorIN3c104HalfELi2ELi1ELi1EEEJNS0_4AcosIfEEEEEvT_T0_DpT1_,@function
_ZN2at6native12_GLOBAL__N_125multi_tensor_apply_kernelINS1_18TensorListMetadataILi2EEENS1_14UnaryOpFunctorIN3c104HalfELi2ELi1ELi1EEEJNS0_4AcosIfEEEEEvT_T0_DpT1_: ; @_ZN2at6native12_GLOBAL__N_125multi_tensor_apply_kernelINS1_18TensorListMetadataILi2EEENS1_14UnaryOpFunctorIN3c104HalfELi2ELi1ELi1EEEJNS0_4AcosIfEEEEEvT_T0_DpT1_
; %bb.0:
	v_mov_b32_e32 v1, s6
	global_load_ubyte v1, v1, s[4:5] offset:1536
	s_add_u32 s0, s4, s6
	s_mul_hi_u32 s2, s6, 3
	s_mul_i32 s6, s6, 3
	s_addc_u32 s7, s5, 0
	s_add_u32 s6, s0, s6
	s_addc_u32 s7, s7, s2
	s_load_dword s6, s[6:7], 0x740
	s_mov_b32 s1, 0
	s_mov_b32 s3, s1
	s_waitcnt lgkmcnt(0)
	s_ashr_i32 s7, s6, 31
	s_lshl_b64 s[16:17], s[6:7], 17
	s_lshl_b64 s[6:7], s[6:7], 16
	s_waitcnt vmcnt(0)
	v_readfirstlane_b32 s0, v1
	s_lshl_b32 s0, s0, 3
	s_load_dwordx2 s[8:9], s[4:5], s0 offset:0x400
	s_load_dwordx2 s[20:21], s[4:5], s0 offset:0x0
	;; [unrolled: 1-line block ×3, first 2 shown]
	s_waitcnt lgkmcnt(0)
	s_add_u32 s0, s20, s16
	s_and_b32 s2, s18, 7
	s_and_b32 s0, s0, 7
	s_sub_u32 s22, s8, s6
	s_subb_u32 s23, s9, s7
	s_and_b32 s6, s8, 3
	s_mov_b32 s7, s1
	s_or_b64 s[2:3], s[2:3], s[6:7]
	s_or_b64 s[0:1], s[2:3], s[0:1]
	s_cmp_eq_u64 s[0:1], 0
	s_mov_b64 s[0:1], -1
	s_cbranch_scc0 .LBB44_5
; %bb.1:
	v_mov_b32_e32 v1, 0x10000
	v_mov_b32_e32 v2, 0
	v_cmp_lt_i64_e32 vcc, s[22:23], v[1:2]
	v_mov_b32_e32 v2, 0
	s_and_b64 s[0:1], vcc, exec
	s_cselect_b32 s25, s23, 0
	s_cselect_b32 s24, s22, 0x10000
	v_lshlrev_b32_e32 v1, 2, v0
	v_cmp_gt_i64_e32 vcc, s[24:25], v[1:2]
	s_and_saveexec_b64 s[26:27], vcc
	s_cbranch_execz .LBB44_4
; %bb.2:
	s_load_dword s0, s[4:5], 0xc5c
	v_lshlrev_b32_e32 v3, 3, v0
	v_mov_b32_e32 v1, v2
	v_mov_b32_e32 v4, s17
	v_add_co_u32_e32 v5, vcc, s16, v3
	s_waitcnt lgkmcnt(0)
	s_and_b32 s30, s0, 0xffff
	v_addc_co_u32_e32 v6, vcc, 0, v4, vcc
	v_mov_b32_e32 v4, v1
	s_lshl_b32 s31, s30, 3
	s_mov_b64 s[28:29], 0
	v_mov_b32_e32 v7, s21
	s_mov_b32 s33, -0.5
	v_mov_b32_e32 v8, 0.5
	v_mov_b32_e32 v9, 0x3d034c3c
	v_mov_b32_e32 v10, 0x3d3641b1
	;; [unrolled: 1-line block ×6, first 2 shown]
.LBB44_3:                               ; =>This Inner Loop Header: Depth=1
	v_add_co_u32_e32 v14, vcc, s20, v5
	v_addc_co_u32_e32 v15, vcc, v7, v6, vcc
	global_load_dwordx2 v[14:15], v[14:15], off
	v_add_co_u32_e32 v16, vcc, s18, v5
	v_addc_co_u32_e32 v17, vcc, v13, v6, vcc
	v_add_co_u32_e32 v3, vcc, s30, v3
	v_addc_co_u32_e32 v4, vcc, 0, v4, vcc
	;; [unrolled: 2-line block ×3, first 2 shown]
	v_mov_b32_e32 v1, 0x3c5fc5da
	v_mov_b32_e32 v20, 0x3c5fc5da
	;; [unrolled: 1-line block ×4, first 2 shown]
	v_lshlrev_b64 v[18:19], 2, v[3:4]
	s_waitcnt vmcnt(0)
	v_cvt_f32_f16_e32 v23, v14
	v_cvt_f32_f16_sdwa v25, v14 dst_sel:DWORD dst_unused:UNUSED_PAD src0_sel:WORD_1
	v_cvt_f32_f16_e32 v27, v15
	v_cvt_f32_f16_sdwa v29, v15 dst_sel:DWORD dst_unused:UNUSED_PAD src0_sel:WORD_1
	v_fma_mix_f32 v24, |v14|, s33, v8 op_sel_hi:[1,0,0]
	v_fma_mix_f32 v26, |v14|, s33, v8 op_sel:[1,0,0] op_sel_hi:[1,0,0]
	v_fma_mix_f32 v28, |v15|, s33, v8 op_sel_hi:[1,0,0]
	v_fma_mix_f32 v30, |v15|, s33, v8 op_sel:[1,0,0] op_sel_hi:[1,0,0]
	v_mul_f32_e32 v31, v25, v25
	v_cmp_gt_f32_e64 vcc, |v25|, 0.5
	v_mul_f32_e32 v25, v27, v27
	v_cmp_gt_f32_e64 s[0:1], |v27|, 0.5
	v_mul_f32_e32 v27, v29, v29
	v_cmp_gt_f32_e64 s[2:3], |v29|, 0.5
	;; [unrolled: 2-line block ×3, first 2 shown]
	v_cndmask_b32_e64 v23, v29, v24, s[6:7]
	v_cndmask_b32_e32 v24, v31, v26, vcc
	v_cndmask_b32_e64 v25, v25, v28, s[0:1]
	v_cndmask_b32_e64 v26, v27, v30, s[2:3]
	v_fmac_f32_e32 v1, 0x3d1c21a7, v23
	v_fmac_f32_e32 v20, 0x3d1c21a7, v24
	;; [unrolled: 1-line block ×4, first 2 shown]
	v_fma_f32 v1, v23, v1, v9
	v_fma_f32 v20, v24, v20, v9
	;; [unrolled: 1-line block ×4, first 2 shown]
	v_sqrt_f32_e32 v27, v23
	v_sqrt_f32_e32 v28, v24
	;; [unrolled: 1-line block ×4, first 2 shown]
	v_fma_f32 v1, v23, v1, v10
	v_fma_f32 v20, v24, v20, v10
	;; [unrolled: 1-line block ×12, first 2 shown]
	v_mul_f32_e32 v1, v23, v1
	v_mul_f32_e32 v20, v24, v20
	;; [unrolled: 1-line block ×4, first 2 shown]
	v_fmac_f32_e32 v27, v27, v1
	v_fmac_f32_e32 v28, v28, v20
	;; [unrolled: 1-line block ×4, first 2 shown]
	v_add_f32_e32 v23, v27, v27
	v_add_f32_e32 v24, v28, v28
	v_add_f32_e32 v25, v29, v29
	v_add_f32_e32 v26, v30, v30
	v_fma_mix_f32 v1, v14, v1, v14 op_sel_hi:[1,0,1]
	v_fma_mix_f32 v20, v14, v20, v14 op_sel:[1,0,1] op_sel_hi:[1,0,1]
	v_fma_mix_f32 v21, v15, v21, v15 op_sel_hi:[1,0,1]
	v_fma_mix_f32 v22, v15, v22, v15 op_sel:[1,0,1] op_sel_hi:[1,0,1]
	v_sub_f32_e32 v27, 0x40490fdb, v24
	v_cmp_lt_f16_sdwa s[8:9], v14, v2 src0_sel:WORD_1 src1_sel:DWORD
	v_sub_f32_e32 v28, 0x40490fdb, v25
	v_cmp_gt_f16_e64 s[10:11], 0, v15
	v_sub_f32_e32 v29, 0x40490fdb, v26
	v_cmp_lt_f16_sdwa s[12:13], v15, v2 src0_sel:WORD_1 src1_sel:DWORD
	v_sub_f32_e32 v15, 0x40490fdb, v23
	v_cmp_gt_f16_e64 s[14:15], 0, v14
	v_sub_f32_e32 v1, 0x3fc90fdb, v1
	v_sub_f32_e32 v20, 0x3fc90fdb, v20
	;; [unrolled: 1-line block ×4, first 2 shown]
	v_cndmask_b32_e64 v14, v23, v15, s[14:15]
	v_cndmask_b32_e64 v15, v24, v27, s[8:9]
	;; [unrolled: 1-line block ×5, first 2 shown]
	v_cndmask_b32_e32 v14, v20, v15, vcc
	v_cndmask_b32_e64 v15, v21, v23, s[0:1]
	v_cndmask_b32_e64 v20, v22, v24, s[2:3]
	v_cvt_f16_f32_e32 v1, v1
	v_cvt_f16_f32_e32 v14, v14
	;; [unrolled: 1-line block ×4, first 2 shown]
	v_cmp_le_i64_e32 vcc, s[24:25], v[18:19]
	v_pack_b32_f16 v14, v1, v14
	s_or_b64 s[28:29], vcc, s[28:29]
	v_pack_b32_f16 v15, v15, v20
	global_store_dwordx2 v[16:17], v[14:15], off
	s_andn2_b64 exec, exec, s[28:29]
	s_cbranch_execnz .LBB44_3
.LBB44_4:
	s_or_b64 exec, exec, s[26:27]
	s_mov_b64 s[0:1], 0
.LBB44_5:
	s_andn2_b64 vcc, exec, s[0:1]
	s_cbranch_vccnz .LBB44_25
; %bb.6:
	v_cmp_lt_i64_e64 s[0:1], s[22:23], 1
	s_and_b64 vcc, exec, s[0:1]
	s_cbranch_vccnz .LBB44_25
; %bb.7:
	v_mov_b32_e32 v1, 0x10000
	s_load_dword s2, s[4:5], 0xc5c
	v_mov_b32_e32 v2, 0
	v_cmp_lt_i64_e32 vcc, s[22:23], v[1:2]
	v_mov_b32_e32 v10, 0
	s_and_b64 s[0:1], vcc, exec
	v_cmp_lt_u64_e32 vcc, s[22:23], v[1:2]
	s_cselect_b32 s9, s23, 0
	s_cselect_b32 s8, s22, 0x10000
	s_waitcnt lgkmcnt(0)
	s_and_b32 s2, s2, 0xffff
	v_lshlrev_b32_e32 v9, 1, v0
	s_and_b64 s[0:1], vcc, exec
	v_mov_b32_e32 v2, s21
	v_add_co_u32_e32 v1, vcc, s20, v9
	v_mad_u64_u32 v[7:8], s[0:1], s2, 6, v[9:10]
	v_addc_co_u32_e32 v2, vcc, 0, v2, vcc
	v_mov_b32_e32 v4, s19
	v_add_co_u32_e32 v3, vcc, s18, v9
	v_addc_co_u32_e32 v4, vcc, 0, v4, vcc
	v_mov_b32_e32 v6, s21
	v_add_co_u32_e32 v5, vcc, s20, v7
	v_addc_co_u32_e32 v6, vcc, v6, v8, vcc
	v_mov_b32_e32 v10, s19
	v_add_co_u32_e32 v7, vcc, s18, v7
	s_cselect_b32 s11, s23, 0
	s_cselect_b32 s10, s22, 0x10000
	s_lshl_b32 s22, s2, 2
	v_addc_co_u32_e32 v8, vcc, v10, v8, vcc
	v_add_co_u32_e32 v11, vcc, s22, v9
	v_addc_co_u32_e64 v12, s[0:1], 0, 0, vcc
	v_mov_b32_e32 v10, s21
	v_add_co_u32_e32 v9, vcc, s20, v11
	v_addc_co_u32_e32 v10, vcc, v10, v12, vcc
	v_mov_b32_e32 v13, s19
	v_add_co_u32_e32 v11, vcc, s18, v11
	v_addc_co_u32_e32 v12, vcc, v13, v12, vcc
	v_add_co_u32_e32 v13, vcc, s2, v0
	v_lshlrev_b32_e32 v17, 1, v13
	v_addc_co_u32_e64 v14, s[0:1], 0, 0, vcc
	v_mov_b32_e32 v16, s21
	v_add_co_u32_e32 v15, vcc, s20, v17
	v_addc_co_u32_e32 v16, vcc, 0, v16, vcc
	v_mov_b32_e32 v18, s19
	v_add_co_u32_e32 v17, vcc, s18, v17
	s_mul_i32 s4, s2, 3
	v_addc_co_u32_e32 v18, vcc, 0, v18, vcc
	s_lshl_b32 s3, s2, 1
	v_add_co_u32_e32 v19, vcc, s4, v0
	v_addc_co_u32_e64 v20, s[0:1], 0, 0, vcc
	v_add_co_u32_e32 v21, vcc, s3, v0
	s_lshl_b32 s23, s2, 3
	s_mov_b64 s[12:13], 0
	s_mov_b32 s18, -0.5
	v_addc_co_u32_e64 v22, s[0:1], 0, 0, vcc
	v_mov_b32_e32 v23, 0x3d034c3c
	v_mov_b32_e32 v24, 0x3d3641b1
	;; [unrolled: 1-line block ×4, first 2 shown]
	v_mov_b32_e32 v27, 0.5
	s_branch .LBB44_9
.LBB44_8:                               ;   in Loop: Header=BB44_9 Depth=1
	s_or_b64 exec, exec, s[2:3]
	v_add_co_u32_e32 v1, vcc, s23, v1
	v_addc_co_u32_e32 v2, vcc, 0, v2, vcc
	v_add_co_u32_e32 v3, vcc, s23, v3
	v_addc_co_u32_e32 v4, vcc, 0, v4, vcc
	;; [unrolled: 2-line block ×6, first 2 shown]
	s_add_u32 s12, s12, s22
	v_add_co_u32_e32 v15, vcc, s23, v15
	s_waitcnt vmcnt(0)
	v_mov_b32_e32 v29, s9
	s_addc_u32 s13, s13, 0
	v_addc_co_u32_e32 v16, vcc, 0, v16, vcc
	v_mov_b32_e32 v28, s8
	v_cmp_ge_i64_e32 vcc, s[12:13], v[28:29]
	v_add_co_u32_e64 v17, s[0:1], s23, v17
	v_addc_co_u32_e64 v18, s[0:1], 0, v18, s[0:1]
	s_cbranch_vccnz .LBB44_25
.LBB44_9:                               ; =>This Inner Loop Header: Depth=1
	v_mov_b32_e32 v29, s13
	v_add_co_u32_e32 v28, vcc, s12, v0
	v_addc_co_u32_e32 v29, vcc, 0, v29, vcc
	v_cmp_gt_u64_e64 s[4:5], s[10:11], v[28:29]
	v_mov_b32_e32 v31, 0
	s_and_saveexec_b64 s[0:1], s[4:5]
	s_cbranch_execz .LBB44_11
; %bb.10:                               ;   in Loop: Header=BB44_9 Depth=1
	v_mov_b32_e32 v29, s17
	v_add_co_u32_e32 v28, vcc, s16, v1
	v_addc_co_u32_e32 v29, vcc, v2, v29, vcc
	global_load_ushort v31, v[28:29], off
.LBB44_11:                              ;   in Loop: Header=BB44_9 Depth=1
	s_or_b64 exec, exec, s[0:1]
	v_mov_b32_e32 v29, s13
	v_add_co_u32_e32 v28, vcc, s12, v13
	v_addc_co_u32_e32 v29, vcc, v14, v29, vcc
	v_cmp_gt_u64_e64 s[2:3], s[10:11], v[28:29]
	v_mov_b32_e32 v28, 0
	v_mov_b32_e32 v30, 0
	s_and_saveexec_b64 s[0:1], s[2:3]
	s_cbranch_execz .LBB44_13
; %bb.12:                               ;   in Loop: Header=BB44_9 Depth=1
	v_mov_b32_e32 v30, s17
	v_add_co_u32_e32 v29, vcc, s16, v15
	v_addc_co_u32_e32 v30, vcc, v16, v30, vcc
	global_load_ushort v30, v[29:30], off
.LBB44_13:                              ;   in Loop: Header=BB44_9 Depth=1
	s_or_b64 exec, exec, s[0:1]
	v_mov_b32_e32 v29, s13
	v_add_co_u32_e32 v32, vcc, s12, v21
	v_addc_co_u32_e32 v33, vcc, v22, v29, vcc
	v_cmp_gt_u64_e64 s[0:1], s[10:11], v[32:33]
	s_and_saveexec_b64 s[6:7], s[0:1]
	s_cbranch_execz .LBB44_15
; %bb.14:                               ;   in Loop: Header=BB44_9 Depth=1
	v_mov_b32_e32 v29, s17
	v_add_co_u32_e32 v28, vcc, s16, v9
	v_addc_co_u32_e32 v29, vcc, v10, v29, vcc
	global_load_ushort v28, v[28:29], off
.LBB44_15:                              ;   in Loop: Header=BB44_9 Depth=1
	s_or_b64 exec, exec, s[6:7]
	v_mov_b32_e32 v29, s13
	v_add_co_u32_e32 v32, vcc, s12, v19
	v_addc_co_u32_e32 v33, vcc, v20, v29, vcc
	v_cmp_gt_u64_e32 vcc, s[10:11], v[32:33]
	v_mov_b32_e32 v29, 0
	s_and_saveexec_b64 s[14:15], vcc
	s_cbranch_execnz .LBB44_20
; %bb.16:                               ;   in Loop: Header=BB44_9 Depth=1
	s_or_b64 exec, exec, s[14:15]
	s_and_saveexec_b64 s[14:15], s[4:5]
	s_cbranch_execnz .LBB44_21
.LBB44_17:                              ;   in Loop: Header=BB44_9 Depth=1
	s_or_b64 exec, exec, s[14:15]
	s_and_saveexec_b64 s[6:7], s[2:3]
	s_cbranch_execnz .LBB44_22
.LBB44_18:                              ;   in Loop: Header=BB44_9 Depth=1
	s_or_b64 exec, exec, s[6:7]
	s_and_saveexec_b64 s[4:5], s[0:1]
	s_cbranch_execnz .LBB44_23
.LBB44_19:                              ;   in Loop: Header=BB44_9 Depth=1
	s_or_b64 exec, exec, s[4:5]
	s_and_saveexec_b64 s[2:3], vcc
	s_cbranch_execz .LBB44_8
	s_branch .LBB44_24
.LBB44_20:                              ;   in Loop: Header=BB44_9 Depth=1
	v_mov_b32_e32 v29, s17
	v_add_co_u32_e64 v32, s[6:7], s16, v5
	v_addc_co_u32_e64 v33, s[6:7], v6, v29, s[6:7]
	global_load_ushort v29, v[32:33], off
	s_or_b64 exec, exec, s[14:15]
	s_and_saveexec_b64 s[14:15], s[4:5]
	s_cbranch_execz .LBB44_17
.LBB44_21:                              ;   in Loop: Header=BB44_9 Depth=1
	s_waitcnt vmcnt(0)
	v_cvt_f32_f16_e32 v32, v31
	v_fma_mix_f32 v33, |v31|, s18, v27 op_sel_hi:[1,0,0]
	v_mov_b32_e32 v34, 0x3c5fc5da
	v_cmp_gt_f16_e64 s[6:7], 0, v31
	v_mul_f32_e32 v35, v32, v32
	v_cmp_gt_f32_e64 s[4:5], |v32|, 0.5
	v_cndmask_b32_e64 v32, v35, v33, s[4:5]
	v_fmac_f32_e32 v34, 0x3d1c21a7, v32
	v_fma_f32 v34, v32, v34, v23
	v_sqrt_f32_e32 v33, v32
	v_fma_f32 v34, v32, v34, v24
	v_fma_f32 v34, v32, v34, v25
	;; [unrolled: 1-line block ×3, first 2 shown]
	v_mul_f32_e32 v32, v32, v34
	v_fmac_f32_e32 v33, v33, v32
	v_add_f32_e32 v33, v33, v33
	v_sub_f32_e32 v34, 0x40490fdb, v33
	v_fma_mix_f32 v31, v31, v32, v31 op_sel_hi:[1,0,1]
	v_cndmask_b32_e64 v33, v33, v34, s[6:7]
	v_sub_f32_e32 v31, 0x3fc90fdb, v31
	v_cndmask_b32_e64 v31, v31, v33, s[4:5]
	v_cvt_f16_f32_e32 v33, v31
	v_mov_b32_e32 v32, s17
	v_add_co_u32_e64 v31, s[4:5], s16, v3
	v_addc_co_u32_e64 v32, s[4:5], v4, v32, s[4:5]
	global_store_short v[31:32], v33, off
	s_or_b64 exec, exec, s[14:15]
	s_and_saveexec_b64 s[6:7], s[2:3]
	s_cbranch_execz .LBB44_18
.LBB44_22:                              ;   in Loop: Header=BB44_9 Depth=1
	s_waitcnt vmcnt(0)
	v_cvt_f32_f16_e32 v31, v30
	v_fma_mix_f32 v32, |v30|, s18, v27 op_sel_hi:[1,0,0]
	v_mov_b32_e32 v33, 0x3c5fc5da
	v_cmp_gt_f16_e64 s[4:5], 0, v30
	v_mul_f32_e32 v34, v31, v31
	v_cmp_gt_f32_e64 s[2:3], |v31|, 0.5
	v_cndmask_b32_e64 v31, v34, v32, s[2:3]
	v_fmac_f32_e32 v33, 0x3d1c21a7, v31
	v_fma_f32 v32, v31, v33, v23
	v_fma_f32 v32, v31, v32, v24
	v_sqrt_f32_e32 v33, v31
	v_fma_f32 v32, v31, v32, v25
	v_fma_f32 v32, v31, v32, v26
	v_mul_f32_e32 v31, v31, v32
	v_fmac_f32_e32 v33, v33, v31
	v_add_f32_e32 v32, v33, v33
	v_sub_f32_e32 v33, 0x40490fdb, v32
	v_fma_mix_f32 v30, v30, v31, v30 op_sel_hi:[1,0,1]
	v_cndmask_b32_e64 v32, v32, v33, s[4:5]
	v_sub_f32_e32 v30, 0x3fc90fdb, v30
	v_cndmask_b32_e64 v30, v30, v32, s[2:3]
	v_cvt_f16_f32_e32 v32, v30
	v_mov_b32_e32 v31, s17
	v_add_co_u32_e64 v30, s[2:3], s16, v17
	v_addc_co_u32_e64 v31, s[2:3], v18, v31, s[2:3]
	global_store_short v[30:31], v32, off
	s_or_b64 exec, exec, s[6:7]
	s_and_saveexec_b64 s[4:5], s[0:1]
	s_cbranch_execz .LBB44_19
.LBB44_23:                              ;   in Loop: Header=BB44_9 Depth=1
	s_waitcnt vmcnt(0)
	v_cvt_f32_f16_e32 v30, v28
	v_fma_mix_f32 v31, |v28|, s18, v27 op_sel_hi:[1,0,0]
	v_mov_b32_e32 v32, 0x3c5fc5da
	v_cmp_gt_f16_e64 s[2:3], 0, v28
	v_mul_f32_e32 v33, v30, v30
	v_cmp_gt_f32_e64 s[0:1], |v30|, 0.5
	v_cndmask_b32_e64 v30, v33, v31, s[0:1]
	v_fmac_f32_e32 v32, 0x3d1c21a7, v30
	v_fma_f32 v31, v30, v32, v23
	v_fma_f32 v31, v30, v31, v24
	v_sqrt_f32_e32 v32, v30
	v_fma_f32 v31, v30, v31, v25
	v_fma_f32 v31, v30, v31, v26
	v_mul_f32_e32 v30, v30, v31
	v_fmac_f32_e32 v32, v32, v30
	v_add_f32_e32 v31, v32, v32
	v_sub_f32_e32 v32, 0x40490fdb, v31
	v_fma_mix_f32 v28, v28, v30, v28 op_sel_hi:[1,0,1]
	v_cndmask_b32_e64 v31, v31, v32, s[2:3]
	v_sub_f32_e32 v28, 0x3fc90fdb, v28
	v_cndmask_b32_e64 v28, v28, v31, s[0:1]
	v_cvt_f16_f32_e32 v28, v28
	v_mov_b32_e32 v31, s17
	v_add_co_u32_e64 v30, s[0:1], s16, v11
	v_addc_co_u32_e64 v31, s[0:1], v12, v31, s[0:1]
	global_store_short v[30:31], v28, off
	s_or_b64 exec, exec, s[4:5]
	s_and_saveexec_b64 s[2:3], vcc
	s_cbranch_execz .LBB44_8
.LBB44_24:                              ;   in Loop: Header=BB44_9 Depth=1
	s_waitcnt vmcnt(0)
	v_cvt_f32_f16_e32 v28, v29
	v_fma_mix_f32 v30, |v29|, s18, v27 op_sel_hi:[1,0,0]
	v_mov_b32_e32 v31, 0x3c5fc5da
	v_cmp_gt_f16_e64 s[0:1], 0, v29
	v_mul_f32_e32 v32, v28, v28
	v_cmp_gt_f32_e64 vcc, |v28|, 0.5
	v_cndmask_b32_e32 v28, v32, v30, vcc
	v_fmac_f32_e32 v31, 0x3d1c21a7, v28
	v_fma_f32 v30, v28, v31, v23
	v_fma_f32 v30, v28, v30, v24
	v_sqrt_f32_e32 v31, v28
	v_fma_f32 v30, v28, v30, v25
	v_fma_f32 v30, v28, v30, v26
	v_mul_f32_e32 v28, v28, v30
	v_fmac_f32_e32 v31, v31, v28
	v_add_f32_e32 v30, v31, v31
	v_sub_f32_e32 v31, 0x40490fdb, v30
	v_fma_mix_f32 v28, v29, v28, v29 op_sel_hi:[1,0,1]
	v_cndmask_b32_e64 v30, v30, v31, s[0:1]
	v_sub_f32_e32 v28, 0x3fc90fdb, v28
	v_cndmask_b32_e32 v28, v28, v30, vcc
	v_cvt_f16_f32_e32 v30, v28
	v_mov_b32_e32 v29, s17
	v_add_co_u32_e32 v28, vcc, s16, v7
	v_addc_co_u32_e32 v29, vcc, v8, v29, vcc
	global_store_short v[28:29], v30, off
	s_branch .LBB44_8
.LBB44_25:
	s_endpgm
	.section	.rodata,"a",@progbits
	.p2align	6, 0x0
	.amdhsa_kernel _ZN2at6native12_GLOBAL__N_125multi_tensor_apply_kernelINS1_18TensorListMetadataILi2EEENS1_14UnaryOpFunctorIN3c104HalfELi2ELi1ELi1EEEJNS0_4AcosIfEEEEEvT_T0_DpT1_
		.amdhsa_group_segment_fixed_size 0
		.amdhsa_private_segment_fixed_size 0
		.amdhsa_kernarg_size 3408
		.amdhsa_user_sgpr_count 6
		.amdhsa_user_sgpr_private_segment_buffer 1
		.amdhsa_user_sgpr_dispatch_ptr 0
		.amdhsa_user_sgpr_queue_ptr 0
		.amdhsa_user_sgpr_kernarg_segment_ptr 1
		.amdhsa_user_sgpr_dispatch_id 0
		.amdhsa_user_sgpr_flat_scratch_init 0
		.amdhsa_user_sgpr_private_segment_size 0
		.amdhsa_uses_dynamic_stack 0
		.amdhsa_system_sgpr_private_segment_wavefront_offset 0
		.amdhsa_system_sgpr_workgroup_id_x 1
		.amdhsa_system_sgpr_workgroup_id_y 0
		.amdhsa_system_sgpr_workgroup_id_z 0
		.amdhsa_system_sgpr_workgroup_info 0
		.amdhsa_system_vgpr_workitem_id 0
		.amdhsa_next_free_vgpr 36
		.amdhsa_next_free_sgpr 34
		.amdhsa_reserve_vcc 1
		.amdhsa_reserve_flat_scratch 0
		.amdhsa_float_round_mode_32 0
		.amdhsa_float_round_mode_16_64 0
		.amdhsa_float_denorm_mode_32 3
		.amdhsa_float_denorm_mode_16_64 3
		.amdhsa_dx10_clamp 1
		.amdhsa_ieee_mode 1
		.amdhsa_fp16_overflow 0
		.amdhsa_exception_fp_ieee_invalid_op 0
		.amdhsa_exception_fp_denorm_src 0
		.amdhsa_exception_fp_ieee_div_zero 0
		.amdhsa_exception_fp_ieee_overflow 0
		.amdhsa_exception_fp_ieee_underflow 0
		.amdhsa_exception_fp_ieee_inexact 0
		.amdhsa_exception_int_div_zero 0
	.end_amdhsa_kernel
	.section	.text._ZN2at6native12_GLOBAL__N_125multi_tensor_apply_kernelINS1_18TensorListMetadataILi2EEENS1_14UnaryOpFunctorIN3c104HalfELi2ELi1ELi1EEEJNS0_4AcosIfEEEEEvT_T0_DpT1_,"axG",@progbits,_ZN2at6native12_GLOBAL__N_125multi_tensor_apply_kernelINS1_18TensorListMetadataILi2EEENS1_14UnaryOpFunctorIN3c104HalfELi2ELi1ELi1EEEJNS0_4AcosIfEEEEEvT_T0_DpT1_,comdat
.Lfunc_end44:
	.size	_ZN2at6native12_GLOBAL__N_125multi_tensor_apply_kernelINS1_18TensorListMetadataILi2EEENS1_14UnaryOpFunctorIN3c104HalfELi2ELi1ELi1EEEJNS0_4AcosIfEEEEEvT_T0_DpT1_, .Lfunc_end44-_ZN2at6native12_GLOBAL__N_125multi_tensor_apply_kernelINS1_18TensorListMetadataILi2EEENS1_14UnaryOpFunctorIN3c104HalfELi2ELi1ELi1EEEJNS0_4AcosIfEEEEEvT_T0_DpT1_
                                        ; -- End function
	.set _ZN2at6native12_GLOBAL__N_125multi_tensor_apply_kernelINS1_18TensorListMetadataILi2EEENS1_14UnaryOpFunctorIN3c104HalfELi2ELi1ELi1EEEJNS0_4AcosIfEEEEEvT_T0_DpT1_.num_vgpr, 36
	.set _ZN2at6native12_GLOBAL__N_125multi_tensor_apply_kernelINS1_18TensorListMetadataILi2EEENS1_14UnaryOpFunctorIN3c104HalfELi2ELi1ELi1EEEJNS0_4AcosIfEEEEEvT_T0_DpT1_.num_agpr, 0
	.set _ZN2at6native12_GLOBAL__N_125multi_tensor_apply_kernelINS1_18TensorListMetadataILi2EEENS1_14UnaryOpFunctorIN3c104HalfELi2ELi1ELi1EEEJNS0_4AcosIfEEEEEvT_T0_DpT1_.numbered_sgpr, 34
	.set _ZN2at6native12_GLOBAL__N_125multi_tensor_apply_kernelINS1_18TensorListMetadataILi2EEENS1_14UnaryOpFunctorIN3c104HalfELi2ELi1ELi1EEEJNS0_4AcosIfEEEEEvT_T0_DpT1_.num_named_barrier, 0
	.set _ZN2at6native12_GLOBAL__N_125multi_tensor_apply_kernelINS1_18TensorListMetadataILi2EEENS1_14UnaryOpFunctorIN3c104HalfELi2ELi1ELi1EEEJNS0_4AcosIfEEEEEvT_T0_DpT1_.private_seg_size, 0
	.set _ZN2at6native12_GLOBAL__N_125multi_tensor_apply_kernelINS1_18TensorListMetadataILi2EEENS1_14UnaryOpFunctorIN3c104HalfELi2ELi1ELi1EEEJNS0_4AcosIfEEEEEvT_T0_DpT1_.uses_vcc, 1
	.set _ZN2at6native12_GLOBAL__N_125multi_tensor_apply_kernelINS1_18TensorListMetadataILi2EEENS1_14UnaryOpFunctorIN3c104HalfELi2ELi1ELi1EEEJNS0_4AcosIfEEEEEvT_T0_DpT1_.uses_flat_scratch, 0
	.set _ZN2at6native12_GLOBAL__N_125multi_tensor_apply_kernelINS1_18TensorListMetadataILi2EEENS1_14UnaryOpFunctorIN3c104HalfELi2ELi1ELi1EEEJNS0_4AcosIfEEEEEvT_T0_DpT1_.has_dyn_sized_stack, 0
	.set _ZN2at6native12_GLOBAL__N_125multi_tensor_apply_kernelINS1_18TensorListMetadataILi2EEENS1_14UnaryOpFunctorIN3c104HalfELi2ELi1ELi1EEEJNS0_4AcosIfEEEEEvT_T0_DpT1_.has_recursion, 0
	.set _ZN2at6native12_GLOBAL__N_125multi_tensor_apply_kernelINS1_18TensorListMetadataILi2EEENS1_14UnaryOpFunctorIN3c104HalfELi2ELi1ELi1EEEJNS0_4AcosIfEEEEEvT_T0_DpT1_.has_indirect_call, 0
	.section	.AMDGPU.csdata,"",@progbits
; Kernel info:
; codeLenInByte = 2468
; TotalNumSgprs: 38
; NumVgprs: 36
; ScratchSize: 0
; MemoryBound: 0
; FloatMode: 240
; IeeeMode: 1
; LDSByteSize: 0 bytes/workgroup (compile time only)
; SGPRBlocks: 4
; VGPRBlocks: 8
; NumSGPRsForWavesPerEU: 38
; NumVGPRsForWavesPerEU: 36
; Occupancy: 7
; WaveLimiterHint : 0
; COMPUTE_PGM_RSRC2:SCRATCH_EN: 0
; COMPUTE_PGM_RSRC2:USER_SGPR: 6
; COMPUTE_PGM_RSRC2:TRAP_HANDLER: 0
; COMPUTE_PGM_RSRC2:TGID_X_EN: 1
; COMPUTE_PGM_RSRC2:TGID_Y_EN: 0
; COMPUTE_PGM_RSRC2:TGID_Z_EN: 0
; COMPUTE_PGM_RSRC2:TIDIG_COMP_CNT: 0
	.section	.text._ZN2at6native12_GLOBAL__N_125multi_tensor_apply_kernelINS1_18TensorListMetadataILi2EEENS1_14UnaryOpFunctorIN3c108BFloat16ELi2ELi1ELi1EEEJNS0_4AcosIfEEEEEvT_T0_DpT1_,"axG",@progbits,_ZN2at6native12_GLOBAL__N_125multi_tensor_apply_kernelINS1_18TensorListMetadataILi2EEENS1_14UnaryOpFunctorIN3c108BFloat16ELi2ELi1ELi1EEEJNS0_4AcosIfEEEEEvT_T0_DpT1_,comdat
	.globl	_ZN2at6native12_GLOBAL__N_125multi_tensor_apply_kernelINS1_18TensorListMetadataILi2EEENS1_14UnaryOpFunctorIN3c108BFloat16ELi2ELi1ELi1EEEJNS0_4AcosIfEEEEEvT_T0_DpT1_ ; -- Begin function _ZN2at6native12_GLOBAL__N_125multi_tensor_apply_kernelINS1_18TensorListMetadataILi2EEENS1_14UnaryOpFunctorIN3c108BFloat16ELi2ELi1ELi1EEEJNS0_4AcosIfEEEEEvT_T0_DpT1_
	.p2align	8
	.type	_ZN2at6native12_GLOBAL__N_125multi_tensor_apply_kernelINS1_18TensorListMetadataILi2EEENS1_14UnaryOpFunctorIN3c108BFloat16ELi2ELi1ELi1EEEJNS0_4AcosIfEEEEEvT_T0_DpT1_,@function
_ZN2at6native12_GLOBAL__N_125multi_tensor_apply_kernelINS1_18TensorListMetadataILi2EEENS1_14UnaryOpFunctorIN3c108BFloat16ELi2ELi1ELi1EEEJNS0_4AcosIfEEEEEvT_T0_DpT1_: ; @_ZN2at6native12_GLOBAL__N_125multi_tensor_apply_kernelINS1_18TensorListMetadataILi2EEENS1_14UnaryOpFunctorIN3c108BFloat16ELi2ELi1ELi1EEEJNS0_4AcosIfEEEEEvT_T0_DpT1_
; %bb.0:
	v_mov_b32_e32 v1, s6
	global_load_ubyte v1, v1, s[4:5] offset:1536
	s_add_u32 s0, s4, s6
	s_mul_hi_u32 s2, s6, 3
	s_mul_i32 s6, s6, 3
	s_addc_u32 s7, s5, 0
	s_add_u32 s6, s0, s6
	s_addc_u32 s7, s7, s2
	s_load_dword s6, s[6:7], 0x740
	s_mov_b32 s1, 0
	s_mov_b32 s3, s1
	s_waitcnt lgkmcnt(0)
	s_ashr_i32 s7, s6, 31
	s_lshl_b64 s[14:15], s[6:7], 17
	s_lshl_b64 s[6:7], s[6:7], 16
	s_waitcnt vmcnt(0)
	v_readfirstlane_b32 s0, v1
	s_lshl_b32 s0, s0, 3
	s_load_dwordx2 s[8:9], s[4:5], s0 offset:0x400
	s_load_dwordx2 s[18:19], s[4:5], s0 offset:0x0
	;; [unrolled: 1-line block ×3, first 2 shown]
	s_waitcnt lgkmcnt(0)
	s_add_u32 s0, s18, s14
	s_and_b32 s2, s16, 7
	s_and_b32 s0, s0, 7
	s_sub_u32 s20, s8, s6
	s_subb_u32 s21, s9, s7
	s_and_b32 s6, s8, 3
	s_mov_b32 s7, s1
	s_or_b64 s[2:3], s[2:3], s[6:7]
	s_or_b64 s[0:1], s[2:3], s[0:1]
	s_cmp_eq_u64 s[0:1], 0
	s_mov_b64 s[0:1], -1
	s_cbranch_scc0 .LBB45_5
; %bb.1:
	v_mov_b32_e32 v1, 0x10000
	v_mov_b32_e32 v2, 0
	v_cmp_lt_i64_e32 vcc, s[20:21], v[1:2]
	v_mov_b32_e32 v2, 0
	s_and_b64 s[0:1], vcc, exec
	s_cselect_b32 s23, s21, 0
	s_cselect_b32 s22, s20, 0x10000
	v_lshlrev_b32_e32 v1, 2, v0
	v_cmp_gt_i64_e32 vcc, s[22:23], v[1:2]
	s_and_saveexec_b64 s[24:25], vcc
	s_cbranch_execz .LBB45_4
; %bb.2:
	s_load_dword s0, s[4:5], 0xc5c
	v_mov_b32_e32 v1, v2
	v_lshlrev_b32_e32 v2, 3, v0
	v_mov_b32_e32 v4, s15
	v_add_co_u32_e32 v3, vcc, s14, v2
	s_waitcnt lgkmcnt(0)
	s_and_b32 s28, s0, 0xffff
	v_mov_b32_e32 v2, v1
	v_addc_co_u32_e32 v4, vcc, 0, v4, vcc
	s_lshl_b32 s29, s28, 3
	s_mov_b64 s[26:27], 0
	v_mov_b32_e32 v5, s19
	v_mov_b32_e32 v6, 0x3d034c3c
	;; [unrolled: 1-line block ×5, first 2 shown]
	s_movk_i32 s30, 0x7fff
	v_mov_b32_e32 v10, s17
	v_mov_b32_e32 v11, 0x7fc00000
	;; [unrolled: 1-line block ×4, first 2 shown]
.LBB45_3:                               ; =>This Inner Loop Header: Depth=1
	v_add_co_u32_e32 v13, vcc, s18, v3
	v_addc_co_u32_e32 v14, vcc, v5, v4, vcc
	global_load_dwordx2 v[13:14], v[13:14], off
	v_add_co_u32_e32 v1, vcc, s28, v1
	v_addc_co_u32_e32 v2, vcc, 0, v2, vcc
	v_add_co_u32_e32 v15, vcc, s16, v3
	v_addc_co_u32_e32 v16, vcc, v10, v4, vcc
	v_add_co_u32_e32 v3, vcc, s29, v3
	v_lshlrev_b64 v[17:18], 2, v[1:2]
	v_addc_co_u32_e32 v4, vcc, 0, v4, vcc
	v_cmp_le_i64_e32 vcc, s[22:23], v[17:18]
	v_mov_b32_e32 v19, 0x3c5fc5da
	s_or_b64 s[26:27], vcc, s[26:27]
	v_mov_b32_e32 v20, 0x3c5fc5da
	v_mov_b32_e32 v21, 0x3c5fc5da
	;; [unrolled: 1-line block ×3, first 2 shown]
	s_waitcnt vmcnt(0)
	v_and_b32_e32 v17, 0xffff0000, v13
	v_lshlrev_b32_e32 v18, 16, v13
	v_alignbit_b32 v13, v14, v13, 16
	v_and_b32_e32 v14, 0xffff0000, v14
	v_fma_f32 v23, |v18|, -0.5, 0.5
	v_mul_f32_e32 v24, v18, v18
	v_fma_f32 v25, |v17|, -0.5, 0.5
	v_mul_f32_e32 v26, v17, v17
	v_and_b32_e32 v13, 0xffff0000, v13
	v_fma_f32 v27, |v14|, -0.5, 0.5
	v_mul_f32_e32 v28, v14, v14
	v_cmp_gt_f32_e64 vcc, |v14|, 0.5
	v_cmp_gt_f32_e64 s[0:1], |v17|, 0.5
	v_cmp_gt_f32_e64 s[2:3], |v18|, 0.5
	v_cndmask_b32_e64 v23, v24, v23, s[2:3]
	v_cndmask_b32_e64 v24, v26, v25, s[0:1]
	v_fma_f32 v25, |v13|, -0.5, 0.5
	v_cndmask_b32_e32 v26, v28, v27, vcc
	v_mul_f32_e32 v27, v13, v13
	v_cmp_gt_f32_e64 s[6:7], |v13|, 0.5
	v_fmac_f32_e32 v19, 0x3d1c21a7, v23
	v_cndmask_b32_e64 v25, v27, v25, s[6:7]
	v_fmac_f32_e32 v20, 0x3d1c21a7, v24
	v_fmac_f32_e32 v21, 0x3d1c21a7, v26
	v_fma_f32 v19, v23, v19, v6
	v_fma_f32 v20, v24, v20, v6
	;; [unrolled: 1-line block ×3, first 2 shown]
	v_fmac_f32_e32 v22, 0x3d1c21a7, v25
	v_sqrt_f32_e32 v27, v23
	v_sqrt_f32_e32 v28, v24
	;; [unrolled: 1-line block ×3, first 2 shown]
	v_fma_f32 v19, v23, v19, v7
	v_fma_f32 v20, v24, v20, v7
	;; [unrolled: 1-line block ×4, first 2 shown]
	v_sqrt_f32_e32 v30, v25
	v_fma_f32 v19, v23, v19, v8
	v_fma_f32 v20, v24, v20, v8
	;; [unrolled: 1-line block ×8, first 2 shown]
	v_mul_f32_e32 v19, v23, v19
	v_mul_f32_e32 v20, v24, v20
	;; [unrolled: 1-line block ×3, first 2 shown]
	v_fma_f32 v22, v25, v22, v9
	v_fmac_f32_e32 v27, v27, v19
	v_fmac_f32_e32 v28, v28, v20
	;; [unrolled: 1-line block ×3, first 2 shown]
	v_mul_f32_e32 v22, v25, v22
	v_add_f32_e32 v23, v27, v27
	v_add_f32_e32 v24, v28, v28
	;; [unrolled: 1-line block ×3, first 2 shown]
	v_fmac_f32_e32 v30, v30, v22
	v_sub_f32_e32 v26, 0x40490fdb, v23
	v_cmp_gt_f32_e64 s[8:9], 0, v18
	v_fmac_f32_e32 v18, v18, v19
	v_sub_f32_e32 v19, 0x40490fdb, v24
	v_cmp_gt_f32_e64 s[10:11], 0, v17
	;; [unrolled: 3-line block ×3, first 2 shown]
	v_fmac_f32_e32 v14, v14, v21
	v_add_f32_e32 v21, v30, v30
	v_cndmask_b32_e64 v23, v23, v26, s[8:9]
	v_cndmask_b32_e64 v19, v24, v19, s[10:11]
	v_sub_f32_e32 v24, 0x40490fdb, v21
	v_cmp_gt_f32_e64 s[8:9], 0, v13
	v_fmac_f32_e32 v13, v13, v22
	v_sub_f32_e32 v18, 0x3fc90fdb, v18
	v_sub_f32_e32 v17, 0x3fc90fdb, v17
	v_cndmask_b32_e64 v20, v25, v20, s[12:13]
	v_sub_f32_e32 v14, 0x3fc90fdb, v14
	v_cndmask_b32_e64 v18, v18, v23, s[2:3]
	v_cndmask_b32_e64 v17, v17, v19, s[0:1]
	;; [unrolled: 1-line block ×3, first 2 shown]
	v_sub_f32_e32 v13, 0x3fc90fdb, v13
	v_cndmask_b32_e32 v14, v14, v20, vcc
	v_bfe_u32 v20, v18, 16, 1
	v_bfe_u32 v21, v17, 16, 1
	v_cndmask_b32_e64 v13, v13, v19, s[6:7]
	v_bfe_u32 v19, v14, 16, 1
	v_add3_u32 v20, v18, v20, s30
	v_add3_u32 v21, v17, v21, s30
	v_bfe_u32 v22, v13, 16, 1
	v_add3_u32 v19, v14, v19, s30
	v_lshrrev_b32_e32 v20, 16, v20
	v_and_b32_e32 v21, 0xffff0000, v21
	v_add3_u32 v22, v13, v22, s30
	v_and_b32_e32 v19, 0xffff0000, v19
	v_cmp_o_f32_e32 vcc, v14, v14
	v_cmp_o_f32_e64 s[0:1], v17, v17
	v_cmp_o_f32_e64 s[2:3], v18, v18
	v_lshrrev_b32_e32 v14, 16, v22
	v_cndmask_b32_e32 v17, v11, v19, vcc
	v_cndmask_b32_e64 v18, v11, v21, s[0:1]
	v_cndmask_b32_e64 v19, v12, v20, s[2:3]
	v_cmp_o_f32_e32 vcc, v13, v13
	v_cndmask_b32_e32 v13, v12, v14, vcc
	v_or_b32_e32 v18, v19, v18
	v_or3_b32 v14, 0, v13, v17
	v_or3_b32 v13, v18, 0, 0
	global_store_dwordx2 v[15:16], v[13:14], off
	s_andn2_b64 exec, exec, s[26:27]
	s_cbranch_execnz .LBB45_3
.LBB45_4:
	s_or_b64 exec, exec, s[24:25]
	s_mov_b64 s[0:1], 0
.LBB45_5:
	s_andn2_b64 vcc, exec, s[0:1]
	s_cbranch_vccnz .LBB45_25
; %bb.6:
	v_cmp_lt_i64_e64 s[0:1], s[20:21], 1
	s_and_b64 vcc, exec, s[0:1]
	s_cbranch_vccnz .LBB45_25
; %bb.7:
	v_mov_b32_e32 v1, 0x10000
	s_load_dword s2, s[4:5], 0xc5c
	v_mov_b32_e32 v2, 0
	v_cmp_lt_i64_e32 vcc, s[20:21], v[1:2]
	v_mov_b32_e32 v10, 0
	s_and_b64 s[0:1], vcc, exec
	v_cmp_lt_u64_e32 vcc, s[20:21], v[1:2]
	s_cselect_b32 s9, s21, 0
	s_cselect_b32 s8, s20, 0x10000
	s_waitcnt lgkmcnt(0)
	s_and_b32 s2, s2, 0xffff
	v_lshlrev_b32_e32 v9, 1, v0
	s_and_b64 s[0:1], vcc, exec
	v_mov_b32_e32 v2, s19
	v_add_co_u32_e32 v1, vcc, s18, v9
	v_mad_u64_u32 v[7:8], s[0:1], s2, 6, v[9:10]
	v_addc_co_u32_e32 v2, vcc, 0, v2, vcc
	v_mov_b32_e32 v4, s17
	v_add_co_u32_e32 v3, vcc, s16, v9
	v_addc_co_u32_e32 v4, vcc, 0, v4, vcc
	v_mov_b32_e32 v6, s19
	v_add_co_u32_e32 v5, vcc, s18, v7
	;; [unrolled: 3-line block ×3, first 2 shown]
	s_cselect_b32 s11, s21, 0
	s_cselect_b32 s10, s20, 0x10000
	s_lshl_b32 s20, s2, 2
	v_addc_co_u32_e32 v8, vcc, v10, v8, vcc
	v_add_co_u32_e32 v11, vcc, s20, v9
	v_addc_co_u32_e64 v12, s[0:1], 0, 0, vcc
	v_mov_b32_e32 v10, s19
	v_add_co_u32_e32 v9, vcc, s18, v11
	v_addc_co_u32_e32 v10, vcc, v10, v12, vcc
	v_mov_b32_e32 v13, s17
	v_add_co_u32_e32 v11, vcc, s16, v11
	v_addc_co_u32_e32 v12, vcc, v13, v12, vcc
	v_add_co_u32_e32 v13, vcc, s2, v0
	v_lshlrev_b32_e32 v17, 1, v13
	v_addc_co_u32_e64 v14, s[0:1], 0, 0, vcc
	v_mov_b32_e32 v16, s19
	v_add_co_u32_e32 v15, vcc, s18, v17
	v_addc_co_u32_e32 v16, vcc, 0, v16, vcc
	v_mov_b32_e32 v18, s17
	v_add_co_u32_e32 v17, vcc, s16, v17
	s_mul_i32 s4, s2, 3
	v_addc_co_u32_e32 v18, vcc, 0, v18, vcc
	s_lshl_b32 s3, s2, 1
	v_add_co_u32_e32 v19, vcc, s4, v0
	v_addc_co_u32_e64 v20, s[0:1], 0, 0, vcc
	v_add_co_u32_e32 v21, vcc, s3, v0
	s_lshl_b32 s21, s2, 3
	s_mov_b64 s[12:13], 0
	s_movk_i32 s18, 0x7fff
	v_addc_co_u32_e64 v22, s[0:1], 0, 0, vcc
	v_mov_b32_e32 v23, 0x3d034c3c
	v_mov_b32_e32 v24, 0x3d3641b1
	;; [unrolled: 1-line block ×5, first 2 shown]
	s_branch .LBB45_9
.LBB45_8:                               ;   in Loop: Header=BB45_9 Depth=1
	s_or_b64 exec, exec, s[2:3]
	v_add_co_u32_e32 v1, vcc, s21, v1
	v_addc_co_u32_e32 v2, vcc, 0, v2, vcc
	v_add_co_u32_e32 v3, vcc, s21, v3
	v_addc_co_u32_e32 v4, vcc, 0, v4, vcc
	v_add_co_u32_e32 v5, vcc, s21, v5
	v_addc_co_u32_e32 v6, vcc, 0, v6, vcc
	v_add_co_u32_e32 v7, vcc, s21, v7
	v_addc_co_u32_e32 v8, vcc, 0, v8, vcc
	v_add_co_u32_e32 v9, vcc, s21, v9
	v_addc_co_u32_e32 v10, vcc, 0, v10, vcc
	v_add_co_u32_e32 v11, vcc, s21, v11
	v_addc_co_u32_e32 v12, vcc, 0, v12, vcc
	s_add_u32 s12, s12, s20
	v_add_co_u32_e32 v15, vcc, s21, v15
	v_mov_b32_e32 v29, s9
	s_addc_u32 s13, s13, 0
	v_addc_co_u32_e32 v16, vcc, 0, v16, vcc
	v_mov_b32_e32 v28, s8
	v_cmp_ge_i64_e32 vcc, s[12:13], v[28:29]
	v_add_co_u32_e64 v17, s[0:1], s21, v17
	v_addc_co_u32_e64 v18, s[0:1], 0, v18, s[0:1]
	s_cbranch_vccnz .LBB45_25
.LBB45_9:                               ; =>This Inner Loop Header: Depth=1
	v_mov_b32_e32 v29, s13
	v_add_co_u32_e32 v28, vcc, s12, v0
	v_addc_co_u32_e32 v29, vcc, 0, v29, vcc
	v_cmp_gt_u64_e32 vcc, s[10:11], v[28:29]
	v_mov_b32_e32 v31, 0
	s_and_saveexec_b64 s[2:3], vcc
	s_cbranch_execz .LBB45_11
; %bb.10:                               ;   in Loop: Header=BB45_9 Depth=1
	v_mov_b32_e32 v29, s15
	v_add_co_u32_e64 v28, s[0:1], s14, v1
	v_addc_co_u32_e64 v29, s[0:1], v2, v29, s[0:1]
	global_load_ushort v28, v[28:29], off
	s_waitcnt vmcnt(0)
	v_lshlrev_b32_e32 v31, 16, v28
.LBB45_11:                              ;   in Loop: Header=BB45_9 Depth=1
	s_or_b64 exec, exec, s[2:3]
	v_mov_b32_e32 v29, s13
	v_add_co_u32_e64 v28, s[0:1], s12, v13
	v_addc_co_u32_e64 v29, s[0:1], v14, v29, s[0:1]
	v_cmp_gt_u64_e64 s[4:5], s[10:11], v[28:29]
	v_mov_b32_e32 v28, 0
	v_mov_b32_e32 v30, 0
	s_and_saveexec_b64 s[2:3], s[4:5]
	s_cbranch_execz .LBB45_13
; %bb.12:                               ;   in Loop: Header=BB45_9 Depth=1
	v_mov_b32_e32 v30, s15
	v_add_co_u32_e64 v29, s[0:1], s14, v15
	v_addc_co_u32_e64 v30, s[0:1], v16, v30, s[0:1]
	global_load_ushort v29, v[29:30], off
	s_waitcnt vmcnt(0)
	v_lshlrev_b32_e32 v30, 16, v29
.LBB45_13:                              ;   in Loop: Header=BB45_9 Depth=1
	s_or_b64 exec, exec, s[2:3]
	v_mov_b32_e32 v29, s13
	v_add_co_u32_e64 v32, s[0:1], s12, v21
	v_addc_co_u32_e64 v33, s[0:1], v22, v29, s[0:1]
	v_cmp_gt_u64_e64 s[2:3], s[10:11], v[32:33]
	s_and_saveexec_b64 s[6:7], s[2:3]
	s_cbranch_execz .LBB45_15
; %bb.14:                               ;   in Loop: Header=BB45_9 Depth=1
	v_mov_b32_e32 v29, s15
	v_add_co_u32_e64 v28, s[0:1], s14, v9
	v_addc_co_u32_e64 v29, s[0:1], v10, v29, s[0:1]
	global_load_ushort v28, v[28:29], off
	s_waitcnt vmcnt(0)
	v_lshlrev_b32_e32 v28, 16, v28
.LBB45_15:                              ;   in Loop: Header=BB45_9 Depth=1
	s_or_b64 exec, exec, s[6:7]
	v_mov_b32_e32 v29, s13
	v_add_co_u32_e64 v32, s[0:1], s12, v19
	v_addc_co_u32_e64 v33, s[0:1], v20, v29, s[0:1]
	v_cmp_gt_u64_e64 s[0:1], s[10:11], v[32:33]
	v_mov_b32_e32 v29, 0
	s_and_saveexec_b64 s[16:17], s[0:1]
	s_cbranch_execnz .LBB45_20
; %bb.16:                               ;   in Loop: Header=BB45_9 Depth=1
	s_or_b64 exec, exec, s[16:17]
	s_and_saveexec_b64 s[16:17], vcc
	s_cbranch_execnz .LBB45_21
.LBB45_17:                              ;   in Loop: Header=BB45_9 Depth=1
	s_or_b64 exec, exec, s[16:17]
	s_and_saveexec_b64 s[6:7], s[4:5]
	s_cbranch_execnz .LBB45_22
.LBB45_18:                              ;   in Loop: Header=BB45_9 Depth=1
	s_or_b64 exec, exec, s[6:7]
	s_and_saveexec_b64 s[4:5], s[2:3]
	s_cbranch_execnz .LBB45_23
.LBB45_19:                              ;   in Loop: Header=BB45_9 Depth=1
	s_or_b64 exec, exec, s[4:5]
	s_and_saveexec_b64 s[2:3], s[0:1]
	s_cbranch_execz .LBB45_8
	s_branch .LBB45_24
.LBB45_20:                              ;   in Loop: Header=BB45_9 Depth=1
	v_mov_b32_e32 v29, s15
	v_add_co_u32_e64 v32, s[6:7], s14, v5
	v_addc_co_u32_e64 v33, s[6:7], v6, v29, s[6:7]
	global_load_ushort v29, v[32:33], off
	s_waitcnt vmcnt(0)
	v_lshlrev_b32_e32 v29, 16, v29
	s_or_b64 exec, exec, s[16:17]
	s_and_saveexec_b64 s[16:17], vcc
	s_cbranch_execz .LBB45_17
.LBB45_21:                              ;   in Loop: Header=BB45_9 Depth=1
	v_fma_f32 v32, |v31|, -0.5, 0.5
	v_mul_f32_e32 v33, v31, v31
	v_cmp_gt_f32_e64 vcc, |v31|, 0.5
	v_cndmask_b32_e32 v32, v33, v32, vcc
	v_mov_b32_e32 v34, 0x3c5fc5da
	v_fmac_f32_e32 v34, 0x3d1c21a7, v32
	v_fma_f32 v34, v32, v34, v23
	v_sqrt_f32_e32 v33, v32
	v_fma_f32 v34, v32, v34, v24
	v_fma_f32 v34, v32, v34, v25
	;; [unrolled: 1-line block ×3, first 2 shown]
	v_mul_f32_e32 v32, v32, v34
	v_fmac_f32_e32 v33, v33, v32
	v_add_f32_e32 v33, v33, v33
	v_sub_f32_e32 v34, 0x40490fdb, v33
	v_cmp_gt_f32_e64 s[6:7], 0, v31
	v_fmac_f32_e32 v31, v31, v32
	v_cndmask_b32_e64 v33, v33, v34, s[6:7]
	v_sub_f32_e32 v31, 0x3fc90fdb, v31
	v_cndmask_b32_e32 v31, v31, v33, vcc
	v_bfe_u32 v32, v31, 16, 1
	v_add3_u32 v32, v31, v32, s18
	v_cmp_o_f32_e32 vcc, v31, v31
	v_cndmask_b32_sdwa v33, v27, v32, vcc dst_sel:DWORD dst_unused:UNUSED_PAD src0_sel:DWORD src1_sel:WORD_1
	v_mov_b32_e32 v32, s15
	v_add_co_u32_e32 v31, vcc, s14, v3
	v_addc_co_u32_e32 v32, vcc, v4, v32, vcc
	global_store_short v[31:32], v33, off
	s_or_b64 exec, exec, s[16:17]
	s_and_saveexec_b64 s[6:7], s[4:5]
	s_cbranch_execz .LBB45_18
.LBB45_22:                              ;   in Loop: Header=BB45_9 Depth=1
	v_fma_f32 v31, |v30|, -0.5, 0.5
	v_mul_f32_e32 v32, v30, v30
	v_cmp_gt_f32_e64 vcc, |v30|, 0.5
	v_cndmask_b32_e32 v31, v32, v31, vcc
	v_mov_b32_e32 v32, 0x3c5fc5da
	v_fmac_f32_e32 v32, 0x3d1c21a7, v31
	v_fma_f32 v32, v31, v32, v23
	v_fma_f32 v32, v31, v32, v24
	v_sqrt_f32_e32 v33, v31
	v_fma_f32 v32, v31, v32, v25
	v_fma_f32 v32, v31, v32, v26
	v_mul_f32_e32 v31, v31, v32
	v_fmac_f32_e32 v33, v33, v31
	v_add_f32_e32 v32, v33, v33
	v_sub_f32_e32 v33, 0x40490fdb, v32
	v_cmp_gt_f32_e64 s[4:5], 0, v30
	v_fmac_f32_e32 v30, v30, v31
	v_cndmask_b32_e64 v32, v32, v33, s[4:5]
	v_sub_f32_e32 v30, 0x3fc90fdb, v30
	v_cndmask_b32_e32 v30, v30, v32, vcc
	v_bfe_u32 v31, v30, 16, 1
	v_add3_u32 v31, v30, v31, s18
	v_cmp_o_f32_e32 vcc, v30, v30
	v_cndmask_b32_sdwa v32, v27, v31, vcc dst_sel:DWORD dst_unused:UNUSED_PAD src0_sel:DWORD src1_sel:WORD_1
	v_mov_b32_e32 v31, s15
	v_add_co_u32_e32 v30, vcc, s14, v17
	v_addc_co_u32_e32 v31, vcc, v18, v31, vcc
	global_store_short v[30:31], v32, off
	s_or_b64 exec, exec, s[6:7]
	s_and_saveexec_b64 s[4:5], s[2:3]
	s_cbranch_execz .LBB45_19
.LBB45_23:                              ;   in Loop: Header=BB45_9 Depth=1
	v_fma_f32 v30, |v28|, -0.5, 0.5
	v_mul_f32_e32 v31, v28, v28
	v_cmp_gt_f32_e64 vcc, |v28|, 0.5
	v_cndmask_b32_e32 v30, v31, v30, vcc
	v_mov_b32_e32 v31, 0x3c5fc5da
	v_fmac_f32_e32 v31, 0x3d1c21a7, v30
	v_fma_f32 v31, v30, v31, v23
	v_fma_f32 v31, v30, v31, v24
	v_sqrt_f32_e32 v32, v30
	v_fma_f32 v31, v30, v31, v25
	v_fma_f32 v31, v30, v31, v26
	v_mul_f32_e32 v30, v30, v31
	v_fmac_f32_e32 v32, v32, v30
	v_add_f32_e32 v31, v32, v32
	v_sub_f32_e32 v32, 0x40490fdb, v31
	v_cmp_gt_f32_e64 s[2:3], 0, v28
	v_fmac_f32_e32 v28, v28, v30
	v_cndmask_b32_e64 v31, v31, v32, s[2:3]
	v_sub_f32_e32 v28, 0x3fc90fdb, v28
	v_cndmask_b32_e32 v28, v28, v31, vcc
	v_bfe_u32 v30, v28, 16, 1
	v_add3_u32 v30, v28, v30, s18
	v_cmp_o_f32_e32 vcc, v28, v28
	v_cndmask_b32_sdwa v28, v27, v30, vcc dst_sel:DWORD dst_unused:UNUSED_PAD src0_sel:DWORD src1_sel:WORD_1
	v_mov_b32_e32 v31, s15
	v_add_co_u32_e32 v30, vcc, s14, v11
	v_addc_co_u32_e32 v31, vcc, v12, v31, vcc
	global_store_short v[30:31], v28, off
	s_or_b64 exec, exec, s[4:5]
	s_and_saveexec_b64 s[2:3], s[0:1]
	s_cbranch_execz .LBB45_8
.LBB45_24:                              ;   in Loop: Header=BB45_9 Depth=1
	v_fma_f32 v28, |v29|, -0.5, 0.5
	v_mul_f32_e32 v30, v29, v29
	v_cmp_gt_f32_e64 vcc, |v29|, 0.5
	v_cndmask_b32_e32 v28, v30, v28, vcc
	v_mov_b32_e32 v30, 0x3c5fc5da
	v_fmac_f32_e32 v30, 0x3d1c21a7, v28
	v_fma_f32 v30, v28, v30, v23
	v_fma_f32 v30, v28, v30, v24
	v_sqrt_f32_e32 v31, v28
	v_fma_f32 v30, v28, v30, v25
	v_fma_f32 v30, v28, v30, v26
	v_mul_f32_e32 v28, v28, v30
	v_fmac_f32_e32 v31, v31, v28
	v_add_f32_e32 v30, v31, v31
	v_sub_f32_e32 v31, 0x40490fdb, v30
	v_cmp_gt_f32_e64 s[0:1], 0, v29
	v_fmac_f32_e32 v29, v29, v28
	v_cndmask_b32_e64 v30, v30, v31, s[0:1]
	v_sub_f32_e32 v28, 0x3fc90fdb, v29
	v_cndmask_b32_e32 v28, v28, v30, vcc
	v_bfe_u32 v29, v28, 16, 1
	v_add3_u32 v29, v28, v29, s18
	v_cmp_o_f32_e32 vcc, v28, v28
	v_cndmask_b32_sdwa v30, v27, v29, vcc dst_sel:DWORD dst_unused:UNUSED_PAD src0_sel:DWORD src1_sel:WORD_1
	v_mov_b32_e32 v29, s15
	v_add_co_u32_e32 v28, vcc, s14, v7
	v_addc_co_u32_e32 v29, vcc, v8, v29, vcc
	global_store_short v[28:29], v30, off
	s_branch .LBB45_8
.LBB45_25:
	s_endpgm
	.section	.rodata,"a",@progbits
	.p2align	6, 0x0
	.amdhsa_kernel _ZN2at6native12_GLOBAL__N_125multi_tensor_apply_kernelINS1_18TensorListMetadataILi2EEENS1_14UnaryOpFunctorIN3c108BFloat16ELi2ELi1ELi1EEEJNS0_4AcosIfEEEEEvT_T0_DpT1_
		.amdhsa_group_segment_fixed_size 0
		.amdhsa_private_segment_fixed_size 0
		.amdhsa_kernarg_size 3408
		.amdhsa_user_sgpr_count 6
		.amdhsa_user_sgpr_private_segment_buffer 1
		.amdhsa_user_sgpr_dispatch_ptr 0
		.amdhsa_user_sgpr_queue_ptr 0
		.amdhsa_user_sgpr_kernarg_segment_ptr 1
		.amdhsa_user_sgpr_dispatch_id 0
		.amdhsa_user_sgpr_flat_scratch_init 0
		.amdhsa_user_sgpr_private_segment_size 0
		.amdhsa_uses_dynamic_stack 0
		.amdhsa_system_sgpr_private_segment_wavefront_offset 0
		.amdhsa_system_sgpr_workgroup_id_x 1
		.amdhsa_system_sgpr_workgroup_id_y 0
		.amdhsa_system_sgpr_workgroup_id_z 0
		.amdhsa_system_sgpr_workgroup_info 0
		.amdhsa_system_vgpr_workitem_id 0
		.amdhsa_next_free_vgpr 35
		.amdhsa_next_free_sgpr 31
		.amdhsa_reserve_vcc 1
		.amdhsa_reserve_flat_scratch 0
		.amdhsa_float_round_mode_32 0
		.amdhsa_float_round_mode_16_64 0
		.amdhsa_float_denorm_mode_32 3
		.amdhsa_float_denorm_mode_16_64 3
		.amdhsa_dx10_clamp 1
		.amdhsa_ieee_mode 1
		.amdhsa_fp16_overflow 0
		.amdhsa_exception_fp_ieee_invalid_op 0
		.amdhsa_exception_fp_denorm_src 0
		.amdhsa_exception_fp_ieee_div_zero 0
		.amdhsa_exception_fp_ieee_overflow 0
		.amdhsa_exception_fp_ieee_underflow 0
		.amdhsa_exception_fp_ieee_inexact 0
		.amdhsa_exception_int_div_zero 0
	.end_amdhsa_kernel
	.section	.text._ZN2at6native12_GLOBAL__N_125multi_tensor_apply_kernelINS1_18TensorListMetadataILi2EEENS1_14UnaryOpFunctorIN3c108BFloat16ELi2ELi1ELi1EEEJNS0_4AcosIfEEEEEvT_T0_DpT1_,"axG",@progbits,_ZN2at6native12_GLOBAL__N_125multi_tensor_apply_kernelINS1_18TensorListMetadataILi2EEENS1_14UnaryOpFunctorIN3c108BFloat16ELi2ELi1ELi1EEEJNS0_4AcosIfEEEEEvT_T0_DpT1_,comdat
.Lfunc_end45:
	.size	_ZN2at6native12_GLOBAL__N_125multi_tensor_apply_kernelINS1_18TensorListMetadataILi2EEENS1_14UnaryOpFunctorIN3c108BFloat16ELi2ELi1ELi1EEEJNS0_4AcosIfEEEEEvT_T0_DpT1_, .Lfunc_end45-_ZN2at6native12_GLOBAL__N_125multi_tensor_apply_kernelINS1_18TensorListMetadataILi2EEENS1_14UnaryOpFunctorIN3c108BFloat16ELi2ELi1ELi1EEEJNS0_4AcosIfEEEEEvT_T0_DpT1_
                                        ; -- End function
	.set _ZN2at6native12_GLOBAL__N_125multi_tensor_apply_kernelINS1_18TensorListMetadataILi2EEENS1_14UnaryOpFunctorIN3c108BFloat16ELi2ELi1ELi1EEEJNS0_4AcosIfEEEEEvT_T0_DpT1_.num_vgpr, 35
	.set _ZN2at6native12_GLOBAL__N_125multi_tensor_apply_kernelINS1_18TensorListMetadataILi2EEENS1_14UnaryOpFunctorIN3c108BFloat16ELi2ELi1ELi1EEEJNS0_4AcosIfEEEEEvT_T0_DpT1_.num_agpr, 0
	.set _ZN2at6native12_GLOBAL__N_125multi_tensor_apply_kernelINS1_18TensorListMetadataILi2EEENS1_14UnaryOpFunctorIN3c108BFloat16ELi2ELi1ELi1EEEJNS0_4AcosIfEEEEEvT_T0_DpT1_.numbered_sgpr, 31
	.set _ZN2at6native12_GLOBAL__N_125multi_tensor_apply_kernelINS1_18TensorListMetadataILi2EEENS1_14UnaryOpFunctorIN3c108BFloat16ELi2ELi1ELi1EEEJNS0_4AcosIfEEEEEvT_T0_DpT1_.num_named_barrier, 0
	.set _ZN2at6native12_GLOBAL__N_125multi_tensor_apply_kernelINS1_18TensorListMetadataILi2EEENS1_14UnaryOpFunctorIN3c108BFloat16ELi2ELi1ELi1EEEJNS0_4AcosIfEEEEEvT_T0_DpT1_.private_seg_size, 0
	.set _ZN2at6native12_GLOBAL__N_125multi_tensor_apply_kernelINS1_18TensorListMetadataILi2EEENS1_14UnaryOpFunctorIN3c108BFloat16ELi2ELi1ELi1EEEJNS0_4AcosIfEEEEEvT_T0_DpT1_.uses_vcc, 1
	.set _ZN2at6native12_GLOBAL__N_125multi_tensor_apply_kernelINS1_18TensorListMetadataILi2EEENS1_14UnaryOpFunctorIN3c108BFloat16ELi2ELi1ELi1EEEJNS0_4AcosIfEEEEEvT_T0_DpT1_.uses_flat_scratch, 0
	.set _ZN2at6native12_GLOBAL__N_125multi_tensor_apply_kernelINS1_18TensorListMetadataILi2EEENS1_14UnaryOpFunctorIN3c108BFloat16ELi2ELi1ELi1EEEJNS0_4AcosIfEEEEEvT_T0_DpT1_.has_dyn_sized_stack, 0
	.set _ZN2at6native12_GLOBAL__N_125multi_tensor_apply_kernelINS1_18TensorListMetadataILi2EEENS1_14UnaryOpFunctorIN3c108BFloat16ELi2ELi1ELi1EEEJNS0_4AcosIfEEEEEvT_T0_DpT1_.has_recursion, 0
	.set _ZN2at6native12_GLOBAL__N_125multi_tensor_apply_kernelINS1_18TensorListMetadataILi2EEENS1_14UnaryOpFunctorIN3c108BFloat16ELi2ELi1ELi1EEEJNS0_4AcosIfEEEEEvT_T0_DpT1_.has_indirect_call, 0
	.section	.AMDGPU.csdata,"",@progbits
; Kernel info:
; codeLenInByte = 2680
; TotalNumSgprs: 35
; NumVgprs: 35
; ScratchSize: 0
; MemoryBound: 0
; FloatMode: 240
; IeeeMode: 1
; LDSByteSize: 0 bytes/workgroup (compile time only)
; SGPRBlocks: 4
; VGPRBlocks: 8
; NumSGPRsForWavesPerEU: 35
; NumVGPRsForWavesPerEU: 35
; Occupancy: 7
; WaveLimiterHint : 0
; COMPUTE_PGM_RSRC2:SCRATCH_EN: 0
; COMPUTE_PGM_RSRC2:USER_SGPR: 6
; COMPUTE_PGM_RSRC2:TRAP_HANDLER: 0
; COMPUTE_PGM_RSRC2:TGID_X_EN: 1
; COMPUTE_PGM_RSRC2:TGID_Y_EN: 0
; COMPUTE_PGM_RSRC2:TGID_Z_EN: 0
; COMPUTE_PGM_RSRC2:TIDIG_COMP_CNT: 0
	.section	.text._ZN2at6native12_GLOBAL__N_125multi_tensor_apply_kernelINS1_18TensorListMetadataILi1EEENS1_14UnaryOpFunctorIdLi1ELi1ELi0EEEJNS0_4AcosIdEEEEEvT_T0_DpT1_,"axG",@progbits,_ZN2at6native12_GLOBAL__N_125multi_tensor_apply_kernelINS1_18TensorListMetadataILi1EEENS1_14UnaryOpFunctorIdLi1ELi1ELi0EEEJNS0_4AcosIdEEEEEvT_T0_DpT1_,comdat
	.globl	_ZN2at6native12_GLOBAL__N_125multi_tensor_apply_kernelINS1_18TensorListMetadataILi1EEENS1_14UnaryOpFunctorIdLi1ELi1ELi0EEEJNS0_4AcosIdEEEEEvT_T0_DpT1_ ; -- Begin function _ZN2at6native12_GLOBAL__N_125multi_tensor_apply_kernelINS1_18TensorListMetadataILi1EEENS1_14UnaryOpFunctorIdLi1ELi1ELi0EEEJNS0_4AcosIdEEEEEvT_T0_DpT1_
	.p2align	8
	.type	_ZN2at6native12_GLOBAL__N_125multi_tensor_apply_kernelINS1_18TensorListMetadataILi1EEENS1_14UnaryOpFunctorIdLi1ELi1ELi0EEEJNS0_4AcosIdEEEEEvT_T0_DpT1_,@function
_ZN2at6native12_GLOBAL__N_125multi_tensor_apply_kernelINS1_18TensorListMetadataILi1EEENS1_14UnaryOpFunctorIdLi1ELi1ELi0EEEJNS0_4AcosIdEEEEEvT_T0_DpT1_: ; @_ZN2at6native12_GLOBAL__N_125multi_tensor_apply_kernelINS1_18TensorListMetadataILi1EEENS1_14UnaryOpFunctorIdLi1ELi1ELi0EEEJNS0_4AcosIdEEEEEvT_T0_DpT1_
; %bb.0:
	v_mov_b32_e32 v1, s6
	global_load_ubyte v1, v1, s[4:5] offset:1760
	s_add_u32 s0, s4, s6
	s_mul_hi_u32 s1, s6, 3
	s_mul_i32 s6, s6, 3
	s_addc_u32 s2, s5, 0
	s_add_u32 s0, s0, s6
	s_addc_u32 s1, s2, s1
	s_load_dword s0, s[0:1], 0x820
	s_mov_b32 s7, 0
	s_waitcnt vmcnt(0)
	v_readfirstlane_b32 s1, v1
	s_lshl_b32 s1, s1, 3
	s_load_dwordx2 s[2:3], s[4:5], s1 offset:0x370
	s_load_dwordx2 s[10:11], s[4:5], s1 offset:0x0
	s_waitcnt lgkmcnt(0)
	s_ashr_i32 s1, s0, 31
	s_lshl_b64 s[12:13], s[0:1], 19
	s_lshl_b64 s[0:1], s[0:1], 16
	s_and_b32 s6, s10, 31
	s_sub_u32 s14, s2, s0
	s_subb_u32 s15, s3, s1
	s_and_b32 s0, s2, 3
	s_mov_b32 s1, s7
	s_or_b64 s[0:1], s[6:7], s[0:1]
	s_cmp_eq_u64 s[0:1], 0
	s_cbranch_scc1 .LBB46_29
; %bb.1:
	v_cmp_lt_i64_e64 s[0:1], s[14:15], 1
	s_and_b64 vcc, exec, s[0:1]
	s_cbranch_vccnz .LBB46_28
; %bb.2:
	v_mov_b32_e32 v1, 0x10000
	s_load_dword s2, s[4:5], 0xd3c
	v_mov_b32_e32 v2, 0
	v_cmp_lt_i64_e32 vcc, s[14:15], v[1:2]
	s_mov_b32 s22, 0x9fea6a70
	s_and_b64 s[0:1], vcc, exec
	v_cmp_lt_u64_e32 vcc, s[14:15], v[1:2]
	s_cselect_b32 s17, s15, 0
	s_cselect_b32 s16, s14, 0x10000
	s_waitcnt lgkmcnt(0)
	s_and_b32 s2, s2, 0xffff
	s_and_b64 s[0:1], vcc, exec
	s_cselect_b32 s19, s15, 0
	s_cselect_b32 s18, s14, 0x10000
	s_lshl_b32 s3, s2, 1
	s_lshl_b32 s33, s2, 2
	s_add_u32 s6, s10, s12
	v_lshlrev_b32_e32 v1, 3, v0
	s_addc_u32 s7, s11, s13
	v_mov_b32_e32 v2, s7
	v_add_co_u32_e32 v1, vcc, s6, v1
	s_mul_i32 s0, s2, 3
	v_addc_co_u32_e32 v2, vcc, 0, v2, vcc
	v_add_co_u32_e32 v23, vcc, s0, v0
	v_addc_co_u32_e64 v24, s[0:1], 0, 0, vcc
	v_add_co_u32_e32 v25, vcc, s3, v0
	v_addc_co_u32_e64 v26, s[0:1], 0, 0, vcc
	v_add_co_u32_e32 v27, vcc, s2, v0
	v_lshlrev_b32_e32 v3, 3, v27
	v_addc_co_u32_e64 v28, s[0:1], 0, 0, vcc
	v_mov_b32_e32 v4, s7
	v_add_co_u32_e32 v3, vcc, s6, v3
	s_mov_b32 s24, 0x37024d6a
	s_mov_b32 s26, 0x98a70509
	;; [unrolled: 1-line block ×11, first 2 shown]
	s_lshl_b32 s52, s2, 5
	s_mul_i32 s53, s2, 24
	s_lshl_b32 s54, s2, 4
	v_addc_co_u32_e32 v4, vcc, 0, v4, vcc
	s_mov_b64 s[20:21], 0
	s_mov_b32 s23, 0x3fa05985
	s_mov_b32 s25, 0x3f940521
	;; [unrolled: 1-line block ×13, first 2 shown]
	v_mov_b32_e32 v5, 0x78a05eaf
	v_mov_b32_e32 v6, 0xbf90a5a3
	v_mov_b32_e32 v7, 0xeeb562d6
	v_mov_b32_e32 v8, 0x3ffaf154
	v_mov_b32_e32 v29, 0x54442d18
	v_mov_b32_e32 v30, 0x400921fb
	s_branch .LBB46_4
.LBB46_3:                               ;   in Loop: Header=BB46_4 Depth=1
	s_or_b64 exec, exec, s[0:1]
	s_add_u32 s20, s20, s33
	v_add_co_u32_e32 v1, vcc, s52, v1
	v_mov_b32_e32 v9, s16
	s_addc_u32 s21, s21, 0
	v_addc_co_u32_e32 v2, vcc, 0, v2, vcc
	v_mov_b32_e32 v10, s17
	v_cmp_ge_i64_e32 vcc, s[20:21], v[9:10]
	v_add_co_u32_e64 v3, s[0:1], s52, v3
	v_addc_co_u32_e64 v4, s[0:1], 0, v4, s[0:1]
	s_cbranch_vccnz .LBB46_28
.LBB46_4:                               ; =>This Inner Loop Header: Depth=1
	v_mov_b32_e32 v10, s21
	v_add_co_u32_e32 v9, vcc, s20, v0
	v_addc_co_u32_e32 v10, vcc, 0, v10, vcc
	v_cmp_gt_u64_e32 vcc, s[18:19], v[9:10]
	v_mov_b32_e32 v15, 0
	v_mov_b32_e32 v17, 0
	;; [unrolled: 1-line block ×4, first 2 shown]
	s_and_saveexec_b64 s[0:1], vcc
	s_cbranch_execz .LBB46_6
; %bb.5:                                ;   in Loop: Header=BB46_4 Depth=1
	global_load_dwordx2 v[17:18], v[1:2], off
.LBB46_6:                               ;   in Loop: Header=BB46_4 Depth=1
	s_or_b64 exec, exec, s[0:1]
	v_mov_b32_e32 v10, s21
	v_add_co_u32_e64 v9, s[0:1], s20, v27
	v_addc_co_u32_e64 v10, s[0:1], v28, v10, s[0:1]
	v_cmp_gt_u64_e64 s[0:1], s[18:19], v[9:10]
	s_and_saveexec_b64 s[2:3], s[0:1]
	s_cbranch_execz .LBB46_8
; %bb.7:                                ;   in Loop: Header=BB46_4 Depth=1
	global_load_dwordx2 v[15:16], v[3:4], off
.LBB46_8:                               ;   in Loop: Header=BB46_4 Depth=1
	s_or_b64 exec, exec, s[2:3]
	v_mov_b32_e32 v10, s21
	v_add_co_u32_e64 v9, s[2:3], s20, v25
	v_addc_co_u32_e64 v10, s[2:3], v26, v10, s[2:3]
	v_cmp_gt_u64_e64 s[2:3], s[18:19], v[9:10]
	v_mov_b32_e32 v9, 0
	v_mov_b32_e32 v11, 0
	;; [unrolled: 1-line block ×4, first 2 shown]
	s_and_saveexec_b64 s[8:9], s[2:3]
	s_cbranch_execz .LBB46_10
; %bb.9:                                ;   in Loop: Header=BB46_4 Depth=1
	v_add_co_u32_e64 v11, s[6:7], s54, v1
	v_addc_co_u32_e64 v12, s[6:7], 0, v2, s[6:7]
	global_load_dwordx2 v[11:12], v[11:12], off
.LBB46_10:                              ;   in Loop: Header=BB46_4 Depth=1
	s_or_b64 exec, exec, s[8:9]
	v_mov_b32_e32 v14, s21
	v_add_co_u32_e64 v13, s[6:7], s20, v23
	v_addc_co_u32_e64 v14, s[6:7], v24, v14, s[6:7]
	v_cmp_gt_u64_e64 s[6:7], s[18:19], v[13:14]
	s_and_saveexec_b64 s[50:51], s[6:7]
	s_cbranch_execz .LBB46_12
; %bb.11:                               ;   in Loop: Header=BB46_4 Depth=1
	v_add_co_u32_e64 v9, s[8:9], s53, v1
	v_addc_co_u32_e64 v10, s[8:9], 0, v2, s[8:9]
	global_load_dwordx2 v[9:10], v[9:10], off
.LBB46_12:                              ;   in Loop: Header=BB46_4 Depth=1
	s_or_b64 exec, exec, s[50:51]
	s_waitcnt vmcnt(0)
	v_fma_f64 v[21:22], |v[17:18]|, -0.5, 0.5
	v_mul_f64 v[13:14], v[17:18], v[17:18]
	v_cmp_ge_f64_e64 s[8:9], |v[17:18]|, 0.5
	v_cndmask_b32_e64 v14, v14, v22, s[8:9]
	v_cndmask_b32_e64 v13, v13, v21, s[8:9]
	v_fma_f64 v[19:20], v[13:14], s[22:23], v[5:6]
	v_fma_f64 v[19:20], v[13:14], v[19:20], s[24:25]
	;; [unrolled: 1-line block ×11, first 2 shown]
	v_mul_f64 v[19:20], v[13:14], v[19:20]
	v_fma_f64 v[13:14], v[17:18], v[19:20], v[17:18]
	v_fma_f64 v[13:14], s[46:47], v[7:8], -v[13:14]
	s_and_saveexec_b64 s[50:51], s[8:9]
	s_cbranch_execz .LBB46_14
; %bb.13:                               ;   in Loop: Header=BB46_4 Depth=1
	v_rsq_f64_e32 v[13:14], v[21:22]
	v_cmp_eq_f64_e64 s[8:9], 0, v[21:22]
	s_mov_b32 s48, s46
	v_mul_f64 v[31:32], v[21:22], v[13:14]
	v_mul_f64 v[13:14], v[13:14], 0.5
	v_fma_f64 v[33:34], -v[13:14], v[31:32], 0.5
	v_fma_f64 v[31:32], v[31:32], v[33:34], v[31:32]
	v_fma_f64 v[13:14], v[13:14], v[33:34], v[13:14]
	v_fma_f64 v[33:34], -v[31:32], v[31:32], v[21:22]
	v_fma_f64 v[13:14], v[33:34], v[13:14], v[31:32]
	v_cndmask_b32_e64 v14, v14, v22, s[8:9]
	v_cndmask_b32_e64 v13, v13, v21, s[8:9]
	v_mul_f64 v[31:32], v[13:14], v[13:14]
	v_add_f64 v[35:36], v[21:22], -v[31:32]
	v_fma_f64 v[33:34], v[13:14], v[13:14], -v[31:32]
	v_add_f64 v[21:22], v[21:22], -v[35:36]
	v_add_f64 v[21:22], v[21:22], -v[31:32]
	v_add_f64 v[31:32], v[13:14], v[13:14]
	v_add_f64 v[21:22], v[21:22], -v[33:34]
	v_rcp_f64_e32 v[33:34], v[31:32]
	v_add_f64 v[21:22], v[35:36], v[21:22]
	v_fma_f64 v[35:36], -v[31:32], v[33:34], 1.0
	v_fma_f64 v[33:34], v[35:36], v[33:34], v[33:34]
	v_fma_f64 v[35:36], -v[31:32], v[33:34], 1.0
	v_fma_f64 v[33:34], v[35:36], v[33:34], v[33:34]
	v_mul_f64 v[35:36], v[21:22], v[33:34]
	v_fma_f64 v[21:22], -v[31:32], v[35:36], v[21:22]
	v_fma_f64 v[21:22], v[21:22], v[33:34], v[35:36]
	v_cndmask_b32_e64 v22, v22, 0, s[8:9]
	v_cndmask_b32_e64 v21, v21, 0, s[8:9]
	v_add_f64 v[31:32], v[13:14], v[21:22]
	v_cmp_gt_f64_e64 s[8:9], 0, v[17:18]
	v_add_f64 v[13:14], v[31:32], -v[13:14]
	v_add_f64 v[13:14], v[21:22], -v[13:14]
	v_fma_f64 v[21:22], v[31:32], v[19:20], v[31:32]
	v_fma_f64 v[13:14], v[31:32], v[19:20], v[13:14]
	v_mul_f64 v[21:22], v[21:22], -2.0
	v_add_f64 v[13:14], v[31:32], v[13:14]
	v_fma_f64 v[21:22], s[48:49], v[7:8], v[21:22]
	v_add_f64 v[13:14], v[13:14], v[13:14]
	v_cndmask_b32_e64 v14, v14, v22, s[8:9]
	v_cndmask_b32_e64 v13, v13, v21, s[8:9]
	v_cmp_neq_f64_e64 s[8:9], -1.0, v[17:18]
	v_cndmask_b32_e64 v13, v29, v13, s[8:9]
	v_cndmask_b32_e64 v14, v30, v14, s[8:9]
	v_cmp_neq_f64_e64 s[8:9], 1.0, v[17:18]
	v_cndmask_b32_e64 v14, 0, v14, s[8:9]
	v_cndmask_b32_e64 v13, 0, v13, s[8:9]
.LBB46_14:                              ;   in Loop: Header=BB46_4 Depth=1
	s_or_b64 exec, exec, s[50:51]
	v_fma_f64 v[21:22], |v[15:16]|, -0.5, 0.5
	v_mul_f64 v[17:18], v[15:16], v[15:16]
	v_cmp_ge_f64_e64 s[8:9], |v[15:16]|, 0.5
	v_cndmask_b32_e64 v18, v18, v22, s[8:9]
	v_cndmask_b32_e64 v17, v17, v21, s[8:9]
	v_fma_f64 v[19:20], v[17:18], s[22:23], v[5:6]
	v_fma_f64 v[19:20], v[17:18], v[19:20], s[24:25]
	;; [unrolled: 1-line block ×11, first 2 shown]
	v_mul_f64 v[19:20], v[17:18], v[19:20]
	v_fma_f64 v[17:18], v[15:16], v[19:20], v[15:16]
	v_fma_f64 v[17:18], s[46:47], v[7:8], -v[17:18]
	s_and_saveexec_b64 s[50:51], s[8:9]
	s_cbranch_execz .LBB46_16
; %bb.15:                               ;   in Loop: Header=BB46_4 Depth=1
	v_rsq_f64_e32 v[17:18], v[21:22]
	v_cmp_eq_f64_e64 s[8:9], 0, v[21:22]
	s_mov_b32 s48, s46
	v_mul_f64 v[31:32], v[21:22], v[17:18]
	v_mul_f64 v[17:18], v[17:18], 0.5
	v_fma_f64 v[33:34], -v[17:18], v[31:32], 0.5
	v_fma_f64 v[31:32], v[31:32], v[33:34], v[31:32]
	v_fma_f64 v[17:18], v[17:18], v[33:34], v[17:18]
	v_fma_f64 v[33:34], -v[31:32], v[31:32], v[21:22]
	v_fma_f64 v[17:18], v[33:34], v[17:18], v[31:32]
	v_cndmask_b32_e64 v18, v18, v22, s[8:9]
	v_cndmask_b32_e64 v17, v17, v21, s[8:9]
	v_mul_f64 v[31:32], v[17:18], v[17:18]
	v_add_f64 v[35:36], v[21:22], -v[31:32]
	v_fma_f64 v[33:34], v[17:18], v[17:18], -v[31:32]
	v_add_f64 v[21:22], v[21:22], -v[35:36]
	v_add_f64 v[21:22], v[21:22], -v[31:32]
	v_add_f64 v[31:32], v[17:18], v[17:18]
	v_add_f64 v[21:22], v[21:22], -v[33:34]
	v_rcp_f64_e32 v[33:34], v[31:32]
	v_add_f64 v[21:22], v[35:36], v[21:22]
	v_fma_f64 v[35:36], -v[31:32], v[33:34], 1.0
	v_fma_f64 v[33:34], v[35:36], v[33:34], v[33:34]
	v_fma_f64 v[35:36], -v[31:32], v[33:34], 1.0
	v_fma_f64 v[33:34], v[35:36], v[33:34], v[33:34]
	v_mul_f64 v[35:36], v[21:22], v[33:34]
	v_fma_f64 v[21:22], -v[31:32], v[35:36], v[21:22]
	v_fma_f64 v[21:22], v[21:22], v[33:34], v[35:36]
	v_cndmask_b32_e64 v22, v22, 0, s[8:9]
	v_cndmask_b32_e64 v21, v21, 0, s[8:9]
	v_add_f64 v[31:32], v[17:18], v[21:22]
	v_cmp_gt_f64_e64 s[8:9], 0, v[15:16]
	v_add_f64 v[17:18], v[31:32], -v[17:18]
	v_add_f64 v[17:18], v[21:22], -v[17:18]
	v_fma_f64 v[21:22], v[31:32], v[19:20], v[31:32]
	v_fma_f64 v[17:18], v[31:32], v[19:20], v[17:18]
	v_mul_f64 v[21:22], v[21:22], -2.0
	v_add_f64 v[17:18], v[31:32], v[17:18]
	v_fma_f64 v[21:22], s[48:49], v[7:8], v[21:22]
	v_add_f64 v[17:18], v[17:18], v[17:18]
	v_cndmask_b32_e64 v18, v18, v22, s[8:9]
	v_cndmask_b32_e64 v17, v17, v21, s[8:9]
	v_cmp_neq_f64_e64 s[8:9], -1.0, v[15:16]
	v_cndmask_b32_e64 v17, v29, v17, s[8:9]
	v_cndmask_b32_e64 v18, v30, v18, s[8:9]
	v_cmp_neq_f64_e64 s[8:9], 1.0, v[15:16]
	v_cndmask_b32_e64 v18, 0, v18, s[8:9]
	v_cndmask_b32_e64 v17, 0, v17, s[8:9]
.LBB46_16:                              ;   in Loop: Header=BB46_4 Depth=1
	s_or_b64 exec, exec, s[50:51]
	v_fma_f64 v[21:22], |v[11:12]|, -0.5, 0.5
	v_mul_f64 v[15:16], v[11:12], v[11:12]
	v_cmp_ge_f64_e64 s[8:9], |v[11:12]|, 0.5
	v_cndmask_b32_e64 v16, v16, v22, s[8:9]
	v_cndmask_b32_e64 v15, v15, v21, s[8:9]
	v_fma_f64 v[19:20], v[15:16], s[22:23], v[5:6]
	v_fma_f64 v[19:20], v[15:16], v[19:20], s[24:25]
	;; [unrolled: 1-line block ×11, first 2 shown]
	v_mul_f64 v[19:20], v[15:16], v[19:20]
	v_fma_f64 v[15:16], v[11:12], v[19:20], v[11:12]
	v_fma_f64 v[15:16], s[46:47], v[7:8], -v[15:16]
	s_and_saveexec_b64 s[50:51], s[8:9]
	s_cbranch_execz .LBB46_18
; %bb.17:                               ;   in Loop: Header=BB46_4 Depth=1
	v_rsq_f64_e32 v[15:16], v[21:22]
	v_cmp_eq_f64_e64 s[8:9], 0, v[21:22]
	s_mov_b32 s48, s46
	v_mul_f64 v[31:32], v[21:22], v[15:16]
	v_mul_f64 v[15:16], v[15:16], 0.5
	v_fma_f64 v[33:34], -v[15:16], v[31:32], 0.5
	v_fma_f64 v[31:32], v[31:32], v[33:34], v[31:32]
	v_fma_f64 v[15:16], v[15:16], v[33:34], v[15:16]
	v_fma_f64 v[33:34], -v[31:32], v[31:32], v[21:22]
	v_fma_f64 v[15:16], v[33:34], v[15:16], v[31:32]
	v_cndmask_b32_e64 v16, v16, v22, s[8:9]
	v_cndmask_b32_e64 v15, v15, v21, s[8:9]
	v_mul_f64 v[31:32], v[15:16], v[15:16]
	v_add_f64 v[35:36], v[21:22], -v[31:32]
	v_fma_f64 v[33:34], v[15:16], v[15:16], -v[31:32]
	v_add_f64 v[21:22], v[21:22], -v[35:36]
	v_add_f64 v[21:22], v[21:22], -v[31:32]
	v_add_f64 v[31:32], v[15:16], v[15:16]
	v_add_f64 v[21:22], v[21:22], -v[33:34]
	v_rcp_f64_e32 v[33:34], v[31:32]
	v_add_f64 v[21:22], v[35:36], v[21:22]
	v_fma_f64 v[35:36], -v[31:32], v[33:34], 1.0
	v_fma_f64 v[33:34], v[35:36], v[33:34], v[33:34]
	v_fma_f64 v[35:36], -v[31:32], v[33:34], 1.0
	v_fma_f64 v[33:34], v[35:36], v[33:34], v[33:34]
	v_mul_f64 v[35:36], v[21:22], v[33:34]
	v_fma_f64 v[21:22], -v[31:32], v[35:36], v[21:22]
	v_fma_f64 v[21:22], v[21:22], v[33:34], v[35:36]
	v_cndmask_b32_e64 v22, v22, 0, s[8:9]
	v_cndmask_b32_e64 v21, v21, 0, s[8:9]
	v_add_f64 v[31:32], v[15:16], v[21:22]
	v_cmp_gt_f64_e64 s[8:9], 0, v[11:12]
	v_add_f64 v[15:16], v[31:32], -v[15:16]
	v_add_f64 v[15:16], v[21:22], -v[15:16]
	v_fma_f64 v[21:22], v[31:32], v[19:20], v[31:32]
	v_fma_f64 v[15:16], v[31:32], v[19:20], v[15:16]
	v_mul_f64 v[21:22], v[21:22], -2.0
	v_add_f64 v[15:16], v[31:32], v[15:16]
	v_fma_f64 v[21:22], s[48:49], v[7:8], v[21:22]
	v_add_f64 v[15:16], v[15:16], v[15:16]
	v_cndmask_b32_e64 v16, v16, v22, s[8:9]
	v_cndmask_b32_e64 v15, v15, v21, s[8:9]
	v_cmp_neq_f64_e64 s[8:9], -1.0, v[11:12]
	v_cndmask_b32_e64 v15, v29, v15, s[8:9]
	v_cndmask_b32_e64 v16, v30, v16, s[8:9]
	v_cmp_neq_f64_e64 s[8:9], 1.0, v[11:12]
	v_cndmask_b32_e64 v16, 0, v16, s[8:9]
	v_cndmask_b32_e64 v15, 0, v15, s[8:9]
.LBB46_18:                              ;   in Loop: Header=BB46_4 Depth=1
	s_or_b64 exec, exec, s[50:51]
	v_fma_f64 v[21:22], |v[9:10]|, -0.5, 0.5
	v_mul_f64 v[11:12], v[9:10], v[9:10]
	v_cmp_ge_f64_e64 s[8:9], |v[9:10]|, 0.5
	v_cndmask_b32_e64 v12, v12, v22, s[8:9]
	v_cndmask_b32_e64 v11, v11, v21, s[8:9]
	v_fma_f64 v[19:20], v[11:12], s[22:23], v[5:6]
	v_fma_f64 v[19:20], v[11:12], v[19:20], s[24:25]
	;; [unrolled: 1-line block ×11, first 2 shown]
	v_mul_f64 v[11:12], v[11:12], v[19:20]
	v_fma_f64 v[19:20], v[9:10], v[11:12], v[9:10]
	v_fma_f64 v[19:20], s[46:47], v[7:8], -v[19:20]
	s_and_saveexec_b64 s[50:51], s[8:9]
	s_cbranch_execnz .LBB46_23
; %bb.19:                               ;   in Loop: Header=BB46_4 Depth=1
	s_or_b64 exec, exec, s[50:51]
	s_and_saveexec_b64 s[8:9], vcc
	s_xor_b64 s[8:9], exec, s[8:9]
	s_cbranch_execnz .LBB46_24
.LBB46_20:                              ;   in Loop: Header=BB46_4 Depth=1
	s_or_b64 exec, exec, s[8:9]
	s_and_saveexec_b64 s[8:9], s[0:1]
	s_cbranch_execnz .LBB46_25
.LBB46_21:                              ;   in Loop: Header=BB46_4 Depth=1
	s_or_b64 exec, exec, s[8:9]
	s_and_saveexec_b64 s[0:1], s[2:3]
	s_cbranch_execnz .LBB46_26
.LBB46_22:                              ;   in Loop: Header=BB46_4 Depth=1
	s_or_b64 exec, exec, s[0:1]
	s_and_saveexec_b64 s[0:1], s[6:7]
	s_cbranch_execz .LBB46_3
	s_branch .LBB46_27
.LBB46_23:                              ;   in Loop: Header=BB46_4 Depth=1
	v_rsq_f64_e32 v[19:20], v[21:22]
	v_cmp_eq_f64_e64 s[8:9], 0, v[21:22]
	s_mov_b32 s48, s46
	v_mul_f64 v[31:32], v[21:22], v[19:20]
	v_mul_f64 v[19:20], v[19:20], 0.5
	v_fma_f64 v[33:34], -v[19:20], v[31:32], 0.5
	v_fma_f64 v[31:32], v[31:32], v[33:34], v[31:32]
	v_fma_f64 v[19:20], v[19:20], v[33:34], v[19:20]
	v_fma_f64 v[33:34], -v[31:32], v[31:32], v[21:22]
	v_fma_f64 v[19:20], v[33:34], v[19:20], v[31:32]
	v_cndmask_b32_e64 v20, v20, v22, s[8:9]
	v_cndmask_b32_e64 v19, v19, v21, s[8:9]
	v_mul_f64 v[31:32], v[19:20], v[19:20]
	v_add_f64 v[35:36], v[21:22], -v[31:32]
	v_fma_f64 v[33:34], v[19:20], v[19:20], -v[31:32]
	v_add_f64 v[21:22], v[21:22], -v[35:36]
	v_add_f64 v[21:22], v[21:22], -v[31:32]
	v_add_f64 v[31:32], v[19:20], v[19:20]
	v_add_f64 v[21:22], v[21:22], -v[33:34]
	v_rcp_f64_e32 v[33:34], v[31:32]
	v_add_f64 v[21:22], v[35:36], v[21:22]
	v_fma_f64 v[35:36], -v[31:32], v[33:34], 1.0
	v_fma_f64 v[33:34], v[35:36], v[33:34], v[33:34]
	v_fma_f64 v[35:36], -v[31:32], v[33:34], 1.0
	v_fma_f64 v[33:34], v[35:36], v[33:34], v[33:34]
	v_mul_f64 v[35:36], v[21:22], v[33:34]
	v_fma_f64 v[21:22], -v[31:32], v[35:36], v[21:22]
	v_fma_f64 v[21:22], v[21:22], v[33:34], v[35:36]
	v_cndmask_b32_e64 v22, v22, 0, s[8:9]
	v_cndmask_b32_e64 v21, v21, 0, s[8:9]
	v_add_f64 v[31:32], v[19:20], v[21:22]
	v_cmp_gt_f64_e64 s[8:9], 0, v[9:10]
	v_add_f64 v[19:20], v[31:32], -v[19:20]
	v_add_f64 v[19:20], v[21:22], -v[19:20]
	v_fma_f64 v[21:22], v[31:32], v[11:12], v[31:32]
	v_fma_f64 v[11:12], v[31:32], v[11:12], v[19:20]
	v_mul_f64 v[21:22], v[21:22], -2.0
	v_add_f64 v[11:12], v[31:32], v[11:12]
	v_fma_f64 v[21:22], s[48:49], v[7:8], v[21:22]
	v_add_f64 v[11:12], v[11:12], v[11:12]
	v_cndmask_b32_e64 v12, v12, v22, s[8:9]
	v_cndmask_b32_e64 v11, v11, v21, s[8:9]
	v_cmp_neq_f64_e64 s[8:9], -1.0, v[9:10]
	v_cndmask_b32_e64 v11, v29, v11, s[8:9]
	v_cndmask_b32_e64 v12, v30, v12, s[8:9]
	v_cmp_neq_f64_e64 s[8:9], 1.0, v[9:10]
	v_cndmask_b32_e64 v20, 0, v12, s[8:9]
	v_cndmask_b32_e64 v19, 0, v11, s[8:9]
	s_or_b64 exec, exec, s[50:51]
	s_and_saveexec_b64 s[8:9], vcc
	s_xor_b64 s[8:9], exec, s[8:9]
	s_cbranch_execz .LBB46_20
.LBB46_24:                              ;   in Loop: Header=BB46_4 Depth=1
	global_store_dwordx2 v[1:2], v[13:14], off
	s_or_b64 exec, exec, s[8:9]
	s_and_saveexec_b64 s[8:9], s[0:1]
	s_cbranch_execz .LBB46_21
.LBB46_25:                              ;   in Loop: Header=BB46_4 Depth=1
	global_store_dwordx2 v[3:4], v[17:18], off
	s_or_b64 exec, exec, s[8:9]
	s_and_saveexec_b64 s[0:1], s[2:3]
	s_cbranch_execz .LBB46_22
.LBB46_26:                              ;   in Loop: Header=BB46_4 Depth=1
	v_add_co_u32_e32 v9, vcc, s54, v1
	v_addc_co_u32_e32 v10, vcc, 0, v2, vcc
	global_store_dwordx2 v[9:10], v[15:16], off
	s_or_b64 exec, exec, s[0:1]
	s_and_saveexec_b64 s[0:1], s[6:7]
	s_cbranch_execz .LBB46_3
.LBB46_27:                              ;   in Loop: Header=BB46_4 Depth=1
	v_add_co_u32_e32 v9, vcc, s53, v1
	v_addc_co_u32_e32 v10, vcc, 0, v2, vcc
	global_store_dwordx2 v[9:10], v[19:20], off
	s_branch .LBB46_3
.LBB46_28:
	s_cbranch_execz .LBB46_30
	s_branch .LBB46_41
.LBB46_29:
.LBB46_30:
	v_mov_b32_e32 v1, 0x10000
	v_mov_b32_e32 v2, 0
	v_cmp_lt_i64_e32 vcc, s[14:15], v[1:2]
	v_mov_b32_e32 v2, 0
	s_and_b64 s[0:1], vcc, exec
	s_cselect_b32 s1, s15, 0
	s_cselect_b32 s0, s14, 0x10000
	v_lshlrev_b32_e32 v1, 2, v0
	v_cmp_gt_i64_e32 vcc, s[0:1], v[1:2]
	s_and_saveexec_b64 s[2:3], vcc
	s_cbranch_execz .LBB46_41
; %bb.31:
	s_load_dword s2, s[4:5], 0xd3c
	v_mov_b32_e32 v1, v2
	v_lshlrev_b32_e32 v2, 5, v0
	s_mov_b32 s4, 0x9fea6a70
	s_mov_b32 s6, 0x37024d6a
	s_waitcnt lgkmcnt(0)
	s_and_b32 s33, s2, 0xffff
	s_add_u32 s2, s10, s12
	s_addc_u32 s3, s11, s13
	v_mov_b32_e32 v3, s3
	v_add_co_u32_e32 v2, vcc, s2, v2
	v_addc_co_u32_e32 v3, vcc, 0, v3, vcc
	v_add_co_u32_e32 v14, vcc, 16, v2
	s_mov_b32 s8, 0x98a70509
	s_mov_b32 s10, 0xa300c8d2
	;; [unrolled: 1-line block ×10, first 2 shown]
	v_addc_co_u32_e32 v15, vcc, 0, v3, vcc
	s_lshl_b32 s34, s33, 5
	s_mov_b64 s[2:3], 0
	v_mov_b32_e32 v16, 0x78a05eaf
	v_mov_b32_e32 v17, 0xbf90a5a3
	s_mov_b32 s5, 0x3fa05985
	s_mov_b32 s7, 0x3f940521
	;; [unrolled: 1-line block ×11, first 2 shown]
	v_mov_b32_e32 v18, 0xeeb562d6
	v_mov_b32_e32 v19, 0x3ffaf154
	s_mov_b32 s27, 0x3fedd9ad
	s_mov_b32 s29, 0x3ffdd9ad
	v_mov_b32_e32 v22, 0x54442d18
	v_mov_b32_e32 v23, 0x400921fb
	s_branch .LBB46_33
.LBB46_32:                              ;   in Loop: Header=BB46_33 Depth=1
	s_or_b64 exec, exec, s[30:31]
	v_add_co_u32_e32 v0, vcc, s33, v0
	v_addc_co_u32_e32 v1, vcc, 0, v1, vcc
	v_lshlrev_b64 v[2:3], 2, v[0:1]
	global_store_dwordx4 v[14:15], v[6:9], off offset:-16
	v_cmp_le_i64_e32 vcc, s[0:1], v[2:3]
	global_store_dwordx4 v[14:15], v[10:13], off
	s_or_b64 s[2:3], vcc, s[2:3]
	v_add_co_u32_e32 v14, vcc, s34, v14
	v_addc_co_u32_e32 v15, vcc, 0, v15, vcc
	s_andn2_b64 exec, exec, s[2:3]
	s_cbranch_execz .LBB46_41
.LBB46_33:                              ; =>This Inner Loop Header: Depth=1
	global_load_dwordx4 v[8:11], v[14:15], off offset:-16
	s_waitcnt vmcnt(0)
	v_fma_f64 v[20:21], |v[8:9]|, -0.5, 0.5
	v_mul_f64 v[2:3], v[8:9], v[8:9]
	v_cmp_ge_f64_e64 vcc, |v[8:9]|, 0.5
	v_cndmask_b32_e32 v7, v3, v21, vcc
	v_cndmask_b32_e32 v6, v2, v20, vcc
	v_fma_f64 v[2:3], v[6:7], s[4:5], v[16:17]
	v_fma_f64 v[2:3], v[6:7], v[2:3], s[6:7]
	;; [unrolled: 1-line block ×4, first 2 shown]
	global_load_dwordx4 v[2:5], v[14:15], off
	v_fma_f64 v[12:13], v[6:7], v[12:13], s[12:13]
	v_fma_f64 v[12:13], v[6:7], v[12:13], s[14:15]
	;; [unrolled: 1-line block ×7, first 2 shown]
	v_mul_f64 v[12:13], v[6:7], v[12:13]
	v_fma_f64 v[6:7], v[8:9], v[12:13], v[8:9]
	v_fma_f64 v[6:7], s[26:27], v[18:19], -v[6:7]
	s_and_saveexec_b64 s[30:31], vcc
	s_cbranch_execz .LBB46_35
; %bb.34:                               ;   in Loop: Header=BB46_33 Depth=1
	v_rsq_f64_e32 v[6:7], v[20:21]
	v_cmp_eq_f64_e32 vcc, 0, v[20:21]
	s_mov_b32 s28, s26
	v_mul_f64 v[24:25], v[20:21], v[6:7]
	v_mul_f64 v[6:7], v[6:7], 0.5
	v_fma_f64 v[26:27], -v[6:7], v[24:25], 0.5
	v_fma_f64 v[24:25], v[24:25], v[26:27], v[24:25]
	v_fma_f64 v[6:7], v[6:7], v[26:27], v[6:7]
	v_fma_f64 v[26:27], -v[24:25], v[24:25], v[20:21]
	v_fma_f64 v[6:7], v[26:27], v[6:7], v[24:25]
	v_cndmask_b32_e32 v7, v7, v21, vcc
	v_cndmask_b32_e32 v6, v6, v20, vcc
	v_add_f64 v[24:25], v[6:7], v[6:7]
	v_mul_f64 v[26:27], v[6:7], v[6:7]
	v_rcp_f64_e32 v[28:29], v[24:25]
	v_add_f64 v[30:31], v[20:21], -v[26:27]
	v_fma_f64 v[34:35], v[6:7], v[6:7], -v[26:27]
	v_add_f64 v[20:21], v[20:21], -v[30:31]
	v_fma_f64 v[32:33], -v[24:25], v[28:29], 1.0
	v_add_f64 v[20:21], v[20:21], -v[26:27]
	v_fma_f64 v[26:27], v[32:33], v[28:29], v[28:29]
	v_add_f64 v[20:21], v[20:21], -v[34:35]
	v_fma_f64 v[28:29], -v[24:25], v[26:27], 1.0
	v_add_f64 v[20:21], v[30:31], v[20:21]
	v_fma_f64 v[26:27], v[28:29], v[26:27], v[26:27]
	v_mul_f64 v[28:29], v[20:21], v[26:27]
	v_fma_f64 v[20:21], -v[24:25], v[28:29], v[20:21]
	v_fma_f64 v[20:21], v[20:21], v[26:27], v[28:29]
	v_cndmask_b32_e64 v21, v21, 0, vcc
	v_cndmask_b32_e64 v20, v20, 0, vcc
	v_add_f64 v[24:25], v[6:7], v[20:21]
	v_cmp_gt_f64_e32 vcc, 0, v[8:9]
	v_add_f64 v[6:7], v[24:25], -v[6:7]
	v_add_f64 v[6:7], v[20:21], -v[6:7]
	v_fma_f64 v[20:21], v[24:25], v[12:13], v[24:25]
	v_fma_f64 v[6:7], v[24:25], v[12:13], v[6:7]
	v_mul_f64 v[12:13], v[20:21], -2.0
	v_add_f64 v[6:7], v[24:25], v[6:7]
	v_fma_f64 v[12:13], s[28:29], v[18:19], v[12:13]
	v_add_f64 v[6:7], v[6:7], v[6:7]
	v_cndmask_b32_e32 v7, v7, v13, vcc
	v_cndmask_b32_e32 v6, v6, v12, vcc
	v_cmp_neq_f64_e32 vcc, -1.0, v[8:9]
	v_cndmask_b32_e32 v6, v22, v6, vcc
	v_cndmask_b32_e32 v7, v23, v7, vcc
	v_cmp_neq_f64_e32 vcc, 1.0, v[8:9]
	v_cndmask_b32_e32 v7, 0, v7, vcc
	v_cndmask_b32_e32 v6, 0, v6, vcc
.LBB46_35:                              ;   in Loop: Header=BB46_33 Depth=1
	s_or_b64 exec, exec, s[30:31]
	v_fma_f64 v[20:21], |v[10:11]|, -0.5, 0.5
	v_mul_f64 v[8:9], v[10:11], v[10:11]
	v_cmp_ge_f64_e64 vcc, |v[10:11]|, 0.5
	v_cndmask_b32_e32 v9, v9, v21, vcc
	v_cndmask_b32_e32 v8, v8, v20, vcc
	v_fma_f64 v[12:13], v[8:9], s[4:5], v[16:17]
	v_fma_f64 v[12:13], v[8:9], v[12:13], s[6:7]
	;; [unrolled: 1-line block ×11, first 2 shown]
	v_mul_f64 v[12:13], v[8:9], v[12:13]
	v_fma_f64 v[8:9], v[10:11], v[12:13], v[10:11]
	v_fma_f64 v[8:9], s[26:27], v[18:19], -v[8:9]
	s_and_saveexec_b64 s[30:31], vcc
	s_cbranch_execz .LBB46_37
; %bb.36:                               ;   in Loop: Header=BB46_33 Depth=1
	v_rsq_f64_e32 v[8:9], v[20:21]
	v_cmp_eq_f64_e32 vcc, 0, v[20:21]
	s_mov_b32 s28, s26
	v_mul_f64 v[24:25], v[20:21], v[8:9]
	v_mul_f64 v[8:9], v[8:9], 0.5
	v_fma_f64 v[26:27], -v[8:9], v[24:25], 0.5
	v_fma_f64 v[24:25], v[24:25], v[26:27], v[24:25]
	v_fma_f64 v[8:9], v[8:9], v[26:27], v[8:9]
	v_fma_f64 v[26:27], -v[24:25], v[24:25], v[20:21]
	v_fma_f64 v[8:9], v[26:27], v[8:9], v[24:25]
	v_cndmask_b32_e32 v9, v9, v21, vcc
	v_cndmask_b32_e32 v8, v8, v20, vcc
	v_mul_f64 v[24:25], v[8:9], v[8:9]
	v_add_f64 v[28:29], v[20:21], -v[24:25]
	v_fma_f64 v[26:27], v[8:9], v[8:9], -v[24:25]
	v_add_f64 v[20:21], v[20:21], -v[28:29]
	v_add_f64 v[20:21], v[20:21], -v[24:25]
	v_add_f64 v[24:25], v[8:9], v[8:9]
	v_add_f64 v[20:21], v[20:21], -v[26:27]
	v_rcp_f64_e32 v[26:27], v[24:25]
	v_add_f64 v[20:21], v[28:29], v[20:21]
	v_fma_f64 v[28:29], -v[24:25], v[26:27], 1.0
	v_fma_f64 v[26:27], v[28:29], v[26:27], v[26:27]
	v_fma_f64 v[28:29], -v[24:25], v[26:27], 1.0
	v_fma_f64 v[26:27], v[28:29], v[26:27], v[26:27]
	v_mul_f64 v[28:29], v[20:21], v[26:27]
	v_fma_f64 v[20:21], -v[24:25], v[28:29], v[20:21]
	v_fma_f64 v[20:21], v[20:21], v[26:27], v[28:29]
	v_cndmask_b32_e64 v21, v21, 0, vcc
	v_cndmask_b32_e64 v20, v20, 0, vcc
	v_add_f64 v[24:25], v[8:9], v[20:21]
	v_cmp_gt_f64_e32 vcc, 0, v[10:11]
	v_add_f64 v[8:9], v[24:25], -v[8:9]
	v_add_f64 v[8:9], v[20:21], -v[8:9]
	v_fma_f64 v[20:21], v[24:25], v[12:13], v[24:25]
	v_fma_f64 v[8:9], v[24:25], v[12:13], v[8:9]
	v_mul_f64 v[20:21], v[20:21], -2.0
	v_add_f64 v[8:9], v[24:25], v[8:9]
	v_fma_f64 v[20:21], s[28:29], v[18:19], v[20:21]
	v_add_f64 v[8:9], v[8:9], v[8:9]
	v_cndmask_b32_e32 v9, v9, v21, vcc
	v_cndmask_b32_e32 v8, v8, v20, vcc
	v_cmp_neq_f64_e32 vcc, -1.0, v[10:11]
	v_cndmask_b32_e32 v8, v22, v8, vcc
	v_cndmask_b32_e32 v9, v23, v9, vcc
	v_cmp_neq_f64_e32 vcc, 1.0, v[10:11]
	v_cndmask_b32_e32 v9, 0, v9, vcc
	v_cndmask_b32_e32 v8, 0, v8, vcc
.LBB46_37:                              ;   in Loop: Header=BB46_33 Depth=1
	s_or_b64 exec, exec, s[30:31]
	s_waitcnt vmcnt(0)
	v_fma_f64 v[20:21], |v[2:3]|, -0.5, 0.5
	v_mul_f64 v[10:11], v[2:3], v[2:3]
	v_cmp_ge_f64_e64 vcc, |v[2:3]|, 0.5
	v_cndmask_b32_e32 v11, v11, v21, vcc
	v_cndmask_b32_e32 v10, v10, v20, vcc
	v_fma_f64 v[12:13], v[10:11], s[4:5], v[16:17]
	v_fma_f64 v[12:13], v[10:11], v[12:13], s[6:7]
	;; [unrolled: 1-line block ×11, first 2 shown]
	v_mul_f64 v[12:13], v[10:11], v[12:13]
	v_fma_f64 v[10:11], v[2:3], v[12:13], v[2:3]
	v_fma_f64 v[10:11], s[26:27], v[18:19], -v[10:11]
	s_and_saveexec_b64 s[30:31], vcc
	s_cbranch_execz .LBB46_39
; %bb.38:                               ;   in Loop: Header=BB46_33 Depth=1
	v_rsq_f64_e32 v[10:11], v[20:21]
	v_cmp_eq_f64_e32 vcc, 0, v[20:21]
	s_mov_b32 s28, s26
	v_mul_f64 v[24:25], v[20:21], v[10:11]
	v_mul_f64 v[10:11], v[10:11], 0.5
	v_fma_f64 v[26:27], -v[10:11], v[24:25], 0.5
	v_fma_f64 v[24:25], v[24:25], v[26:27], v[24:25]
	v_fma_f64 v[10:11], v[10:11], v[26:27], v[10:11]
	v_fma_f64 v[26:27], -v[24:25], v[24:25], v[20:21]
	v_fma_f64 v[10:11], v[26:27], v[10:11], v[24:25]
	v_cndmask_b32_e32 v11, v11, v21, vcc
	v_cndmask_b32_e32 v10, v10, v20, vcc
	v_mul_f64 v[24:25], v[10:11], v[10:11]
	v_add_f64 v[28:29], v[20:21], -v[24:25]
	v_fma_f64 v[26:27], v[10:11], v[10:11], -v[24:25]
	v_add_f64 v[20:21], v[20:21], -v[28:29]
	v_add_f64 v[20:21], v[20:21], -v[24:25]
	v_add_f64 v[24:25], v[10:11], v[10:11]
	v_add_f64 v[20:21], v[20:21], -v[26:27]
	v_rcp_f64_e32 v[26:27], v[24:25]
	v_add_f64 v[20:21], v[28:29], v[20:21]
	v_fma_f64 v[28:29], -v[24:25], v[26:27], 1.0
	v_fma_f64 v[26:27], v[28:29], v[26:27], v[26:27]
	v_fma_f64 v[28:29], -v[24:25], v[26:27], 1.0
	v_fma_f64 v[26:27], v[28:29], v[26:27], v[26:27]
	v_mul_f64 v[28:29], v[20:21], v[26:27]
	v_fma_f64 v[20:21], -v[24:25], v[28:29], v[20:21]
	v_fma_f64 v[20:21], v[20:21], v[26:27], v[28:29]
	v_cndmask_b32_e64 v21, v21, 0, vcc
	v_cndmask_b32_e64 v20, v20, 0, vcc
	v_add_f64 v[24:25], v[10:11], v[20:21]
	v_cmp_gt_f64_e32 vcc, 0, v[2:3]
	v_add_f64 v[10:11], v[24:25], -v[10:11]
	v_add_f64 v[10:11], v[20:21], -v[10:11]
	v_fma_f64 v[20:21], v[24:25], v[12:13], v[24:25]
	v_fma_f64 v[10:11], v[24:25], v[12:13], v[10:11]
	v_mul_f64 v[20:21], v[20:21], -2.0
	v_add_f64 v[10:11], v[24:25], v[10:11]
	v_fma_f64 v[20:21], s[28:29], v[18:19], v[20:21]
	v_add_f64 v[10:11], v[10:11], v[10:11]
	v_cndmask_b32_e32 v11, v11, v21, vcc
	v_cndmask_b32_e32 v10, v10, v20, vcc
	v_cmp_neq_f64_e32 vcc, -1.0, v[2:3]
	v_cndmask_b32_e32 v10, v22, v10, vcc
	v_cndmask_b32_e32 v11, v23, v11, vcc
	v_cmp_neq_f64_e32 vcc, 1.0, v[2:3]
	v_cndmask_b32_e32 v11, 0, v11, vcc
	v_cndmask_b32_e32 v10, 0, v10, vcc
.LBB46_39:                              ;   in Loop: Header=BB46_33 Depth=1
	s_or_b64 exec, exec, s[30:31]
	v_fma_f64 v[20:21], |v[4:5]|, -0.5, 0.5
	v_mul_f64 v[2:3], v[4:5], v[4:5]
	v_cmp_ge_f64_e64 vcc, |v[4:5]|, 0.5
	v_cndmask_b32_e32 v3, v3, v21, vcc
	v_cndmask_b32_e32 v2, v2, v20, vcc
	v_fma_f64 v[12:13], v[2:3], s[4:5], v[16:17]
	v_fma_f64 v[12:13], v[2:3], v[12:13], s[6:7]
	;; [unrolled: 1-line block ×11, first 2 shown]
	v_mul_f64 v[2:3], v[2:3], v[12:13]
	v_fma_f64 v[12:13], v[4:5], v[2:3], v[4:5]
	v_fma_f64 v[12:13], s[26:27], v[18:19], -v[12:13]
	s_and_saveexec_b64 s[30:31], vcc
	s_cbranch_execz .LBB46_32
; %bb.40:                               ;   in Loop: Header=BB46_33 Depth=1
	v_rsq_f64_e32 v[12:13], v[20:21]
	v_cmp_eq_f64_e32 vcc, 0, v[20:21]
	s_mov_b32 s28, s26
	v_mul_f64 v[24:25], v[20:21], v[12:13]
	v_mul_f64 v[12:13], v[12:13], 0.5
	v_fma_f64 v[26:27], -v[12:13], v[24:25], 0.5
	v_fma_f64 v[24:25], v[24:25], v[26:27], v[24:25]
	v_fma_f64 v[12:13], v[12:13], v[26:27], v[12:13]
	v_fma_f64 v[26:27], -v[24:25], v[24:25], v[20:21]
	v_fma_f64 v[12:13], v[26:27], v[12:13], v[24:25]
	v_cndmask_b32_e32 v13, v13, v21, vcc
	v_cndmask_b32_e32 v12, v12, v20, vcc
	v_mul_f64 v[24:25], v[12:13], v[12:13]
	v_add_f64 v[28:29], v[20:21], -v[24:25]
	v_fma_f64 v[26:27], v[12:13], v[12:13], -v[24:25]
	v_add_f64 v[20:21], v[20:21], -v[28:29]
	v_add_f64 v[20:21], v[20:21], -v[24:25]
	v_add_f64 v[24:25], v[12:13], v[12:13]
	v_add_f64 v[20:21], v[20:21], -v[26:27]
	v_rcp_f64_e32 v[26:27], v[24:25]
	v_add_f64 v[20:21], v[28:29], v[20:21]
	v_fma_f64 v[28:29], -v[24:25], v[26:27], 1.0
	v_fma_f64 v[26:27], v[28:29], v[26:27], v[26:27]
	v_fma_f64 v[28:29], -v[24:25], v[26:27], 1.0
	v_fma_f64 v[26:27], v[28:29], v[26:27], v[26:27]
	v_mul_f64 v[28:29], v[20:21], v[26:27]
	v_fma_f64 v[20:21], -v[24:25], v[28:29], v[20:21]
	v_fma_f64 v[20:21], v[20:21], v[26:27], v[28:29]
	v_cndmask_b32_e64 v21, v21, 0, vcc
	v_cndmask_b32_e64 v20, v20, 0, vcc
	v_add_f64 v[24:25], v[12:13], v[20:21]
	v_cmp_gt_f64_e32 vcc, 0, v[4:5]
	v_add_f64 v[12:13], v[24:25], -v[12:13]
	v_add_f64 v[12:13], v[20:21], -v[12:13]
	v_fma_f64 v[20:21], v[24:25], v[2:3], v[24:25]
	v_fma_f64 v[2:3], v[24:25], v[2:3], v[12:13]
	v_mul_f64 v[20:21], v[20:21], -2.0
	v_add_f64 v[2:3], v[24:25], v[2:3]
	v_fma_f64 v[20:21], s[28:29], v[18:19], v[20:21]
	v_add_f64 v[2:3], v[2:3], v[2:3]
	v_cndmask_b32_e32 v3, v3, v21, vcc
	v_cndmask_b32_e32 v2, v2, v20, vcc
	v_cmp_neq_f64_e32 vcc, -1.0, v[4:5]
	v_cndmask_b32_e32 v2, v22, v2, vcc
	v_cndmask_b32_e32 v3, v23, v3, vcc
	v_cmp_neq_f64_e32 vcc, 1.0, v[4:5]
	v_cndmask_b32_e32 v13, 0, v3, vcc
	v_cndmask_b32_e32 v12, 0, v2, vcc
	s_branch .LBB46_32
.LBB46_41:
	s_endpgm
	.section	.rodata,"a",@progbits
	.p2align	6, 0x0
	.amdhsa_kernel _ZN2at6native12_GLOBAL__N_125multi_tensor_apply_kernelINS1_18TensorListMetadataILi1EEENS1_14UnaryOpFunctorIdLi1ELi1ELi0EEEJNS0_4AcosIdEEEEEvT_T0_DpT1_
		.amdhsa_group_segment_fixed_size 0
		.amdhsa_private_segment_fixed_size 0
		.amdhsa_kernarg_size 3632
		.amdhsa_user_sgpr_count 6
		.amdhsa_user_sgpr_private_segment_buffer 1
		.amdhsa_user_sgpr_dispatch_ptr 0
		.amdhsa_user_sgpr_queue_ptr 0
		.amdhsa_user_sgpr_kernarg_segment_ptr 1
		.amdhsa_user_sgpr_dispatch_id 0
		.amdhsa_user_sgpr_flat_scratch_init 0
		.amdhsa_user_sgpr_private_segment_size 0
		.amdhsa_uses_dynamic_stack 0
		.amdhsa_system_sgpr_private_segment_wavefront_offset 0
		.amdhsa_system_sgpr_workgroup_id_x 1
		.amdhsa_system_sgpr_workgroup_id_y 0
		.amdhsa_system_sgpr_workgroup_id_z 0
		.amdhsa_system_sgpr_workgroup_info 0
		.amdhsa_system_vgpr_workitem_id 0
		.amdhsa_next_free_vgpr 37
		.amdhsa_next_free_sgpr 55
		.amdhsa_reserve_vcc 1
		.amdhsa_reserve_flat_scratch 0
		.amdhsa_float_round_mode_32 0
		.amdhsa_float_round_mode_16_64 0
		.amdhsa_float_denorm_mode_32 3
		.amdhsa_float_denorm_mode_16_64 3
		.amdhsa_dx10_clamp 1
		.amdhsa_ieee_mode 1
		.amdhsa_fp16_overflow 0
		.amdhsa_exception_fp_ieee_invalid_op 0
		.amdhsa_exception_fp_denorm_src 0
		.amdhsa_exception_fp_ieee_div_zero 0
		.amdhsa_exception_fp_ieee_overflow 0
		.amdhsa_exception_fp_ieee_underflow 0
		.amdhsa_exception_fp_ieee_inexact 0
		.amdhsa_exception_int_div_zero 0
	.end_amdhsa_kernel
	.section	.text._ZN2at6native12_GLOBAL__N_125multi_tensor_apply_kernelINS1_18TensorListMetadataILi1EEENS1_14UnaryOpFunctorIdLi1ELi1ELi0EEEJNS0_4AcosIdEEEEEvT_T0_DpT1_,"axG",@progbits,_ZN2at6native12_GLOBAL__N_125multi_tensor_apply_kernelINS1_18TensorListMetadataILi1EEENS1_14UnaryOpFunctorIdLi1ELi1ELi0EEEJNS0_4AcosIdEEEEEvT_T0_DpT1_,comdat
.Lfunc_end46:
	.size	_ZN2at6native12_GLOBAL__N_125multi_tensor_apply_kernelINS1_18TensorListMetadataILi1EEENS1_14UnaryOpFunctorIdLi1ELi1ELi0EEEJNS0_4AcosIdEEEEEvT_T0_DpT1_, .Lfunc_end46-_ZN2at6native12_GLOBAL__N_125multi_tensor_apply_kernelINS1_18TensorListMetadataILi1EEENS1_14UnaryOpFunctorIdLi1ELi1ELi0EEEJNS0_4AcosIdEEEEEvT_T0_DpT1_
                                        ; -- End function
	.set _ZN2at6native12_GLOBAL__N_125multi_tensor_apply_kernelINS1_18TensorListMetadataILi1EEENS1_14UnaryOpFunctorIdLi1ELi1ELi0EEEJNS0_4AcosIdEEEEEvT_T0_DpT1_.num_vgpr, 37
	.set _ZN2at6native12_GLOBAL__N_125multi_tensor_apply_kernelINS1_18TensorListMetadataILi1EEENS1_14UnaryOpFunctorIdLi1ELi1ELi0EEEJNS0_4AcosIdEEEEEvT_T0_DpT1_.num_agpr, 0
	.set _ZN2at6native12_GLOBAL__N_125multi_tensor_apply_kernelINS1_18TensorListMetadataILi1EEENS1_14UnaryOpFunctorIdLi1ELi1ELi0EEEJNS0_4AcosIdEEEEEvT_T0_DpT1_.numbered_sgpr, 55
	.set _ZN2at6native12_GLOBAL__N_125multi_tensor_apply_kernelINS1_18TensorListMetadataILi1EEENS1_14UnaryOpFunctorIdLi1ELi1ELi0EEEJNS0_4AcosIdEEEEEvT_T0_DpT1_.num_named_barrier, 0
	.set _ZN2at6native12_GLOBAL__N_125multi_tensor_apply_kernelINS1_18TensorListMetadataILi1EEENS1_14UnaryOpFunctorIdLi1ELi1ELi0EEEJNS0_4AcosIdEEEEEvT_T0_DpT1_.private_seg_size, 0
	.set _ZN2at6native12_GLOBAL__N_125multi_tensor_apply_kernelINS1_18TensorListMetadataILi1EEENS1_14UnaryOpFunctorIdLi1ELi1ELi0EEEJNS0_4AcosIdEEEEEvT_T0_DpT1_.uses_vcc, 1
	.set _ZN2at6native12_GLOBAL__N_125multi_tensor_apply_kernelINS1_18TensorListMetadataILi1EEENS1_14UnaryOpFunctorIdLi1ELi1ELi0EEEJNS0_4AcosIdEEEEEvT_T0_DpT1_.uses_flat_scratch, 0
	.set _ZN2at6native12_GLOBAL__N_125multi_tensor_apply_kernelINS1_18TensorListMetadataILi1EEENS1_14UnaryOpFunctorIdLi1ELi1ELi0EEEJNS0_4AcosIdEEEEEvT_T0_DpT1_.has_dyn_sized_stack, 0
	.set _ZN2at6native12_GLOBAL__N_125multi_tensor_apply_kernelINS1_18TensorListMetadataILi1EEENS1_14UnaryOpFunctorIdLi1ELi1ELi0EEEJNS0_4AcosIdEEEEEvT_T0_DpT1_.has_recursion, 0
	.set _ZN2at6native12_GLOBAL__N_125multi_tensor_apply_kernelINS1_18TensorListMetadataILi1EEENS1_14UnaryOpFunctorIdLi1ELi1ELi0EEEJNS0_4AcosIdEEEEEvT_T0_DpT1_.has_indirect_call, 0
	.section	.AMDGPU.csdata,"",@progbits
; Kernel info:
; codeLenInByte = 5552
; TotalNumSgprs: 59
; NumVgprs: 37
; ScratchSize: 0
; MemoryBound: 0
; FloatMode: 240
; IeeeMode: 1
; LDSByteSize: 0 bytes/workgroup (compile time only)
; SGPRBlocks: 7
; VGPRBlocks: 9
; NumSGPRsForWavesPerEU: 59
; NumVGPRsForWavesPerEU: 37
; Occupancy: 6
; WaveLimiterHint : 0
; COMPUTE_PGM_RSRC2:SCRATCH_EN: 0
; COMPUTE_PGM_RSRC2:USER_SGPR: 6
; COMPUTE_PGM_RSRC2:TRAP_HANDLER: 0
; COMPUTE_PGM_RSRC2:TGID_X_EN: 1
; COMPUTE_PGM_RSRC2:TGID_Y_EN: 0
; COMPUTE_PGM_RSRC2:TGID_Z_EN: 0
; COMPUTE_PGM_RSRC2:TIDIG_COMP_CNT: 0
	.section	.text._ZN2at6native12_GLOBAL__N_125multi_tensor_apply_kernelINS1_18TensorListMetadataILi1EEENS1_14UnaryOpFunctorIfLi1ELi1ELi0EEEJNS0_4AcosIfEEEEEvT_T0_DpT1_,"axG",@progbits,_ZN2at6native12_GLOBAL__N_125multi_tensor_apply_kernelINS1_18TensorListMetadataILi1EEENS1_14UnaryOpFunctorIfLi1ELi1ELi0EEEJNS0_4AcosIfEEEEEvT_T0_DpT1_,comdat
	.globl	_ZN2at6native12_GLOBAL__N_125multi_tensor_apply_kernelINS1_18TensorListMetadataILi1EEENS1_14UnaryOpFunctorIfLi1ELi1ELi0EEEJNS0_4AcosIfEEEEEvT_T0_DpT1_ ; -- Begin function _ZN2at6native12_GLOBAL__N_125multi_tensor_apply_kernelINS1_18TensorListMetadataILi1EEENS1_14UnaryOpFunctorIfLi1ELi1ELi0EEEJNS0_4AcosIfEEEEEvT_T0_DpT1_
	.p2align	8
	.type	_ZN2at6native12_GLOBAL__N_125multi_tensor_apply_kernelINS1_18TensorListMetadataILi1EEENS1_14UnaryOpFunctorIfLi1ELi1ELi0EEEJNS0_4AcosIfEEEEEvT_T0_DpT1_,@function
_ZN2at6native12_GLOBAL__N_125multi_tensor_apply_kernelINS1_18TensorListMetadataILi1EEENS1_14UnaryOpFunctorIfLi1ELi1ELi0EEEJNS0_4AcosIfEEEEEvT_T0_DpT1_: ; @_ZN2at6native12_GLOBAL__N_125multi_tensor_apply_kernelINS1_18TensorListMetadataILi1EEENS1_14UnaryOpFunctorIfLi1ELi1ELi0EEEJNS0_4AcosIfEEEEEvT_T0_DpT1_
; %bb.0:
	v_mov_b32_e32 v1, s6
	global_load_ubyte v1, v1, s[4:5] offset:1760
	s_add_u32 s0, s4, s6
	s_mul_hi_u32 s1, s6, 3
	s_mul_i32 s6, s6, 3
	s_addc_u32 s2, s5, 0
	s_add_u32 s0, s0, s6
	s_addc_u32 s1, s2, s1
	s_load_dword s0, s[0:1], 0x820
	s_mov_b32 s7, 0
	s_waitcnt vmcnt(0)
	v_readfirstlane_b32 s1, v1
	s_lshl_b32 s1, s1, 3
	s_load_dwordx2 s[2:3], s[4:5], s1 offset:0x370
	s_load_dwordx2 s[10:11], s[4:5], s1 offset:0x0
	s_waitcnt lgkmcnt(0)
	s_ashr_i32 s1, s0, 31
	s_lshl_b64 s[12:13], s[0:1], 18
	s_lshl_b64 s[0:1], s[0:1], 16
	s_and_b32 s6, s10, 15
	s_sub_u32 s14, s2, s0
	s_subb_u32 s15, s3, s1
	s_and_b32 s0, s2, 3
	s_mov_b32 s1, s7
	s_or_b64 s[0:1], s[6:7], s[0:1]
	s_cmp_eq_u64 s[0:1], 0
	s_cbranch_scc1 .LBB47_21
; %bb.1:
	v_cmp_lt_i64_e64 s[0:1], s[14:15], 1
	s_and_b64 vcc, exec, s[0:1]
	s_cbranch_vccnz .LBB47_20
; %bb.2:
	v_mov_b32_e32 v1, 0x10000
	s_load_dword s2, s[4:5], 0xd3c
	v_mov_b32_e32 v2, 0
	v_cmp_lt_i64_e32 vcc, s[14:15], v[1:2]
	s_mov_b64 s[20:21], 0
	s_and_b64 s[0:1], vcc, exec
	v_cmp_lt_u64_e32 vcc, s[14:15], v[1:2]
	s_cselect_b32 s17, s15, 0
	s_cselect_b32 s16, s14, 0x10000
	s_waitcnt lgkmcnt(0)
	s_and_b32 s2, s2, 0xffff
	s_and_b64 s[0:1], vcc, exec
	s_cselect_b32 s19, s15, 0
	s_cselect_b32 s18, s14, 0x10000
	s_lshl_b32 s3, s2, 1
	s_lshl_b32 s24, s2, 2
	s_add_u32 s6, s10, s12
	v_lshlrev_b32_e32 v1, 2, v0
	s_addc_u32 s7, s11, s13
	v_mov_b32_e32 v2, s7
	v_add_co_u32_e32 v1, vcc, s6, v1
	s_mul_i32 s0, s2, 3
	v_addc_co_u32_e32 v2, vcc, 0, v2, vcc
	v_add_co_u32_e32 v5, vcc, s0, v0
	v_addc_co_u32_e64 v6, s[0:1], 0, 0, vcc
	v_add_co_u32_e32 v7, vcc, s3, v0
	v_addc_co_u32_e64 v8, s[0:1], 0, 0, vcc
	v_add_co_u32_e32 v9, vcc, s2, v0
	v_lshlrev_b32_e32 v3, 2, v9
	v_addc_co_u32_e64 v10, s[0:1], 0, 0, vcc
	v_mov_b32_e32 v4, s7
	v_add_co_u32_e32 v3, vcc, s6, v3
	s_lshl_b32 s25, s2, 4
	s_mul_i32 s26, s2, 12
	s_lshl_b32 s27, s2, 3
	v_addc_co_u32_e32 v4, vcc, 0, v4, vcc
	v_mov_b32_e32 v11, 0x3d034c3c
	v_mov_b32_e32 v12, 0x3d3641b1
	;; [unrolled: 1-line block ×4, first 2 shown]
	s_branch .LBB47_4
.LBB47_3:                               ;   in Loop: Header=BB47_4 Depth=1
	s_or_b64 exec, exec, s[2:3]
	s_add_u32 s20, s20, s24
	v_add_co_u32_e32 v1, vcc, s25, v1
	s_waitcnt vmcnt(0)
	v_mov_b32_e32 v15, s16
	s_addc_u32 s21, s21, 0
	v_addc_co_u32_e32 v2, vcc, 0, v2, vcc
	v_mov_b32_e32 v16, s17
	v_cmp_lt_i64_e32 vcc, s[20:21], v[15:16]
	v_add_co_u32_e64 v3, s[0:1], s25, v3
	v_addc_co_u32_e64 v4, s[0:1], 0, v4, s[0:1]
	s_cbranch_vccz .LBB47_20
.LBB47_4:                               ; =>This Inner Loop Header: Depth=1
	v_mov_b32_e32 v16, s21
	v_add_co_u32_e32 v15, vcc, s20, v0
	v_addc_co_u32_e32 v16, vcc, 0, v16, vcc
	v_cmp_gt_u64_e64 s[6:7], s[18:19], v[15:16]
	v_mov_b32_e32 v18, 0
	s_and_saveexec_b64 s[0:1], s[6:7]
	s_cbranch_execz .LBB47_6
; %bb.5:                                ;   in Loop: Header=BB47_4 Depth=1
	global_load_dword v18, v[1:2], off
.LBB47_6:                               ;   in Loop: Header=BB47_4 Depth=1
	s_or_b64 exec, exec, s[0:1]
	v_mov_b32_e32 v16, s21
	v_add_co_u32_e32 v15, vcc, s20, v9
	v_addc_co_u32_e32 v16, vcc, v10, v16, vcc
	v_cmp_gt_u64_e64 s[2:3], s[18:19], v[15:16]
	v_mov_b32_e32 v15, 0
	v_mov_b32_e32 v17, 0
	s_and_saveexec_b64 s[0:1], s[2:3]
	s_cbranch_execz .LBB47_8
; %bb.7:                                ;   in Loop: Header=BB47_4 Depth=1
	global_load_dword v17, v[3:4], off
.LBB47_8:                               ;   in Loop: Header=BB47_4 Depth=1
	s_or_b64 exec, exec, s[0:1]
	v_mov_b32_e32 v16, s21
	v_add_co_u32_e32 v19, vcc, s20, v7
	v_addc_co_u32_e32 v20, vcc, v8, v16, vcc
	v_cmp_gt_u64_e64 s[0:1], s[18:19], v[19:20]
	s_and_saveexec_b64 s[8:9], s[0:1]
	s_cbranch_execz .LBB47_10
; %bb.9:                                ;   in Loop: Header=BB47_4 Depth=1
	v_add_co_u32_e32 v15, vcc, s27, v1
	v_addc_co_u32_e32 v16, vcc, 0, v2, vcc
	global_load_dword v15, v[15:16], off
.LBB47_10:                              ;   in Loop: Header=BB47_4 Depth=1
	s_or_b64 exec, exec, s[8:9]
	v_mov_b32_e32 v16, s21
	v_add_co_u32_e32 v19, vcc, s20, v5
	v_addc_co_u32_e32 v20, vcc, v6, v16, vcc
	v_cmp_gt_u64_e32 vcc, s[18:19], v[19:20]
	v_mov_b32_e32 v16, 0
	s_and_saveexec_b64 s[22:23], vcc
	s_cbranch_execnz .LBB47_15
; %bb.11:                               ;   in Loop: Header=BB47_4 Depth=1
	s_or_b64 exec, exec, s[22:23]
	s_and_saveexec_b64 s[22:23], s[6:7]
	s_cbranch_execnz .LBB47_16
.LBB47_12:                              ;   in Loop: Header=BB47_4 Depth=1
	s_or_b64 exec, exec, s[22:23]
	s_and_saveexec_b64 s[8:9], s[2:3]
	s_cbranch_execnz .LBB47_17
.LBB47_13:                              ;   in Loop: Header=BB47_4 Depth=1
	s_or_b64 exec, exec, s[8:9]
	s_and_saveexec_b64 s[6:7], s[0:1]
	s_cbranch_execnz .LBB47_18
.LBB47_14:                              ;   in Loop: Header=BB47_4 Depth=1
	s_or_b64 exec, exec, s[6:7]
	s_and_saveexec_b64 s[2:3], vcc
	s_cbranch_execz .LBB47_3
	s_branch .LBB47_19
.LBB47_15:                              ;   in Loop: Header=BB47_4 Depth=1
	v_add_co_u32_e64 v19, s[8:9], s26, v1
	v_addc_co_u32_e64 v20, s[8:9], 0, v2, s[8:9]
	global_load_dword v16, v[19:20], off
	s_or_b64 exec, exec, s[22:23]
	s_and_saveexec_b64 s[22:23], s[6:7]
	s_cbranch_execz .LBB47_12
.LBB47_16:                              ;   in Loop: Header=BB47_4 Depth=1
	s_waitcnt vmcnt(0)
	v_fma_f32 v19, |v18|, -0.5, 0.5
	v_mul_f32_e32 v20, v18, v18
	v_cmp_gt_f32_e64 s[6:7], |v18|, 0.5
	v_cndmask_b32_e64 v19, v20, v19, s[6:7]
	v_mov_b32_e32 v21, 0x3c5fc5da
	v_fmac_f32_e32 v21, 0x3d1c21a7, v19
	v_fma_f32 v21, v19, v21, v11
	v_sqrt_f32_e32 v20, v19
	v_fma_f32 v21, v19, v21, v12
	v_fma_f32 v21, v19, v21, v13
	;; [unrolled: 1-line block ×3, first 2 shown]
	v_mul_f32_e32 v19, v19, v21
	v_fmac_f32_e32 v20, v20, v19
	v_add_f32_e32 v20, v20, v20
	v_sub_f32_e32 v21, 0x40490fdb, v20
	v_cmp_gt_f32_e64 s[8:9], 0, v18
	v_fmac_f32_e32 v18, v18, v19
	v_cndmask_b32_e64 v20, v20, v21, s[8:9]
	v_sub_f32_e32 v18, 0x3fc90fdb, v18
	v_cndmask_b32_e64 v18, v18, v20, s[6:7]
	global_store_dword v[1:2], v18, off
	s_or_b64 exec, exec, s[22:23]
	s_and_saveexec_b64 s[8:9], s[2:3]
	s_cbranch_execz .LBB47_13
.LBB47_17:                              ;   in Loop: Header=BB47_4 Depth=1
	s_waitcnt vmcnt(0)
	v_fma_f32 v18, |v17|, -0.5, 0.5
	v_mul_f32_e32 v19, v17, v17
	v_cmp_gt_f32_e64 s[2:3], |v17|, 0.5
	v_cndmask_b32_e64 v18, v19, v18, s[2:3]
	v_mov_b32_e32 v19, 0x3c5fc5da
	v_fmac_f32_e32 v19, 0x3d1c21a7, v18
	v_fma_f32 v19, v18, v19, v11
	v_fma_f32 v19, v18, v19, v12
	v_sqrt_f32_e32 v20, v18
	v_fma_f32 v19, v18, v19, v13
	v_fma_f32 v19, v18, v19, v14
	v_mul_f32_e32 v18, v18, v19
	v_fmac_f32_e32 v20, v20, v18
	v_add_f32_e32 v19, v20, v20
	v_sub_f32_e32 v20, 0x40490fdb, v19
	v_cmp_gt_f32_e64 s[6:7], 0, v17
	v_fmac_f32_e32 v17, v17, v18
	v_cndmask_b32_e64 v19, v19, v20, s[6:7]
	v_sub_f32_e32 v17, 0x3fc90fdb, v17
	v_cndmask_b32_e64 v17, v17, v19, s[2:3]
	global_store_dword v[3:4], v17, off
	s_or_b64 exec, exec, s[8:9]
	s_and_saveexec_b64 s[6:7], s[0:1]
	s_cbranch_execz .LBB47_14
.LBB47_18:                              ;   in Loop: Header=BB47_4 Depth=1
	s_waitcnt vmcnt(0)
	v_fma_f32 v17, |v15|, -0.5, 0.5
	v_mul_f32_e32 v18, v15, v15
	v_cmp_gt_f32_e64 s[0:1], |v15|, 0.5
	v_cndmask_b32_e64 v17, v18, v17, s[0:1]
	v_mov_b32_e32 v18, 0x3c5fc5da
	v_fmac_f32_e32 v18, 0x3d1c21a7, v17
	v_fma_f32 v18, v17, v18, v11
	v_fma_f32 v18, v17, v18, v12
	v_sqrt_f32_e32 v19, v17
	v_fma_f32 v18, v17, v18, v13
	v_fma_f32 v18, v17, v18, v14
	v_mul_f32_e32 v17, v17, v18
	v_fmac_f32_e32 v19, v19, v17
	v_add_f32_e32 v18, v19, v19
	v_sub_f32_e32 v19, 0x40490fdb, v18
	v_cmp_gt_f32_e64 s[2:3], 0, v15
	v_fmac_f32_e32 v15, v15, v17
	v_cndmask_b32_e64 v18, v18, v19, s[2:3]
	v_sub_f32_e32 v15, 0x3fc90fdb, v15
	v_cndmask_b32_e64 v15, v15, v18, s[0:1]
	v_add_co_u32_e64 v17, s[0:1], s27, v1
	v_addc_co_u32_e64 v18, s[0:1], 0, v2, s[0:1]
	global_store_dword v[17:18], v15, off
	s_or_b64 exec, exec, s[6:7]
	s_and_saveexec_b64 s[2:3], vcc
	s_cbranch_execz .LBB47_3
.LBB47_19:                              ;   in Loop: Header=BB47_4 Depth=1
	s_waitcnt vmcnt(0)
	v_fma_f32 v15, |v16|, -0.5, 0.5
	v_mul_f32_e32 v17, v16, v16
	v_cmp_gt_f32_e64 vcc, |v16|, 0.5
	v_cndmask_b32_e32 v15, v17, v15, vcc
	v_mov_b32_e32 v17, 0x3c5fc5da
	v_fmac_f32_e32 v17, 0x3d1c21a7, v15
	v_fma_f32 v17, v15, v17, v11
	v_fma_f32 v17, v15, v17, v12
	v_sqrt_f32_e32 v18, v15
	v_fma_f32 v17, v15, v17, v13
	v_fma_f32 v17, v15, v17, v14
	v_mul_f32_e32 v15, v15, v17
	v_fmac_f32_e32 v18, v18, v15
	v_add_f32_e32 v17, v18, v18
	v_sub_f32_e32 v18, 0x40490fdb, v17
	v_cmp_gt_f32_e64 s[0:1], 0, v16
	v_fmac_f32_e32 v16, v16, v15
	v_cndmask_b32_e64 v17, v17, v18, s[0:1]
	v_sub_f32_e32 v15, 0x3fc90fdb, v16
	v_cndmask_b32_e32 v17, v15, v17, vcc
	v_add_co_u32_e32 v15, vcc, s26, v1
	v_addc_co_u32_e32 v16, vcc, 0, v2, vcc
	global_store_dword v[15:16], v17, off
	s_branch .LBB47_3
.LBB47_20:
	s_cbranch_execz .LBB47_22
	s_branch .LBB47_25
.LBB47_21:
.LBB47_22:
	v_mov_b32_e32 v1, 0x10000
	v_mov_b32_e32 v2, 0
	v_cmp_lt_i64_e32 vcc, s[14:15], v[1:2]
	v_mov_b32_e32 v2, 0
	s_and_b64 s[0:1], vcc, exec
	s_cselect_b32 s15, s15, 0
	s_cselect_b32 s14, s14, 0x10000
	v_lshlrev_b32_e32 v1, 2, v0
	v_cmp_gt_i64_e32 vcc, s[14:15], v[1:2]
	s_and_saveexec_b64 s[0:1], vcc
	s_cbranch_execz .LBB47_25
; %bb.23:
	s_load_dword s0, s[4:5], 0xd3c
	v_mov_b32_e32 v1, v2
	v_lshlrev_b32_e32 v2, 4, v0
	v_mov_b32_e32 v4, 0x3d034c3c
	v_mov_b32_e32 v5, 0x3d3641b1
	s_waitcnt lgkmcnt(0)
	s_and_b32 s16, s0, 0xffff
	s_add_u32 s0, s10, s12
	s_addc_u32 s1, s11, s13
	v_mov_b32_e32 v3, s1
	v_add_co_u32_e32 v2, vcc, s0, v2
	v_addc_co_u32_e32 v3, vcc, 0, v3, vcc
	v_add_co_u32_e32 v2, vcc, 8, v2
	v_addc_co_u32_e32 v3, vcc, 0, v3, vcc
	s_lshl_b32 s17, s16, 4
	s_mov_b64 s[12:13], 0
	v_mov_b32_e32 v6, 0x3d999bc8
	v_mov_b32_e32 v7, 0x3e2aaaac
.LBB47_24:                              ; =>This Inner Loop Header: Depth=1
	global_load_dwordx4 v[8:11], v[2:3], off offset:-8
	v_add_co_u32_e32 v0, vcc, s16, v0
	v_addc_co_u32_e32 v1, vcc, 0, v1, vcc
	v_lshlrev_b64 v[12:13], 2, v[0:1]
	v_mov_b32_e32 v14, 0x3c5fc5da
	v_cmp_le_i64_e32 vcc, s[14:15], v[12:13]
	v_mov_b32_e32 v15, 0x3c5fc5da
	v_mov_b32_e32 v16, 0x3c5fc5da
	s_or_b64 s[12:13], vcc, s[12:13]
	s_waitcnt vmcnt(0)
	v_fma_f32 v12, |v8|, -0.5, 0.5
	v_mul_f32_e32 v13, v8, v8
	v_cmp_gt_f32_e64 s[0:1], |v8|, 0.5
	v_fma_f32 v17, |v9|, -0.5, 0.5
	v_mul_f32_e32 v18, v9, v9
	v_cndmask_b32_e64 v12, v13, v12, s[0:1]
	v_cmp_gt_f32_e64 s[2:3], |v9|, 0.5
	v_cndmask_b32_e64 v17, v18, v17, s[2:3]
	v_fmac_f32_e32 v14, 0x3d1c21a7, v12
	v_fma_f32 v19, |v10|, -0.5, 0.5
	v_mul_f32_e32 v13, v10, v10
	v_cmp_gt_f32_e64 s[4:5], |v10|, 0.5
	v_fmac_f32_e32 v15, 0x3d1c21a7, v17
	v_fma_f32 v14, v12, v14, v4
	v_fma_f32 v18, |v11|, -0.5, 0.5
	v_cndmask_b32_e64 v13, v13, v19, s[4:5]
	v_mul_f32_e32 v19, v11, v11
	v_cmp_gt_f32_e64 s[6:7], |v11|, 0.5
	v_fma_f32 v14, v12, v14, v5
	v_fma_f32 v15, v17, v15, v4
	v_cndmask_b32_e64 v18, v19, v18, s[6:7]
	v_fma_f32 v14, v12, v14, v6
	v_fma_f32 v15, v17, v15, v5
	v_sqrt_f32_e32 v19, v12
	v_fma_f32 v14, v12, v14, v7
	v_fmac_f32_e32 v16, 0x3d1c21a7, v18
	v_fma_f32 v15, v17, v15, v6
	v_mul_f32_e32 v12, v12, v14
	v_sqrt_f32_e32 v14, v17
	v_fma_f32 v15, v17, v15, v7
	v_fma_f32 v16, v18, v16, v4
	v_mul_f32_e32 v15, v17, v15
	v_sqrt_f32_e32 v17, v18
	v_fma_f32 v16, v18, v16, v5
	v_fma_f32 v16, v18, v16, v6
	;; [unrolled: 1-line block ×3, first 2 shown]
	v_fmac_f32_e32 v19, v19, v12
	v_mul_f32_e32 v16, v18, v16
	v_fmac_f32_e32 v14, v14, v15
	v_add_f32_e32 v18, v19, v19
	v_fmac_f32_e32 v17, v17, v16
	v_add_f32_e32 v14, v14, v14
	v_cmp_gt_f32_e64 s[8:9], 0, v11
	v_fmac_f32_e32 v11, v11, v16
	v_sub_f32_e32 v16, 0x40490fdb, v18
	v_cmp_gt_f32_e64 s[10:11], 0, v8
	v_cndmask_b32_e64 v16, v18, v16, s[10:11]
	v_sub_f32_e32 v18, 0x40490fdb, v14
	v_cmp_gt_f32_e64 s[10:11], 0, v9
	v_cndmask_b32_e64 v14, v14, v18, s[10:11]
	v_mov_b32_e32 v18, 0x3c5fc5da
	v_fmac_f32_e32 v18, 0x3d1c21a7, v13
	v_fma_f32 v18, v13, v18, v4
	v_fma_f32 v18, v13, v18, v5
	;; [unrolled: 1-line block ×4, first 2 shown]
	v_mul_f32_e32 v18, v13, v18
	v_sqrt_f32_e32 v13, v13
	v_add_f32_e32 v17, v17, v17
	v_sub_f32_e32 v19, 0x40490fdb, v17
	v_cmp_gt_f32_e64 s[10:11], 0, v10
	v_fmac_f32_e32 v13, v13, v18
	v_add_f32_e32 v13, v13, v13
	v_sub_f32_e32 v20, 0x40490fdb, v13
	v_fma_f32 v8, v8, v12, v8
	v_fma_f32 v9, v9, v15, v9
	;; [unrolled: 1-line block ×3, first 2 shown]
	v_cndmask_b32_e64 v13, v13, v20, s[10:11]
	v_sub_f32_e32 v8, 0x3fc90fdb, v8
	v_sub_f32_e32 v9, 0x3fc90fdb, v9
	;; [unrolled: 1-line block ×3, first 2 shown]
	v_cndmask_b32_e64 v12, v17, v19, s[8:9]
	v_sub_f32_e32 v11, 0x3fc90fdb, v11
	v_cndmask_b32_e64 v8, v8, v16, s[0:1]
	v_cndmask_b32_e64 v9, v9, v14, s[2:3]
	;; [unrolled: 1-line block ×4, first 2 shown]
	global_store_dwordx4 v[2:3], v[8:11], off offset:-8
	v_add_co_u32_e32 v2, vcc, s17, v2
	v_addc_co_u32_e32 v3, vcc, 0, v3, vcc
	s_andn2_b64 exec, exec, s[12:13]
	s_cbranch_execnz .LBB47_24
.LBB47_25:
	s_endpgm
	.section	.rodata,"a",@progbits
	.p2align	6, 0x0
	.amdhsa_kernel _ZN2at6native12_GLOBAL__N_125multi_tensor_apply_kernelINS1_18TensorListMetadataILi1EEENS1_14UnaryOpFunctorIfLi1ELi1ELi0EEEJNS0_4AcosIfEEEEEvT_T0_DpT1_
		.amdhsa_group_segment_fixed_size 0
		.amdhsa_private_segment_fixed_size 0
		.amdhsa_kernarg_size 3632
		.amdhsa_user_sgpr_count 6
		.amdhsa_user_sgpr_private_segment_buffer 1
		.amdhsa_user_sgpr_dispatch_ptr 0
		.amdhsa_user_sgpr_queue_ptr 0
		.amdhsa_user_sgpr_kernarg_segment_ptr 1
		.amdhsa_user_sgpr_dispatch_id 0
		.amdhsa_user_sgpr_flat_scratch_init 0
		.amdhsa_user_sgpr_private_segment_size 0
		.amdhsa_uses_dynamic_stack 0
		.amdhsa_system_sgpr_private_segment_wavefront_offset 0
		.amdhsa_system_sgpr_workgroup_id_x 1
		.amdhsa_system_sgpr_workgroup_id_y 0
		.amdhsa_system_sgpr_workgroup_id_z 0
		.amdhsa_system_sgpr_workgroup_info 0
		.amdhsa_system_vgpr_workitem_id 0
		.amdhsa_next_free_vgpr 22
		.amdhsa_next_free_sgpr 28
		.amdhsa_reserve_vcc 1
		.amdhsa_reserve_flat_scratch 0
		.amdhsa_float_round_mode_32 0
		.amdhsa_float_round_mode_16_64 0
		.amdhsa_float_denorm_mode_32 3
		.amdhsa_float_denorm_mode_16_64 3
		.amdhsa_dx10_clamp 1
		.amdhsa_ieee_mode 1
		.amdhsa_fp16_overflow 0
		.amdhsa_exception_fp_ieee_invalid_op 0
		.amdhsa_exception_fp_denorm_src 0
		.amdhsa_exception_fp_ieee_div_zero 0
		.amdhsa_exception_fp_ieee_overflow 0
		.amdhsa_exception_fp_ieee_underflow 0
		.amdhsa_exception_fp_ieee_inexact 0
		.amdhsa_exception_int_div_zero 0
	.end_amdhsa_kernel
	.section	.text._ZN2at6native12_GLOBAL__N_125multi_tensor_apply_kernelINS1_18TensorListMetadataILi1EEENS1_14UnaryOpFunctorIfLi1ELi1ELi0EEEJNS0_4AcosIfEEEEEvT_T0_DpT1_,"axG",@progbits,_ZN2at6native12_GLOBAL__N_125multi_tensor_apply_kernelINS1_18TensorListMetadataILi1EEENS1_14UnaryOpFunctorIfLi1ELi1ELi0EEEJNS0_4AcosIfEEEEEvT_T0_DpT1_,comdat
.Lfunc_end47:
	.size	_ZN2at6native12_GLOBAL__N_125multi_tensor_apply_kernelINS1_18TensorListMetadataILi1EEENS1_14UnaryOpFunctorIfLi1ELi1ELi0EEEJNS0_4AcosIfEEEEEvT_T0_DpT1_, .Lfunc_end47-_ZN2at6native12_GLOBAL__N_125multi_tensor_apply_kernelINS1_18TensorListMetadataILi1EEENS1_14UnaryOpFunctorIfLi1ELi1ELi0EEEJNS0_4AcosIfEEEEEvT_T0_DpT1_
                                        ; -- End function
	.set _ZN2at6native12_GLOBAL__N_125multi_tensor_apply_kernelINS1_18TensorListMetadataILi1EEENS1_14UnaryOpFunctorIfLi1ELi1ELi0EEEJNS0_4AcosIfEEEEEvT_T0_DpT1_.num_vgpr, 22
	.set _ZN2at6native12_GLOBAL__N_125multi_tensor_apply_kernelINS1_18TensorListMetadataILi1EEENS1_14UnaryOpFunctorIfLi1ELi1ELi0EEEJNS0_4AcosIfEEEEEvT_T0_DpT1_.num_agpr, 0
	.set _ZN2at6native12_GLOBAL__N_125multi_tensor_apply_kernelINS1_18TensorListMetadataILi1EEENS1_14UnaryOpFunctorIfLi1ELi1ELi0EEEJNS0_4AcosIfEEEEEvT_T0_DpT1_.numbered_sgpr, 28
	.set _ZN2at6native12_GLOBAL__N_125multi_tensor_apply_kernelINS1_18TensorListMetadataILi1EEENS1_14UnaryOpFunctorIfLi1ELi1ELi0EEEJNS0_4AcosIfEEEEEvT_T0_DpT1_.num_named_barrier, 0
	.set _ZN2at6native12_GLOBAL__N_125multi_tensor_apply_kernelINS1_18TensorListMetadataILi1EEENS1_14UnaryOpFunctorIfLi1ELi1ELi0EEEJNS0_4AcosIfEEEEEvT_T0_DpT1_.private_seg_size, 0
	.set _ZN2at6native12_GLOBAL__N_125multi_tensor_apply_kernelINS1_18TensorListMetadataILi1EEENS1_14UnaryOpFunctorIfLi1ELi1ELi0EEEJNS0_4AcosIfEEEEEvT_T0_DpT1_.uses_vcc, 1
	.set _ZN2at6native12_GLOBAL__N_125multi_tensor_apply_kernelINS1_18TensorListMetadataILi1EEENS1_14UnaryOpFunctorIfLi1ELi1ELi0EEEJNS0_4AcosIfEEEEEvT_T0_DpT1_.uses_flat_scratch, 0
	.set _ZN2at6native12_GLOBAL__N_125multi_tensor_apply_kernelINS1_18TensorListMetadataILi1EEENS1_14UnaryOpFunctorIfLi1ELi1ELi0EEEJNS0_4AcosIfEEEEEvT_T0_DpT1_.has_dyn_sized_stack, 0
	.set _ZN2at6native12_GLOBAL__N_125multi_tensor_apply_kernelINS1_18TensorListMetadataILi1EEENS1_14UnaryOpFunctorIfLi1ELi1ELi0EEEJNS0_4AcosIfEEEEEvT_T0_DpT1_.has_recursion, 0
	.set _ZN2at6native12_GLOBAL__N_125multi_tensor_apply_kernelINS1_18TensorListMetadataILi1EEENS1_14UnaryOpFunctorIfLi1ELi1ELi0EEEJNS0_4AcosIfEEEEEvT_T0_DpT1_.has_indirect_call, 0
	.section	.AMDGPU.csdata,"",@progbits
; Kernel info:
; codeLenInByte = 2088
; TotalNumSgprs: 32
; NumVgprs: 22
; ScratchSize: 0
; MemoryBound: 0
; FloatMode: 240
; IeeeMode: 1
; LDSByteSize: 0 bytes/workgroup (compile time only)
; SGPRBlocks: 3
; VGPRBlocks: 5
; NumSGPRsForWavesPerEU: 32
; NumVGPRsForWavesPerEU: 22
; Occupancy: 10
; WaveLimiterHint : 0
; COMPUTE_PGM_RSRC2:SCRATCH_EN: 0
; COMPUTE_PGM_RSRC2:USER_SGPR: 6
; COMPUTE_PGM_RSRC2:TRAP_HANDLER: 0
; COMPUTE_PGM_RSRC2:TGID_X_EN: 1
; COMPUTE_PGM_RSRC2:TGID_Y_EN: 0
; COMPUTE_PGM_RSRC2:TGID_Z_EN: 0
; COMPUTE_PGM_RSRC2:TIDIG_COMP_CNT: 0
	.section	.text._ZN2at6native12_GLOBAL__N_125multi_tensor_apply_kernelINS1_18TensorListMetadataILi1EEENS1_14UnaryOpFunctorIN3c107complexIdEELi1ELi1ELi0EEEJNS0_4AcosIS8_EEEEEvT_T0_DpT1_,"axG",@progbits,_ZN2at6native12_GLOBAL__N_125multi_tensor_apply_kernelINS1_18TensorListMetadataILi1EEENS1_14UnaryOpFunctorIN3c107complexIdEELi1ELi1ELi0EEEJNS0_4AcosIS8_EEEEEvT_T0_DpT1_,comdat
	.globl	_ZN2at6native12_GLOBAL__N_125multi_tensor_apply_kernelINS1_18TensorListMetadataILi1EEENS1_14UnaryOpFunctorIN3c107complexIdEELi1ELi1ELi0EEEJNS0_4AcosIS8_EEEEEvT_T0_DpT1_ ; -- Begin function _ZN2at6native12_GLOBAL__N_125multi_tensor_apply_kernelINS1_18TensorListMetadataILi1EEENS1_14UnaryOpFunctorIN3c107complexIdEELi1ELi1ELi0EEEJNS0_4AcosIS8_EEEEEvT_T0_DpT1_
	.p2align	8
	.type	_ZN2at6native12_GLOBAL__N_125multi_tensor_apply_kernelINS1_18TensorListMetadataILi1EEENS1_14UnaryOpFunctorIN3c107complexIdEELi1ELi1ELi0EEEJNS0_4AcosIS8_EEEEEvT_T0_DpT1_,@function
_ZN2at6native12_GLOBAL__N_125multi_tensor_apply_kernelINS1_18TensorListMetadataILi1EEENS1_14UnaryOpFunctorIN3c107complexIdEELi1ELi1ELi0EEEJNS0_4AcosIS8_EEEEEvT_T0_DpT1_: ; @_ZN2at6native12_GLOBAL__N_125multi_tensor_apply_kernelINS1_18TensorListMetadataILi1EEENS1_14UnaryOpFunctorIN3c107complexIdEELi1ELi1ELi0EEEJNS0_4AcosIS8_EEEEEvT_T0_DpT1_
; %bb.0:
	v_mov_b32_e32 v1, s8
	global_load_ubyte v1, v1, s[4:5] offset:1760
	s_add_u32 flat_scratch_lo, s6, s9
	s_addc_u32 flat_scratch_hi, s7, 0
	s_add_u32 s0, s0, s9
	s_addc_u32 s1, s1, 0
	s_add_u32 s7, s4, s8
	s_mul_hi_u32 s9, s8, 3
	s_mul_i32 s8, s8, 3
	s_addc_u32 s6, s5, 0
	s_add_u32 s8, s7, s8
	s_addc_u32 s9, s6, s9
	s_load_dword s14, s[8:9], 0x820
                                        ; implicit-def: $vgpr87 : SGPR spill to VGPR lane
	s_mov_b32 s11, 0
	s_waitcnt lgkmcnt(0)
	s_ashr_i32 s15, s14, 31
	s_lshl_b64 s[12:13], s[14:15], 20
	s_waitcnt vmcnt(0)
	v_readfirstlane_b32 s6, v1
	s_lshl_b32 s10, s6, 3
	s_load_dwordx2 s[6:7], s[4:5], s10 offset:0x0
	v_writelane_b32 v87, s4, 0
	s_load_dwordx2 s[8:9], s[4:5], s10 offset:0x370
	v_writelane_b32 v87, s5, 1
                                        ; kill: killed $sgpr10
	s_waitcnt lgkmcnt(0)
	s_add_u32 s82, s6, s12
	s_addc_u32 s83, s7, s13
	s_lshl_b64 s[4:5], s[14:15], 16
	s_and_b32 s10, s82, 63
	s_sub_u32 s22, s8, s4
	s_subb_u32 s23, s9, s5
	s_and_b32 s4, s8, 3
	s_mov_b32 s5, s11
	s_or_b64 s[4:5], s[10:11], s[4:5]
	s_cmp_eq_u64 s[4:5], 0
	s_cbranch_scc1 .LBB48_429
; %bb.1:
	v_cmp_lt_i64_e64 s[4:5], s[22:23], 1
	s_and_b64 vcc, exec, s[4:5]
	s_cbranch_vccnz .LBB48_428
; %bb.2:
	v_readlane_b32 s4, v87, 0
	v_readlane_b32 s5, v87, 1
	v_mov_b32_e32 v1, 0x10000
	s_load_dword s6, s[4:5], 0xd3c
	v_mov_b32_e32 v2, 0
	v_cmp_lt_i64_e32 vcc, s[22:23], v[1:2]
	v_mov_b32_e32 v22, 0
	s_and_b64 s[4:5], vcc, exec
	v_cmp_lt_u64_e32 vcc, s[22:23], v[1:2]
	s_cselect_b32 s27, s23, 0
	s_cselect_b32 s26, s22, 0x10000
	s_waitcnt lgkmcnt(0)
	s_and_b32 s6, s6, 0xffff
	s_and_b64 s[4:5], vcc, exec
	s_mul_i32 s8, s6, 3
	v_add_co_u32_e32 v50, vcc, s6, v0
	v_lshlrev_b32_e32 v21, 4, v0
	v_addc_co_u32_e64 v51, s[4:5], 0, 0, vcc
	v_add_co_u32_e32 v52, vcc, s8, v0
	v_mad_u64_u32 v[22:23], s[4:5], s6, 48, v[21:22]
	v_addc_co_u32_e64 v53, s[4:5], 0, 0, vcc
	s_cselect_b32 s29, s23, 0
	s_cselect_b32 s28, s22, 0x10000
	s_lshl_b32 s4, s6, 5
	s_lshl_b32 s7, s6, 1
	v_add_co_u32_e32 v1, vcc, s4, v21
	v_addc_co_u32_e64 v55, s[4:5], 0, 0, vcc
	v_add_co_u32_e32 v57, vcc, s7, v0
	v_addc_co_u32_e64 v58, s[4:5], 0, 0, vcc
	s_mov_b64 s[24:25], src_private_base
	s_mov_b32 s98, 0x1409212f
	s_mov_b32 s80, 0x55555555
	;; [unrolled: 1-line block ×21, first 2 shown]
	s_lshl_b32 s33, s6, 2
	s_mov_b32 s24, 8
	s_mov_b32 s30, 0
	;; [unrolled: 1-line block ×5, first 2 shown]
	s_lshl_b32 s54, s6, 6
	v_or_b32_e32 v22, 8, v22
	v_lshlrev_b32_e32 v54, 4, v50
	v_or_b32_e32 v56, 8, v1
	v_mov_b32_e32 v59, 0xd800000
	s_mov_b32 s99, 0x3e43988e
	v_mov_b32_e32 v60, 0x260
	s_mov_b32 s81, 0x3fe55555
	s_mov_b32 s41, 0x3fc3ab76
	;; [unrolled: 1-line block ×17, first 2 shown]
	v_mov_b32_e32 v24, 0x33145c07
	v_mov_b32_e32 v25, 0x3c91a626
	;; [unrolled: 1-line block ×21, first 2 shown]
	s_brev_b32 s55, -2
	s_movk_i32 s56, 0x204
	s_movk_i32 s57, 0xffcc
	s_mov_b64 s[78:79], 0
	s_mov_b32 s37, 0x43300000
	s_mov_b32 s75, 0x7ff00000
	;; [unrolled: 1-line block ×3, first 2 shown]
	v_writelane_b32 v87, s6, 2
	s_mov_b32 s73, 0x400921fb
	s_mov_b64 s[20:21], s[82:83]
	v_writelane_b32 v87, s7, 3
	s_branch .LBB48_4
.LBB48_3:                               ;   in Loop: Header=BB48_4 Depth=1
	s_or_b64 exec, exec, s[6:7]
	s_add_u32 s78, s78, s33
	v_mov_b32_e32 v1, s26
	s_addc_u32 s79, s79, 0
	v_mov_b32_e32 v2, s27
	v_cmp_ge_i64_e32 vcc, s[78:79], v[1:2]
	s_add_u32 s20, s20, s54
	s_addc_u32 s21, s21, 0
	s_cbranch_vccnz .LBB48_428
.LBB48_4:                               ; =>This Inner Loop Header: Depth=1
	v_mov_b32_e32 v2, s79
	v_add_co_u32_e32 v1, vcc, s78, v0
	v_addc_co_u32_e32 v2, vcc, 0, v2, vcc
	v_cmp_gt_u64_e64 s[6:7], s[28:29], v[1:2]
	v_mov_b32_e32 v19, 0
	v_mov_b32_e32 v15, 0
	s_waitcnt lgkmcnt(0)
	v_mov_b32_e32 v13, 0
	v_mov_b32_e32 v20, 0
	;; [unrolled: 1-line block ×4, first 2 shown]
	s_and_saveexec_b64 s[8:9], s[6:7]
	s_cbranch_execz .LBB48_6
; %bb.5:                                ;   in Loop: Header=BB48_4 Depth=1
	v_mov_b32_e32 v2, s21
	v_add_co_u32_e32 v1, vcc, s20, v21
	v_addc_co_u32_e32 v2, vcc, 0, v2, vcc
	global_load_dwordx4 v[13:16], v[1:2], off
.LBB48_6:                               ;   in Loop: Header=BB48_4 Depth=1
	s_or_b64 exec, exec, s[8:9]
	v_mov_b32_e32 v2, s79
	v_add_co_u32_e32 v1, vcc, s78, v50
	v_addc_co_u32_e32 v2, vcc, v51, v2, vcc
	v_cmp_gt_u64_e64 s[8:9], s[28:29], v[1:2]
	v_mov_b32_e32 v17, 0
	v_mov_b32_e32 v18, 0
	s_and_saveexec_b64 s[10:11], s[8:9]
	s_cbranch_execz .LBB48_8
; %bb.7:                                ;   in Loop: Header=BB48_4 Depth=1
	v_mov_b32_e32 v2, s21
	v_add_co_u32_e32 v1, vcc, s20, v54
	v_addc_co_u32_e32 v2, vcc, 0, v2, vcc
	global_load_dwordx4 v[17:20], v[1:2], off
.LBB48_8:                               ;   in Loop: Header=BB48_4 Depth=1
	s_or_b64 exec, exec, s[10:11]
	v_mov_b32_e32 v2, s79
	v_add_co_u32_e32 v1, vcc, s78, v57
	v_addc_co_u32_e32 v2, vcc, v58, v2, vcc
	v_cmp_gt_u64_e64 s[10:11], s[28:29], v[1:2]
	v_mov_b32_e32 v3, 0
	v_mov_b32_e32 v11, 0
	v_mov_b32_e32 v9, 0
	v_mov_b32_e32 v4, 0
	v_mov_b32_e32 v12, 0
	v_mov_b32_e32 v10, 0
	s_and_saveexec_b64 s[12:13], s[10:11]
	s_cbranch_execz .LBB48_10
; %bb.9:                                ;   in Loop: Header=BB48_4 Depth=1
	v_mov_b32_e32 v2, s21
	v_add_co_u32_e32 v1, vcc, s20, v56
	v_addc_co_u32_e32 v2, vcc, v2, v55, vcc
	global_load_dwordx4 v[9:12], v[1:2], off offset:-8
.LBB48_10:                              ;   in Loop: Header=BB48_4 Depth=1
	s_or_b64 exec, exec, s[12:13]
	v_mov_b32_e32 v2, s79
	v_add_co_u32_e32 v1, vcc, s78, v52
	v_addc_co_u32_e32 v2, vcc, v53, v2, vcc
	v_cmp_gt_u64_e64 s[12:13], s[28:29], v[1:2]
	v_mov_b32_e32 v1, 0
	v_mov_b32_e32 v2, 0
	s_and_saveexec_b64 s[14:15], s[12:13]
	s_cbranch_execz .LBB48_12
; %bb.11:                               ;   in Loop: Header=BB48_4 Depth=1
	v_mov_b32_e32 v2, s21
	v_add_co_u32_e32 v1, vcc, s20, v22
	v_addc_co_u32_e32 v2, vcc, v2, v23, vcc
	global_load_dwordx4 v[1:4], v[1:2], off offset:-8
.LBB48_12:                              ;   in Loop: Header=BB48_4 Depth=1
	s_or_b64 exec, exec, s[14:15]
	s_waitcnt vmcnt(0)
	v_cmp_o_f64_e32 vcc, v[13:14], v[15:16]
	v_mov_b32_e32 v5, s24
	v_mov_b32_e32 v6, s25
	flat_store_dwordx2 v[5:6], v[24:25]
	s_waitcnt vmcnt(0)
                                        ; implicit-def: $vgpr7_vgpr8
	s_and_saveexec_b64 s[14:15], vcc
	s_xor_b64 s[84:85], exec, s[14:15]
	s_cbranch_execz .LBB48_100
; %bb.13:                               ;   in Loop: Header=BB48_4 Depth=1
	v_max_f64 v[36:37], |v[13:14]|, |v[13:14]|
	v_max_f64 v[38:39], |v[15:16]|, |v[15:16]|
	v_cmp_gt_i64_e64 s[14:15], 0, v[15:16]
                                        ; implicit-def: $vgpr7_vgpr8
	v_max_f64 v[34:35], v[38:39], v[36:37]
	v_cmp_nlt_f64_e32 vcc, s[36:37], v[34:35]
	s_and_saveexec_b64 s[16:17], vcc
	s_xor_b64 s[86:87], exec, s[16:17]
	s_cbranch_execz .LBB48_89
; %bb.14:                               ;   in Loop: Header=BB48_4 Depth=1
	v_cmp_neq_f64_e32 vcc, 1.0, v[13:14]
	v_cmp_neq_f64_e64 s[16:17], 0, v[15:16]
	v_xor_b32_e32 v8, 0x80000000, v16
	v_mov_b32_e32 v7, v15
	s_or_b64 s[16:17], s[16:17], vcc
	s_and_saveexec_b64 s[18:19], s[16:17]
	s_xor_b64 s[88:89], exec, s[18:19]
	s_cbranch_execz .LBB48_86
; %bb.15:                               ;   in Loop: Header=BB48_4 Depth=1
	v_mov_b32_e32 v5, s30
	v_mov_b32_e32 v6, s31
	flat_store_dword v[5:6], v59
	s_waitcnt vmcnt(0)
	flat_load_dword v5, v[5:6] glc
	s_waitcnt vmcnt(0)
	v_cmp_nlt_f64_e64 s[16:17], |v[13:14]|, s[98:99]
	v_cmp_nlt_f64_e64 s[18:19], |v[15:16]|, s[98:99]
	s_or_b64 s[16:17], s[18:19], s[16:17]
	s_waitcnt lgkmcnt(0)
	v_add_f32_e32 v7, 1.0, v5
	v_mov_b32_e32 v5, s34
	v_mov_b32_e32 v6, s35
	flat_store_dword v[5:6], v7
	s_waitcnt vmcnt(0)
	flat_load_dword v5, v[5:6] glc
	s_waitcnt vmcnt(0)
	v_mov_b32_e32 v7, v15
	s_and_saveexec_b64 s[18:19], s[16:17]
	s_xor_b64 s[90:91], exec, s[18:19]
	s_cbranch_execz .LBB48_83
; %bb.16:                               ;   in Loop: Header=BB48_4 Depth=1
	v_add_f64 v[36:37], |v[13:14]|, 1.0
	v_add_f64 v[34:35], |v[13:14]|, -1.0
	s_waitcnt lgkmcnt(0)
	v_max_f64 v[5:6], v[38:39], v[36:37]
	v_max_f64 v[7:8], v[38:39], |v[34:35]|
	v_frexp_exp_i32_f64_e32 v72, v[5:6]
	v_frexp_exp_i32_f64_e32 v73, v[7:8]
	v_sub_u32_e32 v38, 0, v72
	v_sub_u32_e32 v40, 0, v73
	v_ldexp_f64 v[5:6], v[36:37], v38
	v_ldexp_f64 v[7:8], |v[34:35]|, v40
	v_ldexp_f64 v[38:39], |v[15:16]|, v38
	;; [unrolled: 1-line block ×3, first 2 shown]
	v_mul_f64 v[5:6], v[5:6], v[5:6]
	v_mul_f64 v[7:8], v[7:8], v[7:8]
	v_fma_f64 v[5:6], v[38:39], v[38:39], v[5:6]
	v_fma_f64 v[7:8], v[40:41], v[40:41], v[7:8]
	v_rsq_f64_e32 v[38:39], v[5:6]
	v_rsq_f64_e32 v[40:41], v[7:8]
	v_cmp_eq_f64_e32 vcc, 0, v[5:6]
	v_cmp_eq_f64_e64 s[16:17], 0, v[7:8]
	v_mul_f64 v[42:43], v[5:6], v[38:39]
	v_mul_f64 v[38:39], v[38:39], 0.5
	v_mul_f64 v[44:45], v[7:8], v[40:41]
	v_mul_f64 v[40:41], v[40:41], 0.5
	v_fma_f64 v[46:47], -v[38:39], v[42:43], 0.5
	v_fma_f64 v[48:49], -v[40:41], v[44:45], 0.5
	v_fma_f64 v[42:43], v[42:43], v[46:47], v[42:43]
	v_fma_f64 v[38:39], v[38:39], v[46:47], v[38:39]
	;; [unrolled: 1-line block ×4, first 2 shown]
	v_fma_f64 v[46:47], -v[42:43], v[42:43], v[5:6]
	v_fma_f64 v[48:49], -v[44:45], v[44:45], v[7:8]
	v_fma_f64 v[38:39], v[46:47], v[38:39], v[42:43]
	v_fma_f64 v[40:41], v[48:49], v[40:41], v[44:45]
	v_cndmask_b32_e32 v6, v39, v6, vcc
	v_cndmask_b32_e32 v5, v38, v5, vcc
	v_cndmask_b32_e64 v8, v41, v8, s[16:17]
	v_cndmask_b32_e64 v7, v40, v7, s[16:17]
	v_ldexp_f64 v[5:6], v[5:6], v72
	v_cmp_neq_f64_e32 vcc, s[74:75], v[36:37]
	v_ldexp_f64 v[7:8], v[7:8], v73
	v_cmp_neq_f64_e64 s[16:17], |v[34:35]|, s[74:75]
	v_cndmask_b32_e32 v41, v61, v6, vcc
	v_cndmask_b32_e32 v40, 0, v5, vcc
	v_cndmask_b32_e64 v39, v61, v8, s[16:17]
	v_cndmask_b32_e64 v38, 0, v7, s[16:17]
	v_add_f64 v[5:6], v[40:41], v[38:39]
	s_mov_b32 s16, 0
	s_mov_b32 s17, 0x40240000
                                        ; implicit-def: $vgpr7_vgpr8
	v_mul_f64 v[5:6], v[5:6], 0.5
	v_cmp_ngt_f64_e32 vcc, 1.0, v[5:6]
	v_cndmask_b32_e32 v6, v62, v6, vcc
	v_cndmask_b32_e32 v5, 0, v5, vcc
	v_cmp_ngt_f64_e32 vcc, s[16:17], v[5:6]
	s_and_saveexec_b64 s[16:17], vcc
	s_xor_b64 s[16:17], exec, s[16:17]
	s_cbranch_execz .LBB48_18
; %bb.17:                               ;   in Loop: Header=BB48_4 Depth=1
	v_fma_f64 v[7:8], v[5:6], v[5:6], -1.0
	s_mov_b32 s18, 0
	s_brev_b32 s19, 8
	s_mov_b32 s39, s81
	v_cmp_gt_f64_e32 vcc, s[18:19], v[7:8]
	v_cndmask_b32_e32 v42, 0, v63, vcc
	v_ldexp_f64 v[7:8], v[7:8], v42
	v_rsq_f64_e32 v[42:43], v[7:8]
	v_mul_f64 v[44:45], v[7:8], v[42:43]
	v_mul_f64 v[42:43], v[42:43], 0.5
	v_fma_f64 v[46:47], -v[42:43], v[44:45], 0.5
	v_fma_f64 v[44:45], v[44:45], v[46:47], v[44:45]
	v_fma_f64 v[42:43], v[42:43], v[46:47], v[42:43]
	v_fma_f64 v[48:49], -v[44:45], v[44:45], v[7:8]
	v_fma_f64 v[44:45], v[48:49], v[42:43], v[44:45]
	v_fma_f64 v[46:47], -v[44:45], v[44:45], v[7:8]
	v_fma_f64 v[42:43], v[46:47], v[42:43], v[44:45]
	v_cndmask_b32_e32 v44, 0, v64, vcc
	v_cmp_class_f64_e32 vcc, v[7:8], v60
	v_ldexp_f64 v[42:43], v[42:43], v44
	v_cndmask_b32_e32 v8, v43, v8, vcc
	v_cndmask_b32_e32 v7, v42, v7, vcc
	v_add_f64 v[7:8], v[5:6], v[7:8]
	v_frexp_mant_f64_e32 v[42:43], v[7:8]
	v_frexp_exp_i32_f64_e32 v44, v[7:8]
	v_cmp_gt_f64_e32 vcc, s[80:81], v[42:43]
	v_cndmask_b32_e64 v45, 0, 1, vcc
	v_ldexp_f64 v[42:43], v[42:43], v45
	v_subbrev_co_u32_e32 v78, vcc, 0, v44, vcc
	v_cmp_class_f64_e64 vcc, v[7:8], s56
	v_add_f64 v[46:47], v[42:43], 1.0
	v_add_f64 v[44:45], v[42:43], -1.0
	v_add_f64 v[48:49], v[46:47], -1.0
	v_add_f64 v[42:43], v[42:43], -v[48:49]
	v_rcp_f64_e32 v[48:49], v[46:47]
	v_fma_f64 v[72:73], -v[46:47], v[48:49], 1.0
	v_fma_f64 v[48:49], v[72:73], v[48:49], v[48:49]
	v_fma_f64 v[72:73], -v[46:47], v[48:49], 1.0
	v_fma_f64 v[48:49], v[72:73], v[48:49], v[48:49]
	v_mul_f64 v[72:73], v[44:45], v[48:49]
	v_mul_f64 v[74:75], v[46:47], v[72:73]
	v_fma_f64 v[46:47], v[72:73], v[46:47], -v[74:75]
	v_fma_f64 v[42:43], v[72:73], v[42:43], v[46:47]
	v_add_f64 v[46:47], v[74:75], v[42:43]
	v_add_f64 v[76:77], v[44:45], -v[46:47]
	v_add_f64 v[74:75], v[46:47], -v[74:75]
	;; [unrolled: 1-line block ×5, first 2 shown]
	v_add_f64 v[42:43], v[42:43], v[44:45]
	v_add_f64 v[42:43], v[76:77], v[42:43]
	v_mul_f64 v[42:43], v[48:49], v[42:43]
	v_add_f64 v[44:45], v[72:73], v[42:43]
	v_add_f64 v[46:47], v[44:45], -v[72:73]
	v_ldexp_f64 v[72:73], v[44:45], 1
	v_add_f64 v[42:43], v[42:43], -v[46:47]
	v_mul_f64 v[46:47], v[44:45], v[44:45]
	v_ldexp_f64 v[42:43], v[42:43], 1
	v_fma_f64 v[48:49], v[46:47], s[40:41], v[26:27]
	v_mul_f64 v[44:45], v[44:45], v[46:47]
	v_fma_f64 v[48:49], v[46:47], v[48:49], s[42:43]
	v_fma_f64 v[48:49], v[46:47], v[48:49], s[44:45]
	;; [unrolled: 1-line block ×5, first 2 shown]
	v_mul_f64 v[44:45], v[44:45], v[48:49]
	v_add_f64 v[46:47], v[72:73], v[44:45]
	v_add_f64 v[48:49], v[46:47], -v[72:73]
	v_add_f64 v[44:45], v[44:45], -v[48:49]
	v_add_f64 v[42:43], v[42:43], v[44:45]
	v_add_f64 v[44:45], v[46:47], v[42:43]
	v_add_f64 v[46:47], v[44:45], -v[46:47]
	v_add_f64 v[42:43], v[42:43], -v[46:47]
	v_cvt_f64_i32_e32 v[46:47], v78
	v_mul_f64 v[48:49], v[46:47], s[50:51]
	v_fma_f64 v[72:73], v[46:47], s[50:51], -v[48:49]
	v_fma_f64 v[46:47], v[46:47], s[52:53], v[72:73]
	v_add_f64 v[72:73], v[48:49], v[46:47]
	v_add_f64 v[48:49], v[72:73], -v[48:49]
	v_add_f64 v[46:47], v[46:47], -v[48:49]
	v_add_f64 v[48:49], v[72:73], v[44:45]
	v_add_f64 v[74:75], v[48:49], -v[72:73]
	v_add_f64 v[76:77], v[48:49], -v[74:75]
	;; [unrolled: 1-line block ×4, first 2 shown]
	v_add_f64 v[44:45], v[44:45], v[72:73]
	v_add_f64 v[72:73], v[46:47], v[42:43]
	v_add_f64 v[74:75], v[72:73], -v[46:47]
	v_add_f64 v[44:45], v[72:73], v[44:45]
	v_add_f64 v[76:77], v[72:73], -v[74:75]
	v_add_f64 v[42:43], v[42:43], -v[74:75]
	;; [unrolled: 1-line block ×3, first 2 shown]
	v_add_f64 v[42:43], v[42:43], v[46:47]
	v_add_f64 v[46:47], v[48:49], v[44:45]
	v_add_f64 v[48:49], v[46:47], -v[48:49]
	v_add_f64 v[44:45], v[44:45], -v[48:49]
	v_add_f64 v[42:43], v[42:43], v[44:45]
	v_add_f64 v[42:43], v[46:47], v[42:43]
	v_cndmask_b32_e32 v42, v42, v7, vcc
	v_cndmask_b32_e32 v43, v43, v8, vcc
	v_cmp_neq_f64_e32 vcc, 0, v[7:8]
	v_cndmask_b32_e32 v8, v65, v43, vcc
	v_cndmask_b32_e32 v7, 0, v42, vcc
.LBB48_18:                              ;   in Loop: Header=BB48_4 Depth=1
	s_or_saveexec_b64 s[18:19], s[16:17]
	v_and_b32_e32 v43, 0x7fffffff, v16
	v_mov_b32_e32 v42, v15
	s_xor_b64 exec, exec, s[18:19]
	s_cbranch_execz .LBB48_40
; %bb.19:                               ;   in Loop: Header=BB48_4 Depth=1
	s_mov_b32 s92, 0
	s_mov_b32 s93, 0x39000000
	v_cmp_neq_f64_e64 s[16:17], |v[13:14]|, 1.0
	v_cmp_nlt_f64_e64 s[92:93], |v[15:16]|, s[92:93]
                                        ; implicit-def: $vgpr7_vgpr8
	s_or_b64 s[16:17], s[92:93], s[16:17]
	s_and_saveexec_b64 s[92:93], s[16:17]
	s_xor_b64 s[92:93], exec, s[92:93]
	s_cbranch_execz .LBB48_37
; %bb.20:                               ;   in Loop: Header=BB48_4 Depth=1
	v_ldexp_f64 v[7:8], |v[34:35]|, s57
	v_cmp_ge_f64_e64 s[16:17], |v[15:16]|, v[7:8]
                                        ; implicit-def: $vgpr7_vgpr8
	s_and_saveexec_b64 s[94:95], s[16:17]
	s_xor_b64 s[94:95], exec, s[94:95]
	s_cbranch_execz .LBB48_30
; %bb.21:                               ;   in Loop: Header=BB48_4 Depth=1
	v_cmp_neq_f64_e32 vcc, 0, v[36:37]
	v_mov_b32_e32 v7, v42
	v_mov_b32_e32 v8, v43
	s_and_saveexec_b64 s[16:17], vcc
	s_cbranch_execz .LBB48_23
; %bb.22:                               ;   in Loop: Header=BB48_4 Depth=1
	v_mul_f64 v[7:8], v[15:16], v[15:16]
	v_add_f64 v[44:45], v[36:37], v[40:41]
	v_div_scale_f64 v[46:47], s[96:97], v[44:45], v[44:45], v[7:8]
	v_div_scale_f64 v[74:75], vcc, v[7:8], v[44:45], v[7:8]
	v_rcp_f64_e32 v[48:49], v[46:47]
	v_fma_f64 v[72:73], -v[46:47], v[48:49], 1.0
	v_fma_f64 v[48:49], v[48:49], v[72:73], v[48:49]
	v_fma_f64 v[72:73], -v[46:47], v[48:49], 1.0
	v_fma_f64 v[48:49], v[48:49], v[72:73], v[48:49]
	v_mul_f64 v[72:73], v[74:75], v[48:49]
	v_fma_f64 v[46:47], -v[46:47], v[72:73], v[74:75]
	v_div_fmas_f64 v[46:47], v[46:47], v[48:49], v[72:73]
	v_div_fixup_f64 v[7:8], v[46:47], v[44:45], v[7:8]
.LBB48_23:                              ;   in Loop: Header=BB48_4 Depth=1
	s_or_b64 exec, exec, s[16:17]
	v_add_f64 v[46:47], -|v[13:14]|, 1.0
                                        ; implicit-def: $vgpr44_vgpr45
	v_cmp_ngt_f64_e32 vcc, 0, v[46:47]
	s_and_saveexec_b64 s[16:17], vcc
	s_xor_b64 s[16:17], exec, s[16:17]
	s_cbranch_execz .LBB48_27
; %bb.24:                               ;   in Loop: Header=BB48_4 Depth=1
	v_cmp_neq_f64_e32 vcc, 0, v[46:47]
	v_mov_b32_e32 v45, v43
	v_mov_b32_e32 v44, v42
	s_and_saveexec_b64 s[96:97], vcc
	s_cbranch_execz .LBB48_26
; %bb.25:                               ;   in Loop: Header=BB48_4 Depth=1
	v_mul_f64 v[44:45], v[15:16], v[15:16]
	v_add_f64 v[46:47], v[46:47], v[38:39]
	v_div_scale_f64 v[48:49], s[98:99], v[46:47], v[46:47], v[44:45]
	v_div_scale_f64 v[76:77], vcc, v[44:45], v[46:47], v[44:45]
	v_rcp_f64_e32 v[72:73], v[48:49]
	v_fma_f64 v[74:75], -v[48:49], v[72:73], 1.0
	v_fma_f64 v[72:73], v[72:73], v[74:75], v[72:73]
	v_fma_f64 v[74:75], -v[48:49], v[72:73], 1.0
	v_fma_f64 v[72:73], v[72:73], v[74:75], v[72:73]
	v_mul_f64 v[74:75], v[76:77], v[72:73]
	v_fma_f64 v[48:49], -v[48:49], v[74:75], v[76:77]
	v_div_fmas_f64 v[48:49], v[48:49], v[72:73], v[74:75]
	v_div_fixup_f64 v[44:45], v[48:49], v[46:47], v[44:45]
.LBB48_26:                              ;   in Loop: Header=BB48_4 Depth=1
	s_or_b64 exec, exec, s[96:97]
	s_mov_b32 s98, 0x1409212f
                                        ; implicit-def: $vgpr46_vgpr47
	s_mov_b32 s99, 0x3e43988e
.LBB48_27:                              ;   in Loop: Header=BB48_4 Depth=1
	s_andn2_saveexec_b64 s[16:17], s[16:17]
; %bb.28:                               ;   in Loop: Header=BB48_4 Depth=1
	v_add_f64 v[44:45], v[38:39], -v[46:47]
; %bb.29:                               ;   in Loop: Header=BB48_4 Depth=1
	s_or_b64 exec, exec, s[16:17]
	v_mul_f64 v[44:45], v[44:45], 0.5
	s_mov_b32 s16, 0
	s_brev_b32 s17, 8
	s_mov_b32 s39, s81
	v_fma_f64 v[7:8], v[7:8], 0.5, v[44:45]
	v_add_f64 v[44:45], v[5:6], 1.0
	v_mul_f64 v[44:45], v[44:45], v[7:8]
	v_cmp_gt_f64_e32 vcc, s[16:17], v[44:45]
	v_cndmask_b32_e32 v46, 0, v63, vcc
	v_ldexp_f64 v[44:45], v[44:45], v46
	v_rsq_f64_e32 v[46:47], v[44:45]
	v_mul_f64 v[48:49], v[44:45], v[46:47]
	v_mul_f64 v[46:47], v[46:47], 0.5
	v_fma_f64 v[72:73], -v[46:47], v[48:49], 0.5
	v_fma_f64 v[48:49], v[48:49], v[72:73], v[48:49]
	v_fma_f64 v[46:47], v[46:47], v[72:73], v[46:47]
	v_fma_f64 v[74:75], -v[48:49], v[48:49], v[44:45]
	v_fma_f64 v[48:49], v[74:75], v[46:47], v[48:49]
	v_fma_f64 v[72:73], -v[48:49], v[48:49], v[44:45]
	v_fma_f64 v[46:47], v[72:73], v[46:47], v[48:49]
	v_cndmask_b32_e32 v48, 0, v64, vcc
	v_cmp_class_f64_e32 vcc, v[44:45], v60
	v_ldexp_f64 v[46:47], v[46:47], v48
	v_cndmask_b32_e32 v45, v47, v45, vcc
	v_cndmask_b32_e32 v44, v46, v44, vcc
	v_add_f64 v[44:45], v[7:8], v[44:45]
	v_add_f64 v[7:8], v[44:45], 1.0
	v_cmp_ngt_f64_e64 s[16:17], -1.0, v[44:45]
	v_add_f64 v[46:47], v[7:8], -1.0
	v_frexp_exp_i32_f64_e32 v72, v[7:8]
	v_add_f64 v[48:49], v[46:47], -v[7:8]
	v_add_f64 v[46:47], v[44:45], -v[46:47]
	v_add_f64 v[48:49], v[48:49], 1.0
	v_add_f64 v[46:47], v[46:47], v[48:49]
	v_frexp_mant_f64_e32 v[48:49], v[7:8]
	v_cmp_gt_f64_e32 vcc, s[80:81], v[48:49]
	v_subbrev_co_u32_e32 v86, vcc, 0, v72, vcc
	v_sub_u32_e32 v48, 0, v86
	v_ldexp_f64 v[7:8], v[7:8], v48
	v_ldexp_f64 v[46:47], v[46:47], v48
	v_cmp_neq_f64_e32 vcc, s[74:75], v[44:45]
	v_add_f64 v[48:49], v[7:8], -1.0
	v_add_f64 v[72:73], v[48:49], 1.0
	v_add_f64 v[72:73], v[7:8], -v[72:73]
	v_add_f64 v[72:73], v[46:47], v[72:73]
	v_add_f64 v[74:75], v[48:49], v[72:73]
	v_add_f64 v[48:49], v[74:75], -v[48:49]
	v_add_f64 v[48:49], v[72:73], -v[48:49]
	v_add_f64 v[72:73], v[7:8], 1.0
	v_add_f64 v[76:77], v[72:73], -1.0
	v_add_f64 v[7:8], v[7:8], -v[76:77]
	v_add_f64 v[7:8], v[46:47], v[7:8]
	v_add_f64 v[46:47], v[72:73], v[7:8]
	v_add_f64 v[72:73], v[46:47], -v[72:73]
	v_add_f64 v[7:8], v[7:8], -v[72:73]
	v_rcp_f64_e32 v[72:73], v[46:47]
	v_fma_f64 v[76:77], -v[46:47], v[72:73], 1.0
	v_fma_f64 v[72:73], v[76:77], v[72:73], v[72:73]
	v_fma_f64 v[76:77], -v[46:47], v[72:73], 1.0
	v_fma_f64 v[72:73], v[76:77], v[72:73], v[72:73]
	v_mul_f64 v[76:77], v[74:75], v[72:73]
	v_mul_f64 v[78:79], v[46:47], v[76:77]
	v_fma_f64 v[80:81], v[76:77], v[46:47], -v[78:79]
	v_fma_f64 v[80:81], v[76:77], v[7:8], v[80:81]
	v_add_f64 v[82:83], v[78:79], v[80:81]
	v_add_f64 v[84:85], v[74:75], -v[82:83]
	v_add_f64 v[78:79], v[82:83], -v[78:79]
	;; [unrolled: 1-line block ×4, first 2 shown]
	v_add_f64 v[48:49], v[48:49], v[74:75]
	v_add_f64 v[74:75], v[78:79], -v[80:81]
	v_add_f64 v[48:49], v[74:75], v[48:49]
	v_add_f64 v[74:75], v[84:85], v[48:49]
	v_add_f64 v[78:79], v[84:85], -v[74:75]
	v_add_f64 v[48:49], v[48:49], v[78:79]
	v_mul_f64 v[78:79], v[72:73], v[74:75]
	v_mul_f64 v[80:81], v[46:47], v[78:79]
	v_fma_f64 v[46:47], v[78:79], v[46:47], -v[80:81]
	v_fma_f64 v[7:8], v[78:79], v[7:8], v[46:47]
	v_add_f64 v[46:47], v[80:81], v[7:8]
	v_add_f64 v[82:83], v[74:75], -v[46:47]
	v_add_f64 v[80:81], v[46:47], -v[80:81]
	;; [unrolled: 1-line block ×5, first 2 shown]
	v_cvt_f64_i32_e32 v[74:75], v86
	v_add_f64 v[46:47], v[48:49], v[46:47]
	v_add_f64 v[7:8], v[7:8], v[46:47]
	;; [unrolled: 1-line block ×4, first 2 shown]
	v_add_f64 v[48:49], v[46:47], -v[76:77]
	v_mul_f64 v[76:77], v[74:75], s[50:51]
	v_mul_f64 v[7:8], v[72:73], v[7:8]
	v_add_f64 v[48:49], v[78:79], -v[48:49]
	v_fma_f64 v[78:79], v[74:75], s[50:51], -v[76:77]
	v_add_f64 v[7:8], v[48:49], v[7:8]
	v_fma_f64 v[74:75], v[74:75], s[52:53], v[78:79]
	v_add_f64 v[48:49], v[46:47], v[7:8]
	v_add_f64 v[78:79], v[76:77], v[74:75]
	v_add_f64 v[46:47], v[48:49], -v[46:47]
	v_add_f64 v[76:77], v[78:79], -v[76:77]
	;; [unrolled: 1-line block ×3, first 2 shown]
	v_mul_f64 v[46:47], v[48:49], v[48:49]
	v_add_f64 v[74:75], v[74:75], -v[76:77]
	v_ldexp_f64 v[76:77], v[48:49], 1
	v_ldexp_f64 v[7:8], v[7:8], 1
	v_fma_f64 v[72:73], v[46:47], s[40:41], v[26:27]
	v_fma_f64 v[72:73], v[46:47], v[72:73], s[42:43]
	;; [unrolled: 1-line block ×6, first 2 shown]
	v_mul_f64 v[46:47], v[48:49], v[46:47]
	v_mul_f64 v[46:47], v[46:47], v[72:73]
	v_add_f64 v[48:49], v[76:77], v[46:47]
	v_add_f64 v[72:73], v[48:49], -v[76:77]
	v_add_f64 v[46:47], v[46:47], -v[72:73]
	v_add_f64 v[7:8], v[7:8], v[46:47]
	v_add_f64 v[46:47], v[48:49], v[7:8]
	v_add_f64 v[48:49], v[46:47], -v[48:49]
	v_add_f64 v[7:8], v[7:8], -v[48:49]
	v_add_f64 v[48:49], v[78:79], v[46:47]
	v_add_f64 v[72:73], v[48:49], -v[78:79]
	v_add_f64 v[76:77], v[48:49], -v[72:73]
	;; [unrolled: 1-line block ×3, first 2 shown]
	v_add_f64 v[72:73], v[74:75], v[7:8]
	v_add_f64 v[76:77], v[78:79], -v[76:77]
	v_add_f64 v[46:47], v[46:47], v[76:77]
	v_add_f64 v[76:77], v[72:73], -v[74:75]
	;; [unrolled: 2-line block ×3, first 2 shown]
	v_add_f64 v[7:8], v[7:8], -v[76:77]
	v_add_f64 v[72:73], v[48:49], v[46:47]
	v_add_f64 v[74:75], v[74:75], -v[78:79]
	v_add_f64 v[48:49], v[72:73], -v[48:49]
	v_add_f64 v[7:8], v[7:8], v[74:75]
	v_add_f64 v[46:47], v[46:47], -v[48:49]
	v_add_f64 v[7:8], v[7:8], v[46:47]
	v_add_f64 v[7:8], v[72:73], v[7:8]
	v_cndmask_b32_e32 v8, v61, v8, vcc
	v_cndmask_b32_e64 v8, v66, v8, s[16:17]
	v_cmp_nge_f64_e64 s[16:17], -1.0, v[44:45]
	s_and_b64 vcc, s[16:17], vcc
	v_cndmask_b32_e32 v7, 0, v7, vcc
	v_cmp_neq_f64_e32 vcc, -1.0, v[44:45]
	v_cndmask_b32_e32 v8, v65, v8, vcc
.LBB48_30:                              ;   in Loop: Header=BB48_4 Depth=1
	s_andn2_saveexec_b64 s[94:95], s[94:95]
	s_cbranch_execz .LBB48_36
; %bb.31:                               ;   in Loop: Header=BB48_4 Depth=1
	v_cmp_nlt_f64_e64 s[16:17], |v[13:14]|, 1.0
                                        ; implicit-def: $vgpr7_vgpr8
	s_and_saveexec_b64 s[96:97], s[16:17]
	s_xor_b64 s[96:97], exec, s[96:97]
	s_cbranch_execz .LBB48_33
; %bb.32:                               ;   in Loop: Header=BB48_4 Depth=1
	v_mul_f64 v[7:8], v[34:35], v[36:37]
	s_mov_b32 s16, 0
	s_brev_b32 s17, 8
	s_mov_b32 s39, s81
	v_cmp_gt_f64_e32 vcc, s[16:17], v[7:8]
	v_cndmask_b32_e32 v44, 0, v63, vcc
	v_ldexp_f64 v[7:8], v[7:8], v44
	v_rsq_f64_e32 v[44:45], v[7:8]
	v_mul_f64 v[46:47], v[7:8], v[44:45]
	v_mul_f64 v[44:45], v[44:45], 0.5
	v_fma_f64 v[48:49], -v[44:45], v[46:47], 0.5
	v_fma_f64 v[46:47], v[46:47], v[48:49], v[46:47]
	v_fma_f64 v[44:45], v[44:45], v[48:49], v[44:45]
	v_fma_f64 v[72:73], -v[46:47], v[46:47], v[7:8]
	v_fma_f64 v[46:47], v[72:73], v[44:45], v[46:47]
	v_fma_f64 v[48:49], -v[46:47], v[46:47], v[7:8]
	v_fma_f64 v[44:45], v[48:49], v[44:45], v[46:47]
	v_cndmask_b32_e32 v46, 0, v64, vcc
	v_cmp_class_f64_e32 vcc, v[7:8], v60
	v_ldexp_f64 v[44:45], v[44:45], v46
	v_cndmask_b32_e32 v8, v45, v8, vcc
	v_cndmask_b32_e32 v7, v44, v7, vcc
	v_add_f64 v[44:45], v[34:35], v[7:8]
	v_add_f64 v[7:8], v[44:45], 1.0
	v_cmp_ngt_f64_e64 s[16:17], -1.0, v[44:45]
	v_add_f64 v[46:47], v[7:8], -1.0
	v_frexp_exp_i32_f64_e32 v72, v[7:8]
	v_add_f64 v[48:49], v[46:47], -v[7:8]
	v_add_f64 v[46:47], v[44:45], -v[46:47]
	v_add_f64 v[48:49], v[48:49], 1.0
	v_add_f64 v[46:47], v[46:47], v[48:49]
	v_frexp_mant_f64_e32 v[48:49], v[7:8]
	v_cmp_gt_f64_e32 vcc, s[80:81], v[48:49]
	v_subbrev_co_u32_e32 v86, vcc, 0, v72, vcc
	v_sub_u32_e32 v48, 0, v86
	v_ldexp_f64 v[7:8], v[7:8], v48
	v_ldexp_f64 v[46:47], v[46:47], v48
	v_cmp_neq_f64_e32 vcc, s[74:75], v[44:45]
	v_add_f64 v[48:49], v[7:8], -1.0
	v_add_f64 v[72:73], v[48:49], 1.0
	v_add_f64 v[72:73], v[7:8], -v[72:73]
	v_add_f64 v[72:73], v[46:47], v[72:73]
	v_add_f64 v[74:75], v[48:49], v[72:73]
	v_add_f64 v[48:49], v[74:75], -v[48:49]
	v_add_f64 v[48:49], v[72:73], -v[48:49]
	v_add_f64 v[72:73], v[7:8], 1.0
	v_add_f64 v[76:77], v[72:73], -1.0
	v_add_f64 v[7:8], v[7:8], -v[76:77]
	v_add_f64 v[7:8], v[46:47], v[7:8]
	v_add_f64 v[46:47], v[72:73], v[7:8]
	v_add_f64 v[72:73], v[46:47], -v[72:73]
	v_add_f64 v[7:8], v[7:8], -v[72:73]
	v_rcp_f64_e32 v[72:73], v[46:47]
	v_fma_f64 v[76:77], -v[46:47], v[72:73], 1.0
	v_fma_f64 v[72:73], v[76:77], v[72:73], v[72:73]
	v_fma_f64 v[76:77], -v[46:47], v[72:73], 1.0
	v_fma_f64 v[72:73], v[76:77], v[72:73], v[72:73]
	v_mul_f64 v[76:77], v[74:75], v[72:73]
	v_mul_f64 v[78:79], v[46:47], v[76:77]
	v_fma_f64 v[80:81], v[76:77], v[46:47], -v[78:79]
	v_fma_f64 v[80:81], v[76:77], v[7:8], v[80:81]
	v_add_f64 v[82:83], v[78:79], v[80:81]
	v_add_f64 v[84:85], v[74:75], -v[82:83]
	v_add_f64 v[78:79], v[82:83], -v[78:79]
	v_add_f64 v[74:75], v[74:75], -v[84:85]
	v_add_f64 v[74:75], v[74:75], -v[82:83]
	v_add_f64 v[48:49], v[48:49], v[74:75]
	v_add_f64 v[74:75], v[78:79], -v[80:81]
	v_add_f64 v[48:49], v[74:75], v[48:49]
	v_add_f64 v[74:75], v[84:85], v[48:49]
	v_add_f64 v[78:79], v[84:85], -v[74:75]
	v_add_f64 v[48:49], v[48:49], v[78:79]
	v_mul_f64 v[78:79], v[72:73], v[74:75]
	v_mul_f64 v[80:81], v[46:47], v[78:79]
	v_fma_f64 v[46:47], v[78:79], v[46:47], -v[80:81]
	v_fma_f64 v[7:8], v[78:79], v[7:8], v[46:47]
	v_add_f64 v[46:47], v[80:81], v[7:8]
	v_add_f64 v[82:83], v[74:75], -v[46:47]
	v_add_f64 v[80:81], v[46:47], -v[80:81]
	;; [unrolled: 1-line block ×5, first 2 shown]
	v_cvt_f64_i32_e32 v[74:75], v86
	v_add_f64 v[46:47], v[48:49], v[46:47]
	v_add_f64 v[7:8], v[7:8], v[46:47]
	;; [unrolled: 1-line block ×4, first 2 shown]
	v_add_f64 v[48:49], v[46:47], -v[76:77]
	v_mul_f64 v[76:77], v[74:75], s[50:51]
	v_mul_f64 v[7:8], v[72:73], v[7:8]
	v_add_f64 v[48:49], v[78:79], -v[48:49]
	v_fma_f64 v[78:79], v[74:75], s[50:51], -v[76:77]
	v_add_f64 v[7:8], v[48:49], v[7:8]
	v_fma_f64 v[74:75], v[74:75], s[52:53], v[78:79]
	v_add_f64 v[48:49], v[46:47], v[7:8]
	v_add_f64 v[78:79], v[76:77], v[74:75]
	v_add_f64 v[46:47], v[48:49], -v[46:47]
	v_add_f64 v[76:77], v[78:79], -v[76:77]
	;; [unrolled: 1-line block ×3, first 2 shown]
	v_mul_f64 v[46:47], v[48:49], v[48:49]
	v_add_f64 v[74:75], v[74:75], -v[76:77]
	v_ldexp_f64 v[76:77], v[48:49], 1
	v_ldexp_f64 v[7:8], v[7:8], 1
	v_fma_f64 v[72:73], v[46:47], s[40:41], v[26:27]
	v_fma_f64 v[72:73], v[46:47], v[72:73], s[42:43]
	;; [unrolled: 1-line block ×6, first 2 shown]
	v_mul_f64 v[46:47], v[48:49], v[46:47]
	v_mul_f64 v[46:47], v[46:47], v[72:73]
	v_add_f64 v[48:49], v[76:77], v[46:47]
	v_add_f64 v[72:73], v[48:49], -v[76:77]
	v_add_f64 v[46:47], v[46:47], -v[72:73]
	v_add_f64 v[7:8], v[7:8], v[46:47]
	v_add_f64 v[46:47], v[48:49], v[7:8]
	v_add_f64 v[48:49], v[46:47], -v[48:49]
	v_add_f64 v[7:8], v[7:8], -v[48:49]
	v_add_f64 v[48:49], v[78:79], v[46:47]
	v_add_f64 v[72:73], v[48:49], -v[78:79]
	v_add_f64 v[76:77], v[48:49], -v[72:73]
	v_add_f64 v[46:47], v[46:47], -v[72:73]
	v_add_f64 v[72:73], v[74:75], v[7:8]
	v_add_f64 v[76:77], v[78:79], -v[76:77]
	v_add_f64 v[46:47], v[46:47], v[76:77]
	v_add_f64 v[76:77], v[72:73], -v[74:75]
	;; [unrolled: 2-line block ×3, first 2 shown]
	v_add_f64 v[7:8], v[7:8], -v[76:77]
	v_add_f64 v[72:73], v[48:49], v[46:47]
	v_add_f64 v[74:75], v[74:75], -v[78:79]
	v_add_f64 v[48:49], v[72:73], -v[48:49]
	v_add_f64 v[7:8], v[7:8], v[74:75]
	v_add_f64 v[46:47], v[46:47], -v[48:49]
	v_add_f64 v[7:8], v[7:8], v[46:47]
	v_add_f64 v[7:8], v[72:73], v[7:8]
	v_cndmask_b32_e32 v8, v61, v8, vcc
	v_cndmask_b32_e64 v8, v66, v8, s[16:17]
	v_cmp_nge_f64_e64 s[16:17], -1.0, v[44:45]
	s_and_b64 vcc, s[16:17], vcc
	v_cndmask_b32_e32 v7, 0, v7, vcc
	v_cmp_neq_f64_e32 vcc, -1.0, v[44:45]
	v_cndmask_b32_e32 v8, v65, v8, vcc
.LBB48_33:                              ;   in Loop: Header=BB48_4 Depth=1
	s_andn2_saveexec_b64 s[16:17], s[96:97]
	s_cbranch_execz .LBB48_35
; %bb.34:                               ;   in Loop: Header=BB48_4 Depth=1
	v_add_f64 v[7:8], -|v[13:14]|, 1.0
	s_mov_b32 s96, 0
	s_brev_b32 s97, 8
	v_mul_f64 v[7:8], v[7:8], v[36:37]
	v_cmp_gt_f64_e32 vcc, s[96:97], v[7:8]
	v_cndmask_b32_e32 v44, 0, v63, vcc
	v_ldexp_f64 v[7:8], v[7:8], v44
	v_rsq_f64_e32 v[44:45], v[7:8]
	v_mul_f64 v[46:47], v[7:8], v[44:45]
	v_mul_f64 v[44:45], v[44:45], 0.5
	v_fma_f64 v[48:49], -v[44:45], v[46:47], 0.5
	v_fma_f64 v[46:47], v[46:47], v[48:49], v[46:47]
	v_fma_f64 v[44:45], v[44:45], v[48:49], v[44:45]
	v_fma_f64 v[48:49], -v[46:47], v[46:47], v[7:8]
	v_fma_f64 v[46:47], v[48:49], v[44:45], v[46:47]
	v_fma_f64 v[48:49], -v[46:47], v[46:47], v[7:8]
	v_fma_f64 v[44:45], v[48:49], v[44:45], v[46:47]
	v_cndmask_b32_e32 v46, 0, v64, vcc
	v_cmp_class_f64_e32 vcc, v[7:8], v60
	v_mov_b32_e32 v47, v43
	v_ldexp_f64 v[44:45], v[44:45], v46
	v_mov_b32_e32 v46, v15
	v_cndmask_b32_e32 v8, v45, v8, vcc
	v_cndmask_b32_e32 v7, v44, v7, vcc
	v_div_scale_f64 v[44:45], s[96:97], v[7:8], v[7:8], v[46:47]
	v_div_scale_f64 v[46:47], vcc, v[46:47], v[7:8], v[46:47]
	v_rcp_f64_e32 v[48:49], v[44:45]
	v_fma_f64 v[72:73], -v[44:45], v[48:49], 1.0
	v_fma_f64 v[48:49], v[48:49], v[72:73], v[48:49]
	v_fma_f64 v[72:73], -v[44:45], v[48:49], 1.0
	v_fma_f64 v[48:49], v[48:49], v[72:73], v[48:49]
	v_mul_f64 v[72:73], v[46:47], v[48:49]
	v_fma_f64 v[44:45], -v[44:45], v[72:73], v[46:47]
	v_div_fmas_f64 v[44:45], v[44:45], v[48:49], v[72:73]
	v_div_fixup_f64 v[7:8], v[44:45], v[7:8], |v[15:16]|
.LBB48_35:                              ;   in Loop: Header=BB48_4 Depth=1
	s_or_b64 exec, exec, s[16:17]
.LBB48_36:                              ;   in Loop: Header=BB48_4 Depth=1
	s_or_b64 exec, exec, s[94:95]
.LBB48_37:                              ;   in Loop: Header=BB48_4 Depth=1
	s_andn2_saveexec_b64 s[16:17], s[92:93]
	s_cbranch_execz .LBB48_39
; %bb.38:                               ;   in Loop: Header=BB48_4 Depth=1
	s_mov_b32 s92, 0
	s_brev_b32 s93, 8
	v_cmp_lt_f64_e64 vcc, |v[15:16]|, s[92:93]
	v_cndmask_b32_e32 v7, 0, v63, vcc
	v_ldexp_f64 v[7:8], |v[15:16]|, v7
	v_rsq_f64_e32 v[44:45], v[7:8]
	v_mul_f64 v[46:47], v[7:8], v[44:45]
	v_mul_f64 v[44:45], v[44:45], 0.5
	v_fma_f64 v[48:49], -v[44:45], v[46:47], 0.5
	v_fma_f64 v[46:47], v[46:47], v[48:49], v[46:47]
	v_fma_f64 v[44:45], v[44:45], v[48:49], v[44:45]
	v_fma_f64 v[48:49], -v[46:47], v[46:47], v[7:8]
	v_fma_f64 v[46:47], v[48:49], v[44:45], v[46:47]
	v_fma_f64 v[48:49], -v[46:47], v[46:47], v[7:8]
	v_fma_f64 v[44:45], v[48:49], v[44:45], v[46:47]
	v_cndmask_b32_e32 v46, 0, v64, vcc
	v_cmp_class_f64_e32 vcc, v[7:8], v60
	v_ldexp_f64 v[44:45], v[44:45], v46
	v_cndmask_b32_e32 v8, v45, v8, vcc
	v_cndmask_b32_e32 v7, v44, v7, vcc
.LBB48_39:                              ;   in Loop: Header=BB48_4 Depth=1
	s_or_b64 exec, exec, s[16:17]
.LBB48_40:                              ;   in Loop: Header=BB48_4 Depth=1
	s_or_b64 exec, exec, s[18:19]
	s_mov_b32 s16, 0
	s_mov_b32 s17, 0x20200000
	v_cmp_nlt_f64_e64 s[16:17], |v[13:14]|, s[16:17]
                                        ; implicit-def: $sgpr92_sgpr93
                                        ; implicit-def: $vgpr44_vgpr45
                                        ; implicit-def: $vgpr48_vgpr49
                                        ; implicit-def: $vgpr46_vgpr47
	s_and_saveexec_b64 s[18:19], s[16:17]
	s_xor_b64 s[16:17], exec, s[18:19]
	s_cbranch_execz .LBB48_64
; %bb.41:                               ;   in Loop: Header=BB48_4 Depth=1
	v_and_b32_e32 v47, 0x7fffffff, v14
	v_mov_b32_e32 v46, v13
	v_div_scale_f64 v[44:45], s[18:19], v[5:6], v[5:6], v[46:47]
	v_div_scale_f64 v[74:75], vcc, v[46:47], v[5:6], v[46:47]
	s_mov_b32 s18, 0x703afb7f
	s_mov_b32 s19, 0x3fe488ce
	s_mov_b64 s[92:93], 0
	v_rcp_f64_e32 v[48:49], v[44:45]
	v_fma_f64 v[72:73], -v[44:45], v[48:49], 1.0
	v_fma_f64 v[48:49], v[48:49], v[72:73], v[48:49]
	v_fma_f64 v[72:73], -v[44:45], v[48:49], 1.0
	v_fma_f64 v[48:49], v[48:49], v[72:73], v[48:49]
	v_mul_f64 v[72:73], v[74:75], v[48:49]
	v_fma_f64 v[44:45], -v[44:45], v[72:73], v[74:75]
	v_div_fmas_f64 v[44:45], v[44:45], v[48:49], v[72:73]
                                        ; implicit-def: $vgpr48_vgpr49
	v_div_fixup_f64 v[44:45], v[44:45], v[5:6], |v[13:14]|
	v_cmp_lt_f64_e32 vcc, s[18:19], v[44:45]
	s_and_saveexec_b64 s[18:19], vcc
	s_cbranch_execz .LBB48_63
; %bb.42:                               ;   in Loop: Header=BB48_4 Depth=1
	s_mov_b32 s94, 0
	s_mov_b32 s95, 0x3c400000
	v_cmp_neq_f64_e64 s[92:93], |v[13:14]|, 1.0
	v_cmp_nlt_f64_e64 s[94:95], |v[15:16]|, s[94:95]
                                        ; implicit-def: $vgpr48_vgpr49
	s_or_b64 s[92:93], s[94:95], s[92:93]
	s_and_saveexec_b64 s[94:95], s[92:93]
	s_xor_b64 s[92:93], exec, s[94:95]
	s_cbranch_execz .LBB48_60
; %bb.43:                               ;   in Loop: Header=BB48_4 Depth=1
	v_ldexp_f64 v[48:49], |v[34:35]|, s57
	v_cmp_ge_f64_e64 s[94:95], |v[15:16]|, v[48:49]
                                        ; implicit-def: $vgpr48_vgpr49
	s_and_saveexec_b64 s[96:97], s[94:95]
	s_xor_b64 s[94:95], exec, s[96:97]
	s_cbranch_execz .LBB48_53
; %bb.44:                               ;   in Loop: Header=BB48_4 Depth=1
	v_cmp_neq_f64_e32 vcc, 0, v[36:37]
	v_mov_b32_e32 v49, v43
	v_mov_b32_e32 v48, v42
	s_and_saveexec_b64 s[96:97], vcc
	s_cbranch_execz .LBB48_46
; %bb.45:                               ;   in Loop: Header=BB48_4 Depth=1
	v_mul_f64 v[48:49], v[15:16], v[15:16]
	v_add_f64 v[36:37], v[36:37], v[40:41]
	v_div_scale_f64 v[40:41], s[98:99], v[36:37], v[36:37], v[48:49]
	v_div_scale_f64 v[76:77], vcc, v[48:49], v[36:37], v[48:49]
	v_rcp_f64_e32 v[72:73], v[40:41]
	v_fma_f64 v[74:75], -v[40:41], v[72:73], 1.0
	v_fma_f64 v[72:73], v[72:73], v[74:75], v[72:73]
	v_fma_f64 v[74:75], -v[40:41], v[72:73], 1.0
	v_fma_f64 v[72:73], v[72:73], v[74:75], v[72:73]
	v_mul_f64 v[74:75], v[76:77], v[72:73]
	v_fma_f64 v[40:41], -v[40:41], v[74:75], v[76:77]
	v_div_fmas_f64 v[40:41], v[40:41], v[72:73], v[74:75]
	v_div_fixup_f64 v[48:49], v[40:41], v[36:37], v[48:49]
.LBB48_46:                              ;   in Loop: Header=BB48_4 Depth=1
	s_or_b64 exec, exec, s[96:97]
	v_cmp_ngt_f64_e32 vcc, 0, v[34:35]
	s_and_saveexec_b64 s[96:97], vcc
	s_xor_b64 s[96:97], exec, s[96:97]
	s_cbranch_execz .LBB48_50
; %bb.47:                               ;   in Loop: Header=BB48_4 Depth=1
	v_cmp_neq_f64_e32 vcc, 0, v[34:35]
	s_and_saveexec_b64 s[98:99], vcc
	s_cbranch_execz .LBB48_49
; %bb.48:                               ;   in Loop: Header=BB48_4 Depth=1
	v_mul_f64 v[15:16], v[15:16], v[15:16]
	v_add_f64 v[34:35], v[34:35], v[38:39]
	v_div_scale_f64 v[36:37], vcc, v[34:35], v[34:35], v[15:16]
	v_div_scale_f64 v[42:43], vcc, v[15:16], v[34:35], v[15:16]
	v_rcp_f64_e32 v[38:39], v[36:37]
	v_fma_f64 v[40:41], -v[36:37], v[38:39], 1.0
	v_fma_f64 v[38:39], v[38:39], v[40:41], v[38:39]
	v_fma_f64 v[40:41], -v[36:37], v[38:39], 1.0
	v_fma_f64 v[38:39], v[38:39], v[40:41], v[38:39]
	v_mul_f64 v[40:41], v[42:43], v[38:39]
	v_fma_f64 v[36:37], -v[36:37], v[40:41], v[42:43]
	v_div_fmas_f64 v[36:37], v[36:37], v[38:39], v[40:41]
	v_div_fixup_f64 v[42:43], v[36:37], v[34:35], v[15:16]
.LBB48_49:                              ;   in Loop: Header=BB48_4 Depth=1
	s_or_b64 exec, exec, s[98:99]
                                        ; implicit-def: $vgpr38_vgpr39
                                        ; implicit-def: $vgpr34_vgpr35
.LBB48_50:                              ;   in Loop: Header=BB48_4 Depth=1
	s_andn2_saveexec_b64 s[96:97], s[96:97]
; %bb.51:                               ;   in Loop: Header=BB48_4 Depth=1
	v_add_f64 v[42:43], v[38:39], -v[34:35]
; %bb.52:                               ;   in Loop: Header=BB48_4 Depth=1
	s_or_b64 exec, exec, s[96:97]
	v_mul_f64 v[15:16], v[42:43], 0.5
	v_add_f64 v[5:6], |v[13:14]|, v[5:6]
	s_mov_b32 s96, 0
	s_brev_b32 s97, 8
	v_fma_f64 v[15:16], v[48:49], 0.5, v[15:16]
	v_mul_f64 v[5:6], v[5:6], v[15:16]
	v_cmp_gt_f64_e32 vcc, s[96:97], v[5:6]
	v_cndmask_b32_e32 v15, 0, v63, vcc
	v_ldexp_f64 v[5:6], v[5:6], v15
	v_rsq_f64_e32 v[15:16], v[5:6]
	v_mul_f64 v[34:35], v[5:6], v[15:16]
	v_mul_f64 v[15:16], v[15:16], 0.5
	v_fma_f64 v[36:37], -v[15:16], v[34:35], 0.5
	v_fma_f64 v[34:35], v[34:35], v[36:37], v[34:35]
	v_fma_f64 v[15:16], v[15:16], v[36:37], v[15:16]
	v_fma_f64 v[36:37], -v[34:35], v[34:35], v[5:6]
	v_fma_f64 v[34:35], v[36:37], v[15:16], v[34:35]
	v_fma_f64 v[36:37], -v[34:35], v[34:35], v[5:6]
	v_fma_f64 v[15:16], v[36:37], v[15:16], v[34:35]
	v_cndmask_b32_e32 v34, 0, v64, vcc
	v_cmp_class_f64_e32 vcc, v[5:6], v60
                                        ; implicit-def: $vgpr36_vgpr37
	v_ldexp_f64 v[15:16], v[15:16], v34
                                        ; implicit-def: $vgpr34_vgpr35
	v_cndmask_b32_e32 v49, v16, v6, vcc
	v_cndmask_b32_e32 v48, v15, v5, vcc
.LBB48_53:                              ;   in Loop: Header=BB48_4 Depth=1
	s_andn2_saveexec_b64 s[94:95], s[94:95]
	s_cbranch_execz .LBB48_59
; %bb.54:                               ;   in Loop: Header=BB48_4 Depth=1
	v_cmp_ngt_f64_e64 s[96:97], |v[13:14]|, 1.0
                                        ; implicit-def: $vgpr48_vgpr49
	s_and_saveexec_b64 s[98:99], s[96:97]
	s_xor_b64 s[96:97], exec, s[98:99]
	s_cbranch_execz .LBB48_56
; %bb.55:                               ;   in Loop: Header=BB48_4 Depth=1
	v_add_f64 v[5:6], -|v[13:14]|, 1.0
	s_mov_b32 s98, 0
	s_brev_b32 s99, 8
	v_mul_f64 v[5:6], v[5:6], v[36:37]
	v_cmp_gt_f64_e32 vcc, s[98:99], v[5:6]
	v_cndmask_b32_e32 v15, 0, v63, vcc
	v_ldexp_f64 v[5:6], v[5:6], v15
	v_rsq_f64_e32 v[15:16], v[5:6]
	v_mul_f64 v[34:35], v[5:6], v[15:16]
	v_mul_f64 v[15:16], v[15:16], 0.5
	v_fma_f64 v[36:37], -v[15:16], v[34:35], 0.5
	v_fma_f64 v[34:35], v[34:35], v[36:37], v[34:35]
	v_fma_f64 v[15:16], v[15:16], v[36:37], v[15:16]
	v_fma_f64 v[36:37], -v[34:35], v[34:35], v[5:6]
	v_fma_f64 v[34:35], v[36:37], v[15:16], v[34:35]
	v_fma_f64 v[36:37], -v[34:35], v[34:35], v[5:6]
	v_fma_f64 v[15:16], v[36:37], v[15:16], v[34:35]
	v_cndmask_b32_e32 v34, 0, v64, vcc
	v_cmp_class_f64_e32 vcc, v[5:6], v60
                                        ; implicit-def: $vgpr36_vgpr37
	v_ldexp_f64 v[15:16], v[15:16], v34
                                        ; implicit-def: $vgpr34_vgpr35
	v_cndmask_b32_e32 v49, v16, v6, vcc
	v_cndmask_b32_e32 v48, v15, v5, vcc
.LBB48_56:                              ;   in Loop: Header=BB48_4 Depth=1
	s_andn2_saveexec_b64 s[96:97], s[96:97]
	s_cbranch_execz .LBB48_58
; %bb.57:                               ;   in Loop: Header=BB48_4 Depth=1
	v_mul_f64 v[5:6], v[36:37], v[34:35]
	s_mov_b32 s98, 0
	s_brev_b32 s99, 8
	s_movk_i32 s39, 0x6a
	v_ldexp_f64 v[15:16], |v[15:16]|, s39
	v_ldexp_f64 v[46:47], |v[13:14]|, s39
	v_cmp_gt_f64_e32 vcc, s[98:99], v[5:6]
	v_mul_f64 v[15:16], |v[13:14]|, v[15:16]
	v_cndmask_b32_e32 v34, 0, v63, vcc
	v_ldexp_f64 v[5:6], v[5:6], v34
	v_rsq_f64_e32 v[34:35], v[5:6]
	v_mul_f64 v[36:37], v[5:6], v[34:35]
	v_mul_f64 v[34:35], v[34:35], 0.5
	v_fma_f64 v[38:39], -v[34:35], v[36:37], 0.5
	v_fma_f64 v[36:37], v[36:37], v[38:39], v[36:37]
	v_fma_f64 v[34:35], v[34:35], v[38:39], v[34:35]
	v_fma_f64 v[38:39], -v[36:37], v[36:37], v[5:6]
	v_fma_f64 v[36:37], v[38:39], v[34:35], v[36:37]
	v_fma_f64 v[38:39], -v[36:37], v[36:37], v[5:6]
	v_fma_f64 v[34:35], v[38:39], v[34:35], v[36:37]
	v_cndmask_b32_e32 v36, 0, v64, vcc
	v_cmp_class_f64_e32 vcc, v[5:6], v60
	v_ldexp_f64 v[34:35], v[34:35], v36
	v_cndmask_b32_e32 v6, v35, v6, vcc
	v_cndmask_b32_e32 v5, v34, v5, vcc
	v_div_scale_f64 v[34:35], s[98:99], v[5:6], v[5:6], v[15:16]
	v_rcp_f64_e32 v[36:37], v[34:35]
	v_fma_f64 v[38:39], -v[34:35], v[36:37], 1.0
	v_fma_f64 v[36:37], v[36:37], v[38:39], v[36:37]
	v_div_scale_f64 v[38:39], vcc, v[15:16], v[5:6], v[15:16]
	v_fma_f64 v[40:41], -v[34:35], v[36:37], 1.0
	v_fma_f64 v[36:37], v[36:37], v[40:41], v[36:37]
	v_mul_f64 v[40:41], v[38:39], v[36:37]
	v_fma_f64 v[34:35], -v[34:35], v[40:41], v[38:39]
	v_div_fmas_f64 v[34:35], v[34:35], v[36:37], v[40:41]
	v_div_fixup_f64 v[48:49], v[34:35], v[5:6], v[15:16]
.LBB48_58:                              ;   in Loop: Header=BB48_4 Depth=1
	s_or_b64 exec, exec, s[96:97]
.LBB48_59:                              ;   in Loop: Header=BB48_4 Depth=1
	s_or_b64 exec, exec, s[94:95]
	s_mov_b32 s98, 0x1409212f
                                        ; implicit-def: $vgpr5_vgpr6
	s_mov_b32 s99, 0x3e43988e
.LBB48_60:                              ;   in Loop: Header=BB48_4 Depth=1
	s_andn2_saveexec_b64 s[92:93], s[92:93]
	s_cbranch_execz .LBB48_62
; %bb.61:                               ;   in Loop: Header=BB48_4 Depth=1
	s_mov_b32 s94, 0
	s_brev_b32 s95, 8
	v_cmp_lt_f64_e64 vcc, |v[15:16]|, s[94:95]
	v_add_f64 v[5:6], v[5:6], 1.0
	v_mov_b32_e32 v46, 0
	v_mov_b32_e32 v47, 0x3ff00000
	v_cndmask_b32_e32 v34, 0, v63, vcc
	v_ldexp_f64 v[15:16], |v[15:16]|, v34
	v_mul_f64 v[5:6], v[5:6], 0.5
	v_rsq_f64_e32 v[34:35], v[15:16]
	v_mul_f64 v[36:37], v[15:16], v[34:35]
	v_mul_f64 v[34:35], v[34:35], 0.5
	v_fma_f64 v[38:39], -v[34:35], v[36:37], 0.5
	v_fma_f64 v[36:37], v[36:37], v[38:39], v[36:37]
	v_fma_f64 v[34:35], v[34:35], v[38:39], v[34:35]
	v_fma_f64 v[40:41], -v[36:37], v[36:37], v[15:16]
	v_fma_f64 v[36:37], v[40:41], v[34:35], v[36:37]
	v_fma_f64 v[38:39], -v[36:37], v[36:37], v[15:16]
	v_fma_f64 v[34:35], v[38:39], v[34:35], v[36:37]
	v_cndmask_b32_e32 v36, 0, v64, vcc
	v_cmp_class_f64_e32 vcc, v[15:16], v60
	v_ldexp_f64 v[34:35], v[34:35], v36
	v_cndmask_b32_e32 v16, v35, v16, vcc
	v_cndmask_b32_e32 v15, v34, v15, vcc
	v_cmp_gt_f64_e32 vcc, s[94:95], v[5:6]
	v_cndmask_b32_e32 v34, 0, v63, vcc
	v_ldexp_f64 v[5:6], v[5:6], v34
	v_rsq_f64_e32 v[34:35], v[5:6]
	v_mul_f64 v[36:37], v[5:6], v[34:35]
	v_mul_f64 v[34:35], v[34:35], 0.5
	v_fma_f64 v[38:39], -v[34:35], v[36:37], 0.5
	v_fma_f64 v[36:37], v[36:37], v[38:39], v[36:37]
	v_fma_f64 v[34:35], v[34:35], v[38:39], v[34:35]
	v_fma_f64 v[40:41], -v[36:37], v[36:37], v[5:6]
	v_fma_f64 v[36:37], v[40:41], v[34:35], v[36:37]
	v_fma_f64 v[38:39], -v[36:37], v[36:37], v[5:6]
	v_fma_f64 v[34:35], v[38:39], v[34:35], v[36:37]
	v_cndmask_b32_e32 v36, 0, v64, vcc
	v_cmp_class_f64_e32 vcc, v[5:6], v60
	v_ldexp_f64 v[34:35], v[34:35], v36
	v_cndmask_b32_e32 v6, v35, v6, vcc
	v_cndmask_b32_e32 v5, v34, v5, vcc
	v_mul_f64 v[48:49], v[15:16], v[5:6]
.LBB48_62:                              ;   in Loop: Header=BB48_4 Depth=1
	s_or_b64 exec, exec, s[92:93]
	s_mov_b64 s[92:93], exec
.LBB48_63:                              ;   in Loop: Header=BB48_4 Depth=1
	s_or_b64 exec, exec, s[18:19]
                                        ; implicit-def: $vgpr5_vgpr6
.LBB48_64:                              ;   in Loop: Header=BB48_4 Depth=1
	s_andn2_saveexec_b64 s[16:17], s[16:17]
	s_cbranch_execz .LBB48_66
; %bb.65:                               ;   in Loop: Header=BB48_4 Depth=1
	v_ldexp_f64 v[48:49], v[5:6], 53
	v_ldexp_f64 v[46:47], |v[13:14]|, 53
	s_or_b64 s[92:93], s[92:93], exec
                                        ; implicit-def: $vgpr44_vgpr45
.LBB48_66:                              ;   in Loop: Header=BB48_4 Depth=1
	s_or_b64 exec, exec, s[16:17]
	v_cmp_lt_i64_e32 vcc, -1, v[13:14]
	s_xor_b64 s[16:17], s[92:93], -1
	s_and_saveexec_b64 s[18:19], s[16:17]
	s_xor_b64 s[18:19], exec, s[18:19]
	s_cbranch_execz .LBB48_76
; %bb.67:                               ;   in Loop: Header=BB48_4 Depth=1
	v_mul_f64 v[15:16], v[44:45], v[44:45]
	v_fma_f64 v[13:14], |v[44:45]|, -0.5, 0.5
	s_and_saveexec_b64 s[16:17], vcc
	s_xor_b64 s[92:93], exec, s[16:17]
	s_cbranch_execz .LBB48_71
; %bb.68:                               ;   in Loop: Header=BB48_4 Depth=1
	v_cmp_ge_f64_e64 s[16:17], |v[44:45]|, 0.5
	s_mov_b32 s94, 0x9fea6a70
	s_mov_b32 s95, 0x3fa05985
	v_cndmask_b32_e64 v6, v16, v14, s[16:17]
	v_cndmask_b32_e64 v5, v15, v13, s[16:17]
	v_fma_f64 v[15:16], v[5:6], s[94:95], v[28:29]
	s_mov_b32 s94, 0x37024d6a
	s_mov_b32 s95, 0x3f940521
	v_fma_f64 v[15:16], v[5:6], v[15:16], s[94:95]
	s_mov_b32 s94, 0x98a70509
	s_mov_b32 s95, 0x3f7ab3a0
	v_fma_f64 v[15:16], v[5:6], v[15:16], s[94:95]
	s_mov_b32 s94, 0xa300c8d2
	s_mov_b32 s95, 0x3f88ed60
	v_fma_f64 v[15:16], v[5:6], v[15:16], s[94:95]
	s_mov_b32 s94, 0x4b77012b
	s_mov_b32 s95, 0x3f8c6fa8
	v_fma_f64 v[15:16], v[5:6], v[15:16], s[94:95]
	s_mov_b32 s94, 0x11dccb70
	s_mov_b32 s95, 0x3f91c6c1
	v_fma_f64 v[15:16], v[5:6], v[15:16], s[94:95]
	s_mov_b32 s94, 0xa0adacf
	s_mov_b32 s95, 0x3f96e89f
	v_fma_f64 v[15:16], v[5:6], v[15:16], s[94:95]
	s_mov_b32 s94, 0xc668963f
	s_mov_b32 s95, 0x3f9f1c72
	v_fma_f64 v[15:16], v[5:6], v[15:16], s[94:95]
	s_mov_b32 s94, 0xb41ce4bd
	s_mov_b32 s95, 0x3fa6db6d
	v_fma_f64 v[15:16], v[5:6], v[15:16], s[94:95]
	s_mov_b32 s94, 0x3336fd5b
	s_mov_b32 s95, 0x3fb33333
	v_fma_f64 v[15:16], v[5:6], v[15:16], s[94:95]
	s_mov_b32 s94, 0x55555380
	s_mov_b32 s95, 0x3fc55555
	v_fma_f64 v[15:16], v[5:6], v[15:16], s[94:95]
	s_mov_b32 s94, 0x336a0500
	s_mov_b32 s95, 0x3fedd9ad
	v_mul_f64 v[15:16], v[5:6], v[15:16]
	v_fma_f64 v[5:6], v[44:45], v[15:16], v[44:45]
	v_fma_f64 v[5:6], s[94:95], v[30:31], -v[5:6]
	s_and_saveexec_b64 s[94:95], s[16:17]
	s_cbranch_execz .LBB48_70
; %bb.69:                               ;   in Loop: Header=BB48_4 Depth=1
	v_rsq_f64_e32 v[5:6], v[13:14]
	v_cmp_eq_f64_e64 s[16:17], 0, v[13:14]
	v_mul_f64 v[34:35], v[13:14], v[5:6]
	v_mul_f64 v[5:6], v[5:6], 0.5
	v_fma_f64 v[36:37], -v[5:6], v[34:35], 0.5
	v_fma_f64 v[34:35], v[34:35], v[36:37], v[34:35]
	v_fma_f64 v[5:6], v[5:6], v[36:37], v[5:6]
	v_fma_f64 v[36:37], -v[34:35], v[34:35], v[13:14]
	v_fma_f64 v[5:6], v[36:37], v[5:6], v[34:35]
	v_cndmask_b32_e64 v6, v6, v14, s[16:17]
	v_cndmask_b32_e64 v5, v5, v13, s[16:17]
	v_mul_f64 v[34:35], v[5:6], v[5:6]
	v_add_f64 v[38:39], v[13:14], -v[34:35]
	v_fma_f64 v[36:37], v[5:6], v[5:6], -v[34:35]
	v_add_f64 v[13:14], v[13:14], -v[38:39]
	v_add_f64 v[13:14], v[13:14], -v[34:35]
	v_add_f64 v[34:35], v[5:6], v[5:6]
	v_add_f64 v[13:14], v[13:14], -v[36:37]
	v_rcp_f64_e32 v[36:37], v[34:35]
	v_add_f64 v[13:14], v[38:39], v[13:14]
	v_fma_f64 v[38:39], -v[34:35], v[36:37], 1.0
	v_fma_f64 v[36:37], v[38:39], v[36:37], v[36:37]
	v_fma_f64 v[38:39], -v[34:35], v[36:37], 1.0
	v_fma_f64 v[36:37], v[38:39], v[36:37], v[36:37]
	v_mul_f64 v[38:39], v[13:14], v[36:37]
	v_fma_f64 v[13:14], -v[34:35], v[38:39], v[13:14]
	v_fma_f64 v[13:14], v[13:14], v[36:37], v[38:39]
	v_cndmask_b32_e64 v14, v14, 0, s[16:17]
	v_cndmask_b32_e64 v13, v13, 0, s[16:17]
	v_add_f64 v[34:35], v[5:6], v[13:14]
	v_cmp_neq_f64_e64 s[16:17], 1.0, v[44:45]
	v_add_f64 v[5:6], v[34:35], -v[5:6]
	v_add_f64 v[5:6], v[13:14], -v[5:6]
	v_fma_f64 v[5:6], v[34:35], v[15:16], v[5:6]
	v_add_f64 v[5:6], v[34:35], v[5:6]
	v_add_f64 v[5:6], v[5:6], v[5:6]
	v_cndmask_b32_e64 v6, 0, v6, s[16:17]
	v_cndmask_b32_e64 v5, 0, v5, s[16:17]
.LBB48_70:                              ;   in Loop: Header=BB48_4 Depth=1
	s_or_b64 exec, exec, s[94:95]
                                        ; implicit-def: $vgpr44_vgpr45
                                        ; implicit-def: $vgpr15_vgpr16
                                        ; implicit-def: $vgpr13_vgpr14
.LBB48_71:                              ;   in Loop: Header=BB48_4 Depth=1
	s_andn2_saveexec_b64 s[92:93], s[92:93]
	s_cbranch_execz .LBB48_75
; %bb.72:                               ;   in Loop: Header=BB48_4 Depth=1
	v_cmp_ge_f64_e64 s[16:17], |v[44:45]|, 0.5
	s_mov_b32 s94, 0x9fea6a70
	s_mov_b32 s95, 0x3fa05985
	v_cndmask_b32_e64 v6, v16, v14, s[16:17]
	v_cndmask_b32_e64 v5, v15, v13, s[16:17]
	v_fma_f64 v[15:16], v[5:6], s[94:95], v[28:29]
	s_mov_b32 s94, 0x37024d6a
	s_mov_b32 s95, 0x3f940521
	v_fma_f64 v[15:16], v[5:6], v[15:16], s[94:95]
	s_mov_b32 s94, 0x98a70509
	s_mov_b32 s95, 0x3f7ab3a0
	;; [unrolled: 3-line block ×11, first 2 shown]
	v_mul_f64 v[15:16], v[5:6], v[15:16]
	v_fma_f64 v[5:6], -v[44:45], v[15:16], -v[44:45]
	v_fma_f64 v[5:6], s[94:95], v[30:31], -v[5:6]
	s_and_saveexec_b64 s[94:95], s[16:17]
	s_cbranch_execz .LBB48_74
; %bb.73:                               ;   in Loop: Header=BB48_4 Depth=1
	v_rsq_f64_e32 v[5:6], v[13:14]
	v_cmp_eq_f64_e64 s[16:17], 0, v[13:14]
	v_readlane_b32 s96, v87, 2
	v_readlane_b32 s97, v87, 3
	s_mov_b32 s39, s97
	v_writelane_b32 v87, s38, 2
	v_writelane_b32 v87, s39, 3
	v_mul_f64 v[34:35], v[13:14], v[5:6]
	v_mul_f64 v[5:6], v[5:6], 0.5
	v_fma_f64 v[36:37], -v[5:6], v[34:35], 0.5
	v_fma_f64 v[34:35], v[34:35], v[36:37], v[34:35]
	v_fma_f64 v[5:6], v[5:6], v[36:37], v[5:6]
	v_fma_f64 v[36:37], -v[34:35], v[34:35], v[13:14]
	v_fma_f64 v[5:6], v[36:37], v[5:6], v[34:35]
	v_cndmask_b32_e64 v6, v6, v14, s[16:17]
	v_cndmask_b32_e64 v5, v5, v13, s[16:17]
	v_mul_f64 v[34:35], v[5:6], v[5:6]
	v_add_f64 v[38:39], v[13:14], -v[34:35]
	v_fma_f64 v[36:37], v[5:6], v[5:6], -v[34:35]
	v_add_f64 v[13:14], v[13:14], -v[38:39]
	v_add_f64 v[13:14], v[13:14], -v[34:35]
	v_add_f64 v[34:35], v[5:6], v[5:6]
	v_add_f64 v[13:14], v[13:14], -v[36:37]
	v_rcp_f64_e32 v[36:37], v[34:35]
	v_add_f64 v[13:14], v[38:39], v[13:14]
	v_fma_f64 v[38:39], -v[34:35], v[36:37], 1.0
	v_fma_f64 v[36:37], v[38:39], v[36:37], v[36:37]
	v_fma_f64 v[38:39], -v[34:35], v[36:37], 1.0
	v_fma_f64 v[36:37], v[38:39], v[36:37], v[36:37]
	v_mul_f64 v[38:39], v[13:14], v[36:37]
	v_fma_f64 v[13:14], -v[34:35], v[38:39], v[13:14]
	v_fma_f64 v[13:14], v[13:14], v[36:37], v[38:39]
	v_cndmask_b32_e64 v14, v14, 0, s[16:17]
	v_cndmask_b32_e64 v13, v13, 0, s[16:17]
	v_add_f64 v[34:35], v[5:6], v[13:14]
	s_mov_b32 s16, 0x336a0500
	s_mov_b32 s17, 0x3fedd9ad
	;; [unrolled: 1-line block ×3, first 2 shown]
	v_add_f64 v[5:6], v[34:35], -v[5:6]
	v_add_f64 v[5:6], v[13:14], -v[5:6]
	v_fma_f64 v[13:14], v[34:35], v[15:16], v[34:35]
	v_fma_f64 v[5:6], v[34:35], v[15:16], v[5:6]
	v_mul_f64 v[13:14], v[13:14], -2.0
	v_add_f64 v[5:6], v[34:35], v[5:6]
	v_fma_f64 v[13:14], s[16:17], v[30:31], v[13:14]
	v_cmp_lt_f64_e64 s[16:17], 0, v[44:45]
	v_add_f64 v[5:6], v[5:6], v[5:6]
	v_cndmask_b32_e64 v5, v5, v13, s[16:17]
	v_cndmask_b32_e64 v6, v6, v14, s[16:17]
	v_cmp_neq_f64_e64 s[16:17], 1.0, v[44:45]
	v_cndmask_b32_e64 v6, v67, v6, s[16:17]
	v_cndmask_b32_e64 v5, v68, v5, s[16:17]
.LBB48_74:                              ;   in Loop: Header=BB48_4 Depth=1
	s_or_b64 exec, exec, s[94:95]
.LBB48_75:                              ;   in Loop: Header=BB48_4 Depth=1
	s_or_b64 exec, exec, s[92:93]
                                        ; implicit-def: $vgpr46_vgpr47
                                        ; implicit-def: $vgpr48_vgpr49
.LBB48_76:                              ;   in Loop: Header=BB48_4 Depth=1
	s_andn2_saveexec_b64 s[92:93], s[18:19]
	s_cbranch_execz .LBB48_82
; %bb.77:                               ;   in Loop: Header=BB48_4 Depth=1
	v_max_f64 v[5:6], |v[48:49]|, |v[48:49]|
	v_max_f64 v[15:16], v[46:47], v[46:47]
	v_cmp_class_f64_e64 s[94:95], v[48:49], s56
	v_max_f64 v[13:14], v[15:16], v[5:6]
	v_min_f64 v[15:16], v[15:16], v[5:6]
	s_and_saveexec_b64 s[16:17], vcc
	s_xor_b64 s[96:97], exec, s[16:17]
	s_cbranch_execz .LBB48_79
; %bb.78:                               ;   in Loop: Header=BB48_4 Depth=1
	v_div_scale_f64 v[5:6], s[16:17], v[13:14], v[13:14], v[15:16]
	s_mov_b32 s16, 0xb5e68a13
	s_mov_b32 s17, 0x3eeba404
	;; [unrolled: 1-line block ×3, first 2 shown]
	v_cmp_eq_f64_e64 s[18:19], s[74:75], v[46:47]
	v_rcp_f64_e32 v[34:35], v[5:6]
	v_fma_f64 v[36:37], -v[5:6], v[34:35], 1.0
	v_fma_f64 v[34:35], v[34:35], v[36:37], v[34:35]
	v_div_scale_f64 v[36:37], vcc, v[15:16], v[13:14], v[15:16]
	v_fma_f64 v[38:39], -v[5:6], v[34:35], 1.0
	v_fma_f64 v[34:35], v[34:35], v[38:39], v[34:35]
	v_mul_f64 v[38:39], v[36:37], v[34:35]
	v_fma_f64 v[5:6], -v[5:6], v[38:39], v[36:37]
	v_div_fmas_f64 v[5:6], v[5:6], v[34:35], v[38:39]
	v_cmp_lt_f64_e64 vcc, v[46:47], |v[48:49]|
	v_div_fixup_f64 v[5:6], v[5:6], v[13:14], v[15:16]
	v_mul_f64 v[13:14], v[5:6], v[5:6]
	v_fma_f64 v[15:16], v[13:14], s[16:17], v[32:33]
	s_mov_b32 s16, 0x69efb384
	s_mov_b32 s17, 0x3f4b2bb0
	v_fma_f64 v[15:16], v[13:14], v[15:16], s[16:17]
	s_mov_b32 s16, 0xaf56de9b
	s_mov_b32 s17, 0xbf67952d
	;; [unrolled: 3-line block ×11, first 2 shown]
	v_fma_f64 v[15:16], v[13:14], v[15:16], s[16:17]
	v_cmp_eq_f64_e64 s[16:17], 0, v[48:49]
	v_fma_f64 v[15:16], v[13:14], v[15:16], s[58:59]
	v_fma_f64 v[15:16], v[13:14], v[15:16], s[60:61]
	;; [unrolled: 1-line block ×7, first 2 shown]
	v_mul_f64 v[13:14], v[13:14], v[15:16]
	v_ashrrev_i32_e32 v16, 31, v47
	v_and_b32_e32 v34, 0x54442d18, v16
	v_and_b32_e32 v16, 0x400921fb, v16
	v_fma_f64 v[5:6], v[5:6], v[13:14], v[5:6]
	v_add_f64 v[13:14], -v[5:6], s[4:5]
	v_cndmask_b32_e32 v6, v6, v14, vcc
	v_cndmask_b32_e32 v5, v5, v13, vcc
	v_add_f64 v[13:14], -v[5:6], s[72:73]
	v_cmp_gt_i32_e32 vcc, 0, v47
	v_cndmask_b32_e32 v15, v68, v69, vcc
                                        ; implicit-def: $vgpr46_vgpr47
	v_cndmask_b32_e32 v5, v5, v13, vcc
	v_cndmask_b32_e32 v6, v6, v14, vcc
	;; [unrolled: 1-line block ×3, first 2 shown]
	v_cndmask_b32_e64 v5, v5, v34, s[16:17]
	v_cndmask_b32_e64 v6, v6, v16, s[16:17]
	s_and_b64 vcc, s[18:19], s[94:95]
	v_cndmask_b32_e32 v6, v6, v13, vcc
	v_cndmask_b32_e32 v5, v5, v15, vcc
	v_cmp_o_f64_e32 vcc, v[48:49], v[48:49]
                                        ; implicit-def: $vgpr13_vgpr14
                                        ; implicit-def: $vgpr15_vgpr16
	v_cndmask_b32_e32 v6, v66, v6, vcc
	v_cndmask_b32_e32 v5, 0, v5, vcc
	v_bfi_b32 v6, s55, v6, v49
                                        ; implicit-def: $vgpr48_vgpr49
.LBB48_79:                              ;   in Loop: Header=BB48_4 Depth=1
	s_andn2_saveexec_b64 s[96:97], s[96:97]
	s_cbranch_execz .LBB48_81
; %bb.80:                               ;   in Loop: Header=BB48_4 Depth=1
	v_div_scale_f64 v[5:6], s[16:17], v[13:14], v[13:14], v[15:16]
	s_mov_b32 s16, 0xb5e68a13
	s_mov_b32 s17, 0x3eeba404
	;; [unrolled: 1-line block ×3, first 2 shown]
	v_cmp_eq_f64_e64 s[18:19], s[74:75], v[46:47]
	v_rcp_f64_e32 v[34:35], v[5:6]
	v_fma_f64 v[36:37], -v[5:6], v[34:35], 1.0
	v_fma_f64 v[34:35], v[34:35], v[36:37], v[34:35]
	v_div_scale_f64 v[36:37], vcc, v[15:16], v[13:14], v[15:16]
	v_fma_f64 v[38:39], -v[5:6], v[34:35], 1.0
	v_fma_f64 v[34:35], v[34:35], v[38:39], v[34:35]
	v_mul_f64 v[38:39], v[36:37], v[34:35]
	v_fma_f64 v[5:6], -v[5:6], v[38:39], v[36:37]
	v_div_fmas_f64 v[5:6], v[5:6], v[34:35], v[38:39]
	v_cmp_lt_f64_e64 vcc, v[46:47], |v[48:49]|
	v_div_fixup_f64 v[5:6], v[5:6], v[13:14], v[15:16]
	v_mul_f64 v[13:14], v[5:6], v[5:6]
	v_fma_f64 v[15:16], v[13:14], s[16:17], v[32:33]
	s_mov_b32 s16, 0x69efb384
	s_mov_b32 s17, 0x3f4b2bb0
	v_fma_f64 v[15:16], v[13:14], v[15:16], s[16:17]
	s_mov_b32 s16, 0xaf56de9b
	s_mov_b32 s17, 0xbf67952d
	;; [unrolled: 3-line block ×11, first 2 shown]
	v_fma_f64 v[15:16], v[13:14], v[15:16], s[16:17]
	v_cmp_eq_f64_e64 s[16:17], 0, v[48:49]
	v_fma_f64 v[15:16], v[13:14], v[15:16], s[58:59]
	v_fma_f64 v[15:16], v[13:14], v[15:16], s[60:61]
	;; [unrolled: 1-line block ×7, first 2 shown]
	v_mul_f64 v[13:14], v[13:14], v[15:16]
	v_xor_b32_e32 v15, 0x80000000, v47
	v_fma_f64 v[5:6], v[5:6], v[13:14], v[5:6]
	v_add_f64 v[13:14], -v[5:6], s[4:5]
	v_cndmask_b32_e32 v6, v6, v14, vcc
	v_cndmask_b32_e32 v5, v5, v13, vcc
	v_add_f64 v[13:14], -v[5:6], s[72:73]
	v_cmp_gt_i32_e32 vcc, 0, v15
	v_ashrrev_i32_e32 v15, 31, v15
	v_and_b32_e32 v34, 0x54442d18, v15
	v_and_b32_e32 v15, 0x400921fb, v15
	v_cndmask_b32_e32 v16, v68, v69, vcc
	v_cndmask_b32_e32 v5, v5, v13, vcc
	;; [unrolled: 1-line block ×4, first 2 shown]
	v_cndmask_b32_e64 v5, v5, v34, s[16:17]
	v_cndmask_b32_e64 v6, v6, v15, s[16:17]
	s_and_b64 vcc, s[18:19], s[94:95]
	v_cndmask_b32_e32 v6, v6, v13, vcc
	v_cndmask_b32_e32 v5, v5, v16, vcc
	v_cmp_o_f64_e32 vcc, v[48:49], v[48:49]
	v_cndmask_b32_e32 v6, v66, v6, vcc
	v_cndmask_b32_e32 v5, 0, v5, vcc
	v_bfi_b32 v6, s55, v6, v49
.LBB48_81:                              ;   in Loop: Header=BB48_4 Depth=1
	s_or_b64 exec, exec, s[96:97]
.LBB48_82:                              ;   in Loop: Header=BB48_4 Depth=1
	s_or_b64 exec, exec, s[92:93]
	v_xor_b32_e32 v13, 0x80000000, v8
	v_cndmask_b32_e64 v8, v13, v8, s[14:15]
                                        ; implicit-def: $vgpr13_vgpr14
.LBB48_83:                              ;   in Loop: Header=BB48_4 Depth=1
	s_andn2_saveexec_b64 s[16:17], s[90:91]
	s_cbranch_execz .LBB48_85
; %bb.84:                               ;   in Loop: Header=BB48_4 Depth=1
	s_waitcnt lgkmcnt(0)
	v_mov_b32_e32 v5, s24
	v_mov_b32_e32 v6, s25
	flat_load_dwordx2 v[5:6], v[5:6] glc
	s_waitcnt vmcnt(0) lgkmcnt(0)
	v_add_f64 v[5:6], v[5:6], -v[13:14]
	v_add_f64 v[5:6], v[5:6], s[4:5]
.LBB48_85:                              ;   in Loop: Header=BB48_4 Depth=1
	s_or_b64 exec, exec, s[16:17]
.LBB48_86:                              ;   in Loop: Header=BB48_4 Depth=1
	s_andn2_saveexec_b64 s[16:17], s[88:89]
	s_cbranch_execz .LBB48_88
; %bb.87:                               ;   in Loop: Header=BB48_4 Depth=1
	s_waitcnt lgkmcnt(0)
	v_mov_b32_e32 v5, 0
	v_mov_b32_e32 v6, 0
.LBB48_88:                              ;   in Loop: Header=BB48_4 Depth=1
	s_or_b64 exec, exec, s[16:17]
                                        ; implicit-def: $vgpr13_vgpr14
                                        ; implicit-def: $vgpr36_vgpr37
                                        ; implicit-def: $vgpr38_vgpr39
                                        ; implicit-def: $vgpr34_vgpr35
.LBB48_89:                              ;   in Loop: Header=BB48_4 Depth=1
	s_andn2_saveexec_b64 s[86:87], s[86:87]
	s_cbranch_execz .LBB48_99
; %bb.90:                               ;   in Loop: Header=BB48_4 Depth=1
	v_cmp_lt_f64_e64 s[16:17], |v[13:14]|, |v[15:16]|
	v_and_b32_e32 v42, 0x7fffffff, v14
	v_and_b32_e32 v43, 0x7fffffff, v16
	s_mov_b32 s18, -1
	s_mov_b32 s19, 0x7fdfffff
                                        ; implicit-def: $sgpr88_sgpr89
                                        ; implicit-def: $vgpr40_vgpr41
                                        ; implicit-def: $vgpr7_vgpr8
	v_cndmask_b32_e64 v6, v42, v43, s[16:17]
	s_waitcnt lgkmcnt(0)
	v_cndmask_b32_e64 v5, v13, v15, s[16:17]
	v_cmp_nlt_f64_e32 vcc, s[18:19], v[5:6]
	s_and_saveexec_b64 s[18:19], vcc
	s_xor_b64 s[90:91], exec, s[18:19]
	s_cbranch_execz .LBB48_96
; %bb.91:                               ;   in Loop: Header=BB48_4 Depth=1
	s_mov_b32 s18, 0
	s_mov_b32 s19, 0x20200000
	v_cmp_nlt_f64_e32 vcc, s[18:19], v[5:6]
	s_mov_b32 s18, 0
	v_cndmask_b32_e64 v43, v43, v42, s[16:17]
	v_cndmask_b32_e64 v42, v15, v13, s[16:17]
	s_brev_b32 s19, 4
	v_cmp_ngt_f64_e64 s[18:19], s[18:19], v[42:43]
                                        ; implicit-def: $sgpr88_sgpr89
                                        ; implicit-def: $vgpr40_vgpr41
                                        ; implicit-def: $vgpr7_vgpr8
	s_and_b64 s[18:19], vcc, s[18:19]
	s_and_saveexec_b64 s[92:93], s[18:19]
	s_xor_b64 s[92:93], exec, s[92:93]
	s_cbranch_execz .LBB48_93
; %bb.92:                               ;   in Loop: Header=BB48_4 Depth=1
	v_mul_f64 v[7:8], v[42:43], v[42:43]
	v_min_f64 v[36:37], v[36:37], v[38:39]
	s_mov_b32 s39, s81
	v_fma_f64 v[5:6], v[5:6], v[5:6], v[7:8]
	v_frexp_mant_f64_e32 v[7:8], v[5:6]
	v_cmp_gt_f64_e64 s[18:19], s[80:81], v[7:8]
	v_cndmask_b32_e64 v40, 0, 1, s[18:19]
	v_ldexp_f64 v[7:8], v[7:8], v40
	v_add_f64 v[40:41], v[7:8], 1.0
	v_add_f64 v[46:47], v[7:8], -1.0
	v_rcp_f64_e32 v[42:43], v[40:41]
	v_add_f64 v[48:49], v[40:41], -1.0
	v_add_f64 v[7:8], v[7:8], -v[48:49]
	v_fma_f64 v[44:45], -v[40:41], v[42:43], 1.0
	v_fma_f64 v[42:43], v[44:45], v[42:43], v[42:43]
	v_fma_f64 v[44:45], -v[40:41], v[42:43], 1.0
	v_fma_f64 v[42:43], v[44:45], v[42:43], v[42:43]
	v_mul_f64 v[44:45], v[46:47], v[42:43]
	v_mul_f64 v[72:73], v[40:41], v[44:45]
	v_fma_f64 v[38:39], v[44:45], v[40:41], -v[72:73]
	v_div_scale_f64 v[40:41], s[88:89], v[34:35], v[34:35], v[36:37]
	s_mov_b32 s88, 0xb5e68a13
	s_mov_b32 s89, 0x3eeba404
	v_fma_f64 v[7:8], v[44:45], v[7:8], v[38:39]
	v_add_f64 v[38:39], v[72:73], v[7:8]
	v_rcp_f64_e32 v[48:49], v[40:41]
	v_add_f64 v[74:75], v[46:47], -v[38:39]
	v_add_f64 v[72:73], v[38:39], -v[72:73]
	;; [unrolled: 1-line block ×3, first 2 shown]
	v_fma_f64 v[76:77], -v[40:41], v[48:49], 1.0
	v_add_f64 v[7:8], v[72:73], -v[7:8]
	v_frexp_exp_i32_f64_e32 v72, v[5:6]
	v_add_f64 v[38:39], v[46:47], -v[38:39]
	v_fma_f64 v[46:47], v[48:49], v[76:77], v[48:49]
	v_add_f64 v[7:8], v[7:8], v[38:39]
	v_div_scale_f64 v[38:39], vcc, v[36:37], v[34:35], v[36:37]
	v_fma_f64 v[48:49], -v[40:41], v[46:47], 1.0
	v_add_f64 v[7:8], v[74:75], v[7:8]
	v_fma_f64 v[46:47], v[46:47], v[48:49], v[46:47]
	v_mul_f64 v[7:8], v[42:43], v[7:8]
	v_mul_f64 v[42:43], v[38:39], v[46:47]
	v_add_f64 v[48:49], v[44:45], v[7:8]
	v_fma_f64 v[38:39], -v[40:41], v[42:43], v[38:39]
	v_mul_f64 v[40:41], v[48:49], v[48:49]
	v_add_f64 v[44:45], v[48:49], -v[44:45]
	v_div_fmas_f64 v[38:39], v[38:39], v[46:47], v[42:43]
	v_fma_f64 v[42:43], v[40:41], s[40:41], v[26:27]
	v_mul_f64 v[46:47], v[48:49], v[40:41]
	v_add_f64 v[7:8], v[7:8], -v[44:45]
	v_fma_f64 v[42:43], v[40:41], v[42:43], s[42:43]
	v_ldexp_f64 v[7:8], v[7:8], 1
	v_div_fixup_f64 v[34:35], v[38:39], v[34:35], v[36:37]
	v_fma_f64 v[36:37], v[40:41], v[42:43], s[44:45]
	v_mul_f64 v[38:39], v[34:35], v[34:35]
	v_fma_f64 v[36:37], v[40:41], v[36:37], s[46:47]
	v_fma_f64 v[42:43], v[38:39], s[88:89], v[32:33]
	s_mov_b32 s88, 0x69efb384
	s_mov_b32 s89, 0x3f4b2bb0
	v_fma_f64 v[36:37], v[40:41], v[36:37], s[48:49]
	v_fma_f64 v[42:43], v[38:39], v[42:43], s[88:89]
	s_mov_b32 s88, 0xaf56de9b
	s_mov_b32 s89, 0xbf67952d
	v_fma_f64 v[36:37], v[40:41], v[36:37], s[38:39]
	v_fma_f64 v[40:41], v[38:39], v[42:43], s[88:89]
	v_ldexp_f64 v[42:43], v[48:49], 1
	s_mov_b32 s88, 0xa595c56f
	s_mov_b32 s89, 0x3f7d6d43
	v_subbrev_co_u32_e64 v48, vcc, 0, v72, s[18:19]
	v_mul_f64 v[36:37], v[46:47], v[36:37]
	v_cvt_f64_i32_e32 v[48:49], v48
	v_fma_f64 v[40:41], v[38:39], v[40:41], s[88:89]
	s_mov_b32 s18, 0xa57d9582
	s_mov_b32 s19, 0xbf8c6ea4
	v_mul_f64 v[72:73], v[48:49], s[50:51]
	v_cmp_class_f64_e64 vcc, v[5:6], s56
	v_cmp_class_f64_e64 s[88:89], v[13:14], s56
	v_add_f64 v[46:47], v[42:43], v[36:37]
	v_fma_f64 v[40:41], v[38:39], v[40:41], s[18:19]
	s_mov_b32 s18, 0x5f08b19f
	s_mov_b32 s19, 0x3f967e29
	v_fma_f64 v[44:45], v[48:49], s[50:51], -v[72:73]
	v_add_f64 v[42:43], v[46:47], -v[42:43]
	v_fma_f64 v[40:41], v[38:39], v[40:41], s[18:19]
	s_mov_b32 s18, 0xfc27006a
	s_mov_b32 s19, 0xbf9e9ae6
	v_add_f64 v[36:37], v[36:37], -v[42:43]
	v_fma_f64 v[42:43], v[48:49], s[52:53], v[44:45]
	v_fma_f64 v[40:41], v[38:39], v[40:41], s[18:19]
	s_mov_b32 s18, 0x5711927a
	s_mov_b32 s19, 0x3fa2c15b
	v_add_f64 v[7:8], v[7:8], v[36:37]
	v_fma_f64 v[36:37], v[38:39], v[40:41], s[18:19]
	v_add_f64 v[40:41], v[72:73], v[42:43]
	s_mov_b32 s18, 0xe82d3ff0
	s_mov_b32 s19, 0xbfa59976
	v_add_f64 v[44:45], v[46:47], v[7:8]
	v_fma_f64 v[36:37], v[38:39], v[36:37], s[18:19]
	s_mov_b32 s18, 0x6ef28734
	s_mov_b32 s19, 0x3fa82d5d
	v_add_f64 v[72:73], v[40:41], -v[72:73]
	v_add_f64 v[48:49], v[40:41], v[44:45]
	v_add_f64 v[46:47], v[44:45], -v[46:47]
	v_fma_f64 v[36:37], v[38:39], v[36:37], s[18:19]
	s_mov_b32 s18, 0x6a214619
	s_mov_b32 s19, 0xbfaae5ce
	v_add_f64 v[42:43], v[42:43], -v[72:73]
	v_add_f64 v[74:75], v[48:49], -v[40:41]
	;; [unrolled: 1-line block ×3, first 2 shown]
	v_fma_f64 v[36:37], v[38:39], v[36:37], s[18:19]
	s_mov_b32 s18, 0x8427b883
	s_mov_b32 s19, 0x3fae1bb4
	v_add_f64 v[76:77], v[48:49], -v[74:75]
	v_add_f64 v[44:45], v[44:45], -v[74:75]
	v_fma_f64 v[36:37], v[38:39], v[36:37], s[18:19]
	v_add_f64 v[46:47], v[42:43], v[7:8]
	v_cmp_class_f64_e64 s[18:19], v[15:16], s56
	v_add_f64 v[40:41], v[40:41], -v[76:77]
	v_fma_f64 v[36:37], v[38:39], v[36:37], s[58:59]
	s_and_b64 s[88:89], s[18:19], s[88:89]
	v_add_f64 v[40:41], v[44:45], v[40:41]
	v_add_f64 v[44:45], v[46:47], -v[42:43]
	v_fma_f64 v[36:37], v[38:39], v[36:37], s[60:61]
	v_add_f64 v[40:41], v[46:47], v[40:41]
	v_add_f64 v[46:47], v[46:47], -v[44:45]
	v_fma_f64 v[36:37], v[38:39], v[36:37], s[62:63]
	v_add_f64 v[7:8], v[7:8], -v[44:45]
	v_add_f64 v[72:73], v[48:49], v[40:41]
	v_add_f64 v[42:43], v[42:43], -v[46:47]
	v_fma_f64 v[36:37], v[38:39], v[36:37], s[64:65]
	v_add_f64 v[44:45], v[72:73], -v[48:49]
	v_add_f64 v[7:8], v[7:8], v[42:43]
	v_fma_f64 v[36:37], v[38:39], v[36:37], s[66:67]
	v_add_f64 v[40:41], v[40:41], -v[44:45]
	v_fma_f64 v[36:37], v[38:39], v[36:37], s[68:69]
	v_add_f64 v[7:8], v[7:8], v[40:41]
	v_fma_f64 v[36:37], v[38:39], v[36:37], s[70:71]
	v_add_f64 v[7:8], v[72:73], v[7:8]
	v_mul_f64 v[36:37], v[38:39], v[36:37]
	v_cndmask_b32_e32 v8, v8, v6, vcc
	v_cndmask_b32_e32 v7, v7, v5, vcc
	v_mul_f64 v[38:39], v[7:8], 0.5
	v_cmp_neq_f64_e32 vcc, 0, v[5:6]
	v_fma_f64 v[7:8], v[34:35], v[36:37], v[34:35]
                                        ; implicit-def: $vgpr34_vgpr35
                                        ; implicit-def: $vgpr36_vgpr37
	v_cndmask_b32_e32 v41, v65, v39, vcc
	v_cndmask_b32_e32 v40, 0, v38, vcc
                                        ; implicit-def: $vgpr38_vgpr39
.LBB48_93:                              ;   in Loop: Header=BB48_4 Depth=1
	s_andn2_saveexec_b64 s[92:93], s[92:93]
	s_cbranch_execz .LBB48_95
; %bb.94:                               ;   in Loop: Header=BB48_4 Depth=1
	v_frexp_exp_i32_f64_e32 v44, v[34:35]
	v_cmp_class_f64_e64 s[94:95], v[13:14], s56
	v_cmp_class_f64_e64 s[96:97], v[15:16], s56
	v_min_f64 v[36:37], v[36:37], v[38:39]
	s_mov_b32 s39, s81
	v_sub_u32_e32 v7, 0, v44
	v_ldexp_f64 v[5:6], |v[15:16]|, v7
	v_ldexp_f64 v[7:8], |v[13:14]|, v7
	v_div_scale_f64 v[72:73], s[98:99], v[34:35], v[34:35], v[36:37]
	s_mov_b32 s98, 0x1409212f
	s_mov_b32 s99, 0x3e43988e
	v_mul_f64 v[5:6], v[5:6], v[5:6]
	v_fma_f64 v[5:6], v[7:8], v[7:8], v[5:6]
	v_rsq_f64_e32 v[7:8], v[5:6]
	v_cmp_eq_f64_e32 vcc, 0, v[5:6]
	v_mul_f64 v[40:41], v[5:6], v[7:8]
	v_mul_f64 v[7:8], v[7:8], 0.5
	v_fma_f64 v[42:43], -v[7:8], v[40:41], 0.5
	v_fma_f64 v[40:41], v[40:41], v[42:43], v[40:41]
	v_fma_f64 v[7:8], v[7:8], v[42:43], v[7:8]
	v_fma_f64 v[42:43], -v[40:41], v[40:41], v[5:6]
	v_fma_f64 v[7:8], v[42:43], v[7:8], v[40:41]
	v_cndmask_b32_e32 v6, v8, v6, vcc
	v_cndmask_b32_e32 v5, v7, v5, vcc
	v_ldexp_f64 v[5:6], v[5:6], v44
	s_or_b64 vcc, s[96:97], s[94:95]
	v_cndmask_b32_e32 v6, v6, v61, vcc
	v_cndmask_b32_e64 v5, v5, 0, vcc
	v_frexp_mant_f64_e32 v[7:8], v[5:6]
	v_cmp_gt_f64_e64 s[18:19], s[80:81], v[7:8]
	v_cndmask_b32_e64 v40, 0, 1, s[18:19]
	v_ldexp_f64 v[7:8], v[7:8], v40
	v_add_f64 v[40:41], v[7:8], 1.0
	v_add_f64 v[46:47], v[7:8], -1.0
	v_rcp_f64_e32 v[42:43], v[40:41]
	v_add_f64 v[38:39], v[40:41], -1.0
	v_add_f64 v[7:8], v[7:8], -v[38:39]
	v_fma_f64 v[44:45], -v[40:41], v[42:43], 1.0
	v_fma_f64 v[42:43], v[44:45], v[42:43], v[42:43]
	v_fma_f64 v[44:45], -v[40:41], v[42:43], 1.0
	v_fma_f64 v[42:43], v[44:45], v[42:43], v[42:43]
	v_mul_f64 v[44:45], v[46:47], v[42:43]
	v_mul_f64 v[48:49], v[40:41], v[44:45]
	v_fma_f64 v[38:39], v[44:45], v[40:41], -v[48:49]
	v_fma_f64 v[7:8], v[44:45], v[7:8], v[38:39]
	v_rcp_f64_e32 v[38:39], v[72:73]
	v_add_f64 v[40:41], v[48:49], v[7:8]
	v_add_f64 v[74:75], v[46:47], -v[40:41]
	v_fma_f64 v[76:77], -v[72:73], v[38:39], 1.0
	v_add_f64 v[48:49], v[40:41], -v[48:49]
	v_add_f64 v[46:47], v[46:47], -v[74:75]
	v_fma_f64 v[38:39], v[38:39], v[76:77], v[38:39]
	v_add_f64 v[7:8], v[48:49], -v[7:8]
	v_add_f64 v[40:41], v[46:47], -v[40:41]
	v_div_scale_f64 v[46:47], vcc, v[36:37], v[34:35], v[36:37]
	v_fma_f64 v[48:49], -v[72:73], v[38:39], 1.0
	v_add_f64 v[7:8], v[7:8], v[40:41]
	v_fma_f64 v[38:39], v[38:39], v[48:49], v[38:39]
	v_add_f64 v[7:8], v[74:75], v[7:8]
	v_mul_f64 v[40:41], v[46:47], v[38:39]
	v_mul_f64 v[7:8], v[42:43], v[7:8]
	v_fma_f64 v[42:43], -v[72:73], v[40:41], v[46:47]
	v_add_f64 v[46:47], v[44:45], v[7:8]
	v_div_fmas_f64 v[38:39], v[42:43], v[38:39], v[40:41]
	s_mov_b32 vcc_lo, 0xb5e68a13
	s_mov_b32 vcc_hi, 0x3eeba404
	v_mul_f64 v[40:41], v[46:47], v[46:47]
	v_add_f64 v[44:45], v[46:47], -v[44:45]
	v_fma_f64 v[42:43], v[40:41], s[40:41], v[26:27]
	v_mul_f64 v[48:49], v[46:47], v[40:41]
	v_add_f64 v[7:8], v[7:8], -v[44:45]
	v_div_fixup_f64 v[34:35], v[38:39], v[34:35], v[36:37]
	v_fma_f64 v[36:37], v[40:41], v[42:43], s[42:43]
	v_ldexp_f64 v[7:8], v[7:8], 1
	v_mul_f64 v[38:39], v[34:35], v[34:35]
	v_fma_f64 v[36:37], v[40:41], v[36:37], s[44:45]
	v_fma_f64 v[42:43], v[38:39], vcc, v[32:33]
	s_mov_b32 vcc_lo, 0x69efb384
	s_mov_b32 vcc_hi, 0x3f4b2bb0
	v_fma_f64 v[36:37], v[40:41], v[36:37], s[46:47]
	v_fma_f64 v[42:43], v[38:39], v[42:43], vcc
	s_mov_b32 vcc_lo, 0xaf56de9b
	s_mov_b32 vcc_hi, 0xbf67952d
	v_fma_f64 v[36:37], v[40:41], v[36:37], s[48:49]
	v_fma_f64 v[42:43], v[38:39], v[42:43], vcc
	;; [unrolled: 4-line block ×3, first 2 shown]
	v_ldexp_f64 v[42:43], v[46:47], 1
	s_mov_b32 vcc_lo, 0xa57d9582
	s_mov_b32 vcc_hi, 0xbf8c6ea4
	v_mul_f64 v[36:37], v[48:49], v[36:37]
	v_frexp_exp_i32_f64_e32 v48, v[5:6]
	v_fma_f64 v[40:41], v[38:39], v[40:41], vcc
	v_add_f64 v[46:47], v[42:43], v[36:37]
	v_subbrev_co_u32_e64 v48, vcc, 0, v48, s[18:19]
	v_cvt_f64_i32_e32 v[48:49], v48
	s_mov_b32 s18, 0x5f08b19f
	s_mov_b32 s19, 0x3f967e29
	v_fma_f64 v[40:41], v[38:39], v[40:41], s[18:19]
	v_mul_f64 v[72:73], v[48:49], s[50:51]
	v_add_f64 v[42:43], v[46:47], -v[42:43]
	s_mov_b32 s18, 0xfc27006a
	s_mov_b32 s19, 0xbf9e9ae6
	v_cmp_class_f64_e64 vcc, v[5:6], s56
	v_fma_f64 v[40:41], v[38:39], v[40:41], s[18:19]
	v_fma_f64 v[44:45], v[48:49], s[50:51], -v[72:73]
	v_add_f64 v[36:37], v[36:37], -v[42:43]
	s_mov_b32 s18, 0x5711927a
	s_mov_b32 s19, 0x3fa2c15b
	v_fma_f64 v[40:41], v[38:39], v[40:41], s[18:19]
	v_fma_f64 v[42:43], v[48:49], s[52:53], v[44:45]
	v_add_f64 v[7:8], v[7:8], v[36:37]
	s_mov_b32 s18, 0xe82d3ff0
	s_mov_b32 s19, 0xbfa59976
	v_fma_f64 v[36:37], v[38:39], v[40:41], s[18:19]
	v_add_f64 v[40:41], v[72:73], v[42:43]
	v_add_f64 v[44:45], v[46:47], v[7:8]
	s_mov_b32 s18, 0x6ef28734
	s_mov_b32 s19, 0x3fa82d5d
	v_fma_f64 v[36:37], v[38:39], v[36:37], s[18:19]
	s_mov_b32 s18, 0x6a214619
	v_add_f64 v[48:49], v[40:41], v[44:45]
	s_mov_b32 s19, 0xbfaae5ce
	v_add_f64 v[72:73], v[40:41], -v[72:73]
	v_add_f64 v[46:47], v[44:45], -v[46:47]
	v_fma_f64 v[36:37], v[38:39], v[36:37], s[18:19]
	s_mov_b32 s18, 0x8427b883
	v_add_f64 v[74:75], v[48:49], -v[40:41]
	s_mov_b32 s19, 0x3fae1bb4
	v_add_f64 v[42:43], v[42:43], -v[72:73]
	v_add_f64 v[7:8], v[7:8], -v[46:47]
	v_fma_f64 v[36:37], v[38:39], v[36:37], s[18:19]
	s_andn2_b64 s[18:19], s[88:89], exec
	v_add_f64 v[76:77], v[48:49], -v[74:75]
	v_add_f64 v[44:45], v[44:45], -v[74:75]
	s_and_b64 s[88:89], s[96:97], s[94:95]
	v_add_f64 v[46:47], v[42:43], v[7:8]
	s_and_b64 s[88:89], s[88:89], exec
	s_or_b64 s[88:89], s[18:19], s[88:89]
	v_fma_f64 v[36:37], v[38:39], v[36:37], s[58:59]
	v_add_f64 v[40:41], v[40:41], -v[76:77]
	v_fma_f64 v[36:37], v[38:39], v[36:37], s[60:61]
	v_add_f64 v[40:41], v[44:45], v[40:41]
	v_add_f64 v[44:45], v[46:47], -v[42:43]
	v_fma_f64 v[36:37], v[38:39], v[36:37], s[62:63]
	v_add_f64 v[40:41], v[46:47], v[40:41]
	v_add_f64 v[46:47], v[46:47], -v[44:45]
	v_add_f64 v[7:8], v[7:8], -v[44:45]
	v_fma_f64 v[36:37], v[38:39], v[36:37], s[64:65]
	v_add_f64 v[72:73], v[48:49], v[40:41]
	v_add_f64 v[42:43], v[42:43], -v[46:47]
	v_fma_f64 v[36:37], v[38:39], v[36:37], s[66:67]
	v_add_f64 v[44:45], v[72:73], -v[48:49]
	v_add_f64 v[7:8], v[7:8], v[42:43]
	v_fma_f64 v[36:37], v[38:39], v[36:37], s[68:69]
	v_add_f64 v[40:41], v[40:41], -v[44:45]
	v_fma_f64 v[36:37], v[38:39], v[36:37], s[70:71]
	v_add_f64 v[7:8], v[7:8], v[40:41]
	v_mul_f64 v[36:37], v[38:39], v[36:37]
	v_add_f64 v[38:39], v[72:73], v[7:8]
	v_fma_f64 v[7:8], v[34:35], v[36:37], v[34:35]
	v_cndmask_b32_e32 v34, v38, v5, vcc
	v_cndmask_b32_e32 v35, v39, v6, vcc
	v_cmp_ngt_f64_e32 vcc, 0, v[5:6]
	v_cndmask_b32_e32 v35, v66, v35, vcc
	v_cmp_nge_f64_e32 vcc, 0, v[5:6]
	v_cndmask_b32_e32 v40, 0, v34, vcc
	v_cmp_neq_f64_e32 vcc, 0, v[5:6]
	v_cndmask_b32_e32 v41, v65, v35, vcc
.LBB48_95:                              ;   in Loop: Header=BB48_4 Depth=1
	s_or_b64 exec, exec, s[92:93]
                                        ; implicit-def: $vgpr36_vgpr37
                                        ; implicit-def: $vgpr38_vgpr39
                                        ; implicit-def: $vgpr34_vgpr35
.LBB48_96:                              ;   in Loop: Header=BB48_4 Depth=1
	s_andn2_saveexec_b64 s[90:91], s[90:91]
	s_cbranch_execz .LBB48_98
; %bb.97:                               ;   in Loop: Header=BB48_4 Depth=1
	v_div_scale_f64 v[5:6], s[18:19], s[76:77], s[76:77], v[13:14]
	v_div_scale_f64 v[7:8], s[18:19], s[76:77], s[76:77], v[15:16]
	;; [unrolled: 1-line block ×3, first 2 shown]
	v_min_f64 v[36:37], v[36:37], v[38:39]
	s_mov_b32 s39, s81
	s_andn2_b64 s[88:89], s[88:89], exec
	v_rcp_f64_e32 v[40:41], v[5:6]
	v_rcp_f64_e32 v[42:43], v[7:8]
	v_fma_f64 v[44:45], -v[5:6], v[40:41], 1.0
	v_fma_f64 v[46:47], -v[7:8], v[42:43], 1.0
	v_fma_f64 v[40:41], v[40:41], v[44:45], v[40:41]
	v_div_scale_f64 v[44:45], vcc, v[13:14], s[76:77], v[13:14]
	v_fma_f64 v[42:43], v[42:43], v[46:47], v[42:43]
	v_fma_f64 v[46:47], -v[5:6], v[40:41], 1.0
	v_fma_f64 v[72:73], -v[7:8], v[42:43], 1.0
	v_fma_f64 v[40:41], v[40:41], v[46:47], v[40:41]
	v_fma_f64 v[42:43], v[42:43], v[72:73], v[42:43]
	v_mul_f64 v[46:47], v[44:45], v[40:41]
	v_mul_f64 v[72:73], v[48:49], v[42:43]
	v_fma_f64 v[5:6], -v[5:6], v[46:47], v[44:45]
	v_fma_f64 v[7:8], -v[7:8], v[72:73], v[48:49]
	v_div_fmas_f64 v[5:6], v[5:6], v[40:41], v[46:47]
	s_mov_b64 vcc, s[18:19]
	v_div_fmas_f64 v[7:8], v[7:8], v[42:43], v[72:73]
	v_div_fixup_f64 v[5:6], v[5:6], s[76:77], v[13:14]
	v_div_fixup_f64 v[7:8], v[7:8], s[76:77], v[15:16]
	v_cmp_class_f64_e64 s[18:19], v[5:6], s56
	v_max_f64 v[40:41], |v[5:6]|, |v[7:8]|
	v_cmp_class_f64_e64 s[92:93], v[7:8], s56
	v_frexp_exp_i32_f64_e32 v48, v[40:41]
	v_sub_u32_e32 v42, 0, v48
	v_ldexp_f64 v[40:41], |v[7:8]|, v42
	v_ldexp_f64 v[42:43], |v[5:6]|, v42
	v_mul_f64 v[40:41], v[40:41], v[40:41]
	v_fma_f64 v[40:41], v[42:43], v[42:43], v[40:41]
	v_rsq_f64_e32 v[42:43], v[40:41]
	v_cmp_eq_f64_e32 vcc, 0, v[40:41]
	v_mul_f64 v[44:45], v[40:41], v[42:43]
	v_mul_f64 v[42:43], v[42:43], 0.5
	v_fma_f64 v[46:47], -v[42:43], v[44:45], 0.5
	v_fma_f64 v[44:45], v[44:45], v[46:47], v[44:45]
	v_fma_f64 v[42:43], v[42:43], v[46:47], v[42:43]
	v_fma_f64 v[46:47], -v[44:45], v[44:45], v[40:41]
	v_fma_f64 v[42:43], v[46:47], v[42:43], v[44:45]
	v_cndmask_b32_e32 v6, v43, v41, vcc
	v_cndmask_b32_e32 v5, v42, v40, vcc
	v_ldexp_f64 v[5:6], v[5:6], v48
	s_or_b64 vcc, s[92:93], s[18:19]
	v_cndmask_b32_e32 v6, v6, v61, vcc
	v_cndmask_b32_e64 v5, v5, 0, vcc
	v_frexp_mant_f64_e32 v[7:8], v[5:6]
	v_cmp_gt_f64_e64 s[18:19], s[80:81], v[7:8]
	v_cndmask_b32_e64 v40, 0, 1, s[18:19]
	v_ldexp_f64 v[7:8], v[7:8], v40
	v_add_f64 v[40:41], v[7:8], 1.0
	v_add_f64 v[46:47], v[7:8], -1.0
	v_rcp_f64_e32 v[42:43], v[40:41]
	v_add_f64 v[48:49], v[40:41], -1.0
	v_add_f64 v[7:8], v[7:8], -v[48:49]
	v_fma_f64 v[44:45], -v[40:41], v[42:43], 1.0
	v_fma_f64 v[42:43], v[44:45], v[42:43], v[42:43]
	v_fma_f64 v[44:45], -v[40:41], v[42:43], 1.0
	v_fma_f64 v[42:43], v[44:45], v[42:43], v[42:43]
	v_mul_f64 v[44:45], v[46:47], v[42:43]
	v_mul_f64 v[72:73], v[40:41], v[44:45]
	v_fma_f64 v[38:39], v[44:45], v[40:41], -v[72:73]
	v_div_scale_f64 v[40:41], s[92:93], v[34:35], v[34:35], v[36:37]
	s_mov_b32 s92, 0xb5e68a13
	s_mov_b32 s93, 0x3eeba404
	v_fma_f64 v[7:8], v[44:45], v[7:8], v[38:39]
	v_add_f64 v[38:39], v[72:73], v[7:8]
	v_rcp_f64_e32 v[48:49], v[40:41]
	v_add_f64 v[74:75], v[46:47], -v[38:39]
	v_add_f64 v[72:73], v[38:39], -v[72:73]
	;; [unrolled: 1-line block ×3, first 2 shown]
	v_fma_f64 v[76:77], -v[40:41], v[48:49], 1.0
	v_add_f64 v[7:8], v[72:73], -v[7:8]
	v_frexp_exp_i32_f64_e32 v72, v[5:6]
	v_add_f64 v[38:39], v[46:47], -v[38:39]
	v_fma_f64 v[46:47], v[48:49], v[76:77], v[48:49]
	v_add_f64 v[7:8], v[7:8], v[38:39]
	v_div_scale_f64 v[38:39], vcc, v[36:37], v[34:35], v[36:37]
	v_fma_f64 v[48:49], -v[40:41], v[46:47], 1.0
	v_add_f64 v[7:8], v[74:75], v[7:8]
	v_fma_f64 v[46:47], v[46:47], v[48:49], v[46:47]
	v_mul_f64 v[7:8], v[42:43], v[7:8]
	v_mul_f64 v[42:43], v[38:39], v[46:47]
	v_add_f64 v[48:49], v[44:45], v[7:8]
	v_fma_f64 v[38:39], -v[40:41], v[42:43], v[38:39]
	v_mul_f64 v[40:41], v[48:49], v[48:49]
	v_add_f64 v[44:45], v[48:49], -v[44:45]
	v_div_fmas_f64 v[38:39], v[38:39], v[46:47], v[42:43]
	v_fma_f64 v[42:43], v[40:41], s[40:41], v[26:27]
	v_mul_f64 v[46:47], v[48:49], v[40:41]
	v_add_f64 v[7:8], v[7:8], -v[44:45]
	v_fma_f64 v[42:43], v[40:41], v[42:43], s[42:43]
	v_ldexp_f64 v[7:8], v[7:8], 1
	v_div_fixup_f64 v[34:35], v[38:39], v[34:35], v[36:37]
	v_fma_f64 v[36:37], v[40:41], v[42:43], s[44:45]
	v_mul_f64 v[38:39], v[34:35], v[34:35]
	v_fma_f64 v[36:37], v[40:41], v[36:37], s[46:47]
	v_fma_f64 v[42:43], v[38:39], s[92:93], v[32:33]
	s_mov_b32 s92, 0x69efb384
	s_mov_b32 s93, 0x3f4b2bb0
	v_fma_f64 v[36:37], v[40:41], v[36:37], s[48:49]
	v_fma_f64 v[42:43], v[38:39], v[42:43], s[92:93]
	s_mov_b32 s92, 0xaf56de9b
	s_mov_b32 s93, 0xbf67952d
	v_fma_f64 v[36:37], v[40:41], v[36:37], s[38:39]
	v_fma_f64 v[40:41], v[38:39], v[42:43], s[92:93]
	v_ldexp_f64 v[42:43], v[48:49], 1
	s_mov_b32 s92, 0xa595c56f
	s_mov_b32 s93, 0x3f7d6d43
	v_subbrev_co_u32_e64 v48, vcc, 0, v72, s[18:19]
	v_mul_f64 v[36:37], v[46:47], v[36:37]
	v_cvt_f64_i32_e32 v[48:49], v48
	v_fma_f64 v[40:41], v[38:39], v[40:41], s[92:93]
	s_mov_b32 s18, 0xa57d9582
	s_mov_b32 s19, 0xbf8c6ea4
	v_mul_f64 v[72:73], v[48:49], s[50:51]
	v_cmp_class_f64_e64 vcc, v[5:6], s56
	v_cmp_class_f64_e64 s[92:93], v[13:14], s56
	v_add_f64 v[46:47], v[42:43], v[36:37]
	v_fma_f64 v[40:41], v[38:39], v[40:41], s[18:19]
	s_mov_b32 s18, 0x5f08b19f
	s_mov_b32 s19, 0x3f967e29
	v_fma_f64 v[44:45], v[48:49], s[50:51], -v[72:73]
	v_add_f64 v[42:43], v[46:47], -v[42:43]
	v_fma_f64 v[40:41], v[38:39], v[40:41], s[18:19]
	s_mov_b32 s18, 0xfc27006a
	s_mov_b32 s19, 0xbf9e9ae6
	v_add_f64 v[36:37], v[36:37], -v[42:43]
	v_fma_f64 v[42:43], v[48:49], s[52:53], v[44:45]
	v_fma_f64 v[40:41], v[38:39], v[40:41], s[18:19]
	s_mov_b32 s18, 0x5711927a
	s_mov_b32 s19, 0x3fa2c15b
	v_add_f64 v[7:8], v[7:8], v[36:37]
	v_fma_f64 v[36:37], v[38:39], v[40:41], s[18:19]
	v_add_f64 v[40:41], v[72:73], v[42:43]
	s_mov_b32 s18, 0xe82d3ff0
	s_mov_b32 s19, 0xbfa59976
	v_add_f64 v[44:45], v[46:47], v[7:8]
	v_fma_f64 v[36:37], v[38:39], v[36:37], s[18:19]
	s_mov_b32 s18, 0x6ef28734
	s_mov_b32 s19, 0x3fa82d5d
	v_add_f64 v[72:73], v[40:41], -v[72:73]
	v_add_f64 v[48:49], v[40:41], v[44:45]
	v_add_f64 v[46:47], v[44:45], -v[46:47]
	v_fma_f64 v[36:37], v[38:39], v[36:37], s[18:19]
	s_mov_b32 s18, 0x6a214619
	s_mov_b32 s19, 0xbfaae5ce
	v_add_f64 v[42:43], v[42:43], -v[72:73]
	v_add_f64 v[74:75], v[48:49], -v[40:41]
	v_add_f64 v[7:8], v[7:8], -v[46:47]
	v_fma_f64 v[36:37], v[38:39], v[36:37], s[18:19]
	s_mov_b32 s18, 0x8427b883
	s_mov_b32 s19, 0x3fae1bb4
	v_add_f64 v[76:77], v[48:49], -v[74:75]
	v_add_f64 v[44:45], v[44:45], -v[74:75]
	v_fma_f64 v[36:37], v[38:39], v[36:37], s[18:19]
	v_add_f64 v[46:47], v[42:43], v[7:8]
	v_cmp_class_f64_e64 s[18:19], v[15:16], s56
	v_add_f64 v[40:41], v[40:41], -v[76:77]
	v_fma_f64 v[36:37], v[38:39], v[36:37], s[58:59]
	s_and_b64 s[18:19], s[18:19], s[92:93]
	s_and_b64 s[18:19], s[18:19], exec
	s_or_b64 s[88:89], s[88:89], s[18:19]
	v_add_f64 v[40:41], v[44:45], v[40:41]
	v_add_f64 v[44:45], v[46:47], -v[42:43]
	v_fma_f64 v[36:37], v[38:39], v[36:37], s[60:61]
	v_add_f64 v[40:41], v[46:47], v[40:41]
	v_add_f64 v[46:47], v[46:47], -v[44:45]
	v_fma_f64 v[36:37], v[38:39], v[36:37], s[62:63]
	v_add_f64 v[7:8], v[7:8], -v[44:45]
	v_add_f64 v[72:73], v[48:49], v[40:41]
	v_add_f64 v[42:43], v[42:43], -v[46:47]
	v_fma_f64 v[36:37], v[38:39], v[36:37], s[64:65]
	v_add_f64 v[44:45], v[72:73], -v[48:49]
	v_add_f64 v[7:8], v[7:8], v[42:43]
	v_fma_f64 v[36:37], v[38:39], v[36:37], s[66:67]
	v_add_f64 v[40:41], v[40:41], -v[44:45]
	v_fma_f64 v[36:37], v[38:39], v[36:37], s[68:69]
	v_add_f64 v[7:8], v[7:8], v[40:41]
	v_fma_f64 v[36:37], v[38:39], v[36:37], s[70:71]
	v_add_f64 v[7:8], v[72:73], v[7:8]
	v_mul_f64 v[36:37], v[38:39], v[36:37]
	v_cndmask_b32_e32 v8, v8, v6, vcc
	v_cndmask_b32_e32 v7, v7, v5, vcc
	v_add_f64 v[38:39], v[7:8], 1.0
	v_cmp_ngt_f64_e32 vcc, 0, v[5:6]
	v_fma_f64 v[7:8], v[34:35], v[36:37], v[34:35]
	v_cndmask_b32_e32 v13, v66, v39, vcc
	v_cmp_nge_f64_e32 vcc, 0, v[5:6]
	v_cndmask_b32_e32 v40, 0, v38, vcc
	v_cmp_neq_f64_e32 vcc, 0, v[5:6]
	v_cndmask_b32_e32 v41, v65, v13, vcc
.LBB48_98:                              ;   in Loop: Header=BB48_4 Depth=1
	s_or_b64 exec, exec, s[90:91]
	v_add_f64 v[5:6], -v[7:8], s[4:5]
	s_mov_b32 s72, s4
	v_ashrrev_i32_e32 v13, 31, v14
	v_cmp_gt_i32_e32 vcc, 0, v14
	v_and_b32_e32 v36, 0x54442d18, v13
	v_and_b32_e32 v13, 0x400921fb, v13
	v_cndmask_b32_e32 v14, v68, v69, vcc
	v_cndmask_b32_e64 v6, v8, v6, s[16:17]
	v_cndmask_b32_e64 v5, v7, v5, s[16:17]
	v_add_f64 v[34:35], -v[5:6], s[72:73]
	v_cmp_eq_f64_e64 s[16:17], 0, v[15:16]
	v_add_f64 v[7:8], v[40:41], s[50:51]
	v_cndmask_b32_e32 v15, v70, v71, vcc
	v_bfi_b32 v15, s55, v15, v16
	v_cndmask_b32_e32 v6, v6, v35, vcc
	v_cndmask_b32_e32 v5, v5, v34, vcc
	v_cndmask_b32_e64 v6, v6, v13, s[16:17]
	v_xor_b32_e32 v16, 0x80000000, v8
	v_cndmask_b32_e64 v5, v5, v36, s[16:17]
	v_cndmask_b32_e64 v6, v6, v15, s[88:89]
	;; [unrolled: 1-line block ×3, first 2 shown]
	v_and_b32_e32 v6, 0x7fffffff, v6
	v_cndmask_b32_e64 v8, v16, v8, s[14:15]
.LBB48_99:                              ;   in Loop: Header=BB48_4 Depth=1
	s_or_b64 exec, exec, s[86:87]
                                        ; implicit-def: $vgpr15_vgpr16
.LBB48_100:                             ;   in Loop: Header=BB48_4 Depth=1
	s_andn2_saveexec_b64 s[14:15], s[84:85]
	s_cbranch_execz .LBB48_114
; %bb.101:                              ;   in Loop: Header=BB48_4 Depth=1
	v_cmp_neq_f64_e64 s[16:17], |v[13:14]|, s[74:75]
                                        ; implicit-def: $vgpr7_vgpr8
	s_and_saveexec_b64 s[18:19], s[16:17]
	s_xor_b64 s[16:17], exec, s[18:19]
	s_cbranch_execz .LBB48_111
; %bb.102:                              ;   in Loop: Header=BB48_4 Depth=1
	v_cmp_neq_f64_e64 s[18:19], |v[15:16]|, s[74:75]
	s_waitcnt lgkmcnt(0)
	v_xor_b32_e32 v8, 0x80000000, v16
	v_mov_b32_e32 v7, v15
	s_and_saveexec_b64 s[84:85], s[18:19]
	s_xor_b64 s[18:19], exec, s[84:85]
	s_cbranch_execz .LBB48_108
; %bb.103:                              ;   in Loop: Header=BB48_4 Depth=1
	v_cmp_neq_f64_e32 vcc, 0, v[13:14]
                                        ; implicit-def: $vgpr7_vgpr8
	s_and_saveexec_b64 s[84:85], vcc
	s_xor_b64 s[84:85], exec, s[84:85]
	s_cbranch_execz .LBB48_105
; %bb.104:                              ;   in Loop: Header=BB48_4 Depth=1
	v_add_f64 v[5:6], v[15:16], 0
                                        ; implicit-def: $vgpr15_vgpr16
	v_add_f64 v[7:8], v[13:14], v[5:6]
.LBB48_105:                             ;   in Loop: Header=BB48_4 Depth=1
	s_or_saveexec_b64 s[84:85], s[84:85]
	v_mov_b32_e32 v5, v7
	v_mov_b32_e32 v6, v8
	s_xor_b64 exec, exec, s[84:85]
	s_cbranch_execz .LBB48_107
; %bb.106:                              ;   in Loop: Header=BB48_4 Depth=1
	v_mov_b32_e32 v5, s24
	v_mov_b32_e32 v6, s25
	flat_load_dwordx2 v[5:6], v[5:6] glc
	s_waitcnt vmcnt(0)
	v_add_f64 v[7:8], v[15:16], v[15:16]
	s_waitcnt lgkmcnt(0)
	v_add_f64 v[5:6], v[5:6], s[4:5]
.LBB48_107:                             ;   in Loop: Header=BB48_4 Depth=1
	s_or_b64 exec, exec, s[84:85]
                                        ; implicit-def: $vgpr13_vgpr14
.LBB48_108:                             ;   in Loop: Header=BB48_4 Depth=1
	s_andn2_saveexec_b64 s[18:19], s[18:19]
; %bb.109:                              ;   in Loop: Header=BB48_4 Depth=1
	v_add_f64 v[5:6], v[13:14], v[13:14]
; %bb.110:                              ;   in Loop: Header=BB48_4 Depth=1
	s_or_b64 exec, exec, s[18:19]
                                        ; implicit-def: $vgpr15_vgpr16
.LBB48_111:                             ;   in Loop: Header=BB48_4 Depth=1
	s_andn2_saveexec_b64 s[16:17], s[16:17]
	s_cbranch_execz .LBB48_113
; %bb.112:                              ;   in Loop: Header=BB48_4 Depth=1
	s_waitcnt lgkmcnt(0)
	v_add_f64 v[5:6], v[15:16], v[15:16]
	v_mov_b32_e32 v7, 0
	v_mov_b32_e32 v8, 0xfff00000
.LBB48_113:                             ;   in Loop: Header=BB48_4 Depth=1
	s_or_b64 exec, exec, s[16:17]
.LBB48_114:                             ;   in Loop: Header=BB48_4 Depth=1
	s_or_b64 exec, exec, s[14:15]
	v_cmp_o_f64_e32 vcc, v[17:18], v[19:20]
	v_mov_b32_e32 v13, s24
	v_mov_b32_e32 v14, s25
	flat_store_dwordx2 v[13:14], v[24:25]
	s_waitcnt vmcnt(0)
                                        ; implicit-def: $vgpr15_vgpr16
	s_and_saveexec_b64 s[14:15], vcc
	s_xor_b64 s[84:85], exec, s[14:15]
	s_cbranch_execz .LBB48_202
; %bb.115:                              ;   in Loop: Header=BB48_4 Depth=1
	v_max_f64 v[38:39], |v[17:18]|, |v[17:18]|
	v_max_f64 v[36:37], |v[19:20]|, |v[19:20]|
	v_cmp_gt_i64_e64 s[14:15], 0, v[19:20]
                                        ; implicit-def: $vgpr15_vgpr16
	v_max_f64 v[34:35], v[36:37], v[38:39]
	v_cmp_nlt_f64_e32 vcc, s[36:37], v[34:35]
	s_and_saveexec_b64 s[16:17], vcc
	s_xor_b64 s[86:87], exec, s[16:17]
	s_cbranch_execz .LBB48_191
; %bb.116:                              ;   in Loop: Header=BB48_4 Depth=1
	v_cmp_neq_f64_e32 vcc, 1.0, v[17:18]
	v_cmp_neq_f64_e64 s[16:17], 0, v[19:20]
	v_xor_b32_e32 v16, 0x80000000, v20
	v_mov_b32_e32 v15, v19
	s_or_b64 s[16:17], s[16:17], vcc
	s_and_saveexec_b64 s[18:19], s[16:17]
	s_xor_b64 s[88:89], exec, s[18:19]
	s_cbranch_execz .LBB48_188
; %bb.117:                              ;   in Loop: Header=BB48_4 Depth=1
	v_mov_b32_e32 v13, s30
	v_mov_b32_e32 v14, s31
	flat_store_dword v[13:14], v59
	s_waitcnt vmcnt(0)
	flat_load_dword v13, v[13:14] glc
	s_waitcnt vmcnt(0)
	v_cmp_nlt_f64_e64 s[16:17], |v[17:18]|, s[98:99]
	v_cmp_nlt_f64_e64 s[18:19], |v[19:20]|, s[98:99]
	s_or_b64 s[16:17], s[18:19], s[16:17]
	s_waitcnt lgkmcnt(0)
	v_add_f32_e32 v15, 1.0, v13
	v_mov_b32_e32 v13, s34
	v_mov_b32_e32 v14, s35
	flat_store_dword v[13:14], v15
	s_waitcnt vmcnt(0)
	flat_load_dword v13, v[13:14] glc
	s_waitcnt vmcnt(0)
	v_mov_b32_e32 v15, v19
	s_and_saveexec_b64 s[18:19], s[16:17]
	s_xor_b64 s[90:91], exec, s[18:19]
	s_cbranch_execz .LBB48_185
; %bb.118:                              ;   in Loop: Header=BB48_4 Depth=1
	s_waitcnt lgkmcnt(0)
	v_add_f64 v[13:14], |v[17:18]|, 1.0
	s_mov_b32 s16, 0
	s_mov_b32 s17, 0x40240000
	v_max_f64 v[15:16], v[36:37], v[13:14]
	v_frexp_exp_i32_f64_e32 v42, v[15:16]
	v_sub_u32_e32 v34, 0, v42
	v_ldexp_f64 v[15:16], |v[19:20]|, v34
	v_ldexp_f64 v[34:35], v[13:14], v34
	v_mul_f64 v[34:35], v[34:35], v[34:35]
	v_fma_f64 v[15:16], v[15:16], v[15:16], v[34:35]
	v_rsq_f64_e32 v[34:35], v[15:16]
	v_cmp_eq_f64_e32 vcc, 0, v[15:16]
	v_mul_f64 v[38:39], v[15:16], v[34:35]
	v_mul_f64 v[34:35], v[34:35], 0.5
	v_fma_f64 v[40:41], -v[34:35], v[38:39], 0.5
	v_fma_f64 v[38:39], v[38:39], v[40:41], v[38:39]
	v_fma_f64 v[34:35], v[34:35], v[40:41], v[34:35]
	v_fma_f64 v[40:41], -v[38:39], v[38:39], v[15:16]
	v_fma_f64 v[34:35], v[40:41], v[34:35], v[38:39]
	v_cndmask_b32_e32 v16, v35, v16, vcc
	v_cndmask_b32_e32 v15, v34, v15, vcc
	v_ldexp_f64 v[15:16], v[15:16], v42
	v_cmp_neq_f64_e32 vcc, s[74:75], v[13:14]
	v_add_f64 v[34:35], |v[17:18]|, -1.0
	v_cndmask_b32_e32 v39, v61, v16, vcc
	v_cndmask_b32_e32 v38, 0, v15, vcc
	v_max_f64 v[15:16], v[36:37], |v[34:35]|
	v_frexp_exp_i32_f64_e32 v44, v[15:16]
	v_sub_u32_e32 v36, 0, v44
	v_ldexp_f64 v[15:16], |v[19:20]|, v36
	v_ldexp_f64 v[36:37], |v[34:35]|, v36
	v_mul_f64 v[36:37], v[36:37], v[36:37]
	v_fma_f64 v[15:16], v[15:16], v[15:16], v[36:37]
	v_rsq_f64_e32 v[36:37], v[15:16]
	v_cmp_eq_f64_e32 vcc, 0, v[15:16]
	v_mul_f64 v[40:41], v[15:16], v[36:37]
	v_mul_f64 v[36:37], v[36:37], 0.5
	v_fma_f64 v[42:43], -v[36:37], v[40:41], 0.5
	v_fma_f64 v[40:41], v[40:41], v[42:43], v[40:41]
	v_fma_f64 v[36:37], v[36:37], v[42:43], v[36:37]
	v_fma_f64 v[42:43], -v[40:41], v[40:41], v[15:16]
	v_fma_f64 v[36:37], v[42:43], v[36:37], v[40:41]
	v_cndmask_b32_e32 v16, v37, v16, vcc
	v_cndmask_b32_e32 v15, v36, v15, vcc
	v_ldexp_f64 v[15:16], v[15:16], v44
	v_cmp_neq_f64_e64 vcc, |v[34:35]|, s[74:75]
	v_cndmask_b32_e32 v41, v61, v16, vcc
	v_cndmask_b32_e32 v40, 0, v15, vcc
	v_add_f64 v[15:16], v[38:39], v[40:41]
	v_mul_f64 v[15:16], v[15:16], 0.5
	v_cmp_ngt_f64_e32 vcc, 1.0, v[15:16]
	v_cndmask_b32_e32 v37, v62, v16, vcc
	v_cndmask_b32_e32 v36, 0, v15, vcc
	v_cmp_ngt_f64_e32 vcc, s[16:17], v[36:37]
                                        ; implicit-def: $vgpr15_vgpr16
	s_and_saveexec_b64 s[16:17], vcc
	s_xor_b64 s[16:17], exec, s[16:17]
	s_cbranch_execz .LBB48_120
; %bb.119:                              ;   in Loop: Header=BB48_4 Depth=1
	v_fma_f64 v[15:16], v[36:37], v[36:37], -1.0
	s_mov_b32 s18, 0
	s_brev_b32 s19, 8
	s_mov_b32 s39, s81
	v_cmp_gt_f64_e32 vcc, s[18:19], v[15:16]
	v_cndmask_b32_e32 v42, 0, v63, vcc
	v_ldexp_f64 v[15:16], v[15:16], v42
	v_rsq_f64_e32 v[42:43], v[15:16]
	v_mul_f64 v[44:45], v[15:16], v[42:43]
	v_mul_f64 v[42:43], v[42:43], 0.5
	v_fma_f64 v[46:47], -v[42:43], v[44:45], 0.5
	v_fma_f64 v[44:45], v[44:45], v[46:47], v[44:45]
	v_fma_f64 v[42:43], v[42:43], v[46:47], v[42:43]
	v_fma_f64 v[48:49], -v[44:45], v[44:45], v[15:16]
	v_fma_f64 v[44:45], v[48:49], v[42:43], v[44:45]
	v_fma_f64 v[46:47], -v[44:45], v[44:45], v[15:16]
	v_fma_f64 v[42:43], v[46:47], v[42:43], v[44:45]
	v_cndmask_b32_e32 v44, 0, v64, vcc
	v_cmp_class_f64_e32 vcc, v[15:16], v60
	v_ldexp_f64 v[42:43], v[42:43], v44
	v_cndmask_b32_e32 v16, v43, v16, vcc
	v_cndmask_b32_e32 v15, v42, v15, vcc
	v_add_f64 v[15:16], v[36:37], v[15:16]
	v_frexp_mant_f64_e32 v[42:43], v[15:16]
	v_frexp_exp_i32_f64_e32 v44, v[15:16]
	v_cmp_gt_f64_e32 vcc, s[80:81], v[42:43]
	v_cndmask_b32_e64 v45, 0, 1, vcc
	v_ldexp_f64 v[42:43], v[42:43], v45
	v_subbrev_co_u32_e32 v78, vcc, 0, v44, vcc
	v_cmp_class_f64_e64 vcc, v[15:16], s56
	v_add_f64 v[46:47], v[42:43], 1.0
	v_add_f64 v[44:45], v[42:43], -1.0
	v_add_f64 v[48:49], v[46:47], -1.0
	v_add_f64 v[42:43], v[42:43], -v[48:49]
	v_rcp_f64_e32 v[48:49], v[46:47]
	v_fma_f64 v[72:73], -v[46:47], v[48:49], 1.0
	v_fma_f64 v[48:49], v[72:73], v[48:49], v[48:49]
	v_fma_f64 v[72:73], -v[46:47], v[48:49], 1.0
	v_fma_f64 v[48:49], v[72:73], v[48:49], v[48:49]
	v_mul_f64 v[72:73], v[44:45], v[48:49]
	v_mul_f64 v[74:75], v[46:47], v[72:73]
	v_fma_f64 v[46:47], v[72:73], v[46:47], -v[74:75]
	v_fma_f64 v[42:43], v[72:73], v[42:43], v[46:47]
	v_add_f64 v[46:47], v[74:75], v[42:43]
	v_add_f64 v[76:77], v[44:45], -v[46:47]
	v_add_f64 v[74:75], v[46:47], -v[74:75]
	;; [unrolled: 1-line block ×5, first 2 shown]
	v_add_f64 v[42:43], v[42:43], v[44:45]
	v_add_f64 v[42:43], v[76:77], v[42:43]
	v_mul_f64 v[42:43], v[48:49], v[42:43]
	v_add_f64 v[44:45], v[72:73], v[42:43]
	v_add_f64 v[46:47], v[44:45], -v[72:73]
	v_ldexp_f64 v[72:73], v[44:45], 1
	v_add_f64 v[42:43], v[42:43], -v[46:47]
	v_mul_f64 v[46:47], v[44:45], v[44:45]
	v_ldexp_f64 v[42:43], v[42:43], 1
	v_fma_f64 v[48:49], v[46:47], s[40:41], v[26:27]
	v_mul_f64 v[44:45], v[44:45], v[46:47]
	v_fma_f64 v[48:49], v[46:47], v[48:49], s[42:43]
	v_fma_f64 v[48:49], v[46:47], v[48:49], s[44:45]
	;; [unrolled: 1-line block ×5, first 2 shown]
	v_mul_f64 v[44:45], v[44:45], v[48:49]
	v_add_f64 v[46:47], v[72:73], v[44:45]
	v_add_f64 v[48:49], v[46:47], -v[72:73]
	v_add_f64 v[44:45], v[44:45], -v[48:49]
	v_add_f64 v[42:43], v[42:43], v[44:45]
	v_add_f64 v[44:45], v[46:47], v[42:43]
	v_add_f64 v[46:47], v[44:45], -v[46:47]
	v_add_f64 v[42:43], v[42:43], -v[46:47]
	v_cvt_f64_i32_e32 v[46:47], v78
	v_mul_f64 v[48:49], v[46:47], s[50:51]
	v_fma_f64 v[72:73], v[46:47], s[50:51], -v[48:49]
	v_fma_f64 v[46:47], v[46:47], s[52:53], v[72:73]
	v_add_f64 v[72:73], v[48:49], v[46:47]
	v_add_f64 v[48:49], v[72:73], -v[48:49]
	v_add_f64 v[46:47], v[46:47], -v[48:49]
	v_add_f64 v[48:49], v[72:73], v[44:45]
	v_add_f64 v[74:75], v[48:49], -v[72:73]
	v_add_f64 v[76:77], v[48:49], -v[74:75]
	;; [unrolled: 1-line block ×4, first 2 shown]
	v_add_f64 v[44:45], v[44:45], v[72:73]
	v_add_f64 v[72:73], v[46:47], v[42:43]
	v_add_f64 v[74:75], v[72:73], -v[46:47]
	v_add_f64 v[44:45], v[72:73], v[44:45]
	v_add_f64 v[76:77], v[72:73], -v[74:75]
	v_add_f64 v[42:43], v[42:43], -v[74:75]
	;; [unrolled: 1-line block ×3, first 2 shown]
	v_add_f64 v[42:43], v[42:43], v[46:47]
	v_add_f64 v[46:47], v[48:49], v[44:45]
	v_add_f64 v[48:49], v[46:47], -v[48:49]
	v_add_f64 v[44:45], v[44:45], -v[48:49]
	v_add_f64 v[42:43], v[42:43], v[44:45]
	v_add_f64 v[42:43], v[46:47], v[42:43]
	v_cndmask_b32_e32 v42, v42, v15, vcc
	v_cndmask_b32_e32 v43, v43, v16, vcc
	v_cmp_neq_f64_e32 vcc, 0, v[15:16]
	v_cndmask_b32_e32 v16, v65, v43, vcc
	v_cndmask_b32_e32 v15, 0, v42, vcc
.LBB48_120:                             ;   in Loop: Header=BB48_4 Depth=1
	s_or_saveexec_b64 s[18:19], s[16:17]
	v_and_b32_e32 v43, 0x7fffffff, v20
	v_mov_b32_e32 v42, v19
	s_xor_b64 exec, exec, s[18:19]
	s_cbranch_execz .LBB48_142
; %bb.121:                              ;   in Loop: Header=BB48_4 Depth=1
	s_mov_b32 s92, 0
	s_mov_b32 s93, 0x39000000
	v_cmp_neq_f64_e64 s[16:17], |v[17:18]|, 1.0
	v_cmp_nlt_f64_e64 s[92:93], |v[19:20]|, s[92:93]
                                        ; implicit-def: $vgpr15_vgpr16
	s_or_b64 s[16:17], s[92:93], s[16:17]
	s_and_saveexec_b64 s[92:93], s[16:17]
	s_xor_b64 s[92:93], exec, s[92:93]
	s_cbranch_execz .LBB48_139
; %bb.122:                              ;   in Loop: Header=BB48_4 Depth=1
	v_ldexp_f64 v[15:16], |v[34:35]|, s57
	v_cmp_ge_f64_e64 s[16:17], |v[19:20]|, v[15:16]
                                        ; implicit-def: $vgpr15_vgpr16
	s_and_saveexec_b64 s[94:95], s[16:17]
	s_xor_b64 s[94:95], exec, s[94:95]
	s_cbranch_execz .LBB48_132
; %bb.123:                              ;   in Loop: Header=BB48_4 Depth=1
	v_cmp_neq_f64_e32 vcc, 0, v[13:14]
	v_mov_b32_e32 v15, v42
	v_mov_b32_e32 v16, v43
	s_and_saveexec_b64 s[16:17], vcc
	s_cbranch_execz .LBB48_125
; %bb.124:                              ;   in Loop: Header=BB48_4 Depth=1
	v_mul_f64 v[15:16], v[19:20], v[19:20]
	v_add_f64 v[44:45], v[13:14], v[38:39]
	v_div_scale_f64 v[46:47], s[96:97], v[44:45], v[44:45], v[15:16]
	v_div_scale_f64 v[74:75], vcc, v[15:16], v[44:45], v[15:16]
	v_rcp_f64_e32 v[48:49], v[46:47]
	v_fma_f64 v[72:73], -v[46:47], v[48:49], 1.0
	v_fma_f64 v[48:49], v[48:49], v[72:73], v[48:49]
	v_fma_f64 v[72:73], -v[46:47], v[48:49], 1.0
	v_fma_f64 v[48:49], v[48:49], v[72:73], v[48:49]
	v_mul_f64 v[72:73], v[74:75], v[48:49]
	v_fma_f64 v[46:47], -v[46:47], v[72:73], v[74:75]
	v_div_fmas_f64 v[46:47], v[46:47], v[48:49], v[72:73]
	v_div_fixup_f64 v[15:16], v[46:47], v[44:45], v[15:16]
.LBB48_125:                             ;   in Loop: Header=BB48_4 Depth=1
	s_or_b64 exec, exec, s[16:17]
	v_add_f64 v[46:47], -|v[17:18]|, 1.0
                                        ; implicit-def: $vgpr44_vgpr45
	v_cmp_ngt_f64_e32 vcc, 0, v[46:47]
	s_and_saveexec_b64 s[16:17], vcc
	s_xor_b64 s[16:17], exec, s[16:17]
	s_cbranch_execz .LBB48_129
; %bb.126:                              ;   in Loop: Header=BB48_4 Depth=1
	v_cmp_neq_f64_e32 vcc, 0, v[46:47]
	v_mov_b32_e32 v45, v43
	v_mov_b32_e32 v44, v42
	s_and_saveexec_b64 s[96:97], vcc
	s_cbranch_execz .LBB48_128
; %bb.127:                              ;   in Loop: Header=BB48_4 Depth=1
	v_mul_f64 v[44:45], v[19:20], v[19:20]
	v_add_f64 v[46:47], v[46:47], v[40:41]
	v_div_scale_f64 v[48:49], s[98:99], v[46:47], v[46:47], v[44:45]
	v_div_scale_f64 v[76:77], vcc, v[44:45], v[46:47], v[44:45]
	v_rcp_f64_e32 v[72:73], v[48:49]
	v_fma_f64 v[74:75], -v[48:49], v[72:73], 1.0
	v_fma_f64 v[72:73], v[72:73], v[74:75], v[72:73]
	v_fma_f64 v[74:75], -v[48:49], v[72:73], 1.0
	v_fma_f64 v[72:73], v[72:73], v[74:75], v[72:73]
	v_mul_f64 v[74:75], v[76:77], v[72:73]
	v_fma_f64 v[48:49], -v[48:49], v[74:75], v[76:77]
	v_div_fmas_f64 v[48:49], v[48:49], v[72:73], v[74:75]
	v_div_fixup_f64 v[44:45], v[48:49], v[46:47], v[44:45]
.LBB48_128:                             ;   in Loop: Header=BB48_4 Depth=1
	s_or_b64 exec, exec, s[96:97]
	s_mov_b32 s98, 0x1409212f
	s_mov_b32 s99, 0x3e43988e
                                        ; implicit-def: $vgpr46_vgpr47
.LBB48_129:                             ;   in Loop: Header=BB48_4 Depth=1
	s_andn2_saveexec_b64 s[16:17], s[16:17]
; %bb.130:                              ;   in Loop: Header=BB48_4 Depth=1
	v_add_f64 v[44:45], v[40:41], -v[46:47]
; %bb.131:                              ;   in Loop: Header=BB48_4 Depth=1
	s_or_b64 exec, exec, s[16:17]
	v_mul_f64 v[44:45], v[44:45], 0.5
	s_mov_b32 s16, 0
	s_brev_b32 s17, 8
	s_mov_b32 s39, s81
	v_fma_f64 v[15:16], v[15:16], 0.5, v[44:45]
	v_add_f64 v[44:45], v[36:37], 1.0
	v_mul_f64 v[44:45], v[44:45], v[15:16]
	v_cmp_gt_f64_e32 vcc, s[16:17], v[44:45]
	v_cndmask_b32_e32 v46, 0, v63, vcc
	v_ldexp_f64 v[44:45], v[44:45], v46
	v_rsq_f64_e32 v[46:47], v[44:45]
	v_mul_f64 v[48:49], v[44:45], v[46:47]
	v_mul_f64 v[46:47], v[46:47], 0.5
	v_fma_f64 v[72:73], -v[46:47], v[48:49], 0.5
	v_fma_f64 v[48:49], v[48:49], v[72:73], v[48:49]
	v_fma_f64 v[46:47], v[46:47], v[72:73], v[46:47]
	v_fma_f64 v[74:75], -v[48:49], v[48:49], v[44:45]
	v_fma_f64 v[48:49], v[74:75], v[46:47], v[48:49]
	v_fma_f64 v[72:73], -v[48:49], v[48:49], v[44:45]
	v_fma_f64 v[46:47], v[72:73], v[46:47], v[48:49]
	v_cndmask_b32_e32 v48, 0, v64, vcc
	v_cmp_class_f64_e32 vcc, v[44:45], v60
	v_ldexp_f64 v[46:47], v[46:47], v48
	v_cndmask_b32_e32 v45, v47, v45, vcc
	v_cndmask_b32_e32 v44, v46, v44, vcc
	v_add_f64 v[44:45], v[15:16], v[44:45]
	v_add_f64 v[15:16], v[44:45], 1.0
	v_cmp_ngt_f64_e64 s[16:17], -1.0, v[44:45]
	v_add_f64 v[46:47], v[15:16], -1.0
	v_frexp_exp_i32_f64_e32 v72, v[15:16]
	v_add_f64 v[48:49], v[46:47], -v[15:16]
	v_add_f64 v[46:47], v[44:45], -v[46:47]
	v_add_f64 v[48:49], v[48:49], 1.0
	v_add_f64 v[46:47], v[46:47], v[48:49]
	v_frexp_mant_f64_e32 v[48:49], v[15:16]
	v_cmp_gt_f64_e32 vcc, s[80:81], v[48:49]
	v_subbrev_co_u32_e32 v86, vcc, 0, v72, vcc
	v_sub_u32_e32 v48, 0, v86
	v_ldexp_f64 v[15:16], v[15:16], v48
	v_ldexp_f64 v[46:47], v[46:47], v48
	v_cmp_neq_f64_e32 vcc, s[74:75], v[44:45]
	v_add_f64 v[48:49], v[15:16], -1.0
	v_add_f64 v[72:73], v[48:49], 1.0
	v_add_f64 v[72:73], v[15:16], -v[72:73]
	v_add_f64 v[72:73], v[46:47], v[72:73]
	v_add_f64 v[74:75], v[48:49], v[72:73]
	v_add_f64 v[48:49], v[74:75], -v[48:49]
	v_add_f64 v[48:49], v[72:73], -v[48:49]
	v_add_f64 v[72:73], v[15:16], 1.0
	v_add_f64 v[76:77], v[72:73], -1.0
	v_add_f64 v[15:16], v[15:16], -v[76:77]
	v_add_f64 v[15:16], v[46:47], v[15:16]
	v_add_f64 v[46:47], v[72:73], v[15:16]
	v_add_f64 v[72:73], v[46:47], -v[72:73]
	v_add_f64 v[15:16], v[15:16], -v[72:73]
	v_rcp_f64_e32 v[72:73], v[46:47]
	v_fma_f64 v[76:77], -v[46:47], v[72:73], 1.0
	v_fma_f64 v[72:73], v[76:77], v[72:73], v[72:73]
	v_fma_f64 v[76:77], -v[46:47], v[72:73], 1.0
	v_fma_f64 v[72:73], v[76:77], v[72:73], v[72:73]
	v_mul_f64 v[76:77], v[74:75], v[72:73]
	v_mul_f64 v[78:79], v[46:47], v[76:77]
	v_fma_f64 v[80:81], v[76:77], v[46:47], -v[78:79]
	v_fma_f64 v[80:81], v[76:77], v[15:16], v[80:81]
	v_add_f64 v[82:83], v[78:79], v[80:81]
	v_add_f64 v[84:85], v[74:75], -v[82:83]
	v_add_f64 v[78:79], v[82:83], -v[78:79]
	;; [unrolled: 1-line block ×4, first 2 shown]
	v_add_f64 v[48:49], v[48:49], v[74:75]
	v_add_f64 v[74:75], v[78:79], -v[80:81]
	v_add_f64 v[48:49], v[74:75], v[48:49]
	v_add_f64 v[74:75], v[84:85], v[48:49]
	v_add_f64 v[78:79], v[84:85], -v[74:75]
	v_add_f64 v[48:49], v[48:49], v[78:79]
	v_mul_f64 v[78:79], v[72:73], v[74:75]
	v_mul_f64 v[80:81], v[46:47], v[78:79]
	v_fma_f64 v[46:47], v[78:79], v[46:47], -v[80:81]
	v_fma_f64 v[15:16], v[78:79], v[15:16], v[46:47]
	v_add_f64 v[46:47], v[80:81], v[15:16]
	v_add_f64 v[82:83], v[74:75], -v[46:47]
	v_add_f64 v[80:81], v[46:47], -v[80:81]
	;; [unrolled: 1-line block ×5, first 2 shown]
	v_cvt_f64_i32_e32 v[74:75], v86
	v_add_f64 v[46:47], v[48:49], v[46:47]
	v_add_f64 v[15:16], v[15:16], v[46:47]
	;; [unrolled: 1-line block ×4, first 2 shown]
	v_add_f64 v[48:49], v[46:47], -v[76:77]
	v_mul_f64 v[76:77], v[74:75], s[50:51]
	v_mul_f64 v[15:16], v[72:73], v[15:16]
	v_add_f64 v[48:49], v[78:79], -v[48:49]
	v_fma_f64 v[78:79], v[74:75], s[50:51], -v[76:77]
	v_add_f64 v[15:16], v[48:49], v[15:16]
	v_fma_f64 v[74:75], v[74:75], s[52:53], v[78:79]
	v_add_f64 v[48:49], v[46:47], v[15:16]
	v_add_f64 v[78:79], v[76:77], v[74:75]
	v_add_f64 v[46:47], v[48:49], -v[46:47]
	v_add_f64 v[76:77], v[78:79], -v[76:77]
	;; [unrolled: 1-line block ×3, first 2 shown]
	v_mul_f64 v[46:47], v[48:49], v[48:49]
	v_add_f64 v[74:75], v[74:75], -v[76:77]
	v_ldexp_f64 v[76:77], v[48:49], 1
	v_ldexp_f64 v[15:16], v[15:16], 1
	v_fma_f64 v[72:73], v[46:47], s[40:41], v[26:27]
	v_fma_f64 v[72:73], v[46:47], v[72:73], s[42:43]
	;; [unrolled: 1-line block ×6, first 2 shown]
	v_mul_f64 v[46:47], v[48:49], v[46:47]
	v_mul_f64 v[46:47], v[46:47], v[72:73]
	v_add_f64 v[48:49], v[76:77], v[46:47]
	v_add_f64 v[72:73], v[48:49], -v[76:77]
	v_add_f64 v[46:47], v[46:47], -v[72:73]
	v_add_f64 v[15:16], v[15:16], v[46:47]
	v_add_f64 v[46:47], v[48:49], v[15:16]
	v_add_f64 v[48:49], v[46:47], -v[48:49]
	v_add_f64 v[15:16], v[15:16], -v[48:49]
	v_add_f64 v[48:49], v[78:79], v[46:47]
	v_add_f64 v[72:73], v[48:49], -v[78:79]
	v_add_f64 v[76:77], v[48:49], -v[72:73]
	;; [unrolled: 1-line block ×3, first 2 shown]
	v_add_f64 v[72:73], v[74:75], v[15:16]
	v_add_f64 v[76:77], v[78:79], -v[76:77]
	v_add_f64 v[46:47], v[46:47], v[76:77]
	v_add_f64 v[76:77], v[72:73], -v[74:75]
	;; [unrolled: 2-line block ×3, first 2 shown]
	v_add_f64 v[15:16], v[15:16], -v[76:77]
	v_add_f64 v[72:73], v[48:49], v[46:47]
	v_add_f64 v[74:75], v[74:75], -v[78:79]
	v_add_f64 v[48:49], v[72:73], -v[48:49]
	v_add_f64 v[15:16], v[15:16], v[74:75]
	v_add_f64 v[46:47], v[46:47], -v[48:49]
	v_add_f64 v[15:16], v[15:16], v[46:47]
	v_add_f64 v[15:16], v[72:73], v[15:16]
	v_cndmask_b32_e32 v16, v61, v16, vcc
	v_cndmask_b32_e64 v16, v66, v16, s[16:17]
	v_cmp_nge_f64_e64 s[16:17], -1.0, v[44:45]
	s_and_b64 vcc, s[16:17], vcc
	v_cndmask_b32_e32 v15, 0, v15, vcc
	v_cmp_neq_f64_e32 vcc, -1.0, v[44:45]
	v_cndmask_b32_e32 v16, v65, v16, vcc
.LBB48_132:                             ;   in Loop: Header=BB48_4 Depth=1
	s_andn2_saveexec_b64 s[94:95], s[94:95]
	s_cbranch_execz .LBB48_138
; %bb.133:                              ;   in Loop: Header=BB48_4 Depth=1
	v_cmp_nlt_f64_e64 s[16:17], |v[17:18]|, 1.0
                                        ; implicit-def: $vgpr15_vgpr16
	s_and_saveexec_b64 s[96:97], s[16:17]
	s_xor_b64 s[96:97], exec, s[96:97]
	s_cbranch_execz .LBB48_135
; %bb.134:                              ;   in Loop: Header=BB48_4 Depth=1
	v_mul_f64 v[15:16], v[34:35], v[13:14]
	s_mov_b32 s16, 0
	s_brev_b32 s17, 8
	s_mov_b32 s39, s81
	v_cmp_gt_f64_e32 vcc, s[16:17], v[15:16]
	v_cndmask_b32_e32 v44, 0, v63, vcc
	v_ldexp_f64 v[15:16], v[15:16], v44
	v_rsq_f64_e32 v[44:45], v[15:16]
	v_mul_f64 v[46:47], v[15:16], v[44:45]
	v_mul_f64 v[44:45], v[44:45], 0.5
	v_fma_f64 v[48:49], -v[44:45], v[46:47], 0.5
	v_fma_f64 v[46:47], v[46:47], v[48:49], v[46:47]
	v_fma_f64 v[44:45], v[44:45], v[48:49], v[44:45]
	v_fma_f64 v[72:73], -v[46:47], v[46:47], v[15:16]
	v_fma_f64 v[46:47], v[72:73], v[44:45], v[46:47]
	v_fma_f64 v[48:49], -v[46:47], v[46:47], v[15:16]
	v_fma_f64 v[44:45], v[48:49], v[44:45], v[46:47]
	v_cndmask_b32_e32 v46, 0, v64, vcc
	v_cmp_class_f64_e32 vcc, v[15:16], v60
	v_ldexp_f64 v[44:45], v[44:45], v46
	v_cndmask_b32_e32 v16, v45, v16, vcc
	v_cndmask_b32_e32 v15, v44, v15, vcc
	v_add_f64 v[44:45], v[34:35], v[15:16]
	v_add_f64 v[15:16], v[44:45], 1.0
	v_cmp_ngt_f64_e64 s[16:17], -1.0, v[44:45]
	v_add_f64 v[46:47], v[15:16], -1.0
	v_frexp_exp_i32_f64_e32 v72, v[15:16]
	v_add_f64 v[48:49], v[46:47], -v[15:16]
	v_add_f64 v[46:47], v[44:45], -v[46:47]
	v_add_f64 v[48:49], v[48:49], 1.0
	v_add_f64 v[46:47], v[46:47], v[48:49]
	v_frexp_mant_f64_e32 v[48:49], v[15:16]
	v_cmp_gt_f64_e32 vcc, s[80:81], v[48:49]
	v_subbrev_co_u32_e32 v86, vcc, 0, v72, vcc
	v_sub_u32_e32 v48, 0, v86
	v_ldexp_f64 v[15:16], v[15:16], v48
	v_ldexp_f64 v[46:47], v[46:47], v48
	v_cmp_neq_f64_e32 vcc, s[74:75], v[44:45]
	v_add_f64 v[48:49], v[15:16], -1.0
	v_add_f64 v[72:73], v[48:49], 1.0
	v_add_f64 v[72:73], v[15:16], -v[72:73]
	v_add_f64 v[72:73], v[46:47], v[72:73]
	v_add_f64 v[74:75], v[48:49], v[72:73]
	v_add_f64 v[48:49], v[74:75], -v[48:49]
	v_add_f64 v[48:49], v[72:73], -v[48:49]
	v_add_f64 v[72:73], v[15:16], 1.0
	v_add_f64 v[76:77], v[72:73], -1.0
	v_add_f64 v[15:16], v[15:16], -v[76:77]
	v_add_f64 v[15:16], v[46:47], v[15:16]
	v_add_f64 v[46:47], v[72:73], v[15:16]
	v_add_f64 v[72:73], v[46:47], -v[72:73]
	v_add_f64 v[15:16], v[15:16], -v[72:73]
	v_rcp_f64_e32 v[72:73], v[46:47]
	v_fma_f64 v[76:77], -v[46:47], v[72:73], 1.0
	v_fma_f64 v[72:73], v[76:77], v[72:73], v[72:73]
	v_fma_f64 v[76:77], -v[46:47], v[72:73], 1.0
	v_fma_f64 v[72:73], v[76:77], v[72:73], v[72:73]
	v_mul_f64 v[76:77], v[74:75], v[72:73]
	v_mul_f64 v[78:79], v[46:47], v[76:77]
	v_fma_f64 v[80:81], v[76:77], v[46:47], -v[78:79]
	v_fma_f64 v[80:81], v[76:77], v[15:16], v[80:81]
	v_add_f64 v[82:83], v[78:79], v[80:81]
	v_add_f64 v[84:85], v[74:75], -v[82:83]
	v_add_f64 v[78:79], v[82:83], -v[78:79]
	;; [unrolled: 1-line block ×4, first 2 shown]
	v_add_f64 v[48:49], v[48:49], v[74:75]
	v_add_f64 v[74:75], v[78:79], -v[80:81]
	v_add_f64 v[48:49], v[74:75], v[48:49]
	v_add_f64 v[74:75], v[84:85], v[48:49]
	v_add_f64 v[78:79], v[84:85], -v[74:75]
	v_add_f64 v[48:49], v[48:49], v[78:79]
	v_mul_f64 v[78:79], v[72:73], v[74:75]
	v_mul_f64 v[80:81], v[46:47], v[78:79]
	v_fma_f64 v[46:47], v[78:79], v[46:47], -v[80:81]
	v_fma_f64 v[15:16], v[78:79], v[15:16], v[46:47]
	v_add_f64 v[46:47], v[80:81], v[15:16]
	v_add_f64 v[82:83], v[74:75], -v[46:47]
	v_add_f64 v[80:81], v[46:47], -v[80:81]
	;; [unrolled: 1-line block ×5, first 2 shown]
	v_cvt_f64_i32_e32 v[74:75], v86
	v_add_f64 v[46:47], v[48:49], v[46:47]
	v_add_f64 v[15:16], v[15:16], v[46:47]
	;; [unrolled: 1-line block ×4, first 2 shown]
	v_add_f64 v[48:49], v[46:47], -v[76:77]
	v_mul_f64 v[76:77], v[74:75], s[50:51]
	v_mul_f64 v[15:16], v[72:73], v[15:16]
	v_add_f64 v[48:49], v[78:79], -v[48:49]
	v_fma_f64 v[78:79], v[74:75], s[50:51], -v[76:77]
	v_add_f64 v[15:16], v[48:49], v[15:16]
	v_fma_f64 v[74:75], v[74:75], s[52:53], v[78:79]
	v_add_f64 v[48:49], v[46:47], v[15:16]
	v_add_f64 v[78:79], v[76:77], v[74:75]
	v_add_f64 v[46:47], v[48:49], -v[46:47]
	v_add_f64 v[76:77], v[78:79], -v[76:77]
	;; [unrolled: 1-line block ×3, first 2 shown]
	v_mul_f64 v[46:47], v[48:49], v[48:49]
	v_add_f64 v[74:75], v[74:75], -v[76:77]
	v_ldexp_f64 v[76:77], v[48:49], 1
	v_ldexp_f64 v[15:16], v[15:16], 1
	v_fma_f64 v[72:73], v[46:47], s[40:41], v[26:27]
	v_fma_f64 v[72:73], v[46:47], v[72:73], s[42:43]
	;; [unrolled: 1-line block ×6, first 2 shown]
	v_mul_f64 v[46:47], v[48:49], v[46:47]
	v_mul_f64 v[46:47], v[46:47], v[72:73]
	v_add_f64 v[48:49], v[76:77], v[46:47]
	v_add_f64 v[72:73], v[48:49], -v[76:77]
	v_add_f64 v[46:47], v[46:47], -v[72:73]
	v_add_f64 v[15:16], v[15:16], v[46:47]
	v_add_f64 v[46:47], v[48:49], v[15:16]
	v_add_f64 v[48:49], v[46:47], -v[48:49]
	v_add_f64 v[15:16], v[15:16], -v[48:49]
	v_add_f64 v[48:49], v[78:79], v[46:47]
	v_add_f64 v[72:73], v[48:49], -v[78:79]
	v_add_f64 v[76:77], v[48:49], -v[72:73]
	;; [unrolled: 1-line block ×3, first 2 shown]
	v_add_f64 v[72:73], v[74:75], v[15:16]
	v_add_f64 v[76:77], v[78:79], -v[76:77]
	v_add_f64 v[46:47], v[46:47], v[76:77]
	v_add_f64 v[76:77], v[72:73], -v[74:75]
	;; [unrolled: 2-line block ×3, first 2 shown]
	v_add_f64 v[15:16], v[15:16], -v[76:77]
	v_add_f64 v[72:73], v[48:49], v[46:47]
	v_add_f64 v[74:75], v[74:75], -v[78:79]
	v_add_f64 v[48:49], v[72:73], -v[48:49]
	v_add_f64 v[15:16], v[15:16], v[74:75]
	v_add_f64 v[46:47], v[46:47], -v[48:49]
	v_add_f64 v[15:16], v[15:16], v[46:47]
	v_add_f64 v[15:16], v[72:73], v[15:16]
	v_cndmask_b32_e32 v16, v61, v16, vcc
	v_cndmask_b32_e64 v16, v66, v16, s[16:17]
	v_cmp_nge_f64_e64 s[16:17], -1.0, v[44:45]
	s_and_b64 vcc, s[16:17], vcc
	v_cndmask_b32_e32 v15, 0, v15, vcc
	v_cmp_neq_f64_e32 vcc, -1.0, v[44:45]
	v_cndmask_b32_e32 v16, v65, v16, vcc
.LBB48_135:                             ;   in Loop: Header=BB48_4 Depth=1
	s_andn2_saveexec_b64 s[16:17], s[96:97]
	s_cbranch_execz .LBB48_137
; %bb.136:                              ;   in Loop: Header=BB48_4 Depth=1
	v_add_f64 v[15:16], -|v[17:18]|, 1.0
	s_mov_b32 s96, 0
	s_brev_b32 s97, 8
	v_mul_f64 v[15:16], v[15:16], v[13:14]
	v_cmp_gt_f64_e32 vcc, s[96:97], v[15:16]
	v_cndmask_b32_e32 v44, 0, v63, vcc
	v_ldexp_f64 v[15:16], v[15:16], v44
	v_rsq_f64_e32 v[44:45], v[15:16]
	v_mul_f64 v[46:47], v[15:16], v[44:45]
	v_mul_f64 v[44:45], v[44:45], 0.5
	v_fma_f64 v[48:49], -v[44:45], v[46:47], 0.5
	v_fma_f64 v[46:47], v[46:47], v[48:49], v[46:47]
	v_fma_f64 v[44:45], v[44:45], v[48:49], v[44:45]
	v_fma_f64 v[48:49], -v[46:47], v[46:47], v[15:16]
	v_fma_f64 v[46:47], v[48:49], v[44:45], v[46:47]
	v_fma_f64 v[48:49], -v[46:47], v[46:47], v[15:16]
	v_fma_f64 v[44:45], v[48:49], v[44:45], v[46:47]
	v_cndmask_b32_e32 v46, 0, v64, vcc
	v_cmp_class_f64_e32 vcc, v[15:16], v60
	v_mov_b32_e32 v47, v43
	v_ldexp_f64 v[44:45], v[44:45], v46
	v_mov_b32_e32 v46, v19
	v_cndmask_b32_e32 v16, v45, v16, vcc
	v_cndmask_b32_e32 v15, v44, v15, vcc
	v_div_scale_f64 v[44:45], s[96:97], v[15:16], v[15:16], v[46:47]
	v_div_scale_f64 v[46:47], vcc, v[46:47], v[15:16], v[46:47]
	v_rcp_f64_e32 v[48:49], v[44:45]
	v_fma_f64 v[72:73], -v[44:45], v[48:49], 1.0
	v_fma_f64 v[48:49], v[48:49], v[72:73], v[48:49]
	v_fma_f64 v[72:73], -v[44:45], v[48:49], 1.0
	v_fma_f64 v[48:49], v[48:49], v[72:73], v[48:49]
	v_mul_f64 v[72:73], v[46:47], v[48:49]
	v_fma_f64 v[44:45], -v[44:45], v[72:73], v[46:47]
	v_div_fmas_f64 v[44:45], v[44:45], v[48:49], v[72:73]
	v_div_fixup_f64 v[15:16], v[44:45], v[15:16], |v[19:20]|
.LBB48_137:                             ;   in Loop: Header=BB48_4 Depth=1
	s_or_b64 exec, exec, s[16:17]
.LBB48_138:                             ;   in Loop: Header=BB48_4 Depth=1
	s_or_b64 exec, exec, s[94:95]
.LBB48_139:                             ;   in Loop: Header=BB48_4 Depth=1
	s_andn2_saveexec_b64 s[16:17], s[92:93]
	s_cbranch_execz .LBB48_141
; %bb.140:                              ;   in Loop: Header=BB48_4 Depth=1
	s_mov_b32 s92, 0
	s_brev_b32 s93, 8
	v_cmp_lt_f64_e64 vcc, |v[19:20]|, s[92:93]
	v_cndmask_b32_e32 v15, 0, v63, vcc
	v_ldexp_f64 v[15:16], |v[19:20]|, v15
	v_rsq_f64_e32 v[44:45], v[15:16]
	v_mul_f64 v[46:47], v[15:16], v[44:45]
	v_mul_f64 v[44:45], v[44:45], 0.5
	v_fma_f64 v[48:49], -v[44:45], v[46:47], 0.5
	v_fma_f64 v[46:47], v[46:47], v[48:49], v[46:47]
	v_fma_f64 v[44:45], v[44:45], v[48:49], v[44:45]
	v_fma_f64 v[48:49], -v[46:47], v[46:47], v[15:16]
	v_fma_f64 v[46:47], v[48:49], v[44:45], v[46:47]
	v_fma_f64 v[48:49], -v[46:47], v[46:47], v[15:16]
	v_fma_f64 v[44:45], v[48:49], v[44:45], v[46:47]
	v_cndmask_b32_e32 v46, 0, v64, vcc
	v_cmp_class_f64_e32 vcc, v[15:16], v60
	v_ldexp_f64 v[44:45], v[44:45], v46
	v_cndmask_b32_e32 v16, v45, v16, vcc
	v_cndmask_b32_e32 v15, v44, v15, vcc
.LBB48_141:                             ;   in Loop: Header=BB48_4 Depth=1
	s_or_b64 exec, exec, s[16:17]
.LBB48_142:                             ;   in Loop: Header=BB48_4 Depth=1
	s_or_b64 exec, exec, s[18:19]
	s_mov_b32 s16, 0
	s_mov_b32 s17, 0x20200000
	v_cmp_nlt_f64_e64 s[16:17], |v[17:18]|, s[16:17]
                                        ; implicit-def: $sgpr92_sgpr93
                                        ; implicit-def: $vgpr44_vgpr45
                                        ; implicit-def: $vgpr48_vgpr49
                                        ; implicit-def: $vgpr46_vgpr47
	s_and_saveexec_b64 s[18:19], s[16:17]
	s_xor_b64 s[16:17], exec, s[18:19]
	s_cbranch_execz .LBB48_166
; %bb.143:                              ;   in Loop: Header=BB48_4 Depth=1
	v_and_b32_e32 v47, 0x7fffffff, v18
	v_mov_b32_e32 v46, v17
	v_div_scale_f64 v[44:45], s[18:19], v[36:37], v[36:37], v[46:47]
	v_div_scale_f64 v[74:75], vcc, v[46:47], v[36:37], v[46:47]
	s_mov_b32 s18, 0x703afb7f
	s_mov_b32 s19, 0x3fe488ce
	s_mov_b64 s[92:93], 0
	v_rcp_f64_e32 v[48:49], v[44:45]
	v_fma_f64 v[72:73], -v[44:45], v[48:49], 1.0
	v_fma_f64 v[48:49], v[48:49], v[72:73], v[48:49]
	v_fma_f64 v[72:73], -v[44:45], v[48:49], 1.0
	v_fma_f64 v[48:49], v[48:49], v[72:73], v[48:49]
	v_mul_f64 v[72:73], v[74:75], v[48:49]
	v_fma_f64 v[44:45], -v[44:45], v[72:73], v[74:75]
	v_div_fmas_f64 v[44:45], v[44:45], v[48:49], v[72:73]
                                        ; implicit-def: $vgpr48_vgpr49
	v_div_fixup_f64 v[44:45], v[44:45], v[36:37], |v[17:18]|
	v_cmp_lt_f64_e32 vcc, s[18:19], v[44:45]
	s_and_saveexec_b64 s[18:19], vcc
	s_cbranch_execz .LBB48_165
; %bb.144:                              ;   in Loop: Header=BB48_4 Depth=1
	s_mov_b32 s94, 0
	s_mov_b32 s95, 0x3c400000
	v_cmp_neq_f64_e64 s[92:93], |v[17:18]|, 1.0
	v_cmp_nlt_f64_e64 s[94:95], |v[19:20]|, s[94:95]
                                        ; implicit-def: $vgpr48_vgpr49
	s_or_b64 s[92:93], s[94:95], s[92:93]
	s_and_saveexec_b64 s[94:95], s[92:93]
	s_xor_b64 s[92:93], exec, s[94:95]
	s_cbranch_execz .LBB48_162
; %bb.145:                              ;   in Loop: Header=BB48_4 Depth=1
	v_ldexp_f64 v[48:49], |v[34:35]|, s57
	v_cmp_ge_f64_e64 s[94:95], |v[19:20]|, v[48:49]
                                        ; implicit-def: $vgpr48_vgpr49
	s_and_saveexec_b64 s[96:97], s[94:95]
	s_xor_b64 s[94:95], exec, s[96:97]
	s_cbranch_execz .LBB48_155
; %bb.146:                              ;   in Loop: Header=BB48_4 Depth=1
	v_cmp_neq_f64_e32 vcc, 0, v[13:14]
	v_mov_b32_e32 v49, v43
	v_mov_b32_e32 v48, v42
	s_and_saveexec_b64 s[96:97], vcc
	s_cbranch_execz .LBB48_148
; %bb.147:                              ;   in Loop: Header=BB48_4 Depth=1
	v_mul_f64 v[48:49], v[19:20], v[19:20]
	v_add_f64 v[13:14], v[13:14], v[38:39]
	v_div_scale_f64 v[38:39], s[98:99], v[13:14], v[13:14], v[48:49]
	v_div_scale_f64 v[76:77], vcc, v[48:49], v[13:14], v[48:49]
	v_rcp_f64_e32 v[72:73], v[38:39]
	v_fma_f64 v[74:75], -v[38:39], v[72:73], 1.0
	v_fma_f64 v[72:73], v[72:73], v[74:75], v[72:73]
	v_fma_f64 v[74:75], -v[38:39], v[72:73], 1.0
	v_fma_f64 v[72:73], v[72:73], v[74:75], v[72:73]
	v_mul_f64 v[74:75], v[76:77], v[72:73]
	v_fma_f64 v[38:39], -v[38:39], v[74:75], v[76:77]
	v_div_fmas_f64 v[38:39], v[38:39], v[72:73], v[74:75]
	v_div_fixup_f64 v[48:49], v[38:39], v[13:14], v[48:49]
.LBB48_148:                             ;   in Loop: Header=BB48_4 Depth=1
	s_or_b64 exec, exec, s[96:97]
	v_cmp_ngt_f64_e32 vcc, 0, v[34:35]
	s_and_saveexec_b64 s[96:97], vcc
	s_xor_b64 s[96:97], exec, s[96:97]
	s_cbranch_execz .LBB48_152
; %bb.149:                              ;   in Loop: Header=BB48_4 Depth=1
	v_cmp_neq_f64_e32 vcc, 0, v[34:35]
	s_and_saveexec_b64 s[98:99], vcc
	s_cbranch_execz .LBB48_151
; %bb.150:                              ;   in Loop: Header=BB48_4 Depth=1
	v_mul_f64 v[13:14], v[19:20], v[19:20]
	v_add_f64 v[19:20], v[34:35], v[40:41]
	v_div_scale_f64 v[34:35], vcc, v[19:20], v[19:20], v[13:14]
	v_div_scale_f64 v[42:43], vcc, v[13:14], v[19:20], v[13:14]
	v_rcp_f64_e32 v[38:39], v[34:35]
	v_fma_f64 v[40:41], -v[34:35], v[38:39], 1.0
	v_fma_f64 v[38:39], v[38:39], v[40:41], v[38:39]
	v_fma_f64 v[40:41], -v[34:35], v[38:39], 1.0
	v_fma_f64 v[38:39], v[38:39], v[40:41], v[38:39]
	v_mul_f64 v[40:41], v[42:43], v[38:39]
	v_fma_f64 v[34:35], -v[34:35], v[40:41], v[42:43]
	v_div_fmas_f64 v[34:35], v[34:35], v[38:39], v[40:41]
	v_div_fixup_f64 v[42:43], v[34:35], v[19:20], v[13:14]
.LBB48_151:                             ;   in Loop: Header=BB48_4 Depth=1
	s_or_b64 exec, exec, s[98:99]
                                        ; implicit-def: $vgpr40_vgpr41
                                        ; implicit-def: $vgpr34_vgpr35
.LBB48_152:                             ;   in Loop: Header=BB48_4 Depth=1
	s_andn2_saveexec_b64 s[96:97], s[96:97]
; %bb.153:                              ;   in Loop: Header=BB48_4 Depth=1
	v_add_f64 v[42:43], v[40:41], -v[34:35]
; %bb.154:                              ;   in Loop: Header=BB48_4 Depth=1
	s_or_b64 exec, exec, s[96:97]
	v_mul_f64 v[13:14], v[42:43], 0.5
	v_add_f64 v[19:20], |v[17:18]|, v[36:37]
	s_mov_b32 s96, 0
	s_brev_b32 s97, 8
	v_fma_f64 v[13:14], v[48:49], 0.5, v[13:14]
	v_mul_f64 v[13:14], v[19:20], v[13:14]
	v_cmp_gt_f64_e32 vcc, s[96:97], v[13:14]
	v_cndmask_b32_e32 v19, 0, v63, vcc
	v_ldexp_f64 v[13:14], v[13:14], v19
	v_rsq_f64_e32 v[19:20], v[13:14]
	v_mul_f64 v[34:35], v[13:14], v[19:20]
	v_mul_f64 v[19:20], v[19:20], 0.5
	v_fma_f64 v[36:37], -v[19:20], v[34:35], 0.5
	v_fma_f64 v[34:35], v[34:35], v[36:37], v[34:35]
	v_fma_f64 v[19:20], v[19:20], v[36:37], v[19:20]
	v_fma_f64 v[36:37], -v[34:35], v[34:35], v[13:14]
	v_fma_f64 v[34:35], v[36:37], v[19:20], v[34:35]
	v_fma_f64 v[36:37], -v[34:35], v[34:35], v[13:14]
	v_fma_f64 v[19:20], v[36:37], v[19:20], v[34:35]
	v_cndmask_b32_e32 v34, 0, v64, vcc
	v_cmp_class_f64_e32 vcc, v[13:14], v60
	v_ldexp_f64 v[19:20], v[19:20], v34
                                        ; implicit-def: $vgpr34_vgpr35
	v_cndmask_b32_e32 v49, v20, v14, vcc
	v_cndmask_b32_e32 v48, v19, v13, vcc
                                        ; implicit-def: $vgpr13_vgpr14
.LBB48_155:                             ;   in Loop: Header=BB48_4 Depth=1
	s_andn2_saveexec_b64 s[94:95], s[94:95]
	s_cbranch_execz .LBB48_161
; %bb.156:                              ;   in Loop: Header=BB48_4 Depth=1
	v_cmp_ngt_f64_e64 s[96:97], |v[17:18]|, 1.0
                                        ; implicit-def: $vgpr48_vgpr49
	s_and_saveexec_b64 s[98:99], s[96:97]
	s_xor_b64 s[96:97], exec, s[98:99]
	s_cbranch_execz .LBB48_158
; %bb.157:                              ;   in Loop: Header=BB48_4 Depth=1
	v_add_f64 v[19:20], -|v[17:18]|, 1.0
	s_mov_b32 s98, 0
	s_brev_b32 s99, 8
	v_mul_f64 v[13:14], v[19:20], v[13:14]
	v_cmp_gt_f64_e32 vcc, s[98:99], v[13:14]
	v_cndmask_b32_e32 v19, 0, v63, vcc
	v_ldexp_f64 v[13:14], v[13:14], v19
	v_rsq_f64_e32 v[19:20], v[13:14]
	v_mul_f64 v[34:35], v[13:14], v[19:20]
	v_mul_f64 v[19:20], v[19:20], 0.5
	v_fma_f64 v[36:37], -v[19:20], v[34:35], 0.5
	v_fma_f64 v[34:35], v[34:35], v[36:37], v[34:35]
	v_fma_f64 v[19:20], v[19:20], v[36:37], v[19:20]
	v_fma_f64 v[36:37], -v[34:35], v[34:35], v[13:14]
	v_fma_f64 v[34:35], v[36:37], v[19:20], v[34:35]
	v_fma_f64 v[36:37], -v[34:35], v[34:35], v[13:14]
	v_fma_f64 v[19:20], v[36:37], v[19:20], v[34:35]
	v_cndmask_b32_e32 v34, 0, v64, vcc
	v_cmp_class_f64_e32 vcc, v[13:14], v60
	v_ldexp_f64 v[19:20], v[19:20], v34
                                        ; implicit-def: $vgpr34_vgpr35
	v_cndmask_b32_e32 v49, v20, v14, vcc
	v_cndmask_b32_e32 v48, v19, v13, vcc
                                        ; implicit-def: $vgpr13_vgpr14
.LBB48_158:                             ;   in Loop: Header=BB48_4 Depth=1
	s_andn2_saveexec_b64 s[96:97], s[96:97]
	s_cbranch_execz .LBB48_160
; %bb.159:                              ;   in Loop: Header=BB48_4 Depth=1
	v_mul_f64 v[13:14], v[13:14], v[34:35]
	s_mov_b32 s98, 0
	s_brev_b32 s99, 8
	s_movk_i32 s39, 0x6a
	v_ldexp_f64 v[19:20], |v[19:20]|, s39
	v_ldexp_f64 v[46:47], |v[17:18]|, s39
	v_cmp_gt_f64_e32 vcc, s[98:99], v[13:14]
	v_mul_f64 v[19:20], |v[17:18]|, v[19:20]
	v_cndmask_b32_e32 v34, 0, v63, vcc
	v_ldexp_f64 v[13:14], v[13:14], v34
	v_rsq_f64_e32 v[34:35], v[13:14]
	v_mul_f64 v[36:37], v[13:14], v[34:35]
	v_mul_f64 v[34:35], v[34:35], 0.5
	v_fma_f64 v[38:39], -v[34:35], v[36:37], 0.5
	v_fma_f64 v[36:37], v[36:37], v[38:39], v[36:37]
	v_fma_f64 v[34:35], v[34:35], v[38:39], v[34:35]
	v_fma_f64 v[38:39], -v[36:37], v[36:37], v[13:14]
	v_fma_f64 v[36:37], v[38:39], v[34:35], v[36:37]
	v_fma_f64 v[38:39], -v[36:37], v[36:37], v[13:14]
	v_fma_f64 v[34:35], v[38:39], v[34:35], v[36:37]
	v_cndmask_b32_e32 v36, 0, v64, vcc
	v_cmp_class_f64_e32 vcc, v[13:14], v60
	v_ldexp_f64 v[34:35], v[34:35], v36
	v_cndmask_b32_e32 v14, v35, v14, vcc
	v_cndmask_b32_e32 v13, v34, v13, vcc
	v_div_scale_f64 v[34:35], s[98:99], v[13:14], v[13:14], v[19:20]
	v_rcp_f64_e32 v[36:37], v[34:35]
	v_fma_f64 v[38:39], -v[34:35], v[36:37], 1.0
	v_fma_f64 v[36:37], v[36:37], v[38:39], v[36:37]
	v_div_scale_f64 v[38:39], vcc, v[19:20], v[13:14], v[19:20]
	v_fma_f64 v[40:41], -v[34:35], v[36:37], 1.0
	v_fma_f64 v[36:37], v[36:37], v[40:41], v[36:37]
	v_mul_f64 v[40:41], v[38:39], v[36:37]
	v_fma_f64 v[34:35], -v[34:35], v[40:41], v[38:39]
	v_div_fmas_f64 v[34:35], v[34:35], v[36:37], v[40:41]
	v_div_fixup_f64 v[48:49], v[34:35], v[13:14], v[19:20]
.LBB48_160:                             ;   in Loop: Header=BB48_4 Depth=1
	s_or_b64 exec, exec, s[96:97]
.LBB48_161:                             ;   in Loop: Header=BB48_4 Depth=1
	s_or_b64 exec, exec, s[94:95]
	s_mov_b32 s98, 0x1409212f
	s_mov_b32 s99, 0x3e43988e
                                        ; implicit-def: $vgpr36_vgpr37
.LBB48_162:                             ;   in Loop: Header=BB48_4 Depth=1
	s_andn2_saveexec_b64 s[92:93], s[92:93]
	s_cbranch_execz .LBB48_164
; %bb.163:                              ;   in Loop: Header=BB48_4 Depth=1
	s_mov_b32 s94, 0
	s_brev_b32 s95, 8
	v_cmp_lt_f64_e64 vcc, |v[19:20]|, s[94:95]
	v_mov_b32_e32 v46, 0
	v_mov_b32_e32 v47, 0x3ff00000
	v_cndmask_b32_e32 v13, 0, v63, vcc
	v_ldexp_f64 v[13:14], |v[19:20]|, v13
	v_rsq_f64_e32 v[19:20], v[13:14]
	v_mul_f64 v[34:35], v[13:14], v[19:20]
	v_mul_f64 v[19:20], v[19:20], 0.5
	v_fma_f64 v[38:39], -v[19:20], v[34:35], 0.5
	v_fma_f64 v[34:35], v[34:35], v[38:39], v[34:35]
	v_fma_f64 v[19:20], v[19:20], v[38:39], v[19:20]
	v_fma_f64 v[40:41], -v[34:35], v[34:35], v[13:14]
	v_fma_f64 v[34:35], v[40:41], v[19:20], v[34:35]
	v_fma_f64 v[38:39], -v[34:35], v[34:35], v[13:14]
	v_fma_f64 v[19:20], v[38:39], v[19:20], v[34:35]
	v_cndmask_b32_e32 v34, 0, v64, vcc
	v_cmp_class_f64_e32 vcc, v[13:14], v60
	v_ldexp_f64 v[19:20], v[19:20], v34
	v_cndmask_b32_e32 v14, v20, v14, vcc
	v_cndmask_b32_e32 v13, v19, v13, vcc
	v_add_f64 v[19:20], v[36:37], 1.0
	v_mul_f64 v[19:20], v[19:20], 0.5
	v_cmp_gt_f64_e32 vcc, s[94:95], v[19:20]
	v_cndmask_b32_e32 v34, 0, v63, vcc
	v_ldexp_f64 v[19:20], v[19:20], v34
	v_rsq_f64_e32 v[34:35], v[19:20]
	v_mul_f64 v[36:37], v[19:20], v[34:35]
	v_mul_f64 v[34:35], v[34:35], 0.5
	v_fma_f64 v[38:39], -v[34:35], v[36:37], 0.5
	v_fma_f64 v[36:37], v[36:37], v[38:39], v[36:37]
	v_fma_f64 v[34:35], v[34:35], v[38:39], v[34:35]
	v_fma_f64 v[40:41], -v[36:37], v[36:37], v[19:20]
	v_fma_f64 v[36:37], v[40:41], v[34:35], v[36:37]
	v_fma_f64 v[38:39], -v[36:37], v[36:37], v[19:20]
	v_fma_f64 v[34:35], v[38:39], v[34:35], v[36:37]
	v_cndmask_b32_e32 v36, 0, v64, vcc
	v_cmp_class_f64_e32 vcc, v[19:20], v60
	v_ldexp_f64 v[34:35], v[34:35], v36
	v_cndmask_b32_e32 v20, v35, v20, vcc
	v_cndmask_b32_e32 v19, v34, v19, vcc
	v_mul_f64 v[48:49], v[13:14], v[19:20]
.LBB48_164:                             ;   in Loop: Header=BB48_4 Depth=1
	s_or_b64 exec, exec, s[92:93]
	s_mov_b64 s[92:93], exec
.LBB48_165:                             ;   in Loop: Header=BB48_4 Depth=1
	s_or_b64 exec, exec, s[18:19]
                                        ; implicit-def: $vgpr36_vgpr37
.LBB48_166:                             ;   in Loop: Header=BB48_4 Depth=1
	s_andn2_saveexec_b64 s[16:17], s[16:17]
	s_cbranch_execz .LBB48_168
; %bb.167:                              ;   in Loop: Header=BB48_4 Depth=1
	v_ldexp_f64 v[48:49], v[36:37], 53
	v_ldexp_f64 v[46:47], |v[17:18]|, 53
	s_or_b64 s[92:93], s[92:93], exec
                                        ; implicit-def: $vgpr44_vgpr45
.LBB48_168:                             ;   in Loop: Header=BB48_4 Depth=1
	s_or_b64 exec, exec, s[16:17]
	v_cmp_lt_i64_e32 vcc, -1, v[17:18]
	s_xor_b64 s[16:17], s[92:93], -1
	s_and_saveexec_b64 s[18:19], s[16:17]
	s_xor_b64 s[18:19], exec, s[18:19]
	s_cbranch_execz .LBB48_178
; %bb.169:                              ;   in Loop: Header=BB48_4 Depth=1
	v_mul_f64 v[19:20], v[44:45], v[44:45]
	v_fma_f64 v[17:18], |v[44:45]|, -0.5, 0.5
	s_and_saveexec_b64 s[16:17], vcc
	s_xor_b64 s[92:93], exec, s[16:17]
	s_cbranch_execz .LBB48_173
; %bb.170:                              ;   in Loop: Header=BB48_4 Depth=1
	v_cmp_ge_f64_e64 s[16:17], |v[44:45]|, 0.5
	s_mov_b32 s94, 0x9fea6a70
	s_mov_b32 s95, 0x3fa05985
	v_cndmask_b32_e64 v14, v20, v18, s[16:17]
	v_cndmask_b32_e64 v13, v19, v17, s[16:17]
	v_fma_f64 v[19:20], v[13:14], s[94:95], v[28:29]
	s_mov_b32 s94, 0x37024d6a
	s_mov_b32 s95, 0x3f940521
	v_fma_f64 v[19:20], v[13:14], v[19:20], s[94:95]
	s_mov_b32 s94, 0x98a70509
	s_mov_b32 s95, 0x3f7ab3a0
	;; [unrolled: 3-line block ×11, first 2 shown]
	v_mul_f64 v[19:20], v[13:14], v[19:20]
	v_fma_f64 v[13:14], v[44:45], v[19:20], v[44:45]
	v_fma_f64 v[13:14], s[94:95], v[30:31], -v[13:14]
	s_and_saveexec_b64 s[94:95], s[16:17]
	s_cbranch_execz .LBB48_172
; %bb.171:                              ;   in Loop: Header=BB48_4 Depth=1
	v_rsq_f64_e32 v[13:14], v[17:18]
	v_cmp_eq_f64_e64 s[16:17], 0, v[17:18]
	v_mul_f64 v[34:35], v[17:18], v[13:14]
	v_mul_f64 v[13:14], v[13:14], 0.5
	v_fma_f64 v[36:37], -v[13:14], v[34:35], 0.5
	v_fma_f64 v[34:35], v[34:35], v[36:37], v[34:35]
	v_fma_f64 v[13:14], v[13:14], v[36:37], v[13:14]
	v_fma_f64 v[36:37], -v[34:35], v[34:35], v[17:18]
	v_fma_f64 v[13:14], v[36:37], v[13:14], v[34:35]
	v_cndmask_b32_e64 v14, v14, v18, s[16:17]
	v_cndmask_b32_e64 v13, v13, v17, s[16:17]
	v_mul_f64 v[34:35], v[13:14], v[13:14]
	v_add_f64 v[38:39], v[17:18], -v[34:35]
	v_fma_f64 v[36:37], v[13:14], v[13:14], -v[34:35]
	v_add_f64 v[17:18], v[17:18], -v[38:39]
	v_add_f64 v[17:18], v[17:18], -v[34:35]
	v_add_f64 v[34:35], v[13:14], v[13:14]
	v_add_f64 v[17:18], v[17:18], -v[36:37]
	v_rcp_f64_e32 v[36:37], v[34:35]
	v_add_f64 v[17:18], v[38:39], v[17:18]
	v_fma_f64 v[38:39], -v[34:35], v[36:37], 1.0
	v_fma_f64 v[36:37], v[38:39], v[36:37], v[36:37]
	v_fma_f64 v[38:39], -v[34:35], v[36:37], 1.0
	v_fma_f64 v[36:37], v[38:39], v[36:37], v[36:37]
	v_mul_f64 v[38:39], v[17:18], v[36:37]
	v_fma_f64 v[17:18], -v[34:35], v[38:39], v[17:18]
	v_fma_f64 v[17:18], v[17:18], v[36:37], v[38:39]
	v_cndmask_b32_e64 v18, v18, 0, s[16:17]
	v_cndmask_b32_e64 v17, v17, 0, s[16:17]
	v_add_f64 v[34:35], v[13:14], v[17:18]
	v_cmp_neq_f64_e64 s[16:17], 1.0, v[44:45]
	v_add_f64 v[13:14], v[34:35], -v[13:14]
	v_add_f64 v[13:14], v[17:18], -v[13:14]
	v_fma_f64 v[13:14], v[34:35], v[19:20], v[13:14]
	v_add_f64 v[13:14], v[34:35], v[13:14]
	v_add_f64 v[13:14], v[13:14], v[13:14]
	v_cndmask_b32_e64 v14, 0, v14, s[16:17]
	v_cndmask_b32_e64 v13, 0, v13, s[16:17]
.LBB48_172:                             ;   in Loop: Header=BB48_4 Depth=1
	s_or_b64 exec, exec, s[94:95]
                                        ; implicit-def: $vgpr44_vgpr45
                                        ; implicit-def: $vgpr19_vgpr20
                                        ; implicit-def: $vgpr17_vgpr18
.LBB48_173:                             ;   in Loop: Header=BB48_4 Depth=1
	s_andn2_saveexec_b64 s[92:93], s[92:93]
	s_cbranch_execz .LBB48_177
; %bb.174:                              ;   in Loop: Header=BB48_4 Depth=1
	v_cmp_ge_f64_e64 s[16:17], |v[44:45]|, 0.5
	s_mov_b32 s94, 0x9fea6a70
	s_mov_b32 s95, 0x3fa05985
	v_cndmask_b32_e64 v14, v20, v18, s[16:17]
	v_cndmask_b32_e64 v13, v19, v17, s[16:17]
	v_fma_f64 v[19:20], v[13:14], s[94:95], v[28:29]
	s_mov_b32 s94, 0x37024d6a
	s_mov_b32 s95, 0x3f940521
	v_fma_f64 v[19:20], v[13:14], v[19:20], s[94:95]
	s_mov_b32 s94, 0x98a70509
	s_mov_b32 s95, 0x3f7ab3a0
	;; [unrolled: 3-line block ×11, first 2 shown]
	v_mul_f64 v[19:20], v[13:14], v[19:20]
	v_fma_f64 v[13:14], -v[44:45], v[19:20], -v[44:45]
	v_fma_f64 v[13:14], s[94:95], v[30:31], -v[13:14]
	s_and_saveexec_b64 s[94:95], s[16:17]
	s_cbranch_execz .LBB48_176
; %bb.175:                              ;   in Loop: Header=BB48_4 Depth=1
	v_rsq_f64_e32 v[13:14], v[17:18]
	v_cmp_eq_f64_e64 s[16:17], 0, v[17:18]
	v_readlane_b32 s96, v87, 2
	v_readlane_b32 s97, v87, 3
	s_mov_b32 s39, s97
	v_writelane_b32 v87, s38, 2
	v_writelane_b32 v87, s39, 3
	v_mul_f64 v[34:35], v[17:18], v[13:14]
	v_mul_f64 v[13:14], v[13:14], 0.5
	v_fma_f64 v[36:37], -v[13:14], v[34:35], 0.5
	v_fma_f64 v[34:35], v[34:35], v[36:37], v[34:35]
	v_fma_f64 v[13:14], v[13:14], v[36:37], v[13:14]
	v_fma_f64 v[36:37], -v[34:35], v[34:35], v[17:18]
	v_fma_f64 v[13:14], v[36:37], v[13:14], v[34:35]
	v_cndmask_b32_e64 v14, v14, v18, s[16:17]
	v_cndmask_b32_e64 v13, v13, v17, s[16:17]
	v_mul_f64 v[34:35], v[13:14], v[13:14]
	v_add_f64 v[38:39], v[17:18], -v[34:35]
	v_fma_f64 v[36:37], v[13:14], v[13:14], -v[34:35]
	v_add_f64 v[17:18], v[17:18], -v[38:39]
	v_add_f64 v[17:18], v[17:18], -v[34:35]
	v_add_f64 v[34:35], v[13:14], v[13:14]
	v_add_f64 v[17:18], v[17:18], -v[36:37]
	v_rcp_f64_e32 v[36:37], v[34:35]
	v_add_f64 v[17:18], v[38:39], v[17:18]
	v_fma_f64 v[38:39], -v[34:35], v[36:37], 1.0
	v_fma_f64 v[36:37], v[38:39], v[36:37], v[36:37]
	v_fma_f64 v[38:39], -v[34:35], v[36:37], 1.0
	v_fma_f64 v[36:37], v[38:39], v[36:37], v[36:37]
	v_mul_f64 v[38:39], v[17:18], v[36:37]
	v_fma_f64 v[17:18], -v[34:35], v[38:39], v[17:18]
	v_fma_f64 v[17:18], v[17:18], v[36:37], v[38:39]
	v_cndmask_b32_e64 v18, v18, 0, s[16:17]
	v_cndmask_b32_e64 v17, v17, 0, s[16:17]
	v_add_f64 v[34:35], v[13:14], v[17:18]
	s_mov_b32 s16, 0x336a0500
	s_mov_b32 s17, 0x3fedd9ad
	;; [unrolled: 1-line block ×3, first 2 shown]
	v_add_f64 v[13:14], v[34:35], -v[13:14]
	v_add_f64 v[13:14], v[17:18], -v[13:14]
	v_fma_f64 v[17:18], v[34:35], v[19:20], v[34:35]
	v_fma_f64 v[13:14], v[34:35], v[19:20], v[13:14]
	v_mul_f64 v[17:18], v[17:18], -2.0
	v_add_f64 v[13:14], v[34:35], v[13:14]
	v_fma_f64 v[17:18], s[16:17], v[30:31], v[17:18]
	v_cmp_lt_f64_e64 s[16:17], 0, v[44:45]
	v_add_f64 v[13:14], v[13:14], v[13:14]
	v_cndmask_b32_e64 v13, v13, v17, s[16:17]
	v_cndmask_b32_e64 v14, v14, v18, s[16:17]
	v_cmp_neq_f64_e64 s[16:17], 1.0, v[44:45]
	v_cndmask_b32_e64 v14, v67, v14, s[16:17]
	v_cndmask_b32_e64 v13, v68, v13, s[16:17]
.LBB48_176:                             ;   in Loop: Header=BB48_4 Depth=1
	s_or_b64 exec, exec, s[94:95]
.LBB48_177:                             ;   in Loop: Header=BB48_4 Depth=1
	s_or_b64 exec, exec, s[92:93]
                                        ; implicit-def: $vgpr46_vgpr47
                                        ; implicit-def: $vgpr48_vgpr49
.LBB48_178:                             ;   in Loop: Header=BB48_4 Depth=1
	s_andn2_saveexec_b64 s[92:93], s[18:19]
	s_cbranch_execz .LBB48_184
; %bb.179:                              ;   in Loop: Header=BB48_4 Depth=1
	v_max_f64 v[13:14], |v[48:49]|, |v[48:49]|
	v_max_f64 v[19:20], v[46:47], v[46:47]
	v_cmp_class_f64_e64 s[94:95], v[48:49], s56
	v_max_f64 v[17:18], v[19:20], v[13:14]
	v_min_f64 v[19:20], v[19:20], v[13:14]
	s_and_saveexec_b64 s[16:17], vcc
	s_xor_b64 s[96:97], exec, s[16:17]
	s_cbranch_execz .LBB48_181
; %bb.180:                              ;   in Loop: Header=BB48_4 Depth=1
	v_div_scale_f64 v[13:14], s[16:17], v[17:18], v[17:18], v[19:20]
	s_mov_b32 s16, 0xb5e68a13
	s_mov_b32 s17, 0x3eeba404
	;; [unrolled: 1-line block ×3, first 2 shown]
	v_cmp_eq_f64_e64 s[18:19], s[74:75], v[46:47]
	v_rcp_f64_e32 v[34:35], v[13:14]
	v_fma_f64 v[36:37], -v[13:14], v[34:35], 1.0
	v_fma_f64 v[34:35], v[34:35], v[36:37], v[34:35]
	v_div_scale_f64 v[36:37], vcc, v[19:20], v[17:18], v[19:20]
	v_fma_f64 v[38:39], -v[13:14], v[34:35], 1.0
	v_fma_f64 v[34:35], v[34:35], v[38:39], v[34:35]
	v_mul_f64 v[38:39], v[36:37], v[34:35]
	v_fma_f64 v[13:14], -v[13:14], v[38:39], v[36:37]
	v_div_fmas_f64 v[13:14], v[13:14], v[34:35], v[38:39]
	v_cmp_lt_f64_e64 vcc, v[46:47], |v[48:49]|
	v_div_fixup_f64 v[13:14], v[13:14], v[17:18], v[19:20]
	v_mul_f64 v[17:18], v[13:14], v[13:14]
	v_fma_f64 v[19:20], v[17:18], s[16:17], v[32:33]
	s_mov_b32 s16, 0x69efb384
	s_mov_b32 s17, 0x3f4b2bb0
	v_fma_f64 v[19:20], v[17:18], v[19:20], s[16:17]
	s_mov_b32 s16, 0xaf56de9b
	s_mov_b32 s17, 0xbf67952d
	;; [unrolled: 3-line block ×11, first 2 shown]
	v_fma_f64 v[19:20], v[17:18], v[19:20], s[16:17]
	v_cmp_eq_f64_e64 s[16:17], 0, v[48:49]
	v_fma_f64 v[19:20], v[17:18], v[19:20], s[58:59]
	v_fma_f64 v[19:20], v[17:18], v[19:20], s[60:61]
	;; [unrolled: 1-line block ×7, first 2 shown]
	v_mul_f64 v[17:18], v[17:18], v[19:20]
	v_ashrrev_i32_e32 v20, 31, v47
	v_and_b32_e32 v34, 0x54442d18, v20
	v_and_b32_e32 v20, 0x400921fb, v20
	v_fma_f64 v[13:14], v[13:14], v[17:18], v[13:14]
	v_add_f64 v[17:18], -v[13:14], s[4:5]
	v_cndmask_b32_e32 v14, v14, v18, vcc
	v_cndmask_b32_e32 v13, v13, v17, vcc
	v_add_f64 v[17:18], -v[13:14], s[72:73]
	v_cmp_gt_i32_e32 vcc, 0, v47
	v_cndmask_b32_e32 v19, v68, v69, vcc
                                        ; implicit-def: $vgpr46_vgpr47
	v_cndmask_b32_e32 v13, v13, v17, vcc
	v_cndmask_b32_e32 v14, v14, v18, vcc
	v_cndmask_b32_e32 v17, v70, v71, vcc
	v_cndmask_b32_e64 v13, v13, v34, s[16:17]
	v_cndmask_b32_e64 v14, v14, v20, s[16:17]
	s_and_b64 vcc, s[18:19], s[94:95]
	v_cndmask_b32_e32 v14, v14, v17, vcc
	v_cndmask_b32_e32 v13, v13, v19, vcc
	v_cmp_o_f64_e32 vcc, v[48:49], v[48:49]
                                        ; implicit-def: $vgpr17_vgpr18
                                        ; implicit-def: $vgpr19_vgpr20
	v_cndmask_b32_e32 v14, v66, v14, vcc
	v_cndmask_b32_e32 v13, 0, v13, vcc
	v_bfi_b32 v14, s55, v14, v49
                                        ; implicit-def: $vgpr48_vgpr49
.LBB48_181:                             ;   in Loop: Header=BB48_4 Depth=1
	s_andn2_saveexec_b64 s[96:97], s[96:97]
	s_cbranch_execz .LBB48_183
; %bb.182:                              ;   in Loop: Header=BB48_4 Depth=1
	v_div_scale_f64 v[13:14], s[16:17], v[17:18], v[17:18], v[19:20]
	s_mov_b32 s16, 0xb5e68a13
	s_mov_b32 s17, 0x3eeba404
	;; [unrolled: 1-line block ×3, first 2 shown]
	v_cmp_eq_f64_e64 s[18:19], s[74:75], v[46:47]
	v_rcp_f64_e32 v[34:35], v[13:14]
	v_fma_f64 v[36:37], -v[13:14], v[34:35], 1.0
	v_fma_f64 v[34:35], v[34:35], v[36:37], v[34:35]
	v_div_scale_f64 v[36:37], vcc, v[19:20], v[17:18], v[19:20]
	v_fma_f64 v[38:39], -v[13:14], v[34:35], 1.0
	v_fma_f64 v[34:35], v[34:35], v[38:39], v[34:35]
	v_mul_f64 v[38:39], v[36:37], v[34:35]
	v_fma_f64 v[13:14], -v[13:14], v[38:39], v[36:37]
	v_div_fmas_f64 v[13:14], v[13:14], v[34:35], v[38:39]
	v_cmp_lt_f64_e64 vcc, v[46:47], |v[48:49]|
	v_div_fixup_f64 v[13:14], v[13:14], v[17:18], v[19:20]
	v_mul_f64 v[17:18], v[13:14], v[13:14]
	v_fma_f64 v[19:20], v[17:18], s[16:17], v[32:33]
	s_mov_b32 s16, 0x69efb384
	s_mov_b32 s17, 0x3f4b2bb0
	v_fma_f64 v[19:20], v[17:18], v[19:20], s[16:17]
	s_mov_b32 s16, 0xaf56de9b
	s_mov_b32 s17, 0xbf67952d
	;; [unrolled: 3-line block ×11, first 2 shown]
	v_fma_f64 v[19:20], v[17:18], v[19:20], s[16:17]
	v_cmp_eq_f64_e64 s[16:17], 0, v[48:49]
	v_fma_f64 v[19:20], v[17:18], v[19:20], s[58:59]
	v_fma_f64 v[19:20], v[17:18], v[19:20], s[60:61]
	;; [unrolled: 1-line block ×7, first 2 shown]
	v_mul_f64 v[17:18], v[17:18], v[19:20]
	v_xor_b32_e32 v19, 0x80000000, v47
	v_fma_f64 v[13:14], v[13:14], v[17:18], v[13:14]
	v_add_f64 v[17:18], -v[13:14], s[4:5]
	v_cndmask_b32_e32 v14, v14, v18, vcc
	v_cndmask_b32_e32 v13, v13, v17, vcc
	v_add_f64 v[17:18], -v[13:14], s[72:73]
	v_cmp_gt_i32_e32 vcc, 0, v19
	v_ashrrev_i32_e32 v19, 31, v19
	v_and_b32_e32 v34, 0x54442d18, v19
	v_and_b32_e32 v19, 0x400921fb, v19
	v_cndmask_b32_e32 v20, v68, v69, vcc
	v_cndmask_b32_e32 v13, v13, v17, vcc
	;; [unrolled: 1-line block ×4, first 2 shown]
	v_cndmask_b32_e64 v13, v13, v34, s[16:17]
	v_cndmask_b32_e64 v14, v14, v19, s[16:17]
	s_and_b64 vcc, s[18:19], s[94:95]
	v_cndmask_b32_e32 v14, v14, v17, vcc
	v_cndmask_b32_e32 v13, v13, v20, vcc
	v_cmp_o_f64_e32 vcc, v[48:49], v[48:49]
	v_cndmask_b32_e32 v14, v66, v14, vcc
	v_cndmask_b32_e32 v13, 0, v13, vcc
	v_bfi_b32 v14, s55, v14, v49
.LBB48_183:                             ;   in Loop: Header=BB48_4 Depth=1
	s_or_b64 exec, exec, s[96:97]
.LBB48_184:                             ;   in Loop: Header=BB48_4 Depth=1
	s_or_b64 exec, exec, s[92:93]
	v_xor_b32_e32 v17, 0x80000000, v16
	v_cndmask_b32_e64 v16, v17, v16, s[14:15]
                                        ; implicit-def: $vgpr17_vgpr18
.LBB48_185:                             ;   in Loop: Header=BB48_4 Depth=1
	s_andn2_saveexec_b64 s[16:17], s[90:91]
	s_cbranch_execz .LBB48_187
; %bb.186:                              ;   in Loop: Header=BB48_4 Depth=1
	s_waitcnt lgkmcnt(0)
	v_mov_b32_e32 v13, s24
	v_mov_b32_e32 v14, s25
	flat_load_dwordx2 v[13:14], v[13:14] glc
	s_waitcnt vmcnt(0) lgkmcnt(0)
	v_add_f64 v[13:14], v[13:14], -v[17:18]
	v_add_f64 v[13:14], v[13:14], s[4:5]
.LBB48_187:                             ;   in Loop: Header=BB48_4 Depth=1
	s_or_b64 exec, exec, s[16:17]
.LBB48_188:                             ;   in Loop: Header=BB48_4 Depth=1
	s_andn2_saveexec_b64 s[16:17], s[88:89]
	s_cbranch_execz .LBB48_190
; %bb.189:                              ;   in Loop: Header=BB48_4 Depth=1
	s_waitcnt lgkmcnt(0)
	v_mov_b32_e32 v13, 0
	v_mov_b32_e32 v14, 0
.LBB48_190:                             ;   in Loop: Header=BB48_4 Depth=1
	s_or_b64 exec, exec, s[16:17]
                                        ; implicit-def: $vgpr17_vgpr18
                                        ; implicit-def: $vgpr38_vgpr39
                                        ; implicit-def: $vgpr36_vgpr37
                                        ; implicit-def: $vgpr34_vgpr35
.LBB48_191:                             ;   in Loop: Header=BB48_4 Depth=1
	s_andn2_saveexec_b64 s[86:87], s[86:87]
	s_cbranch_execz .LBB48_201
; %bb.192:                              ;   in Loop: Header=BB48_4 Depth=1
	v_cmp_lt_f64_e64 s[16:17], |v[17:18]|, |v[19:20]|
	v_and_b32_e32 v42, 0x7fffffff, v18
	v_and_b32_e32 v43, 0x7fffffff, v20
	s_mov_b32 s18, -1
	s_mov_b32 s19, 0x7fdfffff
                                        ; implicit-def: $vgpr13_vgpr14
                                        ; implicit-def: $vgpr15_vgpr16
	v_cndmask_b32_e64 v41, v42, v43, s[16:17]
	v_cndmask_b32_e64 v40, v17, v19, s[16:17]
	v_cmp_nlt_f64_e32 vcc, s[18:19], v[40:41]
                                        ; implicit-def: $sgpr18_sgpr19
	s_and_saveexec_b64 s[88:89], vcc
	s_xor_b64 s[88:89], exec, s[88:89]
	s_cbranch_execz .LBB48_198
; %bb.193:                              ;   in Loop: Header=BB48_4 Depth=1
	s_mov_b32 s18, 0
	s_mov_b32 s19, 0x20200000
	v_cmp_nlt_f64_e32 vcc, s[18:19], v[40:41]
	s_mov_b32 s18, 0
	v_cndmask_b32_e64 v43, v43, v42, s[16:17]
	v_cndmask_b32_e64 v42, v19, v17, s[16:17]
	s_brev_b32 s19, 4
	v_cmp_ngt_f64_e64 s[18:19], s[18:19], v[42:43]
                                        ; implicit-def: $vgpr13_vgpr14
                                        ; implicit-def: $vgpr15_vgpr16
	s_and_b64 s[90:91], vcc, s[18:19]
                                        ; implicit-def: $sgpr18_sgpr19
	s_and_saveexec_b64 s[92:93], s[90:91]
	s_xor_b64 s[90:91], exec, s[92:93]
	s_cbranch_execz .LBB48_195
; %bb.194:                              ;   in Loop: Header=BB48_4 Depth=1
	s_waitcnt lgkmcnt(0)
	v_mul_f64 v[13:14], v[42:43], v[42:43]
	s_mov_b32 s39, s81
	v_cmp_class_f64_e64 s[92:93], v[17:18], s56
	v_fma_f64 v[13:14], v[40:41], v[40:41], v[13:14]
	v_frexp_mant_f64_e32 v[15:16], v[13:14]
	v_frexp_exp_i32_f64_e32 v40, v[13:14]
	v_cmp_gt_f64_e32 vcc, s[80:81], v[15:16]
	v_cndmask_b32_e64 v41, 0, 1, vcc
	v_ldexp_f64 v[15:16], v[15:16], v41
	v_subbrev_co_u32_e32 v74, vcc, 0, v40, vcc
	v_cmp_class_f64_e64 vcc, v[13:14], s56
	v_add_f64 v[42:43], v[15:16], 1.0
	v_add_f64 v[40:41], v[15:16], -1.0
	v_add_f64 v[44:45], v[42:43], -1.0
	v_add_f64 v[15:16], v[15:16], -v[44:45]
	v_rcp_f64_e32 v[44:45], v[42:43]
	v_fma_f64 v[46:47], -v[42:43], v[44:45], 1.0
	v_fma_f64 v[44:45], v[46:47], v[44:45], v[44:45]
	v_fma_f64 v[46:47], -v[42:43], v[44:45], 1.0
	v_fma_f64 v[44:45], v[46:47], v[44:45], v[44:45]
	v_mul_f64 v[46:47], v[40:41], v[44:45]
	v_mul_f64 v[48:49], v[42:43], v[46:47]
	v_fma_f64 v[42:43], v[46:47], v[42:43], -v[48:49]
	v_fma_f64 v[15:16], v[46:47], v[15:16], v[42:43]
	v_add_f64 v[42:43], v[48:49], v[15:16]
	v_add_f64 v[72:73], v[40:41], -v[42:43]
	v_add_f64 v[48:49], v[42:43], -v[48:49]
	;; [unrolled: 1-line block ×5, first 2 shown]
	v_add_f64 v[15:16], v[15:16], v[40:41]
	v_add_f64 v[15:16], v[72:73], v[15:16]
	v_mul_f64 v[15:16], v[44:45], v[15:16]
	v_add_f64 v[40:41], v[46:47], v[15:16]
	v_add_f64 v[42:43], v[40:41], -v[46:47]
	v_ldexp_f64 v[46:47], v[40:41], 1
	v_add_f64 v[15:16], v[15:16], -v[42:43]
	v_mul_f64 v[42:43], v[40:41], v[40:41]
	v_ldexp_f64 v[15:16], v[15:16], 1
	v_fma_f64 v[44:45], v[42:43], s[40:41], v[26:27]
	v_mul_f64 v[40:41], v[40:41], v[42:43]
	v_fma_f64 v[44:45], v[42:43], v[44:45], s[42:43]
	v_fma_f64 v[44:45], v[42:43], v[44:45], s[44:45]
	;; [unrolled: 1-line block ×5, first 2 shown]
	v_mul_f64 v[40:41], v[40:41], v[44:45]
	v_add_f64 v[42:43], v[46:47], v[40:41]
	v_add_f64 v[44:45], v[42:43], -v[46:47]
	v_add_f64 v[40:41], v[40:41], -v[44:45]
	v_add_f64 v[15:16], v[15:16], v[40:41]
	v_add_f64 v[40:41], v[42:43], v[15:16]
	v_add_f64 v[42:43], v[40:41], -v[42:43]
	v_add_f64 v[15:16], v[15:16], -v[42:43]
	v_cvt_f64_i32_e32 v[42:43], v74
	v_mul_f64 v[44:45], v[42:43], s[50:51]
	v_fma_f64 v[46:47], v[42:43], s[50:51], -v[44:45]
	v_fma_f64 v[42:43], v[42:43], s[52:53], v[46:47]
	v_add_f64 v[46:47], v[44:45], v[42:43]
	v_add_f64 v[44:45], v[46:47], -v[44:45]
	v_add_f64 v[42:43], v[42:43], -v[44:45]
	v_add_f64 v[44:45], v[46:47], v[40:41]
	v_add_f64 v[48:49], v[44:45], -v[46:47]
	v_add_f64 v[72:73], v[44:45], -v[48:49]
	;; [unrolled: 1-line block ×4, first 2 shown]
	v_add_f64 v[40:41], v[40:41], v[46:47]
	v_add_f64 v[46:47], v[42:43], v[15:16]
	v_add_f64 v[48:49], v[46:47], -v[42:43]
	v_add_f64 v[40:41], v[46:47], v[40:41]
	v_add_f64 v[72:73], v[46:47], -v[48:49]
	v_add_f64 v[15:16], v[15:16], -v[48:49]
	;; [unrolled: 1-line block ×3, first 2 shown]
	v_add_f64 v[15:16], v[15:16], v[42:43]
	v_add_f64 v[42:43], v[44:45], v[40:41]
	v_add_f64 v[44:45], v[42:43], -v[44:45]
	v_add_f64 v[40:41], v[40:41], -v[44:45]
	v_add_f64 v[15:16], v[15:16], v[40:41]
	v_add_f64 v[15:16], v[42:43], v[15:16]
	v_cndmask_b32_e32 v16, v16, v14, vcc
	v_cndmask_b32_e32 v15, v15, v13, vcc
	v_mul_f64 v[15:16], v[15:16], 0.5
	v_cmp_neq_f64_e32 vcc, 0, v[13:14]
	v_cndmask_b32_e32 v14, v65, v16, vcc
	v_cndmask_b32_e32 v13, 0, v15, vcc
	v_min_f64 v[15:16], v[38:39], v[36:37]
	v_div_scale_f64 v[36:37], s[18:19], v[34:35], v[34:35], v[15:16]
	s_mov_b32 s18, 0xb5e68a13
	s_mov_b32 s19, 0x3eeba404
	v_rcp_f64_e32 v[38:39], v[36:37]
	v_fma_f64 v[40:41], -v[36:37], v[38:39], 1.0
	v_fma_f64 v[38:39], v[38:39], v[40:41], v[38:39]
	v_fma_f64 v[40:41], -v[36:37], v[38:39], 1.0
	v_fma_f64 v[38:39], v[38:39], v[40:41], v[38:39]
	v_div_scale_f64 v[40:41], vcc, v[15:16], v[34:35], v[15:16]
	v_mul_f64 v[42:43], v[40:41], v[38:39]
	v_fma_f64 v[36:37], -v[36:37], v[42:43], v[40:41]
	s_nop 1
	v_div_fmas_f64 v[36:37], v[36:37], v[38:39], v[42:43]
                                        ; implicit-def: $vgpr38_vgpr39
	v_div_fixup_f64 v[15:16], v[36:37], v[34:35], v[15:16]
	v_mul_f64 v[34:35], v[15:16], v[15:16]
	v_fma_f64 v[36:37], v[34:35], s[18:19], v[32:33]
	s_mov_b32 s18, 0x69efb384
	s_mov_b32 s19, 0x3f4b2bb0
	v_fma_f64 v[36:37], v[34:35], v[36:37], s[18:19]
	s_mov_b32 s18, 0xaf56de9b
	s_mov_b32 s19, 0xbf67952d
	;; [unrolled: 3-line block ×11, first 2 shown]
	v_fma_f64 v[36:37], v[34:35], v[36:37], s[18:19]
	v_cmp_class_f64_e64 s[18:19], v[19:20], s56
	v_fma_f64 v[36:37], v[34:35], v[36:37], s[58:59]
	s_and_b64 s[18:19], s[18:19], s[92:93]
	v_fma_f64 v[36:37], v[34:35], v[36:37], s[60:61]
	v_fma_f64 v[36:37], v[34:35], v[36:37], s[62:63]
	;; [unrolled: 1-line block ×6, first 2 shown]
	v_mul_f64 v[34:35], v[34:35], v[36:37]
                                        ; implicit-def: $vgpr36_vgpr37
	v_fma_f64 v[15:16], v[15:16], v[34:35], v[15:16]
                                        ; implicit-def: $vgpr34_vgpr35
.LBB48_195:                             ;   in Loop: Header=BB48_4 Depth=1
	s_andn2_saveexec_b64 s[90:91], s[90:91]
	s_cbranch_execz .LBB48_197
; %bb.196:                              ;   in Loop: Header=BB48_4 Depth=1
	v_frexp_exp_i32_f64_e32 v44, v[34:35]
	v_cmp_class_f64_e64 s[92:93], v[17:18], s56
	v_cmp_class_f64_e64 s[94:95], v[19:20], s56
	s_mov_b32 s39, s81
	s_andn2_b64 s[18:19], s[18:19], exec
	v_sub_u32_e32 v15, 0, v44
	s_waitcnt lgkmcnt(0)
	v_ldexp_f64 v[13:14], |v[17:18]|, v15
	v_ldexp_f64 v[15:16], |v[19:20]|, v15
	v_mul_f64 v[15:16], v[15:16], v[15:16]
	v_fma_f64 v[13:14], v[13:14], v[13:14], v[15:16]
	v_rsq_f64_e32 v[15:16], v[13:14]
	v_cmp_eq_f64_e32 vcc, 0, v[13:14]
	v_mul_f64 v[40:41], v[13:14], v[15:16]
	v_mul_f64 v[15:16], v[15:16], 0.5
	v_fma_f64 v[42:43], -v[15:16], v[40:41], 0.5
	v_fma_f64 v[40:41], v[40:41], v[42:43], v[40:41]
	v_fma_f64 v[15:16], v[15:16], v[42:43], v[15:16]
	v_fma_f64 v[42:43], -v[40:41], v[40:41], v[13:14]
	v_fma_f64 v[15:16], v[42:43], v[15:16], v[40:41]
	v_cndmask_b32_e32 v14, v16, v14, vcc
	v_cndmask_b32_e32 v13, v15, v13, vcc
	v_ldexp_f64 v[13:14], v[13:14], v44
	s_or_b64 vcc, s[94:95], s[92:93]
	s_and_b64 s[92:93], s[94:95], s[92:93]
	s_and_b64 s[92:93], s[92:93], exec
	s_or_b64 s[18:19], s[18:19], s[92:93]
	v_cndmask_b32_e32 v15, v14, v61, vcc
	v_cndmask_b32_e64 v14, v13, 0, vcc
	v_frexp_mant_f64_e32 v[40:41], v[14:15]
	v_frexp_exp_i32_f64_e32 v13, v[14:15]
	v_cmp_gt_f64_e32 vcc, s[80:81], v[40:41]
	v_cndmask_b32_e64 v16, 0, 1, vcc
	v_ldexp_f64 v[40:41], v[40:41], v16
	v_subbrev_co_u32_e32 v13, vcc, 0, v13, vcc
	v_cmp_class_f64_e64 vcc, v[14:15], s56
	v_add_f64 v[44:45], v[40:41], 1.0
	v_add_f64 v[42:43], v[40:41], -1.0
	v_add_f64 v[46:47], v[44:45], -1.0
	v_add_f64 v[40:41], v[40:41], -v[46:47]
	v_rcp_f64_e32 v[46:47], v[44:45]
	v_fma_f64 v[48:49], -v[44:45], v[46:47], 1.0
	v_fma_f64 v[46:47], v[48:49], v[46:47], v[46:47]
	v_fma_f64 v[48:49], -v[44:45], v[46:47], 1.0
	v_fma_f64 v[46:47], v[48:49], v[46:47], v[46:47]
	v_mul_f64 v[48:49], v[42:43], v[46:47]
	v_mul_f64 v[72:73], v[44:45], v[48:49]
	v_fma_f64 v[44:45], v[48:49], v[44:45], -v[72:73]
	v_fma_f64 v[40:41], v[48:49], v[40:41], v[44:45]
	v_add_f64 v[44:45], v[72:73], v[40:41]
	v_add_f64 v[74:75], v[42:43], -v[44:45]
	v_add_f64 v[72:73], v[44:45], -v[72:73]
	;; [unrolled: 1-line block ×5, first 2 shown]
	v_add_f64 v[40:41], v[40:41], v[42:43]
	v_add_f64 v[40:41], v[74:75], v[40:41]
	v_mul_f64 v[40:41], v[46:47], v[40:41]
	v_add_f64 v[42:43], v[48:49], v[40:41]
	v_add_f64 v[44:45], v[42:43], -v[48:49]
	v_ldexp_f64 v[48:49], v[42:43], 1
	v_add_f64 v[40:41], v[40:41], -v[44:45]
	v_mul_f64 v[44:45], v[42:43], v[42:43]
	v_ldexp_f64 v[40:41], v[40:41], 1
	v_fma_f64 v[46:47], v[44:45], s[40:41], v[26:27]
	v_mul_f64 v[42:43], v[42:43], v[44:45]
	v_fma_f64 v[46:47], v[44:45], v[46:47], s[42:43]
	v_fma_f64 v[46:47], v[44:45], v[46:47], s[44:45]
	;; [unrolled: 1-line block ×5, first 2 shown]
	v_mul_f64 v[42:43], v[42:43], v[46:47]
	v_add_f64 v[44:45], v[48:49], v[42:43]
	v_add_f64 v[46:47], v[44:45], -v[48:49]
	v_add_f64 v[42:43], v[42:43], -v[46:47]
	v_add_f64 v[40:41], v[40:41], v[42:43]
	v_add_f64 v[42:43], v[44:45], v[40:41]
	v_add_f64 v[44:45], v[42:43], -v[44:45]
	v_add_f64 v[40:41], v[40:41], -v[44:45]
	v_cvt_f64_i32_e32 v[44:45], v13
	v_mul_f64 v[46:47], v[44:45], s[50:51]
	v_fma_f64 v[48:49], v[44:45], s[50:51], -v[46:47]
	v_fma_f64 v[44:45], v[44:45], s[52:53], v[48:49]
	v_add_f64 v[48:49], v[46:47], v[44:45]
	v_add_f64 v[46:47], v[48:49], -v[46:47]
	v_add_f64 v[44:45], v[44:45], -v[46:47]
	v_add_f64 v[46:47], v[48:49], v[42:43]
	v_add_f64 v[72:73], v[46:47], -v[48:49]
	v_add_f64 v[74:75], v[46:47], -v[72:73]
	;; [unrolled: 1-line block ×4, first 2 shown]
	v_add_f64 v[42:43], v[42:43], v[48:49]
	v_add_f64 v[48:49], v[44:45], v[40:41]
	v_add_f64 v[72:73], v[48:49], -v[44:45]
	v_add_f64 v[42:43], v[48:49], v[42:43]
	v_add_f64 v[74:75], v[48:49], -v[72:73]
	v_add_f64 v[40:41], v[40:41], -v[72:73]
	;; [unrolled: 1-line block ×3, first 2 shown]
	v_add_f64 v[40:41], v[40:41], v[44:45]
	v_add_f64 v[44:45], v[46:47], v[42:43]
	v_add_f64 v[46:47], v[44:45], -v[46:47]
	v_add_f64 v[42:43], v[42:43], -v[46:47]
	v_add_f64 v[40:41], v[40:41], v[42:43]
	v_add_f64 v[40:41], v[44:45], v[40:41]
	v_cndmask_b32_e32 v13, v40, v14, vcc
	v_cndmask_b32_e32 v16, v41, v15, vcc
	v_cmp_ngt_f64_e32 vcc, 0, v[14:15]
	v_cndmask_b32_e32 v16, v66, v16, vcc
	v_cmp_nge_f64_e32 vcc, 0, v[14:15]
	v_cndmask_b32_e32 v13, 0, v13, vcc
	v_cmp_neq_f64_e32 vcc, 0, v[14:15]
	v_cndmask_b32_e32 v14, v65, v16, vcc
	v_min_f64 v[15:16], v[38:39], v[36:37]
	v_div_scale_f64 v[36:37], s[96:97], v[34:35], v[34:35], v[15:16]
	s_mov_b32 s96, 0xb5e68a13
	s_mov_b32 s97, 0x3eeba404
	v_rcp_f64_e32 v[38:39], v[36:37]
	v_fma_f64 v[40:41], -v[36:37], v[38:39], 1.0
	v_fma_f64 v[38:39], v[38:39], v[40:41], v[38:39]
	v_fma_f64 v[40:41], -v[36:37], v[38:39], 1.0
	v_fma_f64 v[38:39], v[38:39], v[40:41], v[38:39]
	v_div_scale_f64 v[40:41], vcc, v[15:16], v[34:35], v[15:16]
	v_mul_f64 v[42:43], v[40:41], v[38:39]
	v_fma_f64 v[36:37], -v[36:37], v[42:43], v[40:41]
	s_nop 1
	v_div_fmas_f64 v[36:37], v[36:37], v[38:39], v[42:43]
	v_div_fixup_f64 v[15:16], v[36:37], v[34:35], v[15:16]
	v_mul_f64 v[34:35], v[15:16], v[15:16]
	v_fma_f64 v[36:37], v[34:35], s[96:97], v[32:33]
	s_mov_b32 s96, 0x69efb384
	s_mov_b32 s97, 0x3f4b2bb0
	v_fma_f64 v[36:37], v[34:35], v[36:37], s[96:97]
	s_mov_b32 s96, 0xaf56de9b
	s_mov_b32 s97, 0xbf67952d
	;; [unrolled: 3-line block ×11, first 2 shown]
	v_fma_f64 v[36:37], v[34:35], v[36:37], s[96:97]
	v_fma_f64 v[36:37], v[34:35], v[36:37], s[58:59]
	v_fma_f64 v[36:37], v[34:35], v[36:37], s[60:61]
	v_fma_f64 v[36:37], v[34:35], v[36:37], s[62:63]
	v_fma_f64 v[36:37], v[34:35], v[36:37], s[64:65]
	v_fma_f64 v[36:37], v[34:35], v[36:37], s[66:67]
	v_fma_f64 v[36:37], v[34:35], v[36:37], s[68:69]
	v_fma_f64 v[36:37], v[34:35], v[36:37], s[70:71]
	v_mul_f64 v[34:35], v[34:35], v[36:37]
	v_fma_f64 v[15:16], v[15:16], v[34:35], v[15:16]
.LBB48_197:                             ;   in Loop: Header=BB48_4 Depth=1
	s_or_b64 exec, exec, s[90:91]
                                        ; implicit-def: $vgpr38_vgpr39
                                        ; implicit-def: $vgpr36_vgpr37
                                        ; implicit-def: $vgpr34_vgpr35
.LBB48_198:                             ;   in Loop: Header=BB48_4 Depth=1
	s_andn2_saveexec_b64 s[88:89], s[88:89]
	s_cbranch_execz .LBB48_200
; %bb.199:                              ;   in Loop: Header=BB48_4 Depth=1
	s_waitcnt lgkmcnt(0)
	v_div_scale_f64 v[13:14], s[90:91], s[76:77], s[76:77], v[17:18]
	s_mov_b32 s39, s81
	s_andn2_b64 s[18:19], s[18:19], exec
	v_rcp_f64_e32 v[15:16], v[13:14]
	v_fma_f64 v[40:41], -v[13:14], v[15:16], 1.0
	v_fma_f64 v[15:16], v[15:16], v[40:41], v[15:16]
	v_fma_f64 v[40:41], -v[13:14], v[15:16], 1.0
	v_fma_f64 v[15:16], v[15:16], v[40:41], v[15:16]
	v_div_scale_f64 v[40:41], vcc, v[17:18], s[76:77], v[17:18]
	v_mul_f64 v[42:43], v[40:41], v[15:16]
	v_fma_f64 v[13:14], -v[13:14], v[42:43], v[40:41]
	s_nop 1
	v_div_fmas_f64 v[13:14], v[13:14], v[15:16], v[42:43]
	v_div_scale_f64 v[15:16], s[90:91], s[76:77], s[76:77], v[19:20]
	v_div_fixup_f64 v[13:14], v[13:14], s[76:77], v[17:18]
	v_rcp_f64_e32 v[40:41], v[15:16]
	v_cmp_class_f64_e64 s[90:91], v[13:14], s56
	v_fma_f64 v[42:43], -v[15:16], v[40:41], 1.0
	v_fma_f64 v[40:41], v[40:41], v[42:43], v[40:41]
	v_fma_f64 v[42:43], -v[15:16], v[40:41], 1.0
	v_fma_f64 v[40:41], v[40:41], v[42:43], v[40:41]
	v_div_scale_f64 v[42:43], vcc, v[19:20], s[76:77], v[19:20]
	v_mul_f64 v[44:45], v[42:43], v[40:41]
	v_fma_f64 v[15:16], -v[15:16], v[44:45], v[42:43]
	s_nop 1
	v_div_fmas_f64 v[15:16], v[15:16], v[40:41], v[44:45]
	v_div_fixup_f64 v[15:16], v[15:16], s[76:77], v[19:20]
	v_max_f64 v[40:41], |v[13:14]|, |v[15:16]|
	v_cmp_class_f64_e64 s[92:93], v[15:16], s56
	v_frexp_exp_i32_f64_e32 v48, v[40:41]
	v_sub_u32_e32 v42, 0, v48
	v_ldexp_f64 v[40:41], |v[13:14]|, v42
	v_ldexp_f64 v[42:43], |v[15:16]|, v42
	v_mul_f64 v[42:43], v[42:43], v[42:43]
	v_fma_f64 v[40:41], v[40:41], v[40:41], v[42:43]
	v_rsq_f64_e32 v[42:43], v[40:41]
	v_cmp_eq_f64_e32 vcc, 0, v[40:41]
	v_mul_f64 v[44:45], v[40:41], v[42:43]
	v_mul_f64 v[42:43], v[42:43], 0.5
	v_fma_f64 v[46:47], -v[42:43], v[44:45], 0.5
	v_fma_f64 v[44:45], v[44:45], v[46:47], v[44:45]
	v_fma_f64 v[42:43], v[42:43], v[46:47], v[42:43]
	v_fma_f64 v[46:47], -v[44:45], v[44:45], v[40:41]
	v_fma_f64 v[42:43], v[46:47], v[42:43], v[44:45]
	v_cndmask_b32_e32 v41, v43, v41, vcc
	v_cndmask_b32_e32 v40, v42, v40, vcc
	v_ldexp_f64 v[40:41], v[40:41], v48
	s_or_b64 vcc, s[92:93], s[90:91]
	v_cmp_class_f64_e64 s[92:93], v[17:18], s56
	v_cndmask_b32_e32 v15, v41, v61, vcc
	v_cndmask_b32_e64 v14, v40, 0, vcc
	v_frexp_mant_f64_e32 v[40:41], v[14:15]
	v_frexp_exp_i32_f64_e32 v13, v[14:15]
	v_cmp_gt_f64_e32 vcc, s[80:81], v[40:41]
	v_cndmask_b32_e64 v16, 0, 1, vcc
	v_ldexp_f64 v[40:41], v[40:41], v16
	v_subbrev_co_u32_e32 v13, vcc, 0, v13, vcc
	v_cmp_class_f64_e64 vcc, v[14:15], s56
	v_add_f64 v[44:45], v[40:41], 1.0
	v_add_f64 v[42:43], v[40:41], -1.0
	v_add_f64 v[46:47], v[44:45], -1.0
	v_add_f64 v[40:41], v[40:41], -v[46:47]
	v_rcp_f64_e32 v[46:47], v[44:45]
	v_fma_f64 v[48:49], -v[44:45], v[46:47], 1.0
	v_fma_f64 v[46:47], v[48:49], v[46:47], v[46:47]
	v_fma_f64 v[48:49], -v[44:45], v[46:47], 1.0
	v_fma_f64 v[46:47], v[48:49], v[46:47], v[46:47]
	v_mul_f64 v[48:49], v[42:43], v[46:47]
	v_mul_f64 v[72:73], v[44:45], v[48:49]
	v_fma_f64 v[44:45], v[48:49], v[44:45], -v[72:73]
	v_fma_f64 v[40:41], v[48:49], v[40:41], v[44:45]
	v_add_f64 v[44:45], v[72:73], v[40:41]
	v_add_f64 v[74:75], v[42:43], -v[44:45]
	v_add_f64 v[72:73], v[44:45], -v[72:73]
	;; [unrolled: 1-line block ×5, first 2 shown]
	v_add_f64 v[40:41], v[40:41], v[42:43]
	v_add_f64 v[40:41], v[74:75], v[40:41]
	v_mul_f64 v[40:41], v[46:47], v[40:41]
	v_add_f64 v[42:43], v[48:49], v[40:41]
	v_add_f64 v[44:45], v[42:43], -v[48:49]
	v_ldexp_f64 v[48:49], v[42:43], 1
	v_add_f64 v[40:41], v[40:41], -v[44:45]
	v_mul_f64 v[44:45], v[42:43], v[42:43]
	v_ldexp_f64 v[40:41], v[40:41], 1
	v_fma_f64 v[46:47], v[44:45], s[40:41], v[26:27]
	v_mul_f64 v[42:43], v[42:43], v[44:45]
	v_fma_f64 v[46:47], v[44:45], v[46:47], s[42:43]
	v_fma_f64 v[46:47], v[44:45], v[46:47], s[44:45]
	;; [unrolled: 1-line block ×5, first 2 shown]
	v_mul_f64 v[42:43], v[42:43], v[46:47]
	v_add_f64 v[44:45], v[48:49], v[42:43]
	v_add_f64 v[46:47], v[44:45], -v[48:49]
	v_add_f64 v[42:43], v[42:43], -v[46:47]
	v_add_f64 v[40:41], v[40:41], v[42:43]
	v_add_f64 v[42:43], v[44:45], v[40:41]
	v_add_f64 v[44:45], v[42:43], -v[44:45]
	v_add_f64 v[40:41], v[40:41], -v[44:45]
	v_cvt_f64_i32_e32 v[44:45], v13
	v_mul_f64 v[46:47], v[44:45], s[50:51]
	v_fma_f64 v[48:49], v[44:45], s[50:51], -v[46:47]
	v_fma_f64 v[44:45], v[44:45], s[52:53], v[48:49]
	v_add_f64 v[48:49], v[46:47], v[44:45]
	v_add_f64 v[46:47], v[48:49], -v[46:47]
	v_add_f64 v[44:45], v[44:45], -v[46:47]
	v_add_f64 v[46:47], v[48:49], v[42:43]
	v_add_f64 v[72:73], v[46:47], -v[48:49]
	v_add_f64 v[74:75], v[46:47], -v[72:73]
	v_add_f64 v[42:43], v[42:43], -v[72:73]
	v_add_f64 v[48:49], v[48:49], -v[74:75]
	v_add_f64 v[42:43], v[42:43], v[48:49]
	v_add_f64 v[48:49], v[44:45], v[40:41]
	v_add_f64 v[72:73], v[48:49], -v[44:45]
	v_add_f64 v[42:43], v[48:49], v[42:43]
	v_add_f64 v[74:75], v[48:49], -v[72:73]
	v_add_f64 v[40:41], v[40:41], -v[72:73]
	;; [unrolled: 1-line block ×3, first 2 shown]
	v_add_f64 v[40:41], v[40:41], v[44:45]
	v_add_f64 v[44:45], v[46:47], v[42:43]
	v_add_f64 v[46:47], v[44:45], -v[46:47]
	v_add_f64 v[42:43], v[42:43], -v[46:47]
	v_add_f64 v[40:41], v[40:41], v[42:43]
	v_add_f64 v[40:41], v[44:45], v[40:41]
	v_cndmask_b32_e32 v41, v41, v15, vcc
	v_cndmask_b32_e32 v40, v40, v14, vcc
	v_add_f64 v[40:41], v[40:41], 1.0
	v_cmp_ngt_f64_e32 vcc, 0, v[14:15]
	v_cndmask_b32_e32 v16, v66, v41, vcc
	v_cmp_nge_f64_e32 vcc, 0, v[14:15]
	v_cndmask_b32_e32 v13, 0, v40, vcc
	v_cmp_neq_f64_e32 vcc, 0, v[14:15]
	v_cndmask_b32_e32 v14, v65, v16, vcc
	v_min_f64 v[15:16], v[38:39], v[36:37]
	v_div_scale_f64 v[36:37], s[90:91], v[34:35], v[34:35], v[15:16]
	s_mov_b32 s90, 0xb5e68a13
	s_mov_b32 s91, 0x3eeba404
	v_rcp_f64_e32 v[38:39], v[36:37]
	v_fma_f64 v[40:41], -v[36:37], v[38:39], 1.0
	v_fma_f64 v[38:39], v[38:39], v[40:41], v[38:39]
	v_fma_f64 v[40:41], -v[36:37], v[38:39], 1.0
	v_fma_f64 v[38:39], v[38:39], v[40:41], v[38:39]
	v_div_scale_f64 v[40:41], vcc, v[15:16], v[34:35], v[15:16]
	v_mul_f64 v[42:43], v[40:41], v[38:39]
	v_fma_f64 v[36:37], -v[36:37], v[42:43], v[40:41]
	s_nop 1
	v_div_fmas_f64 v[36:37], v[36:37], v[38:39], v[42:43]
	v_div_fixup_f64 v[15:16], v[36:37], v[34:35], v[15:16]
	v_mul_f64 v[34:35], v[15:16], v[15:16]
	v_fma_f64 v[36:37], v[34:35], s[90:91], v[32:33]
	s_mov_b32 s90, 0x69efb384
	s_mov_b32 s91, 0x3f4b2bb0
	v_fma_f64 v[36:37], v[34:35], v[36:37], s[90:91]
	s_mov_b32 s90, 0xaf56de9b
	s_mov_b32 s91, 0xbf67952d
	;; [unrolled: 3-line block ×11, first 2 shown]
	v_fma_f64 v[36:37], v[34:35], v[36:37], s[90:91]
	v_cmp_class_f64_e64 s[90:91], v[19:20], s56
	v_fma_f64 v[36:37], v[34:35], v[36:37], s[58:59]
	s_and_b64 s[90:91], s[90:91], s[92:93]
	s_and_b64 s[90:91], s[90:91], exec
	s_or_b64 s[18:19], s[18:19], s[90:91]
	v_fma_f64 v[36:37], v[34:35], v[36:37], s[60:61]
	v_fma_f64 v[36:37], v[34:35], v[36:37], s[62:63]
	;; [unrolled: 1-line block ×6, first 2 shown]
	v_mul_f64 v[34:35], v[34:35], v[36:37]
	v_fma_f64 v[15:16], v[15:16], v[34:35], v[15:16]
.LBB48_200:                             ;   in Loop: Header=BB48_4 Depth=1
	s_or_b64 exec, exec, s[88:89]
	v_add_f64 v[34:35], -v[15:16], s[4:5]
	s_mov_b32 s72, s4
	v_cmp_gt_i32_e32 vcc, 0, v18
	v_cndmask_b32_e32 v17, v68, v69, vcc
	v_cndmask_b32_e64 v35, v16, v35, s[16:17]
	v_cndmask_b32_e64 v34, v15, v34, s[16:17]
	v_add_f64 v[36:37], -v[34:35], s[72:73]
	v_cmp_eq_f64_e64 s[16:17], 0, v[19:20]
	s_waitcnt lgkmcnt(0)
	v_add_f64 v[15:16], v[13:14], s[50:51]
	v_ashrrev_i32_e32 v13, 31, v18
	v_and_b32_e32 v14, 0x54442d18, v13
	v_cndmask_b32_e32 v19, v70, v71, vcc
	v_bfi_b32 v19, s55, v19, v20
	v_cndmask_b32_e32 v18, v34, v36, vcc
	v_and_b32_e32 v34, 0x400921fb, v13
	v_cndmask_b32_e32 v35, v35, v37, vcc
	v_cndmask_b32_e64 v13, v18, v14, s[16:17]
	v_cndmask_b32_e64 v14, v35, v34, s[16:17]
	v_xor_b32_e32 v20, 0x80000000, v16
	v_cndmask_b32_e64 v14, v14, v19, s[18:19]
	v_cndmask_b32_e64 v13, v13, v17, s[18:19]
	v_and_b32_e32 v14, 0x7fffffff, v14
	v_cndmask_b32_e64 v16, v20, v16, s[14:15]
.LBB48_201:                             ;   in Loop: Header=BB48_4 Depth=1
	s_or_b64 exec, exec, s[86:87]
                                        ; implicit-def: $vgpr19_vgpr20
.LBB48_202:                             ;   in Loop: Header=BB48_4 Depth=1
	s_andn2_saveexec_b64 s[14:15], s[84:85]
	s_cbranch_execz .LBB48_216
; %bb.203:                              ;   in Loop: Header=BB48_4 Depth=1
	v_cmp_neq_f64_e64 s[16:17], |v[17:18]|, s[74:75]
                                        ; implicit-def: $vgpr15_vgpr16
	s_and_saveexec_b64 s[18:19], s[16:17]
	s_xor_b64 s[16:17], exec, s[18:19]
	s_cbranch_execz .LBB48_213
; %bb.204:                              ;   in Loop: Header=BB48_4 Depth=1
	v_cmp_neq_f64_e64 s[18:19], |v[19:20]|, s[74:75]
	s_waitcnt lgkmcnt(0)
	v_xor_b32_e32 v16, 0x80000000, v20
	v_mov_b32_e32 v15, v19
	s_and_saveexec_b64 s[84:85], s[18:19]
	s_xor_b64 s[18:19], exec, s[84:85]
	s_cbranch_execz .LBB48_210
; %bb.205:                              ;   in Loop: Header=BB48_4 Depth=1
	v_cmp_neq_f64_e32 vcc, 0, v[17:18]
                                        ; implicit-def: $vgpr15_vgpr16
	s_and_saveexec_b64 s[84:85], vcc
	s_xor_b64 s[84:85], exec, s[84:85]
	s_cbranch_execz .LBB48_207
; %bb.206:                              ;   in Loop: Header=BB48_4 Depth=1
	v_add_f64 v[13:14], v[19:20], 0
                                        ; implicit-def: $vgpr19_vgpr20
	v_add_f64 v[15:16], v[17:18], v[13:14]
.LBB48_207:                             ;   in Loop: Header=BB48_4 Depth=1
	s_or_saveexec_b64 s[84:85], s[84:85]
	v_mov_b32_e32 v13, v15
	v_mov_b32_e32 v14, v16
	s_xor_b64 exec, exec, s[84:85]
	s_cbranch_execz .LBB48_209
; %bb.208:                              ;   in Loop: Header=BB48_4 Depth=1
	v_mov_b32_e32 v13, s24
	v_mov_b32_e32 v14, s25
	flat_load_dwordx2 v[13:14], v[13:14] glc
	s_waitcnt vmcnt(0)
	v_add_f64 v[15:16], v[19:20], v[19:20]
	s_waitcnt lgkmcnt(0)
	v_add_f64 v[13:14], v[13:14], s[4:5]
.LBB48_209:                             ;   in Loop: Header=BB48_4 Depth=1
	s_or_b64 exec, exec, s[84:85]
                                        ; implicit-def: $vgpr17_vgpr18
.LBB48_210:                             ;   in Loop: Header=BB48_4 Depth=1
	s_andn2_saveexec_b64 s[18:19], s[18:19]
; %bb.211:                              ;   in Loop: Header=BB48_4 Depth=1
	v_add_f64 v[13:14], v[17:18], v[17:18]
; %bb.212:                              ;   in Loop: Header=BB48_4 Depth=1
	s_or_b64 exec, exec, s[18:19]
                                        ; implicit-def: $vgpr19_vgpr20
.LBB48_213:                             ;   in Loop: Header=BB48_4 Depth=1
	s_andn2_saveexec_b64 s[16:17], s[16:17]
	s_cbranch_execz .LBB48_215
; %bb.214:                              ;   in Loop: Header=BB48_4 Depth=1
	s_waitcnt lgkmcnt(0)
	v_add_f64 v[13:14], v[19:20], v[19:20]
	v_mov_b32_e32 v15, 0
	v_mov_b32_e32 v16, 0xfff00000
.LBB48_215:                             ;   in Loop: Header=BB48_4 Depth=1
	s_or_b64 exec, exec, s[16:17]
.LBB48_216:                             ;   in Loop: Header=BB48_4 Depth=1
	s_or_b64 exec, exec, s[14:15]
	v_cmp_o_f64_e32 vcc, v[9:10], v[11:12]
	v_mov_b32_e32 v17, s24
	v_mov_b32_e32 v18, s25
	flat_store_dwordx2 v[17:18], v[24:25]
	s_waitcnt vmcnt(0)
                                        ; implicit-def: $vgpr19_vgpr20
	s_and_saveexec_b64 s[14:15], vcc
	s_xor_b64 s[84:85], exec, s[14:15]
	s_cbranch_execz .LBB48_304
; %bb.217:                              ;   in Loop: Header=BB48_4 Depth=1
	v_max_f64 v[38:39], |v[9:10]|, |v[9:10]|
	v_max_f64 v[36:37], |v[11:12]|, |v[11:12]|
	v_cmp_gt_i64_e64 s[14:15], 0, v[11:12]
                                        ; implicit-def: $vgpr19_vgpr20
	v_max_f64 v[34:35], v[36:37], v[38:39]
	v_cmp_nlt_f64_e32 vcc, s[36:37], v[34:35]
	s_and_saveexec_b64 s[16:17], vcc
	s_xor_b64 s[86:87], exec, s[16:17]
	s_cbranch_execz .LBB48_293
; %bb.218:                              ;   in Loop: Header=BB48_4 Depth=1
	v_cmp_neq_f64_e32 vcc, 1.0, v[9:10]
	v_cmp_neq_f64_e64 s[16:17], 0, v[11:12]
	v_xor_b32_e32 v20, 0x80000000, v12
	v_mov_b32_e32 v19, v11
	s_or_b64 s[16:17], s[16:17], vcc
	s_and_saveexec_b64 s[18:19], s[16:17]
	s_xor_b64 s[88:89], exec, s[18:19]
	s_cbranch_execz .LBB48_290
; %bb.219:                              ;   in Loop: Header=BB48_4 Depth=1
	v_mov_b32_e32 v17, s30
	v_mov_b32_e32 v18, s31
	flat_store_dword v[17:18], v59
	s_waitcnt vmcnt(0)
	flat_load_dword v17, v[17:18] glc
	s_waitcnt vmcnt(0)
	v_cmp_nlt_f64_e64 s[16:17], |v[9:10]|, s[98:99]
	v_cmp_nlt_f64_e64 s[18:19], |v[11:12]|, s[98:99]
	s_or_b64 s[16:17], s[18:19], s[16:17]
	s_waitcnt lgkmcnt(0)
	v_add_f32_e32 v19, 1.0, v17
	v_mov_b32_e32 v17, s34
	v_mov_b32_e32 v18, s35
	flat_store_dword v[17:18], v19
	s_waitcnt vmcnt(0)
	flat_load_dword v17, v[17:18] glc
	s_waitcnt vmcnt(0)
	v_mov_b32_e32 v19, v11
	s_and_saveexec_b64 s[18:19], s[16:17]
	s_xor_b64 s[90:91], exec, s[18:19]
	s_cbranch_execz .LBB48_287
; %bb.220:                              ;   in Loop: Header=BB48_4 Depth=1
	s_waitcnt lgkmcnt(0)
	v_add_f64 v[17:18], |v[9:10]|, 1.0
	s_mov_b32 s16, 0
	s_mov_b32 s17, 0x40240000
	v_max_f64 v[19:20], v[36:37], v[17:18]
	v_frexp_exp_i32_f64_e32 v42, v[19:20]
	v_sub_u32_e32 v34, 0, v42
	v_ldexp_f64 v[19:20], |v[11:12]|, v34
	v_ldexp_f64 v[34:35], v[17:18], v34
	v_mul_f64 v[34:35], v[34:35], v[34:35]
	v_fma_f64 v[19:20], v[19:20], v[19:20], v[34:35]
	v_rsq_f64_e32 v[34:35], v[19:20]
	v_cmp_eq_f64_e32 vcc, 0, v[19:20]
	v_mul_f64 v[38:39], v[19:20], v[34:35]
	v_mul_f64 v[34:35], v[34:35], 0.5
	v_fma_f64 v[40:41], -v[34:35], v[38:39], 0.5
	v_fma_f64 v[38:39], v[38:39], v[40:41], v[38:39]
	v_fma_f64 v[34:35], v[34:35], v[40:41], v[34:35]
	v_fma_f64 v[40:41], -v[38:39], v[38:39], v[19:20]
	v_fma_f64 v[34:35], v[40:41], v[34:35], v[38:39]
	v_cndmask_b32_e32 v20, v35, v20, vcc
	v_cndmask_b32_e32 v19, v34, v19, vcc
	v_ldexp_f64 v[19:20], v[19:20], v42
	v_cmp_neq_f64_e32 vcc, s[74:75], v[17:18]
	v_add_f64 v[34:35], |v[9:10]|, -1.0
	v_cndmask_b32_e32 v39, v61, v20, vcc
	v_cndmask_b32_e32 v38, 0, v19, vcc
	v_max_f64 v[19:20], v[36:37], |v[34:35]|
	v_frexp_exp_i32_f64_e32 v44, v[19:20]
	v_sub_u32_e32 v36, 0, v44
	v_ldexp_f64 v[19:20], |v[11:12]|, v36
	v_ldexp_f64 v[36:37], |v[34:35]|, v36
	v_mul_f64 v[36:37], v[36:37], v[36:37]
	v_fma_f64 v[19:20], v[19:20], v[19:20], v[36:37]
	v_rsq_f64_e32 v[36:37], v[19:20]
	v_cmp_eq_f64_e32 vcc, 0, v[19:20]
	v_mul_f64 v[40:41], v[19:20], v[36:37]
	v_mul_f64 v[36:37], v[36:37], 0.5
	v_fma_f64 v[42:43], -v[36:37], v[40:41], 0.5
	v_fma_f64 v[40:41], v[40:41], v[42:43], v[40:41]
	v_fma_f64 v[36:37], v[36:37], v[42:43], v[36:37]
	v_fma_f64 v[42:43], -v[40:41], v[40:41], v[19:20]
	v_fma_f64 v[36:37], v[42:43], v[36:37], v[40:41]
	v_cndmask_b32_e32 v20, v37, v20, vcc
	v_cndmask_b32_e32 v19, v36, v19, vcc
	v_ldexp_f64 v[19:20], v[19:20], v44
	v_cmp_neq_f64_e64 vcc, |v[34:35]|, s[74:75]
	v_cndmask_b32_e32 v41, v61, v20, vcc
	v_cndmask_b32_e32 v40, 0, v19, vcc
	v_add_f64 v[19:20], v[38:39], v[40:41]
	v_mul_f64 v[19:20], v[19:20], 0.5
	v_cmp_ngt_f64_e32 vcc, 1.0, v[19:20]
	v_cndmask_b32_e32 v37, v62, v20, vcc
	v_cndmask_b32_e32 v36, 0, v19, vcc
	v_cmp_ngt_f64_e32 vcc, s[16:17], v[36:37]
                                        ; implicit-def: $vgpr19_vgpr20
	s_and_saveexec_b64 s[16:17], vcc
	s_xor_b64 s[16:17], exec, s[16:17]
	s_cbranch_execz .LBB48_222
; %bb.221:                              ;   in Loop: Header=BB48_4 Depth=1
	v_fma_f64 v[19:20], v[36:37], v[36:37], -1.0
	s_mov_b32 s18, 0
	s_brev_b32 s19, 8
	s_mov_b32 s39, s81
	v_cmp_gt_f64_e32 vcc, s[18:19], v[19:20]
	v_cndmask_b32_e32 v42, 0, v63, vcc
	v_ldexp_f64 v[19:20], v[19:20], v42
	v_rsq_f64_e32 v[42:43], v[19:20]
	v_mul_f64 v[44:45], v[19:20], v[42:43]
	v_mul_f64 v[42:43], v[42:43], 0.5
	v_fma_f64 v[46:47], -v[42:43], v[44:45], 0.5
	v_fma_f64 v[44:45], v[44:45], v[46:47], v[44:45]
	v_fma_f64 v[42:43], v[42:43], v[46:47], v[42:43]
	v_fma_f64 v[48:49], -v[44:45], v[44:45], v[19:20]
	v_fma_f64 v[44:45], v[48:49], v[42:43], v[44:45]
	v_fma_f64 v[46:47], -v[44:45], v[44:45], v[19:20]
	v_fma_f64 v[42:43], v[46:47], v[42:43], v[44:45]
	v_cndmask_b32_e32 v44, 0, v64, vcc
	v_cmp_class_f64_e32 vcc, v[19:20], v60
	v_ldexp_f64 v[42:43], v[42:43], v44
	v_cndmask_b32_e32 v20, v43, v20, vcc
	v_cndmask_b32_e32 v19, v42, v19, vcc
	v_add_f64 v[19:20], v[36:37], v[19:20]
	v_frexp_mant_f64_e32 v[42:43], v[19:20]
	v_frexp_exp_i32_f64_e32 v44, v[19:20]
	v_cmp_gt_f64_e32 vcc, s[80:81], v[42:43]
	v_cndmask_b32_e64 v45, 0, 1, vcc
	v_ldexp_f64 v[42:43], v[42:43], v45
	v_subbrev_co_u32_e32 v78, vcc, 0, v44, vcc
	v_cmp_class_f64_e64 vcc, v[19:20], s56
	v_add_f64 v[46:47], v[42:43], 1.0
	v_add_f64 v[44:45], v[42:43], -1.0
	v_add_f64 v[48:49], v[46:47], -1.0
	v_add_f64 v[42:43], v[42:43], -v[48:49]
	v_rcp_f64_e32 v[48:49], v[46:47]
	v_fma_f64 v[72:73], -v[46:47], v[48:49], 1.0
	v_fma_f64 v[48:49], v[72:73], v[48:49], v[48:49]
	v_fma_f64 v[72:73], -v[46:47], v[48:49], 1.0
	v_fma_f64 v[48:49], v[72:73], v[48:49], v[48:49]
	v_mul_f64 v[72:73], v[44:45], v[48:49]
	v_mul_f64 v[74:75], v[46:47], v[72:73]
	v_fma_f64 v[46:47], v[72:73], v[46:47], -v[74:75]
	v_fma_f64 v[42:43], v[72:73], v[42:43], v[46:47]
	v_add_f64 v[46:47], v[74:75], v[42:43]
	v_add_f64 v[76:77], v[44:45], -v[46:47]
	v_add_f64 v[74:75], v[46:47], -v[74:75]
	;; [unrolled: 1-line block ×5, first 2 shown]
	v_add_f64 v[42:43], v[42:43], v[44:45]
	v_add_f64 v[42:43], v[76:77], v[42:43]
	v_mul_f64 v[42:43], v[48:49], v[42:43]
	v_add_f64 v[44:45], v[72:73], v[42:43]
	v_add_f64 v[46:47], v[44:45], -v[72:73]
	v_ldexp_f64 v[72:73], v[44:45], 1
	v_add_f64 v[42:43], v[42:43], -v[46:47]
	v_mul_f64 v[46:47], v[44:45], v[44:45]
	v_ldexp_f64 v[42:43], v[42:43], 1
	v_fma_f64 v[48:49], v[46:47], s[40:41], v[26:27]
	v_mul_f64 v[44:45], v[44:45], v[46:47]
	v_fma_f64 v[48:49], v[46:47], v[48:49], s[42:43]
	v_fma_f64 v[48:49], v[46:47], v[48:49], s[44:45]
	v_fma_f64 v[48:49], v[46:47], v[48:49], s[46:47]
	v_fma_f64 v[48:49], v[46:47], v[48:49], s[48:49]
	v_fma_f64 v[48:49], v[46:47], v[48:49], s[38:39]
	v_mul_f64 v[44:45], v[44:45], v[48:49]
	v_add_f64 v[46:47], v[72:73], v[44:45]
	v_add_f64 v[48:49], v[46:47], -v[72:73]
	v_add_f64 v[44:45], v[44:45], -v[48:49]
	v_add_f64 v[42:43], v[42:43], v[44:45]
	v_add_f64 v[44:45], v[46:47], v[42:43]
	v_add_f64 v[46:47], v[44:45], -v[46:47]
	v_add_f64 v[42:43], v[42:43], -v[46:47]
	v_cvt_f64_i32_e32 v[46:47], v78
	v_mul_f64 v[48:49], v[46:47], s[50:51]
	v_fma_f64 v[72:73], v[46:47], s[50:51], -v[48:49]
	v_fma_f64 v[46:47], v[46:47], s[52:53], v[72:73]
	v_add_f64 v[72:73], v[48:49], v[46:47]
	v_add_f64 v[48:49], v[72:73], -v[48:49]
	v_add_f64 v[46:47], v[46:47], -v[48:49]
	v_add_f64 v[48:49], v[72:73], v[44:45]
	v_add_f64 v[74:75], v[48:49], -v[72:73]
	v_add_f64 v[76:77], v[48:49], -v[74:75]
	;; [unrolled: 1-line block ×4, first 2 shown]
	v_add_f64 v[44:45], v[44:45], v[72:73]
	v_add_f64 v[72:73], v[46:47], v[42:43]
	v_add_f64 v[74:75], v[72:73], -v[46:47]
	v_add_f64 v[44:45], v[72:73], v[44:45]
	v_add_f64 v[76:77], v[72:73], -v[74:75]
	v_add_f64 v[42:43], v[42:43], -v[74:75]
	;; [unrolled: 1-line block ×3, first 2 shown]
	v_add_f64 v[42:43], v[42:43], v[46:47]
	v_add_f64 v[46:47], v[48:49], v[44:45]
	v_add_f64 v[48:49], v[46:47], -v[48:49]
	v_add_f64 v[44:45], v[44:45], -v[48:49]
	v_add_f64 v[42:43], v[42:43], v[44:45]
	v_add_f64 v[42:43], v[46:47], v[42:43]
	v_cndmask_b32_e32 v42, v42, v19, vcc
	v_cndmask_b32_e32 v43, v43, v20, vcc
	v_cmp_neq_f64_e32 vcc, 0, v[19:20]
	v_cndmask_b32_e32 v20, v65, v43, vcc
	v_cndmask_b32_e32 v19, 0, v42, vcc
.LBB48_222:                             ;   in Loop: Header=BB48_4 Depth=1
	s_or_saveexec_b64 s[18:19], s[16:17]
	v_and_b32_e32 v43, 0x7fffffff, v12
	v_mov_b32_e32 v42, v11
	s_xor_b64 exec, exec, s[18:19]
	s_cbranch_execz .LBB48_244
; %bb.223:                              ;   in Loop: Header=BB48_4 Depth=1
	s_mov_b32 s92, 0
	s_mov_b32 s93, 0x39000000
	v_cmp_neq_f64_e64 s[16:17], |v[9:10]|, 1.0
	v_cmp_nlt_f64_e64 s[92:93], |v[11:12]|, s[92:93]
                                        ; implicit-def: $vgpr19_vgpr20
	s_or_b64 s[16:17], s[92:93], s[16:17]
	s_and_saveexec_b64 s[92:93], s[16:17]
	s_xor_b64 s[92:93], exec, s[92:93]
	s_cbranch_execz .LBB48_241
; %bb.224:                              ;   in Loop: Header=BB48_4 Depth=1
	v_ldexp_f64 v[19:20], |v[34:35]|, s57
	v_cmp_ge_f64_e64 s[16:17], |v[11:12]|, v[19:20]
                                        ; implicit-def: $vgpr19_vgpr20
	s_and_saveexec_b64 s[94:95], s[16:17]
	s_xor_b64 s[94:95], exec, s[94:95]
	s_cbranch_execz .LBB48_234
; %bb.225:                              ;   in Loop: Header=BB48_4 Depth=1
	v_cmp_neq_f64_e32 vcc, 0, v[17:18]
	v_mov_b32_e32 v19, v42
	v_mov_b32_e32 v20, v43
	s_and_saveexec_b64 s[16:17], vcc
	s_cbranch_execz .LBB48_227
; %bb.226:                              ;   in Loop: Header=BB48_4 Depth=1
	v_mul_f64 v[19:20], v[11:12], v[11:12]
	v_add_f64 v[44:45], v[17:18], v[38:39]
	v_div_scale_f64 v[46:47], s[96:97], v[44:45], v[44:45], v[19:20]
	v_div_scale_f64 v[74:75], vcc, v[19:20], v[44:45], v[19:20]
	v_rcp_f64_e32 v[48:49], v[46:47]
	v_fma_f64 v[72:73], -v[46:47], v[48:49], 1.0
	v_fma_f64 v[48:49], v[48:49], v[72:73], v[48:49]
	v_fma_f64 v[72:73], -v[46:47], v[48:49], 1.0
	v_fma_f64 v[48:49], v[48:49], v[72:73], v[48:49]
	v_mul_f64 v[72:73], v[74:75], v[48:49]
	v_fma_f64 v[46:47], -v[46:47], v[72:73], v[74:75]
	v_div_fmas_f64 v[46:47], v[46:47], v[48:49], v[72:73]
	v_div_fixup_f64 v[19:20], v[46:47], v[44:45], v[19:20]
.LBB48_227:                             ;   in Loop: Header=BB48_4 Depth=1
	s_or_b64 exec, exec, s[16:17]
	v_add_f64 v[46:47], -|v[9:10]|, 1.0
                                        ; implicit-def: $vgpr44_vgpr45
	v_cmp_ngt_f64_e32 vcc, 0, v[46:47]
	s_and_saveexec_b64 s[16:17], vcc
	s_xor_b64 s[16:17], exec, s[16:17]
	s_cbranch_execz .LBB48_231
; %bb.228:                              ;   in Loop: Header=BB48_4 Depth=1
	v_cmp_neq_f64_e32 vcc, 0, v[46:47]
	v_mov_b32_e32 v45, v43
	v_mov_b32_e32 v44, v42
	s_and_saveexec_b64 s[96:97], vcc
	s_cbranch_execz .LBB48_230
; %bb.229:                              ;   in Loop: Header=BB48_4 Depth=1
	v_mul_f64 v[44:45], v[11:12], v[11:12]
	v_add_f64 v[46:47], v[46:47], v[40:41]
	v_div_scale_f64 v[48:49], s[98:99], v[46:47], v[46:47], v[44:45]
	v_div_scale_f64 v[76:77], vcc, v[44:45], v[46:47], v[44:45]
	v_rcp_f64_e32 v[72:73], v[48:49]
	v_fma_f64 v[74:75], -v[48:49], v[72:73], 1.0
	v_fma_f64 v[72:73], v[72:73], v[74:75], v[72:73]
	v_fma_f64 v[74:75], -v[48:49], v[72:73], 1.0
	v_fma_f64 v[72:73], v[72:73], v[74:75], v[72:73]
	v_mul_f64 v[74:75], v[76:77], v[72:73]
	v_fma_f64 v[48:49], -v[48:49], v[74:75], v[76:77]
	v_div_fmas_f64 v[48:49], v[48:49], v[72:73], v[74:75]
	v_div_fixup_f64 v[44:45], v[48:49], v[46:47], v[44:45]
.LBB48_230:                             ;   in Loop: Header=BB48_4 Depth=1
	s_or_b64 exec, exec, s[96:97]
	s_mov_b32 s98, 0x1409212f
	s_mov_b32 s99, 0x3e43988e
                                        ; implicit-def: $vgpr46_vgpr47
.LBB48_231:                             ;   in Loop: Header=BB48_4 Depth=1
	s_andn2_saveexec_b64 s[16:17], s[16:17]
; %bb.232:                              ;   in Loop: Header=BB48_4 Depth=1
	v_add_f64 v[44:45], v[40:41], -v[46:47]
; %bb.233:                              ;   in Loop: Header=BB48_4 Depth=1
	s_or_b64 exec, exec, s[16:17]
	v_mul_f64 v[44:45], v[44:45], 0.5
	s_mov_b32 s16, 0
	s_brev_b32 s17, 8
	s_mov_b32 s39, s81
	v_fma_f64 v[19:20], v[19:20], 0.5, v[44:45]
	v_add_f64 v[44:45], v[36:37], 1.0
	v_mul_f64 v[44:45], v[44:45], v[19:20]
	v_cmp_gt_f64_e32 vcc, s[16:17], v[44:45]
	v_cndmask_b32_e32 v46, 0, v63, vcc
	v_ldexp_f64 v[44:45], v[44:45], v46
	v_rsq_f64_e32 v[46:47], v[44:45]
	v_mul_f64 v[48:49], v[44:45], v[46:47]
	v_mul_f64 v[46:47], v[46:47], 0.5
	v_fma_f64 v[72:73], -v[46:47], v[48:49], 0.5
	v_fma_f64 v[48:49], v[48:49], v[72:73], v[48:49]
	v_fma_f64 v[46:47], v[46:47], v[72:73], v[46:47]
	v_fma_f64 v[74:75], -v[48:49], v[48:49], v[44:45]
	v_fma_f64 v[48:49], v[74:75], v[46:47], v[48:49]
	v_fma_f64 v[72:73], -v[48:49], v[48:49], v[44:45]
	v_fma_f64 v[46:47], v[72:73], v[46:47], v[48:49]
	v_cndmask_b32_e32 v48, 0, v64, vcc
	v_cmp_class_f64_e32 vcc, v[44:45], v60
	v_ldexp_f64 v[46:47], v[46:47], v48
	v_cndmask_b32_e32 v45, v47, v45, vcc
	v_cndmask_b32_e32 v44, v46, v44, vcc
	v_add_f64 v[44:45], v[19:20], v[44:45]
	v_add_f64 v[19:20], v[44:45], 1.0
	v_cmp_ngt_f64_e64 s[16:17], -1.0, v[44:45]
	v_add_f64 v[46:47], v[19:20], -1.0
	v_frexp_exp_i32_f64_e32 v72, v[19:20]
	v_add_f64 v[48:49], v[46:47], -v[19:20]
	v_add_f64 v[46:47], v[44:45], -v[46:47]
	v_add_f64 v[48:49], v[48:49], 1.0
	v_add_f64 v[46:47], v[46:47], v[48:49]
	v_frexp_mant_f64_e32 v[48:49], v[19:20]
	v_cmp_gt_f64_e32 vcc, s[80:81], v[48:49]
	v_subbrev_co_u32_e32 v86, vcc, 0, v72, vcc
	v_sub_u32_e32 v48, 0, v86
	v_ldexp_f64 v[19:20], v[19:20], v48
	v_ldexp_f64 v[46:47], v[46:47], v48
	v_cmp_neq_f64_e32 vcc, s[74:75], v[44:45]
	v_add_f64 v[48:49], v[19:20], -1.0
	v_add_f64 v[72:73], v[48:49], 1.0
	v_add_f64 v[72:73], v[19:20], -v[72:73]
	v_add_f64 v[72:73], v[46:47], v[72:73]
	v_add_f64 v[74:75], v[48:49], v[72:73]
	v_add_f64 v[48:49], v[74:75], -v[48:49]
	v_add_f64 v[48:49], v[72:73], -v[48:49]
	v_add_f64 v[72:73], v[19:20], 1.0
	v_add_f64 v[76:77], v[72:73], -1.0
	v_add_f64 v[19:20], v[19:20], -v[76:77]
	v_add_f64 v[19:20], v[46:47], v[19:20]
	v_add_f64 v[46:47], v[72:73], v[19:20]
	v_add_f64 v[72:73], v[46:47], -v[72:73]
	v_add_f64 v[19:20], v[19:20], -v[72:73]
	v_rcp_f64_e32 v[72:73], v[46:47]
	v_fma_f64 v[76:77], -v[46:47], v[72:73], 1.0
	v_fma_f64 v[72:73], v[76:77], v[72:73], v[72:73]
	v_fma_f64 v[76:77], -v[46:47], v[72:73], 1.0
	v_fma_f64 v[72:73], v[76:77], v[72:73], v[72:73]
	v_mul_f64 v[76:77], v[74:75], v[72:73]
	v_mul_f64 v[78:79], v[46:47], v[76:77]
	v_fma_f64 v[80:81], v[76:77], v[46:47], -v[78:79]
	v_fma_f64 v[80:81], v[76:77], v[19:20], v[80:81]
	v_add_f64 v[82:83], v[78:79], v[80:81]
	v_add_f64 v[84:85], v[74:75], -v[82:83]
	v_add_f64 v[78:79], v[82:83], -v[78:79]
	;; [unrolled: 1-line block ×4, first 2 shown]
	v_add_f64 v[48:49], v[48:49], v[74:75]
	v_add_f64 v[74:75], v[78:79], -v[80:81]
	v_add_f64 v[48:49], v[74:75], v[48:49]
	v_add_f64 v[74:75], v[84:85], v[48:49]
	v_add_f64 v[78:79], v[84:85], -v[74:75]
	v_add_f64 v[48:49], v[48:49], v[78:79]
	v_mul_f64 v[78:79], v[72:73], v[74:75]
	v_mul_f64 v[80:81], v[46:47], v[78:79]
	v_fma_f64 v[46:47], v[78:79], v[46:47], -v[80:81]
	v_fma_f64 v[19:20], v[78:79], v[19:20], v[46:47]
	v_add_f64 v[46:47], v[80:81], v[19:20]
	v_add_f64 v[82:83], v[74:75], -v[46:47]
	v_add_f64 v[80:81], v[46:47], -v[80:81]
	;; [unrolled: 1-line block ×5, first 2 shown]
	v_cvt_f64_i32_e32 v[74:75], v86
	v_add_f64 v[46:47], v[48:49], v[46:47]
	v_add_f64 v[19:20], v[19:20], v[46:47]
	;; [unrolled: 1-line block ×4, first 2 shown]
	v_add_f64 v[48:49], v[46:47], -v[76:77]
	v_mul_f64 v[76:77], v[74:75], s[50:51]
	v_mul_f64 v[19:20], v[72:73], v[19:20]
	v_add_f64 v[48:49], v[78:79], -v[48:49]
	v_fma_f64 v[78:79], v[74:75], s[50:51], -v[76:77]
	v_add_f64 v[19:20], v[48:49], v[19:20]
	v_fma_f64 v[74:75], v[74:75], s[52:53], v[78:79]
	v_add_f64 v[48:49], v[46:47], v[19:20]
	v_add_f64 v[78:79], v[76:77], v[74:75]
	v_add_f64 v[46:47], v[48:49], -v[46:47]
	v_add_f64 v[76:77], v[78:79], -v[76:77]
	;; [unrolled: 1-line block ×3, first 2 shown]
	v_mul_f64 v[46:47], v[48:49], v[48:49]
	v_add_f64 v[74:75], v[74:75], -v[76:77]
	v_ldexp_f64 v[76:77], v[48:49], 1
	v_ldexp_f64 v[19:20], v[19:20], 1
	v_fma_f64 v[72:73], v[46:47], s[40:41], v[26:27]
	v_fma_f64 v[72:73], v[46:47], v[72:73], s[42:43]
	;; [unrolled: 1-line block ×6, first 2 shown]
	v_mul_f64 v[46:47], v[48:49], v[46:47]
	v_mul_f64 v[46:47], v[46:47], v[72:73]
	v_add_f64 v[48:49], v[76:77], v[46:47]
	v_add_f64 v[72:73], v[48:49], -v[76:77]
	v_add_f64 v[46:47], v[46:47], -v[72:73]
	v_add_f64 v[19:20], v[19:20], v[46:47]
	v_add_f64 v[46:47], v[48:49], v[19:20]
	v_add_f64 v[48:49], v[46:47], -v[48:49]
	v_add_f64 v[19:20], v[19:20], -v[48:49]
	v_add_f64 v[48:49], v[78:79], v[46:47]
	v_add_f64 v[72:73], v[48:49], -v[78:79]
	v_add_f64 v[76:77], v[48:49], -v[72:73]
	;; [unrolled: 1-line block ×3, first 2 shown]
	v_add_f64 v[72:73], v[74:75], v[19:20]
	v_add_f64 v[76:77], v[78:79], -v[76:77]
	v_add_f64 v[46:47], v[46:47], v[76:77]
	v_add_f64 v[76:77], v[72:73], -v[74:75]
	;; [unrolled: 2-line block ×3, first 2 shown]
	v_add_f64 v[19:20], v[19:20], -v[76:77]
	v_add_f64 v[72:73], v[48:49], v[46:47]
	v_add_f64 v[74:75], v[74:75], -v[78:79]
	v_add_f64 v[48:49], v[72:73], -v[48:49]
	v_add_f64 v[19:20], v[19:20], v[74:75]
	v_add_f64 v[46:47], v[46:47], -v[48:49]
	v_add_f64 v[19:20], v[19:20], v[46:47]
	v_add_f64 v[19:20], v[72:73], v[19:20]
	v_cndmask_b32_e32 v20, v61, v20, vcc
	v_cndmask_b32_e64 v20, v66, v20, s[16:17]
	v_cmp_nge_f64_e64 s[16:17], -1.0, v[44:45]
	s_and_b64 vcc, s[16:17], vcc
	v_cndmask_b32_e32 v19, 0, v19, vcc
	v_cmp_neq_f64_e32 vcc, -1.0, v[44:45]
	v_cndmask_b32_e32 v20, v65, v20, vcc
.LBB48_234:                             ;   in Loop: Header=BB48_4 Depth=1
	s_andn2_saveexec_b64 s[94:95], s[94:95]
	s_cbranch_execz .LBB48_240
; %bb.235:                              ;   in Loop: Header=BB48_4 Depth=1
	v_cmp_nlt_f64_e64 s[16:17], |v[9:10]|, 1.0
                                        ; implicit-def: $vgpr19_vgpr20
	s_and_saveexec_b64 s[96:97], s[16:17]
	s_xor_b64 s[96:97], exec, s[96:97]
	s_cbranch_execz .LBB48_237
; %bb.236:                              ;   in Loop: Header=BB48_4 Depth=1
	v_mul_f64 v[19:20], v[34:35], v[17:18]
	s_mov_b32 s16, 0
	s_brev_b32 s17, 8
	s_mov_b32 s39, s81
	v_cmp_gt_f64_e32 vcc, s[16:17], v[19:20]
	v_cndmask_b32_e32 v44, 0, v63, vcc
	v_ldexp_f64 v[19:20], v[19:20], v44
	v_rsq_f64_e32 v[44:45], v[19:20]
	v_mul_f64 v[46:47], v[19:20], v[44:45]
	v_mul_f64 v[44:45], v[44:45], 0.5
	v_fma_f64 v[48:49], -v[44:45], v[46:47], 0.5
	v_fma_f64 v[46:47], v[46:47], v[48:49], v[46:47]
	v_fma_f64 v[44:45], v[44:45], v[48:49], v[44:45]
	v_fma_f64 v[72:73], -v[46:47], v[46:47], v[19:20]
	v_fma_f64 v[46:47], v[72:73], v[44:45], v[46:47]
	v_fma_f64 v[48:49], -v[46:47], v[46:47], v[19:20]
	v_fma_f64 v[44:45], v[48:49], v[44:45], v[46:47]
	v_cndmask_b32_e32 v46, 0, v64, vcc
	v_cmp_class_f64_e32 vcc, v[19:20], v60
	v_ldexp_f64 v[44:45], v[44:45], v46
	v_cndmask_b32_e32 v20, v45, v20, vcc
	v_cndmask_b32_e32 v19, v44, v19, vcc
	v_add_f64 v[44:45], v[34:35], v[19:20]
	v_add_f64 v[19:20], v[44:45], 1.0
	v_cmp_ngt_f64_e64 s[16:17], -1.0, v[44:45]
	v_add_f64 v[46:47], v[19:20], -1.0
	v_frexp_exp_i32_f64_e32 v72, v[19:20]
	v_add_f64 v[48:49], v[46:47], -v[19:20]
	v_add_f64 v[46:47], v[44:45], -v[46:47]
	v_add_f64 v[48:49], v[48:49], 1.0
	v_add_f64 v[46:47], v[46:47], v[48:49]
	v_frexp_mant_f64_e32 v[48:49], v[19:20]
	v_cmp_gt_f64_e32 vcc, s[80:81], v[48:49]
	v_subbrev_co_u32_e32 v86, vcc, 0, v72, vcc
	v_sub_u32_e32 v48, 0, v86
	v_ldexp_f64 v[19:20], v[19:20], v48
	v_ldexp_f64 v[46:47], v[46:47], v48
	v_cmp_neq_f64_e32 vcc, s[74:75], v[44:45]
	v_add_f64 v[48:49], v[19:20], -1.0
	v_add_f64 v[72:73], v[48:49], 1.0
	v_add_f64 v[72:73], v[19:20], -v[72:73]
	v_add_f64 v[72:73], v[46:47], v[72:73]
	v_add_f64 v[74:75], v[48:49], v[72:73]
	v_add_f64 v[48:49], v[74:75], -v[48:49]
	v_add_f64 v[48:49], v[72:73], -v[48:49]
	v_add_f64 v[72:73], v[19:20], 1.0
	v_add_f64 v[76:77], v[72:73], -1.0
	v_add_f64 v[19:20], v[19:20], -v[76:77]
	v_add_f64 v[19:20], v[46:47], v[19:20]
	v_add_f64 v[46:47], v[72:73], v[19:20]
	v_add_f64 v[72:73], v[46:47], -v[72:73]
	v_add_f64 v[19:20], v[19:20], -v[72:73]
	v_rcp_f64_e32 v[72:73], v[46:47]
	v_fma_f64 v[76:77], -v[46:47], v[72:73], 1.0
	v_fma_f64 v[72:73], v[76:77], v[72:73], v[72:73]
	v_fma_f64 v[76:77], -v[46:47], v[72:73], 1.0
	v_fma_f64 v[72:73], v[76:77], v[72:73], v[72:73]
	v_mul_f64 v[76:77], v[74:75], v[72:73]
	v_mul_f64 v[78:79], v[46:47], v[76:77]
	v_fma_f64 v[80:81], v[76:77], v[46:47], -v[78:79]
	v_fma_f64 v[80:81], v[76:77], v[19:20], v[80:81]
	v_add_f64 v[82:83], v[78:79], v[80:81]
	v_add_f64 v[84:85], v[74:75], -v[82:83]
	v_add_f64 v[78:79], v[82:83], -v[78:79]
	;; [unrolled: 1-line block ×4, first 2 shown]
	v_add_f64 v[48:49], v[48:49], v[74:75]
	v_add_f64 v[74:75], v[78:79], -v[80:81]
	v_add_f64 v[48:49], v[74:75], v[48:49]
	v_add_f64 v[74:75], v[84:85], v[48:49]
	v_add_f64 v[78:79], v[84:85], -v[74:75]
	v_add_f64 v[48:49], v[48:49], v[78:79]
	v_mul_f64 v[78:79], v[72:73], v[74:75]
	v_mul_f64 v[80:81], v[46:47], v[78:79]
	v_fma_f64 v[46:47], v[78:79], v[46:47], -v[80:81]
	v_fma_f64 v[19:20], v[78:79], v[19:20], v[46:47]
	v_add_f64 v[46:47], v[80:81], v[19:20]
	v_add_f64 v[82:83], v[74:75], -v[46:47]
	v_add_f64 v[80:81], v[46:47], -v[80:81]
	;; [unrolled: 1-line block ×5, first 2 shown]
	v_cvt_f64_i32_e32 v[74:75], v86
	v_add_f64 v[46:47], v[48:49], v[46:47]
	v_add_f64 v[19:20], v[19:20], v[46:47]
	;; [unrolled: 1-line block ×4, first 2 shown]
	v_add_f64 v[48:49], v[46:47], -v[76:77]
	v_mul_f64 v[76:77], v[74:75], s[50:51]
	v_mul_f64 v[19:20], v[72:73], v[19:20]
	v_add_f64 v[48:49], v[78:79], -v[48:49]
	v_fma_f64 v[78:79], v[74:75], s[50:51], -v[76:77]
	v_add_f64 v[19:20], v[48:49], v[19:20]
	v_fma_f64 v[74:75], v[74:75], s[52:53], v[78:79]
	v_add_f64 v[48:49], v[46:47], v[19:20]
	v_add_f64 v[78:79], v[76:77], v[74:75]
	v_add_f64 v[46:47], v[48:49], -v[46:47]
	v_add_f64 v[76:77], v[78:79], -v[76:77]
	;; [unrolled: 1-line block ×3, first 2 shown]
	v_mul_f64 v[46:47], v[48:49], v[48:49]
	v_add_f64 v[74:75], v[74:75], -v[76:77]
	v_ldexp_f64 v[76:77], v[48:49], 1
	v_ldexp_f64 v[19:20], v[19:20], 1
	v_fma_f64 v[72:73], v[46:47], s[40:41], v[26:27]
	v_fma_f64 v[72:73], v[46:47], v[72:73], s[42:43]
	;; [unrolled: 1-line block ×6, first 2 shown]
	v_mul_f64 v[46:47], v[48:49], v[46:47]
	v_mul_f64 v[46:47], v[46:47], v[72:73]
	v_add_f64 v[48:49], v[76:77], v[46:47]
	v_add_f64 v[72:73], v[48:49], -v[76:77]
	v_add_f64 v[46:47], v[46:47], -v[72:73]
	v_add_f64 v[19:20], v[19:20], v[46:47]
	v_add_f64 v[46:47], v[48:49], v[19:20]
	v_add_f64 v[48:49], v[46:47], -v[48:49]
	v_add_f64 v[19:20], v[19:20], -v[48:49]
	v_add_f64 v[48:49], v[78:79], v[46:47]
	v_add_f64 v[72:73], v[48:49], -v[78:79]
	v_add_f64 v[76:77], v[48:49], -v[72:73]
	;; [unrolled: 1-line block ×3, first 2 shown]
	v_add_f64 v[72:73], v[74:75], v[19:20]
	v_add_f64 v[76:77], v[78:79], -v[76:77]
	v_add_f64 v[46:47], v[46:47], v[76:77]
	v_add_f64 v[76:77], v[72:73], -v[74:75]
	;; [unrolled: 2-line block ×3, first 2 shown]
	v_add_f64 v[19:20], v[19:20], -v[76:77]
	v_add_f64 v[72:73], v[48:49], v[46:47]
	v_add_f64 v[74:75], v[74:75], -v[78:79]
	v_add_f64 v[48:49], v[72:73], -v[48:49]
	v_add_f64 v[19:20], v[19:20], v[74:75]
	v_add_f64 v[46:47], v[46:47], -v[48:49]
	v_add_f64 v[19:20], v[19:20], v[46:47]
	v_add_f64 v[19:20], v[72:73], v[19:20]
	v_cndmask_b32_e32 v20, v61, v20, vcc
	v_cndmask_b32_e64 v20, v66, v20, s[16:17]
	v_cmp_nge_f64_e64 s[16:17], -1.0, v[44:45]
	s_and_b64 vcc, s[16:17], vcc
	v_cndmask_b32_e32 v19, 0, v19, vcc
	v_cmp_neq_f64_e32 vcc, -1.0, v[44:45]
	v_cndmask_b32_e32 v20, v65, v20, vcc
.LBB48_237:                             ;   in Loop: Header=BB48_4 Depth=1
	s_andn2_saveexec_b64 s[16:17], s[96:97]
	s_cbranch_execz .LBB48_239
; %bb.238:                              ;   in Loop: Header=BB48_4 Depth=1
	v_add_f64 v[19:20], -|v[9:10]|, 1.0
	s_mov_b32 s96, 0
	s_brev_b32 s97, 8
	v_mul_f64 v[19:20], v[19:20], v[17:18]
	v_cmp_gt_f64_e32 vcc, s[96:97], v[19:20]
	v_cndmask_b32_e32 v44, 0, v63, vcc
	v_ldexp_f64 v[19:20], v[19:20], v44
	v_rsq_f64_e32 v[44:45], v[19:20]
	v_mul_f64 v[46:47], v[19:20], v[44:45]
	v_mul_f64 v[44:45], v[44:45], 0.5
	v_fma_f64 v[48:49], -v[44:45], v[46:47], 0.5
	v_fma_f64 v[46:47], v[46:47], v[48:49], v[46:47]
	v_fma_f64 v[44:45], v[44:45], v[48:49], v[44:45]
	v_fma_f64 v[48:49], -v[46:47], v[46:47], v[19:20]
	v_fma_f64 v[46:47], v[48:49], v[44:45], v[46:47]
	v_fma_f64 v[48:49], -v[46:47], v[46:47], v[19:20]
	v_fma_f64 v[44:45], v[48:49], v[44:45], v[46:47]
	v_cndmask_b32_e32 v46, 0, v64, vcc
	v_cmp_class_f64_e32 vcc, v[19:20], v60
	v_mov_b32_e32 v47, v43
	v_ldexp_f64 v[44:45], v[44:45], v46
	v_mov_b32_e32 v46, v11
	v_cndmask_b32_e32 v20, v45, v20, vcc
	v_cndmask_b32_e32 v19, v44, v19, vcc
	v_div_scale_f64 v[44:45], s[96:97], v[19:20], v[19:20], v[46:47]
	v_div_scale_f64 v[46:47], vcc, v[46:47], v[19:20], v[46:47]
	v_rcp_f64_e32 v[48:49], v[44:45]
	v_fma_f64 v[72:73], -v[44:45], v[48:49], 1.0
	v_fma_f64 v[48:49], v[48:49], v[72:73], v[48:49]
	v_fma_f64 v[72:73], -v[44:45], v[48:49], 1.0
	v_fma_f64 v[48:49], v[48:49], v[72:73], v[48:49]
	v_mul_f64 v[72:73], v[46:47], v[48:49]
	v_fma_f64 v[44:45], -v[44:45], v[72:73], v[46:47]
	v_div_fmas_f64 v[44:45], v[44:45], v[48:49], v[72:73]
	v_div_fixup_f64 v[19:20], v[44:45], v[19:20], |v[11:12]|
.LBB48_239:                             ;   in Loop: Header=BB48_4 Depth=1
	s_or_b64 exec, exec, s[16:17]
.LBB48_240:                             ;   in Loop: Header=BB48_4 Depth=1
	s_or_b64 exec, exec, s[94:95]
.LBB48_241:                             ;   in Loop: Header=BB48_4 Depth=1
	s_andn2_saveexec_b64 s[16:17], s[92:93]
	s_cbranch_execz .LBB48_243
; %bb.242:                              ;   in Loop: Header=BB48_4 Depth=1
	s_mov_b32 s92, 0
	s_brev_b32 s93, 8
	v_cmp_lt_f64_e64 vcc, |v[11:12]|, s[92:93]
	v_cndmask_b32_e32 v19, 0, v63, vcc
	v_ldexp_f64 v[19:20], |v[11:12]|, v19
	v_rsq_f64_e32 v[44:45], v[19:20]
	v_mul_f64 v[46:47], v[19:20], v[44:45]
	v_mul_f64 v[44:45], v[44:45], 0.5
	v_fma_f64 v[48:49], -v[44:45], v[46:47], 0.5
	v_fma_f64 v[46:47], v[46:47], v[48:49], v[46:47]
	v_fma_f64 v[44:45], v[44:45], v[48:49], v[44:45]
	v_fma_f64 v[48:49], -v[46:47], v[46:47], v[19:20]
	v_fma_f64 v[46:47], v[48:49], v[44:45], v[46:47]
	v_fma_f64 v[48:49], -v[46:47], v[46:47], v[19:20]
	v_fma_f64 v[44:45], v[48:49], v[44:45], v[46:47]
	v_cndmask_b32_e32 v46, 0, v64, vcc
	v_cmp_class_f64_e32 vcc, v[19:20], v60
	v_ldexp_f64 v[44:45], v[44:45], v46
	v_cndmask_b32_e32 v20, v45, v20, vcc
	v_cndmask_b32_e32 v19, v44, v19, vcc
.LBB48_243:                             ;   in Loop: Header=BB48_4 Depth=1
	s_or_b64 exec, exec, s[16:17]
.LBB48_244:                             ;   in Loop: Header=BB48_4 Depth=1
	s_or_b64 exec, exec, s[18:19]
	s_mov_b32 s16, 0
	s_mov_b32 s17, 0x20200000
	v_cmp_nlt_f64_e64 s[16:17], |v[9:10]|, s[16:17]
                                        ; implicit-def: $sgpr92_sgpr93
                                        ; implicit-def: $vgpr44_vgpr45
                                        ; implicit-def: $vgpr48_vgpr49
                                        ; implicit-def: $vgpr46_vgpr47
	s_and_saveexec_b64 s[18:19], s[16:17]
	s_xor_b64 s[16:17], exec, s[18:19]
	s_cbranch_execz .LBB48_268
; %bb.245:                              ;   in Loop: Header=BB48_4 Depth=1
	v_and_b32_e32 v47, 0x7fffffff, v10
	v_mov_b32_e32 v46, v9
	v_div_scale_f64 v[44:45], s[18:19], v[36:37], v[36:37], v[46:47]
	v_div_scale_f64 v[74:75], vcc, v[46:47], v[36:37], v[46:47]
	s_mov_b32 s18, 0x703afb7f
	s_mov_b32 s19, 0x3fe488ce
	s_mov_b64 s[92:93], 0
	v_rcp_f64_e32 v[48:49], v[44:45]
	v_fma_f64 v[72:73], -v[44:45], v[48:49], 1.0
	v_fma_f64 v[48:49], v[48:49], v[72:73], v[48:49]
	v_fma_f64 v[72:73], -v[44:45], v[48:49], 1.0
	v_fma_f64 v[48:49], v[48:49], v[72:73], v[48:49]
	v_mul_f64 v[72:73], v[74:75], v[48:49]
	v_fma_f64 v[44:45], -v[44:45], v[72:73], v[74:75]
	v_div_fmas_f64 v[44:45], v[44:45], v[48:49], v[72:73]
                                        ; implicit-def: $vgpr48_vgpr49
	v_div_fixup_f64 v[44:45], v[44:45], v[36:37], |v[9:10]|
	v_cmp_lt_f64_e32 vcc, s[18:19], v[44:45]
	s_and_saveexec_b64 s[18:19], vcc
	s_cbranch_execz .LBB48_267
; %bb.246:                              ;   in Loop: Header=BB48_4 Depth=1
	s_mov_b32 s94, 0
	s_mov_b32 s95, 0x3c400000
	v_cmp_neq_f64_e64 s[92:93], |v[9:10]|, 1.0
	v_cmp_nlt_f64_e64 s[94:95], |v[11:12]|, s[94:95]
                                        ; implicit-def: $vgpr48_vgpr49
	s_or_b64 s[92:93], s[94:95], s[92:93]
	s_and_saveexec_b64 s[94:95], s[92:93]
	s_xor_b64 s[92:93], exec, s[94:95]
	s_cbranch_execz .LBB48_264
; %bb.247:                              ;   in Loop: Header=BB48_4 Depth=1
	v_ldexp_f64 v[48:49], |v[34:35]|, s57
	v_cmp_ge_f64_e64 s[94:95], |v[11:12]|, v[48:49]
                                        ; implicit-def: $vgpr48_vgpr49
	s_and_saveexec_b64 s[96:97], s[94:95]
	s_xor_b64 s[94:95], exec, s[96:97]
	s_cbranch_execz .LBB48_257
; %bb.248:                              ;   in Loop: Header=BB48_4 Depth=1
	v_cmp_neq_f64_e32 vcc, 0, v[17:18]
	v_mov_b32_e32 v49, v43
	v_mov_b32_e32 v48, v42
	s_and_saveexec_b64 s[96:97], vcc
	s_cbranch_execz .LBB48_250
; %bb.249:                              ;   in Loop: Header=BB48_4 Depth=1
	v_mul_f64 v[48:49], v[11:12], v[11:12]
	v_add_f64 v[17:18], v[17:18], v[38:39]
	v_div_scale_f64 v[38:39], s[98:99], v[17:18], v[17:18], v[48:49]
	v_div_scale_f64 v[76:77], vcc, v[48:49], v[17:18], v[48:49]
	v_rcp_f64_e32 v[72:73], v[38:39]
	v_fma_f64 v[74:75], -v[38:39], v[72:73], 1.0
	v_fma_f64 v[72:73], v[72:73], v[74:75], v[72:73]
	v_fma_f64 v[74:75], -v[38:39], v[72:73], 1.0
	v_fma_f64 v[72:73], v[72:73], v[74:75], v[72:73]
	v_mul_f64 v[74:75], v[76:77], v[72:73]
	v_fma_f64 v[38:39], -v[38:39], v[74:75], v[76:77]
	v_div_fmas_f64 v[38:39], v[38:39], v[72:73], v[74:75]
	v_div_fixup_f64 v[48:49], v[38:39], v[17:18], v[48:49]
.LBB48_250:                             ;   in Loop: Header=BB48_4 Depth=1
	s_or_b64 exec, exec, s[96:97]
	v_cmp_ngt_f64_e32 vcc, 0, v[34:35]
	s_and_saveexec_b64 s[96:97], vcc
	s_xor_b64 s[96:97], exec, s[96:97]
	s_cbranch_execz .LBB48_254
; %bb.251:                              ;   in Loop: Header=BB48_4 Depth=1
	v_cmp_neq_f64_e32 vcc, 0, v[34:35]
	s_and_saveexec_b64 s[98:99], vcc
	s_cbranch_execz .LBB48_253
; %bb.252:                              ;   in Loop: Header=BB48_4 Depth=1
	v_mul_f64 v[11:12], v[11:12], v[11:12]
	v_add_f64 v[17:18], v[34:35], v[40:41]
	v_div_scale_f64 v[34:35], vcc, v[17:18], v[17:18], v[11:12]
	v_div_scale_f64 v[42:43], vcc, v[11:12], v[17:18], v[11:12]
	v_rcp_f64_e32 v[38:39], v[34:35]
	v_fma_f64 v[40:41], -v[34:35], v[38:39], 1.0
	v_fma_f64 v[38:39], v[38:39], v[40:41], v[38:39]
	v_fma_f64 v[40:41], -v[34:35], v[38:39], 1.0
	v_fma_f64 v[38:39], v[38:39], v[40:41], v[38:39]
	v_mul_f64 v[40:41], v[42:43], v[38:39]
	v_fma_f64 v[34:35], -v[34:35], v[40:41], v[42:43]
	v_div_fmas_f64 v[34:35], v[34:35], v[38:39], v[40:41]
	v_div_fixup_f64 v[42:43], v[34:35], v[17:18], v[11:12]
.LBB48_253:                             ;   in Loop: Header=BB48_4 Depth=1
	s_or_b64 exec, exec, s[98:99]
                                        ; implicit-def: $vgpr40_vgpr41
                                        ; implicit-def: $vgpr34_vgpr35
.LBB48_254:                             ;   in Loop: Header=BB48_4 Depth=1
	s_andn2_saveexec_b64 s[96:97], s[96:97]
; %bb.255:                              ;   in Loop: Header=BB48_4 Depth=1
	v_add_f64 v[42:43], v[40:41], -v[34:35]
; %bb.256:                              ;   in Loop: Header=BB48_4 Depth=1
	s_or_b64 exec, exec, s[96:97]
	v_mul_f64 v[11:12], v[42:43], 0.5
	v_add_f64 v[17:18], |v[9:10]|, v[36:37]
	s_mov_b32 s96, 0
	s_brev_b32 s97, 8
	v_fma_f64 v[11:12], v[48:49], 0.5, v[11:12]
	v_mul_f64 v[11:12], v[17:18], v[11:12]
	v_cmp_gt_f64_e32 vcc, s[96:97], v[11:12]
	v_cndmask_b32_e32 v17, 0, v63, vcc
	v_ldexp_f64 v[11:12], v[11:12], v17
	v_rsq_f64_e32 v[17:18], v[11:12]
	v_mul_f64 v[34:35], v[11:12], v[17:18]
	v_mul_f64 v[17:18], v[17:18], 0.5
	v_fma_f64 v[36:37], -v[17:18], v[34:35], 0.5
	v_fma_f64 v[34:35], v[34:35], v[36:37], v[34:35]
	v_fma_f64 v[17:18], v[17:18], v[36:37], v[17:18]
	v_fma_f64 v[36:37], -v[34:35], v[34:35], v[11:12]
	v_fma_f64 v[34:35], v[36:37], v[17:18], v[34:35]
	v_fma_f64 v[36:37], -v[34:35], v[34:35], v[11:12]
	v_fma_f64 v[17:18], v[36:37], v[17:18], v[34:35]
	v_cndmask_b32_e32 v34, 0, v64, vcc
	v_cmp_class_f64_e32 vcc, v[11:12], v60
	v_ldexp_f64 v[17:18], v[17:18], v34
                                        ; implicit-def: $vgpr34_vgpr35
	v_cndmask_b32_e32 v49, v18, v12, vcc
	v_cndmask_b32_e32 v48, v17, v11, vcc
                                        ; implicit-def: $vgpr17_vgpr18
.LBB48_257:                             ;   in Loop: Header=BB48_4 Depth=1
	s_andn2_saveexec_b64 s[94:95], s[94:95]
	s_cbranch_execz .LBB48_263
; %bb.258:                              ;   in Loop: Header=BB48_4 Depth=1
	v_cmp_ngt_f64_e64 s[96:97], |v[9:10]|, 1.0
                                        ; implicit-def: $vgpr48_vgpr49
	s_and_saveexec_b64 s[98:99], s[96:97]
	s_xor_b64 s[96:97], exec, s[98:99]
	s_cbranch_execz .LBB48_260
; %bb.259:                              ;   in Loop: Header=BB48_4 Depth=1
	v_add_f64 v[11:12], -|v[9:10]|, 1.0
	s_mov_b32 s98, 0
	s_brev_b32 s99, 8
	v_mul_f64 v[11:12], v[11:12], v[17:18]
	v_cmp_gt_f64_e32 vcc, s[98:99], v[11:12]
	v_cndmask_b32_e32 v17, 0, v63, vcc
	v_ldexp_f64 v[11:12], v[11:12], v17
	v_rsq_f64_e32 v[17:18], v[11:12]
	v_mul_f64 v[34:35], v[11:12], v[17:18]
	v_mul_f64 v[17:18], v[17:18], 0.5
	v_fma_f64 v[36:37], -v[17:18], v[34:35], 0.5
	v_fma_f64 v[34:35], v[34:35], v[36:37], v[34:35]
	v_fma_f64 v[17:18], v[17:18], v[36:37], v[17:18]
	v_fma_f64 v[36:37], -v[34:35], v[34:35], v[11:12]
	v_fma_f64 v[34:35], v[36:37], v[17:18], v[34:35]
	v_fma_f64 v[36:37], -v[34:35], v[34:35], v[11:12]
	v_fma_f64 v[17:18], v[36:37], v[17:18], v[34:35]
	v_cndmask_b32_e32 v34, 0, v64, vcc
	v_cmp_class_f64_e32 vcc, v[11:12], v60
	v_ldexp_f64 v[17:18], v[17:18], v34
                                        ; implicit-def: $vgpr34_vgpr35
	v_cndmask_b32_e32 v49, v18, v12, vcc
	v_cndmask_b32_e32 v48, v17, v11, vcc
                                        ; implicit-def: $vgpr17_vgpr18
.LBB48_260:                             ;   in Loop: Header=BB48_4 Depth=1
	s_andn2_saveexec_b64 s[96:97], s[96:97]
	s_cbranch_execz .LBB48_262
; %bb.261:                              ;   in Loop: Header=BB48_4 Depth=1
	v_mul_f64 v[17:18], v[17:18], v[34:35]
	s_mov_b32 s98, 0
	s_brev_b32 s99, 8
	s_movk_i32 s39, 0x6a
	v_ldexp_f64 v[11:12], |v[11:12]|, s39
	v_ldexp_f64 v[46:47], |v[9:10]|, s39
	v_cmp_gt_f64_e32 vcc, s[98:99], v[17:18]
	v_mul_f64 v[11:12], |v[9:10]|, v[11:12]
	v_cndmask_b32_e32 v34, 0, v63, vcc
	v_ldexp_f64 v[17:18], v[17:18], v34
	v_rsq_f64_e32 v[34:35], v[17:18]
	v_mul_f64 v[36:37], v[17:18], v[34:35]
	v_mul_f64 v[34:35], v[34:35], 0.5
	v_fma_f64 v[38:39], -v[34:35], v[36:37], 0.5
	v_fma_f64 v[36:37], v[36:37], v[38:39], v[36:37]
	v_fma_f64 v[34:35], v[34:35], v[38:39], v[34:35]
	v_fma_f64 v[38:39], -v[36:37], v[36:37], v[17:18]
	v_fma_f64 v[36:37], v[38:39], v[34:35], v[36:37]
	v_fma_f64 v[38:39], -v[36:37], v[36:37], v[17:18]
	v_fma_f64 v[34:35], v[38:39], v[34:35], v[36:37]
	v_cndmask_b32_e32 v36, 0, v64, vcc
	v_cmp_class_f64_e32 vcc, v[17:18], v60
	v_ldexp_f64 v[34:35], v[34:35], v36
	v_cndmask_b32_e32 v18, v35, v18, vcc
	v_cndmask_b32_e32 v17, v34, v17, vcc
	v_div_scale_f64 v[34:35], s[98:99], v[17:18], v[17:18], v[11:12]
	v_rcp_f64_e32 v[36:37], v[34:35]
	v_fma_f64 v[38:39], -v[34:35], v[36:37], 1.0
	v_fma_f64 v[36:37], v[36:37], v[38:39], v[36:37]
	v_div_scale_f64 v[38:39], vcc, v[11:12], v[17:18], v[11:12]
	v_fma_f64 v[40:41], -v[34:35], v[36:37], 1.0
	v_fma_f64 v[36:37], v[36:37], v[40:41], v[36:37]
	v_mul_f64 v[40:41], v[38:39], v[36:37]
	v_fma_f64 v[34:35], -v[34:35], v[40:41], v[38:39]
	v_div_fmas_f64 v[34:35], v[34:35], v[36:37], v[40:41]
	v_div_fixup_f64 v[48:49], v[34:35], v[17:18], v[11:12]
.LBB48_262:                             ;   in Loop: Header=BB48_4 Depth=1
	s_or_b64 exec, exec, s[96:97]
.LBB48_263:                             ;   in Loop: Header=BB48_4 Depth=1
	s_or_b64 exec, exec, s[94:95]
	s_mov_b32 s98, 0x1409212f
	s_mov_b32 s99, 0x3e43988e
                                        ; implicit-def: $vgpr36_vgpr37
.LBB48_264:                             ;   in Loop: Header=BB48_4 Depth=1
	s_andn2_saveexec_b64 s[92:93], s[92:93]
	s_cbranch_execz .LBB48_266
; %bb.265:                              ;   in Loop: Header=BB48_4 Depth=1
	s_mov_b32 s94, 0
	s_brev_b32 s95, 8
	v_cmp_lt_f64_e64 vcc, |v[11:12]|, s[94:95]
	v_mov_b32_e32 v46, 0
	v_mov_b32_e32 v47, 0x3ff00000
	v_cndmask_b32_e32 v17, 0, v63, vcc
	v_ldexp_f64 v[11:12], |v[11:12]|, v17
	v_rsq_f64_e32 v[17:18], v[11:12]
	v_mul_f64 v[34:35], v[11:12], v[17:18]
	v_mul_f64 v[17:18], v[17:18], 0.5
	v_fma_f64 v[38:39], -v[17:18], v[34:35], 0.5
	v_fma_f64 v[34:35], v[34:35], v[38:39], v[34:35]
	v_fma_f64 v[17:18], v[17:18], v[38:39], v[17:18]
	v_fma_f64 v[40:41], -v[34:35], v[34:35], v[11:12]
	v_fma_f64 v[34:35], v[40:41], v[17:18], v[34:35]
	v_fma_f64 v[38:39], -v[34:35], v[34:35], v[11:12]
	v_fma_f64 v[17:18], v[38:39], v[17:18], v[34:35]
	v_cndmask_b32_e32 v34, 0, v64, vcc
	v_cmp_class_f64_e32 vcc, v[11:12], v60
	v_ldexp_f64 v[17:18], v[17:18], v34
	v_cndmask_b32_e32 v12, v18, v12, vcc
	v_cndmask_b32_e32 v11, v17, v11, vcc
	v_add_f64 v[17:18], v[36:37], 1.0
	v_mul_f64 v[17:18], v[17:18], 0.5
	v_cmp_gt_f64_e32 vcc, s[94:95], v[17:18]
	v_cndmask_b32_e32 v34, 0, v63, vcc
	v_ldexp_f64 v[17:18], v[17:18], v34
	v_rsq_f64_e32 v[34:35], v[17:18]
	v_mul_f64 v[36:37], v[17:18], v[34:35]
	v_mul_f64 v[34:35], v[34:35], 0.5
	v_fma_f64 v[38:39], -v[34:35], v[36:37], 0.5
	v_fma_f64 v[36:37], v[36:37], v[38:39], v[36:37]
	v_fma_f64 v[34:35], v[34:35], v[38:39], v[34:35]
	v_fma_f64 v[40:41], -v[36:37], v[36:37], v[17:18]
	v_fma_f64 v[36:37], v[40:41], v[34:35], v[36:37]
	v_fma_f64 v[38:39], -v[36:37], v[36:37], v[17:18]
	v_fma_f64 v[34:35], v[38:39], v[34:35], v[36:37]
	v_cndmask_b32_e32 v36, 0, v64, vcc
	v_cmp_class_f64_e32 vcc, v[17:18], v60
	v_ldexp_f64 v[34:35], v[34:35], v36
	v_cndmask_b32_e32 v18, v35, v18, vcc
	v_cndmask_b32_e32 v17, v34, v17, vcc
	v_mul_f64 v[48:49], v[11:12], v[17:18]
.LBB48_266:                             ;   in Loop: Header=BB48_4 Depth=1
	s_or_b64 exec, exec, s[92:93]
	s_mov_b64 s[92:93], exec
.LBB48_267:                             ;   in Loop: Header=BB48_4 Depth=1
	s_or_b64 exec, exec, s[18:19]
                                        ; implicit-def: $vgpr36_vgpr37
.LBB48_268:                             ;   in Loop: Header=BB48_4 Depth=1
	s_andn2_saveexec_b64 s[16:17], s[16:17]
	s_cbranch_execz .LBB48_270
; %bb.269:                              ;   in Loop: Header=BB48_4 Depth=1
	v_ldexp_f64 v[48:49], v[36:37], 53
	v_ldexp_f64 v[46:47], |v[9:10]|, 53
	s_or_b64 s[92:93], s[92:93], exec
                                        ; implicit-def: $vgpr44_vgpr45
.LBB48_270:                             ;   in Loop: Header=BB48_4 Depth=1
	s_or_b64 exec, exec, s[16:17]
	v_cmp_lt_i64_e32 vcc, -1, v[9:10]
	s_xor_b64 s[16:17], s[92:93], -1
	s_and_saveexec_b64 s[18:19], s[16:17]
	s_xor_b64 s[18:19], exec, s[18:19]
	s_cbranch_execz .LBB48_280
; %bb.271:                              ;   in Loop: Header=BB48_4 Depth=1
	v_mul_f64 v[11:12], v[44:45], v[44:45]
	v_fma_f64 v[9:10], |v[44:45]|, -0.5, 0.5
	s_and_saveexec_b64 s[16:17], vcc
	s_xor_b64 s[92:93], exec, s[16:17]
	s_cbranch_execz .LBB48_275
; %bb.272:                              ;   in Loop: Header=BB48_4 Depth=1
	v_cmp_ge_f64_e64 s[16:17], |v[44:45]|, 0.5
	s_mov_b32 s94, 0x9fea6a70
	s_mov_b32 s95, 0x3fa05985
	v_cndmask_b32_e64 v12, v12, v10, s[16:17]
	v_cndmask_b32_e64 v11, v11, v9, s[16:17]
	v_fma_f64 v[17:18], v[11:12], s[94:95], v[28:29]
	s_mov_b32 s94, 0x37024d6a
	s_mov_b32 s95, 0x3f940521
	v_fma_f64 v[17:18], v[11:12], v[17:18], s[94:95]
	s_mov_b32 s94, 0x98a70509
	s_mov_b32 s95, 0x3f7ab3a0
	;; [unrolled: 3-line block ×11, first 2 shown]
	v_mul_f64 v[11:12], v[11:12], v[17:18]
	v_fma_f64 v[17:18], v[44:45], v[11:12], v[44:45]
	v_fma_f64 v[17:18], s[94:95], v[30:31], -v[17:18]
	s_and_saveexec_b64 s[94:95], s[16:17]
	s_cbranch_execz .LBB48_274
; %bb.273:                              ;   in Loop: Header=BB48_4 Depth=1
	v_rsq_f64_e32 v[17:18], v[9:10]
	v_cmp_eq_f64_e64 s[16:17], 0, v[9:10]
	v_mul_f64 v[34:35], v[9:10], v[17:18]
	v_mul_f64 v[17:18], v[17:18], 0.5
	v_fma_f64 v[36:37], -v[17:18], v[34:35], 0.5
	v_fma_f64 v[34:35], v[34:35], v[36:37], v[34:35]
	v_fma_f64 v[17:18], v[17:18], v[36:37], v[17:18]
	v_fma_f64 v[36:37], -v[34:35], v[34:35], v[9:10]
	v_fma_f64 v[17:18], v[36:37], v[17:18], v[34:35]
	v_cndmask_b32_e64 v18, v18, v10, s[16:17]
	v_cndmask_b32_e64 v17, v17, v9, s[16:17]
	v_mul_f64 v[34:35], v[17:18], v[17:18]
	v_add_f64 v[38:39], v[9:10], -v[34:35]
	v_fma_f64 v[36:37], v[17:18], v[17:18], -v[34:35]
	v_add_f64 v[9:10], v[9:10], -v[38:39]
	v_add_f64 v[9:10], v[9:10], -v[34:35]
	v_add_f64 v[34:35], v[17:18], v[17:18]
	v_add_f64 v[9:10], v[9:10], -v[36:37]
	v_rcp_f64_e32 v[36:37], v[34:35]
	v_add_f64 v[9:10], v[38:39], v[9:10]
	v_fma_f64 v[38:39], -v[34:35], v[36:37], 1.0
	v_fma_f64 v[36:37], v[38:39], v[36:37], v[36:37]
	v_fma_f64 v[38:39], -v[34:35], v[36:37], 1.0
	v_fma_f64 v[36:37], v[38:39], v[36:37], v[36:37]
	v_mul_f64 v[38:39], v[9:10], v[36:37]
	v_fma_f64 v[9:10], -v[34:35], v[38:39], v[9:10]
	v_fma_f64 v[9:10], v[9:10], v[36:37], v[38:39]
	v_cndmask_b32_e64 v10, v10, 0, s[16:17]
	v_cndmask_b32_e64 v9, v9, 0, s[16:17]
	v_add_f64 v[34:35], v[17:18], v[9:10]
	v_cmp_neq_f64_e64 s[16:17], 1.0, v[44:45]
	v_add_f64 v[17:18], v[34:35], -v[17:18]
	v_add_f64 v[9:10], v[9:10], -v[17:18]
	v_fma_f64 v[9:10], v[34:35], v[11:12], v[9:10]
	v_add_f64 v[9:10], v[34:35], v[9:10]
	v_add_f64 v[9:10], v[9:10], v[9:10]
	v_cndmask_b32_e64 v18, 0, v10, s[16:17]
	v_cndmask_b32_e64 v17, 0, v9, s[16:17]
.LBB48_274:                             ;   in Loop: Header=BB48_4 Depth=1
	s_or_b64 exec, exec, s[94:95]
                                        ; implicit-def: $vgpr44_vgpr45
                                        ; implicit-def: $vgpr11_vgpr12
                                        ; implicit-def: $vgpr9_vgpr10
.LBB48_275:                             ;   in Loop: Header=BB48_4 Depth=1
	s_andn2_saveexec_b64 s[92:93], s[92:93]
	s_cbranch_execz .LBB48_279
; %bb.276:                              ;   in Loop: Header=BB48_4 Depth=1
	v_cmp_ge_f64_e64 s[16:17], |v[44:45]|, 0.5
	s_mov_b32 s94, 0x9fea6a70
	s_mov_b32 s95, 0x3fa05985
	v_cndmask_b32_e64 v12, v12, v10, s[16:17]
	v_cndmask_b32_e64 v11, v11, v9, s[16:17]
	v_fma_f64 v[17:18], v[11:12], s[94:95], v[28:29]
	s_mov_b32 s94, 0x37024d6a
	s_mov_b32 s95, 0x3f940521
	v_fma_f64 v[17:18], v[11:12], v[17:18], s[94:95]
	s_mov_b32 s94, 0x98a70509
	s_mov_b32 s95, 0x3f7ab3a0
	;; [unrolled: 3-line block ×11, first 2 shown]
	v_mul_f64 v[11:12], v[11:12], v[17:18]
	v_fma_f64 v[17:18], -v[44:45], v[11:12], -v[44:45]
	v_fma_f64 v[17:18], s[94:95], v[30:31], -v[17:18]
	s_and_saveexec_b64 s[94:95], s[16:17]
	s_cbranch_execz .LBB48_278
; %bb.277:                              ;   in Loop: Header=BB48_4 Depth=1
	v_rsq_f64_e32 v[17:18], v[9:10]
	v_cmp_eq_f64_e64 s[16:17], 0, v[9:10]
	v_readlane_b32 s96, v87, 2
	v_readlane_b32 s97, v87, 3
	s_mov_b32 s39, s97
	v_writelane_b32 v87, s38, 2
	v_writelane_b32 v87, s39, 3
	v_mul_f64 v[34:35], v[9:10], v[17:18]
	v_mul_f64 v[17:18], v[17:18], 0.5
	v_fma_f64 v[36:37], -v[17:18], v[34:35], 0.5
	v_fma_f64 v[34:35], v[34:35], v[36:37], v[34:35]
	v_fma_f64 v[17:18], v[17:18], v[36:37], v[17:18]
	v_fma_f64 v[36:37], -v[34:35], v[34:35], v[9:10]
	v_fma_f64 v[17:18], v[36:37], v[17:18], v[34:35]
	v_cndmask_b32_e64 v18, v18, v10, s[16:17]
	v_cndmask_b32_e64 v17, v17, v9, s[16:17]
	v_mul_f64 v[34:35], v[17:18], v[17:18]
	v_add_f64 v[38:39], v[9:10], -v[34:35]
	v_fma_f64 v[36:37], v[17:18], v[17:18], -v[34:35]
	v_add_f64 v[9:10], v[9:10], -v[38:39]
	v_add_f64 v[9:10], v[9:10], -v[34:35]
	v_add_f64 v[34:35], v[17:18], v[17:18]
	v_add_f64 v[9:10], v[9:10], -v[36:37]
	v_rcp_f64_e32 v[36:37], v[34:35]
	v_add_f64 v[9:10], v[38:39], v[9:10]
	v_fma_f64 v[38:39], -v[34:35], v[36:37], 1.0
	v_fma_f64 v[36:37], v[38:39], v[36:37], v[36:37]
	v_fma_f64 v[38:39], -v[34:35], v[36:37], 1.0
	v_fma_f64 v[36:37], v[38:39], v[36:37], v[36:37]
	v_mul_f64 v[38:39], v[9:10], v[36:37]
	v_fma_f64 v[9:10], -v[34:35], v[38:39], v[9:10]
	v_fma_f64 v[9:10], v[9:10], v[36:37], v[38:39]
	v_cndmask_b32_e64 v10, v10, 0, s[16:17]
	v_cndmask_b32_e64 v9, v9, 0, s[16:17]
	v_add_f64 v[34:35], v[17:18], v[9:10]
	s_mov_b32 s16, 0x336a0500
	s_mov_b32 s17, 0x3fedd9ad
	;; [unrolled: 1-line block ×3, first 2 shown]
	v_add_f64 v[17:18], v[34:35], -v[17:18]
	v_add_f64 v[9:10], v[9:10], -v[17:18]
	v_fma_f64 v[17:18], v[34:35], v[11:12], v[34:35]
	v_fma_f64 v[9:10], v[34:35], v[11:12], v[9:10]
	v_mul_f64 v[17:18], v[17:18], -2.0
	v_add_f64 v[9:10], v[34:35], v[9:10]
	v_fma_f64 v[17:18], s[16:17], v[30:31], v[17:18]
	v_cmp_lt_f64_e64 s[16:17], 0, v[44:45]
	v_add_f64 v[9:10], v[9:10], v[9:10]
	v_cndmask_b32_e64 v9, v9, v17, s[16:17]
	v_cndmask_b32_e64 v10, v10, v18, s[16:17]
	v_cmp_neq_f64_e64 s[16:17], 1.0, v[44:45]
	v_cndmask_b32_e64 v18, v67, v10, s[16:17]
	v_cndmask_b32_e64 v17, v68, v9, s[16:17]
.LBB48_278:                             ;   in Loop: Header=BB48_4 Depth=1
	s_or_b64 exec, exec, s[94:95]
.LBB48_279:                             ;   in Loop: Header=BB48_4 Depth=1
	s_or_b64 exec, exec, s[92:93]
                                        ; implicit-def: $vgpr46_vgpr47
                                        ; implicit-def: $vgpr48_vgpr49
.LBB48_280:                             ;   in Loop: Header=BB48_4 Depth=1
	s_andn2_saveexec_b64 s[92:93], s[18:19]
	s_cbranch_execz .LBB48_286
; %bb.281:                              ;   in Loop: Header=BB48_4 Depth=1
	v_max_f64 v[11:12], |v[48:49]|, |v[48:49]|
	v_max_f64 v[17:18], v[46:47], v[46:47]
	v_cmp_class_f64_e64 s[94:95], v[48:49], s56
	v_max_f64 v[9:10], v[17:18], v[11:12]
	v_min_f64 v[11:12], v[17:18], v[11:12]
	s_and_saveexec_b64 s[16:17], vcc
	s_xor_b64 s[96:97], exec, s[16:17]
	s_cbranch_execz .LBB48_283
; %bb.282:                              ;   in Loop: Header=BB48_4 Depth=1
	v_div_scale_f64 v[17:18], s[16:17], v[9:10], v[9:10], v[11:12]
	s_mov_b32 s16, 0xb5e68a13
	s_mov_b32 s17, 0x3eeba404
	;; [unrolled: 1-line block ×3, first 2 shown]
	v_cmp_eq_f64_e64 s[18:19], s[74:75], v[46:47]
	v_rcp_f64_e32 v[34:35], v[17:18]
	v_fma_f64 v[36:37], -v[17:18], v[34:35], 1.0
	v_fma_f64 v[34:35], v[34:35], v[36:37], v[34:35]
	v_div_scale_f64 v[36:37], vcc, v[11:12], v[9:10], v[11:12]
	v_fma_f64 v[38:39], -v[17:18], v[34:35], 1.0
	v_fma_f64 v[34:35], v[34:35], v[38:39], v[34:35]
	v_mul_f64 v[38:39], v[36:37], v[34:35]
	v_fma_f64 v[17:18], -v[17:18], v[38:39], v[36:37]
	v_div_fmas_f64 v[17:18], v[17:18], v[34:35], v[38:39]
	v_cmp_lt_f64_e64 vcc, v[46:47], |v[48:49]|
	v_div_fixup_f64 v[9:10], v[17:18], v[9:10], v[11:12]
	v_mul_f64 v[11:12], v[9:10], v[9:10]
	v_fma_f64 v[17:18], v[11:12], s[16:17], v[32:33]
	s_mov_b32 s16, 0x69efb384
	s_mov_b32 s17, 0x3f4b2bb0
	v_fma_f64 v[17:18], v[11:12], v[17:18], s[16:17]
	s_mov_b32 s16, 0xaf56de9b
	s_mov_b32 s17, 0xbf67952d
	;; [unrolled: 3-line block ×11, first 2 shown]
	v_fma_f64 v[17:18], v[11:12], v[17:18], s[16:17]
	v_cmp_eq_f64_e64 s[16:17], 0, v[48:49]
	v_fma_f64 v[17:18], v[11:12], v[17:18], s[58:59]
	v_fma_f64 v[17:18], v[11:12], v[17:18], s[60:61]
	;; [unrolled: 1-line block ×7, first 2 shown]
	v_mul_f64 v[11:12], v[11:12], v[17:18]
	v_ashrrev_i32_e32 v18, 31, v47
	v_and_b32_e32 v34, 0x54442d18, v18
	v_and_b32_e32 v18, 0x400921fb, v18
	v_fma_f64 v[9:10], v[9:10], v[11:12], v[9:10]
	v_add_f64 v[11:12], -v[9:10], s[4:5]
	v_cndmask_b32_e32 v10, v10, v12, vcc
	v_cndmask_b32_e32 v9, v9, v11, vcc
	v_add_f64 v[11:12], -v[9:10], s[72:73]
	v_cmp_gt_i32_e32 vcc, 0, v47
	v_cndmask_b32_e32 v17, v68, v69, vcc
                                        ; implicit-def: $vgpr46_vgpr47
	v_cndmask_b32_e32 v9, v9, v11, vcc
	v_cndmask_b32_e32 v10, v10, v12, vcc
	;; [unrolled: 1-line block ×3, first 2 shown]
	v_cndmask_b32_e64 v9, v9, v34, s[16:17]
	v_cndmask_b32_e64 v10, v10, v18, s[16:17]
	s_and_b64 vcc, s[18:19], s[94:95]
	v_cndmask_b32_e32 v10, v10, v11, vcc
	v_cndmask_b32_e32 v9, v9, v17, vcc
	v_cmp_o_f64_e32 vcc, v[48:49], v[48:49]
                                        ; implicit-def: $vgpr11_vgpr12
	v_cndmask_b32_e32 v17, 0, v9, vcc
	v_cndmask_b32_e32 v9, v66, v10, vcc
	v_bfi_b32 v18, s55, v9, v49
                                        ; implicit-def: $vgpr9_vgpr10
                                        ; implicit-def: $vgpr48_vgpr49
.LBB48_283:                             ;   in Loop: Header=BB48_4 Depth=1
	s_andn2_saveexec_b64 s[96:97], s[96:97]
	s_cbranch_execz .LBB48_285
; %bb.284:                              ;   in Loop: Header=BB48_4 Depth=1
	v_div_scale_f64 v[17:18], s[16:17], v[9:10], v[9:10], v[11:12]
	s_mov_b32 s16, 0xb5e68a13
	s_mov_b32 s17, 0x3eeba404
	;; [unrolled: 1-line block ×3, first 2 shown]
	v_cmp_eq_f64_e64 s[18:19], s[74:75], v[46:47]
	v_rcp_f64_e32 v[34:35], v[17:18]
	v_fma_f64 v[36:37], -v[17:18], v[34:35], 1.0
	v_fma_f64 v[34:35], v[34:35], v[36:37], v[34:35]
	v_div_scale_f64 v[36:37], vcc, v[11:12], v[9:10], v[11:12]
	v_fma_f64 v[38:39], -v[17:18], v[34:35], 1.0
	v_fma_f64 v[34:35], v[34:35], v[38:39], v[34:35]
	v_mul_f64 v[38:39], v[36:37], v[34:35]
	v_fma_f64 v[17:18], -v[17:18], v[38:39], v[36:37]
	v_div_fmas_f64 v[17:18], v[17:18], v[34:35], v[38:39]
	v_cmp_lt_f64_e64 vcc, v[46:47], |v[48:49]|
	v_div_fixup_f64 v[9:10], v[17:18], v[9:10], v[11:12]
	v_mul_f64 v[11:12], v[9:10], v[9:10]
	v_fma_f64 v[17:18], v[11:12], s[16:17], v[32:33]
	s_mov_b32 s16, 0x69efb384
	s_mov_b32 s17, 0x3f4b2bb0
	v_fma_f64 v[17:18], v[11:12], v[17:18], s[16:17]
	s_mov_b32 s16, 0xaf56de9b
	s_mov_b32 s17, 0xbf67952d
	;; [unrolled: 3-line block ×11, first 2 shown]
	v_fma_f64 v[17:18], v[11:12], v[17:18], s[16:17]
	v_cmp_eq_f64_e64 s[16:17], 0, v[48:49]
	v_fma_f64 v[17:18], v[11:12], v[17:18], s[58:59]
	v_fma_f64 v[17:18], v[11:12], v[17:18], s[60:61]
	;; [unrolled: 1-line block ×7, first 2 shown]
	v_mul_f64 v[11:12], v[11:12], v[17:18]
	v_xor_b32_e32 v17, 0x80000000, v47
	v_fma_f64 v[9:10], v[9:10], v[11:12], v[9:10]
	v_add_f64 v[11:12], -v[9:10], s[4:5]
	v_cndmask_b32_e32 v10, v10, v12, vcc
	v_cndmask_b32_e32 v9, v9, v11, vcc
	v_add_f64 v[11:12], -v[9:10], s[72:73]
	v_cmp_gt_i32_e32 vcc, 0, v17
	v_ashrrev_i32_e32 v17, 31, v17
	v_and_b32_e32 v34, 0x54442d18, v17
	v_and_b32_e32 v17, 0x400921fb, v17
	v_cndmask_b32_e32 v18, v68, v69, vcc
	v_cndmask_b32_e32 v9, v9, v11, vcc
	;; [unrolled: 1-line block ×4, first 2 shown]
	v_cndmask_b32_e64 v9, v9, v34, s[16:17]
	v_cndmask_b32_e64 v10, v10, v17, s[16:17]
	s_and_b64 vcc, s[18:19], s[94:95]
	v_cndmask_b32_e32 v10, v10, v11, vcc
	v_cndmask_b32_e32 v9, v9, v18, vcc
	v_cmp_o_f64_e32 vcc, v[48:49], v[48:49]
	v_cndmask_b32_e32 v17, 0, v9, vcc
	v_cndmask_b32_e32 v9, v66, v10, vcc
	v_bfi_b32 v18, s55, v9, v49
.LBB48_285:                             ;   in Loop: Header=BB48_4 Depth=1
	s_or_b64 exec, exec, s[96:97]
.LBB48_286:                             ;   in Loop: Header=BB48_4 Depth=1
	s_or_b64 exec, exec, s[92:93]
	v_xor_b32_e32 v9, 0x80000000, v20
	v_cndmask_b32_e64 v20, v9, v20, s[14:15]
                                        ; implicit-def: $vgpr9_vgpr10
.LBB48_287:                             ;   in Loop: Header=BB48_4 Depth=1
	s_andn2_saveexec_b64 s[16:17], s[90:91]
	s_cbranch_execz .LBB48_289
; %bb.288:                              ;   in Loop: Header=BB48_4 Depth=1
	v_mov_b32_e32 v11, s24
	v_mov_b32_e32 v12, s25
	flat_load_dwordx2 v[11:12], v[11:12] glc
	s_waitcnt vmcnt(0) lgkmcnt(0)
	v_add_f64 v[9:10], v[11:12], -v[9:10]
	v_add_f64 v[17:18], v[9:10], s[4:5]
.LBB48_289:                             ;   in Loop: Header=BB48_4 Depth=1
	s_or_b64 exec, exec, s[16:17]
.LBB48_290:                             ;   in Loop: Header=BB48_4 Depth=1
	s_andn2_saveexec_b64 s[16:17], s[88:89]
	s_cbranch_execz .LBB48_292
; %bb.291:                              ;   in Loop: Header=BB48_4 Depth=1
	s_waitcnt lgkmcnt(0)
	v_mov_b32_e32 v17, 0
	v_mov_b32_e32 v18, 0
.LBB48_292:                             ;   in Loop: Header=BB48_4 Depth=1
	s_or_b64 exec, exec, s[16:17]
                                        ; implicit-def: $vgpr9_vgpr10
                                        ; implicit-def: $vgpr38_vgpr39
                                        ; implicit-def: $vgpr36_vgpr37
                                        ; implicit-def: $vgpr34_vgpr35
.LBB48_293:                             ;   in Loop: Header=BB48_4 Depth=1
	s_andn2_saveexec_b64 s[86:87], s[86:87]
	s_cbranch_execz .LBB48_303
; %bb.294:                              ;   in Loop: Header=BB48_4 Depth=1
	v_cmp_lt_f64_e64 s[16:17], |v[9:10]|, |v[11:12]|
	v_and_b32_e32 v42, 0x7fffffff, v10
	v_and_b32_e32 v43, 0x7fffffff, v12
	s_mov_b32 s18, -1
	s_mov_b32 s19, 0x7fdfffff
                                        ; implicit-def: $vgpr17_vgpr18
                                        ; implicit-def: $vgpr19_vgpr20
	v_cndmask_b32_e64 v41, v42, v43, s[16:17]
	v_cndmask_b32_e64 v40, v9, v11, s[16:17]
	v_cmp_nlt_f64_e32 vcc, s[18:19], v[40:41]
                                        ; implicit-def: $sgpr18_sgpr19
	s_and_saveexec_b64 s[88:89], vcc
	s_xor_b64 s[88:89], exec, s[88:89]
	s_cbranch_execz .LBB48_300
; %bb.295:                              ;   in Loop: Header=BB48_4 Depth=1
	s_mov_b32 s18, 0
	s_mov_b32 s19, 0x20200000
	v_cmp_nlt_f64_e32 vcc, s[18:19], v[40:41]
	s_mov_b32 s18, 0
	v_cndmask_b32_e64 v43, v43, v42, s[16:17]
	v_cndmask_b32_e64 v42, v11, v9, s[16:17]
	s_brev_b32 s19, 4
	v_cmp_ngt_f64_e64 s[18:19], s[18:19], v[42:43]
                                        ; implicit-def: $vgpr17_vgpr18
                                        ; implicit-def: $vgpr19_vgpr20
	s_and_b64 s[90:91], vcc, s[18:19]
                                        ; implicit-def: $sgpr18_sgpr19
	s_and_saveexec_b64 s[92:93], s[90:91]
	s_xor_b64 s[90:91], exec, s[92:93]
	s_cbranch_execz .LBB48_297
; %bb.296:                              ;   in Loop: Header=BB48_4 Depth=1
	s_waitcnt lgkmcnt(0)
	v_mul_f64 v[17:18], v[42:43], v[42:43]
	s_mov_b32 s39, s81
	v_cmp_class_f64_e64 s[92:93], v[9:10], s56
	v_fma_f64 v[17:18], v[40:41], v[40:41], v[17:18]
	v_frexp_mant_f64_e32 v[19:20], v[17:18]
	v_frexp_exp_i32_f64_e32 v40, v[17:18]
	v_cmp_gt_f64_e32 vcc, s[80:81], v[19:20]
	v_cndmask_b32_e64 v41, 0, 1, vcc
	v_ldexp_f64 v[19:20], v[19:20], v41
	v_subbrev_co_u32_e32 v74, vcc, 0, v40, vcc
	v_cmp_class_f64_e64 vcc, v[17:18], s56
	v_add_f64 v[42:43], v[19:20], 1.0
	v_add_f64 v[40:41], v[19:20], -1.0
	v_add_f64 v[44:45], v[42:43], -1.0
	v_add_f64 v[19:20], v[19:20], -v[44:45]
	v_rcp_f64_e32 v[44:45], v[42:43]
	v_fma_f64 v[46:47], -v[42:43], v[44:45], 1.0
	v_fma_f64 v[44:45], v[46:47], v[44:45], v[44:45]
	v_fma_f64 v[46:47], -v[42:43], v[44:45], 1.0
	v_fma_f64 v[44:45], v[46:47], v[44:45], v[44:45]
	v_mul_f64 v[46:47], v[40:41], v[44:45]
	v_mul_f64 v[48:49], v[42:43], v[46:47]
	v_fma_f64 v[42:43], v[46:47], v[42:43], -v[48:49]
	v_fma_f64 v[19:20], v[46:47], v[19:20], v[42:43]
	v_add_f64 v[42:43], v[48:49], v[19:20]
	v_add_f64 v[72:73], v[40:41], -v[42:43]
	v_add_f64 v[48:49], v[42:43], -v[48:49]
	v_add_f64 v[40:41], v[40:41], -v[72:73]
	v_add_f64 v[19:20], v[48:49], -v[19:20]
	v_add_f64 v[40:41], v[40:41], -v[42:43]
	v_add_f64 v[19:20], v[19:20], v[40:41]
	v_add_f64 v[19:20], v[72:73], v[19:20]
	v_mul_f64 v[19:20], v[44:45], v[19:20]
	v_add_f64 v[40:41], v[46:47], v[19:20]
	v_add_f64 v[42:43], v[40:41], -v[46:47]
	v_ldexp_f64 v[46:47], v[40:41], 1
	v_add_f64 v[19:20], v[19:20], -v[42:43]
	v_mul_f64 v[42:43], v[40:41], v[40:41]
	v_ldexp_f64 v[19:20], v[19:20], 1
	v_fma_f64 v[44:45], v[42:43], s[40:41], v[26:27]
	v_mul_f64 v[40:41], v[40:41], v[42:43]
	v_fma_f64 v[44:45], v[42:43], v[44:45], s[42:43]
	v_fma_f64 v[44:45], v[42:43], v[44:45], s[44:45]
	;; [unrolled: 1-line block ×5, first 2 shown]
	v_mul_f64 v[40:41], v[40:41], v[44:45]
	v_add_f64 v[42:43], v[46:47], v[40:41]
	v_add_f64 v[44:45], v[42:43], -v[46:47]
	v_add_f64 v[40:41], v[40:41], -v[44:45]
	v_add_f64 v[19:20], v[19:20], v[40:41]
	v_add_f64 v[40:41], v[42:43], v[19:20]
	v_add_f64 v[42:43], v[40:41], -v[42:43]
	v_add_f64 v[19:20], v[19:20], -v[42:43]
	v_cvt_f64_i32_e32 v[42:43], v74
	v_mul_f64 v[44:45], v[42:43], s[50:51]
	v_fma_f64 v[46:47], v[42:43], s[50:51], -v[44:45]
	v_fma_f64 v[42:43], v[42:43], s[52:53], v[46:47]
	v_add_f64 v[46:47], v[44:45], v[42:43]
	v_add_f64 v[44:45], v[46:47], -v[44:45]
	v_add_f64 v[42:43], v[42:43], -v[44:45]
	v_add_f64 v[44:45], v[46:47], v[40:41]
	v_add_f64 v[48:49], v[44:45], -v[46:47]
	v_add_f64 v[72:73], v[44:45], -v[48:49]
	;; [unrolled: 1-line block ×4, first 2 shown]
	v_add_f64 v[40:41], v[40:41], v[46:47]
	v_add_f64 v[46:47], v[42:43], v[19:20]
	v_add_f64 v[48:49], v[46:47], -v[42:43]
	v_add_f64 v[40:41], v[46:47], v[40:41]
	v_add_f64 v[72:73], v[46:47], -v[48:49]
	v_add_f64 v[19:20], v[19:20], -v[48:49]
	;; [unrolled: 1-line block ×3, first 2 shown]
	v_add_f64 v[19:20], v[19:20], v[42:43]
	v_add_f64 v[42:43], v[44:45], v[40:41]
	v_add_f64 v[44:45], v[42:43], -v[44:45]
	v_add_f64 v[40:41], v[40:41], -v[44:45]
	v_add_f64 v[19:20], v[19:20], v[40:41]
	v_add_f64 v[19:20], v[42:43], v[19:20]
	v_cndmask_b32_e32 v20, v20, v18, vcc
	v_cndmask_b32_e32 v19, v19, v17, vcc
	v_mul_f64 v[19:20], v[19:20], 0.5
	v_cmp_neq_f64_e32 vcc, 0, v[17:18]
	v_cndmask_b32_e32 v18, v65, v20, vcc
	v_cndmask_b32_e32 v17, 0, v19, vcc
	v_min_f64 v[19:20], v[38:39], v[36:37]
	v_div_scale_f64 v[36:37], s[18:19], v[34:35], v[34:35], v[19:20]
	s_mov_b32 s18, 0xb5e68a13
	s_mov_b32 s19, 0x3eeba404
	v_rcp_f64_e32 v[38:39], v[36:37]
	v_fma_f64 v[40:41], -v[36:37], v[38:39], 1.0
	v_fma_f64 v[38:39], v[38:39], v[40:41], v[38:39]
	v_fma_f64 v[40:41], -v[36:37], v[38:39], 1.0
	v_fma_f64 v[38:39], v[38:39], v[40:41], v[38:39]
	v_div_scale_f64 v[40:41], vcc, v[19:20], v[34:35], v[19:20]
	v_mul_f64 v[42:43], v[40:41], v[38:39]
	v_fma_f64 v[36:37], -v[36:37], v[42:43], v[40:41]
	s_nop 1
	v_div_fmas_f64 v[36:37], v[36:37], v[38:39], v[42:43]
                                        ; implicit-def: $vgpr38_vgpr39
	v_div_fixup_f64 v[19:20], v[36:37], v[34:35], v[19:20]
	v_mul_f64 v[34:35], v[19:20], v[19:20]
	v_fma_f64 v[36:37], v[34:35], s[18:19], v[32:33]
	s_mov_b32 s18, 0x69efb384
	s_mov_b32 s19, 0x3f4b2bb0
	v_fma_f64 v[36:37], v[34:35], v[36:37], s[18:19]
	s_mov_b32 s18, 0xaf56de9b
	s_mov_b32 s19, 0xbf67952d
	;; [unrolled: 3-line block ×11, first 2 shown]
	v_fma_f64 v[36:37], v[34:35], v[36:37], s[18:19]
	v_cmp_class_f64_e64 s[18:19], v[11:12], s56
	v_fma_f64 v[36:37], v[34:35], v[36:37], s[58:59]
	s_and_b64 s[18:19], s[18:19], s[92:93]
	v_fma_f64 v[36:37], v[34:35], v[36:37], s[60:61]
	v_fma_f64 v[36:37], v[34:35], v[36:37], s[62:63]
	;; [unrolled: 1-line block ×6, first 2 shown]
	v_mul_f64 v[34:35], v[34:35], v[36:37]
                                        ; implicit-def: $vgpr36_vgpr37
	v_fma_f64 v[19:20], v[19:20], v[34:35], v[19:20]
                                        ; implicit-def: $vgpr34_vgpr35
.LBB48_297:                             ;   in Loop: Header=BB48_4 Depth=1
	s_andn2_saveexec_b64 s[90:91], s[90:91]
	s_cbranch_execz .LBB48_299
; %bb.298:                              ;   in Loop: Header=BB48_4 Depth=1
	v_frexp_exp_i32_f64_e32 v44, v[34:35]
	v_cmp_class_f64_e64 s[92:93], v[9:10], s56
	v_cmp_class_f64_e64 s[94:95], v[11:12], s56
	s_mov_b32 s39, s81
	s_andn2_b64 s[18:19], s[18:19], exec
	v_sub_u32_e32 v19, 0, v44
	s_waitcnt lgkmcnt(0)
	v_ldexp_f64 v[17:18], |v[9:10]|, v19
	v_ldexp_f64 v[19:20], |v[11:12]|, v19
	v_mul_f64 v[19:20], v[19:20], v[19:20]
	v_fma_f64 v[17:18], v[17:18], v[17:18], v[19:20]
	v_rsq_f64_e32 v[19:20], v[17:18]
	v_cmp_eq_f64_e32 vcc, 0, v[17:18]
	v_mul_f64 v[40:41], v[17:18], v[19:20]
	v_mul_f64 v[19:20], v[19:20], 0.5
	v_fma_f64 v[42:43], -v[19:20], v[40:41], 0.5
	v_fma_f64 v[40:41], v[40:41], v[42:43], v[40:41]
	v_fma_f64 v[19:20], v[19:20], v[42:43], v[19:20]
	v_fma_f64 v[42:43], -v[40:41], v[40:41], v[17:18]
	v_fma_f64 v[19:20], v[42:43], v[19:20], v[40:41]
	v_cndmask_b32_e32 v18, v20, v18, vcc
	v_cndmask_b32_e32 v17, v19, v17, vcc
	v_ldexp_f64 v[17:18], v[17:18], v44
	s_or_b64 vcc, s[94:95], s[92:93]
	s_and_b64 s[92:93], s[94:95], s[92:93]
	s_and_b64 s[92:93], s[92:93], exec
	s_or_b64 s[18:19], s[18:19], s[92:93]
	v_cndmask_b32_e32 v19, v18, v61, vcc
	v_cndmask_b32_e64 v18, v17, 0, vcc
	v_frexp_mant_f64_e32 v[40:41], v[18:19]
	v_frexp_exp_i32_f64_e32 v17, v[18:19]
	v_cmp_gt_f64_e32 vcc, s[80:81], v[40:41]
	v_cndmask_b32_e64 v20, 0, 1, vcc
	v_ldexp_f64 v[40:41], v[40:41], v20
	v_subbrev_co_u32_e32 v17, vcc, 0, v17, vcc
	v_cmp_class_f64_e64 vcc, v[18:19], s56
	v_add_f64 v[44:45], v[40:41], 1.0
	v_add_f64 v[42:43], v[40:41], -1.0
	v_add_f64 v[46:47], v[44:45], -1.0
	v_add_f64 v[40:41], v[40:41], -v[46:47]
	v_rcp_f64_e32 v[46:47], v[44:45]
	v_fma_f64 v[48:49], -v[44:45], v[46:47], 1.0
	v_fma_f64 v[46:47], v[48:49], v[46:47], v[46:47]
	v_fma_f64 v[48:49], -v[44:45], v[46:47], 1.0
	v_fma_f64 v[46:47], v[48:49], v[46:47], v[46:47]
	v_mul_f64 v[48:49], v[42:43], v[46:47]
	v_mul_f64 v[72:73], v[44:45], v[48:49]
	v_fma_f64 v[44:45], v[48:49], v[44:45], -v[72:73]
	v_fma_f64 v[40:41], v[48:49], v[40:41], v[44:45]
	v_add_f64 v[44:45], v[72:73], v[40:41]
	v_add_f64 v[74:75], v[42:43], -v[44:45]
	v_add_f64 v[72:73], v[44:45], -v[72:73]
	;; [unrolled: 1-line block ×5, first 2 shown]
	v_add_f64 v[40:41], v[40:41], v[42:43]
	v_add_f64 v[40:41], v[74:75], v[40:41]
	v_mul_f64 v[40:41], v[46:47], v[40:41]
	v_add_f64 v[42:43], v[48:49], v[40:41]
	v_add_f64 v[44:45], v[42:43], -v[48:49]
	v_ldexp_f64 v[48:49], v[42:43], 1
	v_add_f64 v[40:41], v[40:41], -v[44:45]
	v_mul_f64 v[44:45], v[42:43], v[42:43]
	v_ldexp_f64 v[40:41], v[40:41], 1
	v_fma_f64 v[46:47], v[44:45], s[40:41], v[26:27]
	v_mul_f64 v[42:43], v[42:43], v[44:45]
	v_fma_f64 v[46:47], v[44:45], v[46:47], s[42:43]
	v_fma_f64 v[46:47], v[44:45], v[46:47], s[44:45]
	;; [unrolled: 1-line block ×5, first 2 shown]
	v_mul_f64 v[42:43], v[42:43], v[46:47]
	v_add_f64 v[44:45], v[48:49], v[42:43]
	v_add_f64 v[46:47], v[44:45], -v[48:49]
	v_add_f64 v[42:43], v[42:43], -v[46:47]
	v_add_f64 v[40:41], v[40:41], v[42:43]
	v_add_f64 v[42:43], v[44:45], v[40:41]
	v_add_f64 v[44:45], v[42:43], -v[44:45]
	v_add_f64 v[40:41], v[40:41], -v[44:45]
	v_cvt_f64_i32_e32 v[44:45], v17
	v_mul_f64 v[46:47], v[44:45], s[50:51]
	v_fma_f64 v[48:49], v[44:45], s[50:51], -v[46:47]
	v_fma_f64 v[44:45], v[44:45], s[52:53], v[48:49]
	v_add_f64 v[48:49], v[46:47], v[44:45]
	v_add_f64 v[46:47], v[48:49], -v[46:47]
	v_add_f64 v[44:45], v[44:45], -v[46:47]
	v_add_f64 v[46:47], v[48:49], v[42:43]
	v_add_f64 v[72:73], v[46:47], -v[48:49]
	v_add_f64 v[74:75], v[46:47], -v[72:73]
	;; [unrolled: 1-line block ×4, first 2 shown]
	v_add_f64 v[42:43], v[42:43], v[48:49]
	v_add_f64 v[48:49], v[44:45], v[40:41]
	v_add_f64 v[72:73], v[48:49], -v[44:45]
	v_add_f64 v[42:43], v[48:49], v[42:43]
	v_add_f64 v[74:75], v[48:49], -v[72:73]
	v_add_f64 v[40:41], v[40:41], -v[72:73]
	;; [unrolled: 1-line block ×3, first 2 shown]
	v_add_f64 v[40:41], v[40:41], v[44:45]
	v_add_f64 v[44:45], v[46:47], v[42:43]
	v_add_f64 v[46:47], v[44:45], -v[46:47]
	v_add_f64 v[42:43], v[42:43], -v[46:47]
	v_add_f64 v[40:41], v[40:41], v[42:43]
	v_add_f64 v[40:41], v[44:45], v[40:41]
	v_cndmask_b32_e32 v17, v40, v18, vcc
	v_cndmask_b32_e32 v20, v41, v19, vcc
	v_cmp_ngt_f64_e32 vcc, 0, v[18:19]
	v_cndmask_b32_e32 v20, v66, v20, vcc
	v_cmp_nge_f64_e32 vcc, 0, v[18:19]
	v_cndmask_b32_e32 v17, 0, v17, vcc
	v_cmp_neq_f64_e32 vcc, 0, v[18:19]
	v_cndmask_b32_e32 v18, v65, v20, vcc
	v_min_f64 v[19:20], v[38:39], v[36:37]
	v_div_scale_f64 v[36:37], s[96:97], v[34:35], v[34:35], v[19:20]
	s_mov_b32 s96, 0xb5e68a13
	s_mov_b32 s97, 0x3eeba404
	v_rcp_f64_e32 v[38:39], v[36:37]
	v_fma_f64 v[40:41], -v[36:37], v[38:39], 1.0
	v_fma_f64 v[38:39], v[38:39], v[40:41], v[38:39]
	v_fma_f64 v[40:41], -v[36:37], v[38:39], 1.0
	v_fma_f64 v[38:39], v[38:39], v[40:41], v[38:39]
	v_div_scale_f64 v[40:41], vcc, v[19:20], v[34:35], v[19:20]
	v_mul_f64 v[42:43], v[40:41], v[38:39]
	v_fma_f64 v[36:37], -v[36:37], v[42:43], v[40:41]
	s_nop 1
	v_div_fmas_f64 v[36:37], v[36:37], v[38:39], v[42:43]
	v_div_fixup_f64 v[19:20], v[36:37], v[34:35], v[19:20]
	v_mul_f64 v[34:35], v[19:20], v[19:20]
	v_fma_f64 v[36:37], v[34:35], s[96:97], v[32:33]
	s_mov_b32 s96, 0x69efb384
	s_mov_b32 s97, 0x3f4b2bb0
	v_fma_f64 v[36:37], v[34:35], v[36:37], s[96:97]
	s_mov_b32 s96, 0xaf56de9b
	s_mov_b32 s97, 0xbf67952d
	;; [unrolled: 3-line block ×11, first 2 shown]
	v_fma_f64 v[36:37], v[34:35], v[36:37], s[96:97]
	v_fma_f64 v[36:37], v[34:35], v[36:37], s[58:59]
	v_fma_f64 v[36:37], v[34:35], v[36:37], s[60:61]
	v_fma_f64 v[36:37], v[34:35], v[36:37], s[62:63]
	v_fma_f64 v[36:37], v[34:35], v[36:37], s[64:65]
	v_fma_f64 v[36:37], v[34:35], v[36:37], s[66:67]
	v_fma_f64 v[36:37], v[34:35], v[36:37], s[68:69]
	v_fma_f64 v[36:37], v[34:35], v[36:37], s[70:71]
	v_mul_f64 v[34:35], v[34:35], v[36:37]
	v_fma_f64 v[19:20], v[19:20], v[34:35], v[19:20]
.LBB48_299:                             ;   in Loop: Header=BB48_4 Depth=1
	s_or_b64 exec, exec, s[90:91]
                                        ; implicit-def: $vgpr38_vgpr39
                                        ; implicit-def: $vgpr36_vgpr37
                                        ; implicit-def: $vgpr34_vgpr35
.LBB48_300:                             ;   in Loop: Header=BB48_4 Depth=1
	s_andn2_saveexec_b64 s[88:89], s[88:89]
	s_cbranch_execz .LBB48_302
; %bb.301:                              ;   in Loop: Header=BB48_4 Depth=1
	s_waitcnt lgkmcnt(0)
	v_div_scale_f64 v[17:18], s[90:91], s[76:77], s[76:77], v[9:10]
	s_mov_b32 s39, s81
	s_andn2_b64 s[18:19], s[18:19], exec
	v_rcp_f64_e32 v[19:20], v[17:18]
	v_fma_f64 v[40:41], -v[17:18], v[19:20], 1.0
	v_fma_f64 v[19:20], v[19:20], v[40:41], v[19:20]
	v_fma_f64 v[40:41], -v[17:18], v[19:20], 1.0
	v_fma_f64 v[19:20], v[19:20], v[40:41], v[19:20]
	v_div_scale_f64 v[40:41], vcc, v[9:10], s[76:77], v[9:10]
	v_mul_f64 v[42:43], v[40:41], v[19:20]
	v_fma_f64 v[17:18], -v[17:18], v[42:43], v[40:41]
	s_nop 1
	v_div_fmas_f64 v[17:18], v[17:18], v[19:20], v[42:43]
	v_div_scale_f64 v[19:20], s[90:91], s[76:77], s[76:77], v[11:12]
	v_div_fixup_f64 v[17:18], v[17:18], s[76:77], v[9:10]
	v_rcp_f64_e32 v[40:41], v[19:20]
	v_cmp_class_f64_e64 s[90:91], v[17:18], s56
	v_fma_f64 v[42:43], -v[19:20], v[40:41], 1.0
	v_fma_f64 v[40:41], v[40:41], v[42:43], v[40:41]
	v_fma_f64 v[42:43], -v[19:20], v[40:41], 1.0
	v_fma_f64 v[40:41], v[40:41], v[42:43], v[40:41]
	v_div_scale_f64 v[42:43], vcc, v[11:12], s[76:77], v[11:12]
	v_mul_f64 v[44:45], v[42:43], v[40:41]
	v_fma_f64 v[19:20], -v[19:20], v[44:45], v[42:43]
	s_nop 1
	v_div_fmas_f64 v[19:20], v[19:20], v[40:41], v[44:45]
	v_div_fixup_f64 v[19:20], v[19:20], s[76:77], v[11:12]
	v_max_f64 v[40:41], |v[17:18]|, |v[19:20]|
	v_cmp_class_f64_e64 s[92:93], v[19:20], s56
	v_frexp_exp_i32_f64_e32 v48, v[40:41]
	v_sub_u32_e32 v42, 0, v48
	v_ldexp_f64 v[40:41], |v[17:18]|, v42
	v_ldexp_f64 v[42:43], |v[19:20]|, v42
	v_mul_f64 v[42:43], v[42:43], v[42:43]
	v_fma_f64 v[40:41], v[40:41], v[40:41], v[42:43]
	v_rsq_f64_e32 v[42:43], v[40:41]
	v_cmp_eq_f64_e32 vcc, 0, v[40:41]
	v_mul_f64 v[44:45], v[40:41], v[42:43]
	v_mul_f64 v[42:43], v[42:43], 0.5
	v_fma_f64 v[46:47], -v[42:43], v[44:45], 0.5
	v_fma_f64 v[44:45], v[44:45], v[46:47], v[44:45]
	v_fma_f64 v[42:43], v[42:43], v[46:47], v[42:43]
	v_fma_f64 v[46:47], -v[44:45], v[44:45], v[40:41]
	v_fma_f64 v[42:43], v[46:47], v[42:43], v[44:45]
	v_cndmask_b32_e32 v41, v43, v41, vcc
	v_cndmask_b32_e32 v40, v42, v40, vcc
	v_ldexp_f64 v[40:41], v[40:41], v48
	s_or_b64 vcc, s[92:93], s[90:91]
	v_cmp_class_f64_e64 s[92:93], v[9:10], s56
	v_cndmask_b32_e32 v19, v41, v61, vcc
	v_cndmask_b32_e64 v18, v40, 0, vcc
	v_frexp_mant_f64_e32 v[40:41], v[18:19]
	v_frexp_exp_i32_f64_e32 v17, v[18:19]
	v_cmp_gt_f64_e32 vcc, s[80:81], v[40:41]
	v_cndmask_b32_e64 v20, 0, 1, vcc
	v_ldexp_f64 v[40:41], v[40:41], v20
	v_subbrev_co_u32_e32 v17, vcc, 0, v17, vcc
	v_cmp_class_f64_e64 vcc, v[18:19], s56
	v_add_f64 v[44:45], v[40:41], 1.0
	v_add_f64 v[42:43], v[40:41], -1.0
	v_add_f64 v[46:47], v[44:45], -1.0
	v_add_f64 v[40:41], v[40:41], -v[46:47]
	v_rcp_f64_e32 v[46:47], v[44:45]
	v_fma_f64 v[48:49], -v[44:45], v[46:47], 1.0
	v_fma_f64 v[46:47], v[48:49], v[46:47], v[46:47]
	v_fma_f64 v[48:49], -v[44:45], v[46:47], 1.0
	v_fma_f64 v[46:47], v[48:49], v[46:47], v[46:47]
	v_mul_f64 v[48:49], v[42:43], v[46:47]
	v_mul_f64 v[72:73], v[44:45], v[48:49]
	v_fma_f64 v[44:45], v[48:49], v[44:45], -v[72:73]
	v_fma_f64 v[40:41], v[48:49], v[40:41], v[44:45]
	v_add_f64 v[44:45], v[72:73], v[40:41]
	v_add_f64 v[74:75], v[42:43], -v[44:45]
	v_add_f64 v[72:73], v[44:45], -v[72:73]
	;; [unrolled: 1-line block ×5, first 2 shown]
	v_add_f64 v[40:41], v[40:41], v[42:43]
	v_add_f64 v[40:41], v[74:75], v[40:41]
	v_mul_f64 v[40:41], v[46:47], v[40:41]
	v_add_f64 v[42:43], v[48:49], v[40:41]
	v_add_f64 v[44:45], v[42:43], -v[48:49]
	v_ldexp_f64 v[48:49], v[42:43], 1
	v_add_f64 v[40:41], v[40:41], -v[44:45]
	v_mul_f64 v[44:45], v[42:43], v[42:43]
	v_ldexp_f64 v[40:41], v[40:41], 1
	v_fma_f64 v[46:47], v[44:45], s[40:41], v[26:27]
	v_mul_f64 v[42:43], v[42:43], v[44:45]
	v_fma_f64 v[46:47], v[44:45], v[46:47], s[42:43]
	v_fma_f64 v[46:47], v[44:45], v[46:47], s[44:45]
	;; [unrolled: 1-line block ×5, first 2 shown]
	v_mul_f64 v[42:43], v[42:43], v[46:47]
	v_add_f64 v[44:45], v[48:49], v[42:43]
	v_add_f64 v[46:47], v[44:45], -v[48:49]
	v_add_f64 v[42:43], v[42:43], -v[46:47]
	v_add_f64 v[40:41], v[40:41], v[42:43]
	v_add_f64 v[42:43], v[44:45], v[40:41]
	v_add_f64 v[44:45], v[42:43], -v[44:45]
	v_add_f64 v[40:41], v[40:41], -v[44:45]
	v_cvt_f64_i32_e32 v[44:45], v17
	v_mul_f64 v[46:47], v[44:45], s[50:51]
	v_fma_f64 v[48:49], v[44:45], s[50:51], -v[46:47]
	v_fma_f64 v[44:45], v[44:45], s[52:53], v[48:49]
	v_add_f64 v[48:49], v[46:47], v[44:45]
	v_add_f64 v[46:47], v[48:49], -v[46:47]
	v_add_f64 v[44:45], v[44:45], -v[46:47]
	v_add_f64 v[46:47], v[48:49], v[42:43]
	v_add_f64 v[72:73], v[46:47], -v[48:49]
	v_add_f64 v[74:75], v[46:47], -v[72:73]
	v_add_f64 v[42:43], v[42:43], -v[72:73]
	v_add_f64 v[48:49], v[48:49], -v[74:75]
	v_add_f64 v[42:43], v[42:43], v[48:49]
	v_add_f64 v[48:49], v[44:45], v[40:41]
	v_add_f64 v[72:73], v[48:49], -v[44:45]
	v_add_f64 v[42:43], v[48:49], v[42:43]
	v_add_f64 v[74:75], v[48:49], -v[72:73]
	v_add_f64 v[40:41], v[40:41], -v[72:73]
	;; [unrolled: 1-line block ×3, first 2 shown]
	v_add_f64 v[40:41], v[40:41], v[44:45]
	v_add_f64 v[44:45], v[46:47], v[42:43]
	v_add_f64 v[46:47], v[44:45], -v[46:47]
	v_add_f64 v[42:43], v[42:43], -v[46:47]
	v_add_f64 v[40:41], v[40:41], v[42:43]
	v_add_f64 v[40:41], v[44:45], v[40:41]
	v_cndmask_b32_e32 v41, v41, v19, vcc
	v_cndmask_b32_e32 v40, v40, v18, vcc
	v_add_f64 v[40:41], v[40:41], 1.0
	v_cmp_ngt_f64_e32 vcc, 0, v[18:19]
	v_cndmask_b32_e32 v20, v66, v41, vcc
	v_cmp_nge_f64_e32 vcc, 0, v[18:19]
	v_cndmask_b32_e32 v17, 0, v40, vcc
	v_cmp_neq_f64_e32 vcc, 0, v[18:19]
	v_cndmask_b32_e32 v18, v65, v20, vcc
	v_min_f64 v[19:20], v[38:39], v[36:37]
	v_div_scale_f64 v[36:37], s[90:91], v[34:35], v[34:35], v[19:20]
	s_mov_b32 s90, 0xb5e68a13
	s_mov_b32 s91, 0x3eeba404
	v_rcp_f64_e32 v[38:39], v[36:37]
	v_fma_f64 v[40:41], -v[36:37], v[38:39], 1.0
	v_fma_f64 v[38:39], v[38:39], v[40:41], v[38:39]
	v_fma_f64 v[40:41], -v[36:37], v[38:39], 1.0
	v_fma_f64 v[38:39], v[38:39], v[40:41], v[38:39]
	v_div_scale_f64 v[40:41], vcc, v[19:20], v[34:35], v[19:20]
	v_mul_f64 v[42:43], v[40:41], v[38:39]
	v_fma_f64 v[36:37], -v[36:37], v[42:43], v[40:41]
	s_nop 1
	v_div_fmas_f64 v[36:37], v[36:37], v[38:39], v[42:43]
	v_div_fixup_f64 v[19:20], v[36:37], v[34:35], v[19:20]
	v_mul_f64 v[34:35], v[19:20], v[19:20]
	v_fma_f64 v[36:37], v[34:35], s[90:91], v[32:33]
	s_mov_b32 s90, 0x69efb384
	s_mov_b32 s91, 0x3f4b2bb0
	v_fma_f64 v[36:37], v[34:35], v[36:37], s[90:91]
	s_mov_b32 s90, 0xaf56de9b
	s_mov_b32 s91, 0xbf67952d
	;; [unrolled: 3-line block ×11, first 2 shown]
	v_fma_f64 v[36:37], v[34:35], v[36:37], s[90:91]
	v_cmp_class_f64_e64 s[90:91], v[11:12], s56
	v_fma_f64 v[36:37], v[34:35], v[36:37], s[58:59]
	s_and_b64 s[90:91], s[90:91], s[92:93]
	s_and_b64 s[90:91], s[90:91], exec
	s_or_b64 s[18:19], s[18:19], s[90:91]
	v_fma_f64 v[36:37], v[34:35], v[36:37], s[60:61]
	v_fma_f64 v[36:37], v[34:35], v[36:37], s[62:63]
	;; [unrolled: 1-line block ×6, first 2 shown]
	v_mul_f64 v[34:35], v[34:35], v[36:37]
	v_fma_f64 v[19:20], v[19:20], v[34:35], v[19:20]
.LBB48_302:                             ;   in Loop: Header=BB48_4 Depth=1
	s_or_b64 exec, exec, s[88:89]
	v_add_f64 v[34:35], -v[19:20], s[4:5]
	s_mov_b32 s72, s4
	v_cmp_gt_i32_e32 vcc, 0, v10
	v_ashrrev_i32_e32 v10, 31, v10
	v_cndmask_b32_e32 v9, v68, v69, vcc
	v_cndmask_b32_e64 v35, v20, v35, s[16:17]
	v_cndmask_b32_e64 v34, v19, v34, s[16:17]
	v_add_f64 v[36:37], -v[34:35], s[72:73]
	v_cmp_eq_f64_e64 s[16:17], 0, v[11:12]
	s_waitcnt lgkmcnt(0)
	v_add_f64 v[19:20], v[17:18], s[50:51]
	v_and_b32_e32 v17, 0x54442d18, v10
	v_cndmask_b32_e32 v11, v70, v71, vcc
	v_and_b32_e32 v10, 0x400921fb, v10
	v_bfi_b32 v11, s55, v11, v12
	v_cndmask_b32_e32 v18, v34, v36, vcc
	v_cndmask_b32_e32 v34, v35, v37, vcc
	v_cndmask_b32_e64 v17, v18, v17, s[16:17]
	v_cndmask_b32_e64 v17, v17, v9, s[18:19]
	;; [unrolled: 1-line block ×3, first 2 shown]
	v_xor_b32_e32 v12, 0x80000000, v20
	v_cndmask_b32_e64 v9, v9, v11, s[18:19]
	v_and_b32_e32 v18, 0x7fffffff, v9
	v_cndmask_b32_e64 v20, v12, v20, s[14:15]
.LBB48_303:                             ;   in Loop: Header=BB48_4 Depth=1
	s_or_b64 exec, exec, s[86:87]
                                        ; implicit-def: $vgpr11_vgpr12
.LBB48_304:                             ;   in Loop: Header=BB48_4 Depth=1
	s_andn2_saveexec_b64 s[14:15], s[84:85]
	s_cbranch_execz .LBB48_318
; %bb.305:                              ;   in Loop: Header=BB48_4 Depth=1
	v_cmp_neq_f64_e64 s[16:17], |v[9:10]|, s[74:75]
                                        ; implicit-def: $vgpr19_vgpr20
	s_and_saveexec_b64 s[18:19], s[16:17]
	s_xor_b64 s[16:17], exec, s[18:19]
	s_cbranch_execz .LBB48_315
; %bb.306:                              ;   in Loop: Header=BB48_4 Depth=1
	v_cmp_neq_f64_e64 s[18:19], |v[11:12]|, s[74:75]
	s_waitcnt lgkmcnt(0)
	v_xor_b32_e32 v20, 0x80000000, v12
	v_mov_b32_e32 v19, v11
	s_and_saveexec_b64 s[84:85], s[18:19]
	s_xor_b64 s[18:19], exec, s[84:85]
	s_cbranch_execz .LBB48_312
; %bb.307:                              ;   in Loop: Header=BB48_4 Depth=1
	v_cmp_neq_f64_e32 vcc, 0, v[9:10]
                                        ; implicit-def: $vgpr19_vgpr20
	s_and_saveexec_b64 s[84:85], vcc
	s_xor_b64 s[84:85], exec, s[84:85]
	s_cbranch_execz .LBB48_309
; %bb.308:                              ;   in Loop: Header=BB48_4 Depth=1
	v_add_f64 v[11:12], v[11:12], 0
	v_add_f64 v[19:20], v[9:10], v[11:12]
                                        ; implicit-def: $vgpr11_vgpr12
.LBB48_309:                             ;   in Loop: Header=BB48_4 Depth=1
	s_or_saveexec_b64 s[84:85], s[84:85]
	v_mov_b32_e32 v17, v19
	v_mov_b32_e32 v18, v20
	s_xor_b64 exec, exec, s[84:85]
	s_cbranch_execz .LBB48_311
; %bb.310:                              ;   in Loop: Header=BB48_4 Depth=1
	v_mov_b32_e32 v9, s24
	v_mov_b32_e32 v10, s25
	flat_load_dwordx2 v[9:10], v[9:10] glc
	s_waitcnt vmcnt(0)
	v_add_f64 v[19:20], v[11:12], v[11:12]
	s_waitcnt lgkmcnt(0)
	v_add_f64 v[17:18], v[9:10], s[4:5]
.LBB48_311:                             ;   in Loop: Header=BB48_4 Depth=1
	s_or_b64 exec, exec, s[84:85]
                                        ; implicit-def: $vgpr9_vgpr10
.LBB48_312:                             ;   in Loop: Header=BB48_4 Depth=1
	s_andn2_saveexec_b64 s[18:19], s[18:19]
; %bb.313:                              ;   in Loop: Header=BB48_4 Depth=1
	v_add_f64 v[17:18], v[9:10], v[9:10]
; %bb.314:                              ;   in Loop: Header=BB48_4 Depth=1
	s_or_b64 exec, exec, s[18:19]
                                        ; implicit-def: $vgpr11_vgpr12
.LBB48_315:                             ;   in Loop: Header=BB48_4 Depth=1
	s_andn2_saveexec_b64 s[16:17], s[16:17]
	s_cbranch_execz .LBB48_317
; %bb.316:                              ;   in Loop: Header=BB48_4 Depth=1
	s_waitcnt lgkmcnt(0)
	v_add_f64 v[17:18], v[11:12], v[11:12]
	v_mov_b32_e32 v19, 0
	v_mov_b32_e32 v20, 0xfff00000
.LBB48_317:                             ;   in Loop: Header=BB48_4 Depth=1
	s_or_b64 exec, exec, s[16:17]
.LBB48_318:                             ;   in Loop: Header=BB48_4 Depth=1
	s_or_b64 exec, exec, s[14:15]
	v_cmp_o_f64_e32 vcc, v[1:2], v[3:4]
	v_mov_b32_e32 v9, s24
	v_mov_b32_e32 v10, s25
	flat_store_dwordx2 v[9:10], v[24:25]
	s_waitcnt vmcnt(0)
                                        ; implicit-def: $vgpr11_vgpr12
	s_and_saveexec_b64 s[14:15], vcc
	s_xor_b64 s[84:85], exec, s[14:15]
	s_cbranch_execnz .LBB48_324
; %bb.319:                              ;   in Loop: Header=BB48_4 Depth=1
	s_andn2_saveexec_b64 s[14:15], s[84:85]
	s_cbranch_execnz .LBB48_411
.LBB48_320:                             ;   in Loop: Header=BB48_4 Depth=1
	s_or_b64 exec, exec, s[14:15]
	s_and_saveexec_b64 s[14:15], s[6:7]
	s_xor_b64 s[6:7], exec, s[14:15]
	s_cbranch_execnz .LBB48_424
.LBB48_321:                             ;   in Loop: Header=BB48_4 Depth=1
	s_or_b64 exec, exec, s[6:7]
	s_and_saveexec_b64 s[6:7], s[8:9]
	s_cbranch_execnz .LBB48_425
.LBB48_322:                             ;   in Loop: Header=BB48_4 Depth=1
	s_or_b64 exec, exec, s[6:7]
	s_and_saveexec_b64 s[6:7], s[10:11]
	s_cbranch_execnz .LBB48_426
.LBB48_323:                             ;   in Loop: Header=BB48_4 Depth=1
	s_or_b64 exec, exec, s[6:7]
	s_and_saveexec_b64 s[6:7], s[12:13]
	s_cbranch_execz .LBB48_3
	s_branch .LBB48_427
.LBB48_324:                             ;   in Loop: Header=BB48_4 Depth=1
	v_max_f64 v[38:39], |v[1:2]|, |v[1:2]|
	v_max_f64 v[36:37], |v[3:4]|, |v[3:4]|
	v_cmp_gt_i64_e64 s[14:15], 0, v[3:4]
                                        ; implicit-def: $vgpr11_vgpr12
	v_max_f64 v[34:35], v[36:37], v[38:39]
	v_cmp_nlt_f64_e32 vcc, s[36:37], v[34:35]
	s_and_saveexec_b64 s[16:17], vcc
	s_xor_b64 s[86:87], exec, s[16:17]
	s_cbranch_execz .LBB48_400
; %bb.325:                              ;   in Loop: Header=BB48_4 Depth=1
	v_cmp_neq_f64_e32 vcc, 1.0, v[1:2]
	v_cmp_neq_f64_e64 s[16:17], 0, v[3:4]
	v_xor_b32_e32 v12, 0x80000000, v4
	v_mov_b32_e32 v11, v3
	s_or_b64 s[16:17], s[16:17], vcc
	s_and_saveexec_b64 s[18:19], s[16:17]
	s_xor_b64 s[88:89], exec, s[18:19]
	s_cbranch_execz .LBB48_397
; %bb.326:                              ;   in Loop: Header=BB48_4 Depth=1
	v_mov_b32_e32 v9, s30
	v_mov_b32_e32 v10, s31
	flat_store_dword v[9:10], v59
	s_waitcnt vmcnt(0)
	flat_load_dword v9, v[9:10] glc
	s_waitcnt vmcnt(0)
	v_cmp_nlt_f64_e64 s[16:17], |v[1:2]|, s[98:99]
	v_cmp_nlt_f64_e64 s[18:19], |v[3:4]|, s[98:99]
	s_or_b64 s[16:17], s[18:19], s[16:17]
	s_waitcnt lgkmcnt(0)
	v_add_f32_e32 v11, 1.0, v9
	v_mov_b32_e32 v9, s34
	v_mov_b32_e32 v10, s35
	flat_store_dword v[9:10], v11
	s_waitcnt vmcnt(0)
	flat_load_dword v9, v[9:10] glc
	s_waitcnt vmcnt(0)
	v_mov_b32_e32 v11, v3
	s_and_saveexec_b64 s[18:19], s[16:17]
	s_xor_b64 s[90:91], exec, s[18:19]
	s_cbranch_execz .LBB48_394
; %bb.327:                              ;   in Loop: Header=BB48_4 Depth=1
	s_waitcnt lgkmcnt(0)
	v_add_f64 v[9:10], |v[1:2]|, 1.0
	s_mov_b32 s16, 0
	s_mov_b32 s17, 0x40240000
	v_max_f64 v[11:12], v[36:37], v[9:10]
	v_frexp_exp_i32_f64_e32 v42, v[11:12]
	v_sub_u32_e32 v34, 0, v42
	v_ldexp_f64 v[11:12], |v[3:4]|, v34
	v_ldexp_f64 v[34:35], v[9:10], v34
	v_mul_f64 v[34:35], v[34:35], v[34:35]
	v_fma_f64 v[11:12], v[11:12], v[11:12], v[34:35]
	v_rsq_f64_e32 v[34:35], v[11:12]
	v_cmp_eq_f64_e32 vcc, 0, v[11:12]
	v_mul_f64 v[38:39], v[11:12], v[34:35]
	v_mul_f64 v[34:35], v[34:35], 0.5
	v_fma_f64 v[40:41], -v[34:35], v[38:39], 0.5
	v_fma_f64 v[38:39], v[38:39], v[40:41], v[38:39]
	v_fma_f64 v[34:35], v[34:35], v[40:41], v[34:35]
	v_fma_f64 v[40:41], -v[38:39], v[38:39], v[11:12]
	v_fma_f64 v[34:35], v[40:41], v[34:35], v[38:39]
	v_cndmask_b32_e32 v12, v35, v12, vcc
	v_cndmask_b32_e32 v11, v34, v11, vcc
	v_ldexp_f64 v[11:12], v[11:12], v42
	v_cmp_neq_f64_e32 vcc, s[74:75], v[9:10]
	v_add_f64 v[34:35], |v[1:2]|, -1.0
	v_cndmask_b32_e32 v39, v61, v12, vcc
	v_cndmask_b32_e32 v38, 0, v11, vcc
	v_max_f64 v[11:12], v[36:37], |v[34:35]|
	v_frexp_exp_i32_f64_e32 v44, v[11:12]
	v_sub_u32_e32 v36, 0, v44
	v_ldexp_f64 v[11:12], |v[3:4]|, v36
	v_ldexp_f64 v[36:37], |v[34:35]|, v36
	v_mul_f64 v[36:37], v[36:37], v[36:37]
	v_fma_f64 v[11:12], v[11:12], v[11:12], v[36:37]
	v_rsq_f64_e32 v[36:37], v[11:12]
	v_cmp_eq_f64_e32 vcc, 0, v[11:12]
	v_mul_f64 v[40:41], v[11:12], v[36:37]
	v_mul_f64 v[36:37], v[36:37], 0.5
	v_fma_f64 v[42:43], -v[36:37], v[40:41], 0.5
	v_fma_f64 v[40:41], v[40:41], v[42:43], v[40:41]
	v_fma_f64 v[36:37], v[36:37], v[42:43], v[36:37]
	v_fma_f64 v[42:43], -v[40:41], v[40:41], v[11:12]
	v_fma_f64 v[36:37], v[42:43], v[36:37], v[40:41]
	v_cndmask_b32_e32 v12, v37, v12, vcc
	v_cndmask_b32_e32 v11, v36, v11, vcc
	v_ldexp_f64 v[11:12], v[11:12], v44
	v_cmp_neq_f64_e64 vcc, |v[34:35]|, s[74:75]
	v_cndmask_b32_e32 v41, v61, v12, vcc
	v_cndmask_b32_e32 v40, 0, v11, vcc
	v_add_f64 v[11:12], v[38:39], v[40:41]
	v_mul_f64 v[11:12], v[11:12], 0.5
	v_cmp_ngt_f64_e32 vcc, 1.0, v[11:12]
	v_cndmask_b32_e32 v37, v62, v12, vcc
	v_cndmask_b32_e32 v36, 0, v11, vcc
	v_cmp_ngt_f64_e32 vcc, s[16:17], v[36:37]
                                        ; implicit-def: $vgpr11_vgpr12
	s_and_saveexec_b64 s[16:17], vcc
	s_xor_b64 s[16:17], exec, s[16:17]
	s_cbranch_execz .LBB48_329
; %bb.328:                              ;   in Loop: Header=BB48_4 Depth=1
	v_fma_f64 v[11:12], v[36:37], v[36:37], -1.0
	s_mov_b32 s18, 0
	s_brev_b32 s19, 8
	s_mov_b32 s39, s81
	v_cmp_gt_f64_e32 vcc, s[18:19], v[11:12]
	v_cndmask_b32_e32 v42, 0, v63, vcc
	v_ldexp_f64 v[11:12], v[11:12], v42
	v_rsq_f64_e32 v[42:43], v[11:12]
	v_mul_f64 v[44:45], v[11:12], v[42:43]
	v_mul_f64 v[42:43], v[42:43], 0.5
	v_fma_f64 v[46:47], -v[42:43], v[44:45], 0.5
	v_fma_f64 v[44:45], v[44:45], v[46:47], v[44:45]
	v_fma_f64 v[42:43], v[42:43], v[46:47], v[42:43]
	v_fma_f64 v[48:49], -v[44:45], v[44:45], v[11:12]
	v_fma_f64 v[44:45], v[48:49], v[42:43], v[44:45]
	v_fma_f64 v[46:47], -v[44:45], v[44:45], v[11:12]
	v_fma_f64 v[42:43], v[46:47], v[42:43], v[44:45]
	v_cndmask_b32_e32 v44, 0, v64, vcc
	v_cmp_class_f64_e32 vcc, v[11:12], v60
	v_ldexp_f64 v[42:43], v[42:43], v44
	v_cndmask_b32_e32 v12, v43, v12, vcc
	v_cndmask_b32_e32 v11, v42, v11, vcc
	v_add_f64 v[11:12], v[36:37], v[11:12]
	v_frexp_mant_f64_e32 v[42:43], v[11:12]
	v_frexp_exp_i32_f64_e32 v44, v[11:12]
	v_cmp_gt_f64_e32 vcc, s[80:81], v[42:43]
	v_cndmask_b32_e64 v45, 0, 1, vcc
	v_ldexp_f64 v[42:43], v[42:43], v45
	v_subbrev_co_u32_e32 v78, vcc, 0, v44, vcc
	v_cmp_class_f64_e64 vcc, v[11:12], s56
	v_add_f64 v[46:47], v[42:43], 1.0
	v_add_f64 v[44:45], v[42:43], -1.0
	v_add_f64 v[48:49], v[46:47], -1.0
	v_add_f64 v[42:43], v[42:43], -v[48:49]
	v_rcp_f64_e32 v[48:49], v[46:47]
	v_fma_f64 v[72:73], -v[46:47], v[48:49], 1.0
	v_fma_f64 v[48:49], v[72:73], v[48:49], v[48:49]
	v_fma_f64 v[72:73], -v[46:47], v[48:49], 1.0
	v_fma_f64 v[48:49], v[72:73], v[48:49], v[48:49]
	v_mul_f64 v[72:73], v[44:45], v[48:49]
	v_mul_f64 v[74:75], v[46:47], v[72:73]
	v_fma_f64 v[46:47], v[72:73], v[46:47], -v[74:75]
	v_fma_f64 v[42:43], v[72:73], v[42:43], v[46:47]
	v_add_f64 v[46:47], v[74:75], v[42:43]
	v_add_f64 v[76:77], v[44:45], -v[46:47]
	v_add_f64 v[74:75], v[46:47], -v[74:75]
	;; [unrolled: 1-line block ×5, first 2 shown]
	v_add_f64 v[42:43], v[42:43], v[44:45]
	v_add_f64 v[42:43], v[76:77], v[42:43]
	v_mul_f64 v[42:43], v[48:49], v[42:43]
	v_add_f64 v[44:45], v[72:73], v[42:43]
	v_add_f64 v[46:47], v[44:45], -v[72:73]
	v_ldexp_f64 v[72:73], v[44:45], 1
	v_add_f64 v[42:43], v[42:43], -v[46:47]
	v_mul_f64 v[46:47], v[44:45], v[44:45]
	v_ldexp_f64 v[42:43], v[42:43], 1
	v_fma_f64 v[48:49], v[46:47], s[40:41], v[26:27]
	v_mul_f64 v[44:45], v[44:45], v[46:47]
	v_fma_f64 v[48:49], v[46:47], v[48:49], s[42:43]
	v_fma_f64 v[48:49], v[46:47], v[48:49], s[44:45]
	v_fma_f64 v[48:49], v[46:47], v[48:49], s[46:47]
	v_fma_f64 v[48:49], v[46:47], v[48:49], s[48:49]
	v_fma_f64 v[48:49], v[46:47], v[48:49], s[38:39]
	v_mul_f64 v[44:45], v[44:45], v[48:49]
	v_add_f64 v[46:47], v[72:73], v[44:45]
	v_add_f64 v[48:49], v[46:47], -v[72:73]
	v_add_f64 v[44:45], v[44:45], -v[48:49]
	v_add_f64 v[42:43], v[42:43], v[44:45]
	v_add_f64 v[44:45], v[46:47], v[42:43]
	v_add_f64 v[46:47], v[44:45], -v[46:47]
	v_add_f64 v[42:43], v[42:43], -v[46:47]
	v_cvt_f64_i32_e32 v[46:47], v78
	v_mul_f64 v[48:49], v[46:47], s[50:51]
	v_fma_f64 v[72:73], v[46:47], s[50:51], -v[48:49]
	v_fma_f64 v[46:47], v[46:47], s[52:53], v[72:73]
	v_add_f64 v[72:73], v[48:49], v[46:47]
	v_add_f64 v[48:49], v[72:73], -v[48:49]
	v_add_f64 v[46:47], v[46:47], -v[48:49]
	v_add_f64 v[48:49], v[72:73], v[44:45]
	v_add_f64 v[74:75], v[48:49], -v[72:73]
	v_add_f64 v[76:77], v[48:49], -v[74:75]
	;; [unrolled: 1-line block ×4, first 2 shown]
	v_add_f64 v[44:45], v[44:45], v[72:73]
	v_add_f64 v[72:73], v[46:47], v[42:43]
	v_add_f64 v[74:75], v[72:73], -v[46:47]
	v_add_f64 v[44:45], v[72:73], v[44:45]
	v_add_f64 v[76:77], v[72:73], -v[74:75]
	v_add_f64 v[42:43], v[42:43], -v[74:75]
	;; [unrolled: 1-line block ×3, first 2 shown]
	v_add_f64 v[42:43], v[42:43], v[46:47]
	v_add_f64 v[46:47], v[48:49], v[44:45]
	v_add_f64 v[48:49], v[46:47], -v[48:49]
	v_add_f64 v[44:45], v[44:45], -v[48:49]
	v_add_f64 v[42:43], v[42:43], v[44:45]
	v_add_f64 v[42:43], v[46:47], v[42:43]
	v_cndmask_b32_e32 v42, v42, v11, vcc
	v_cndmask_b32_e32 v43, v43, v12, vcc
	v_cmp_neq_f64_e32 vcc, 0, v[11:12]
	v_cndmask_b32_e32 v12, v65, v43, vcc
	v_cndmask_b32_e32 v11, 0, v42, vcc
.LBB48_329:                             ;   in Loop: Header=BB48_4 Depth=1
	s_or_saveexec_b64 s[18:19], s[16:17]
	v_and_b32_e32 v43, 0x7fffffff, v4
	v_mov_b32_e32 v42, v3
	s_xor_b64 exec, exec, s[18:19]
	s_cbranch_execz .LBB48_351
; %bb.330:                              ;   in Loop: Header=BB48_4 Depth=1
	s_mov_b32 s92, 0
	s_mov_b32 s93, 0x39000000
	v_cmp_neq_f64_e64 s[16:17], |v[1:2]|, 1.0
	v_cmp_nlt_f64_e64 s[92:93], |v[3:4]|, s[92:93]
                                        ; implicit-def: $vgpr11_vgpr12
	s_or_b64 s[16:17], s[92:93], s[16:17]
	s_and_saveexec_b64 s[92:93], s[16:17]
	s_xor_b64 s[92:93], exec, s[92:93]
	s_cbranch_execz .LBB48_348
; %bb.331:                              ;   in Loop: Header=BB48_4 Depth=1
	v_ldexp_f64 v[11:12], |v[34:35]|, s57
	v_cmp_ge_f64_e64 s[16:17], |v[3:4]|, v[11:12]
                                        ; implicit-def: $vgpr11_vgpr12
	s_and_saveexec_b64 s[94:95], s[16:17]
	s_xor_b64 s[94:95], exec, s[94:95]
	s_cbranch_execz .LBB48_341
; %bb.332:                              ;   in Loop: Header=BB48_4 Depth=1
	v_cmp_neq_f64_e32 vcc, 0, v[9:10]
	v_mov_b32_e32 v11, v42
	v_mov_b32_e32 v12, v43
	s_and_saveexec_b64 s[16:17], vcc
	s_cbranch_execz .LBB48_334
; %bb.333:                              ;   in Loop: Header=BB48_4 Depth=1
	v_mul_f64 v[11:12], v[3:4], v[3:4]
	v_add_f64 v[44:45], v[9:10], v[38:39]
	v_div_scale_f64 v[46:47], s[96:97], v[44:45], v[44:45], v[11:12]
	v_div_scale_f64 v[74:75], vcc, v[11:12], v[44:45], v[11:12]
	v_rcp_f64_e32 v[48:49], v[46:47]
	v_fma_f64 v[72:73], -v[46:47], v[48:49], 1.0
	v_fma_f64 v[48:49], v[48:49], v[72:73], v[48:49]
	v_fma_f64 v[72:73], -v[46:47], v[48:49], 1.0
	v_fma_f64 v[48:49], v[48:49], v[72:73], v[48:49]
	v_mul_f64 v[72:73], v[74:75], v[48:49]
	v_fma_f64 v[46:47], -v[46:47], v[72:73], v[74:75]
	v_div_fmas_f64 v[46:47], v[46:47], v[48:49], v[72:73]
	v_div_fixup_f64 v[11:12], v[46:47], v[44:45], v[11:12]
.LBB48_334:                             ;   in Loop: Header=BB48_4 Depth=1
	s_or_b64 exec, exec, s[16:17]
	v_add_f64 v[46:47], -|v[1:2]|, 1.0
                                        ; implicit-def: $vgpr44_vgpr45
	v_cmp_ngt_f64_e32 vcc, 0, v[46:47]
	s_and_saveexec_b64 s[16:17], vcc
	s_xor_b64 s[16:17], exec, s[16:17]
	s_cbranch_execz .LBB48_338
; %bb.335:                              ;   in Loop: Header=BB48_4 Depth=1
	v_cmp_neq_f64_e32 vcc, 0, v[46:47]
	v_mov_b32_e32 v45, v43
	v_mov_b32_e32 v44, v42
	s_and_saveexec_b64 s[96:97], vcc
	s_cbranch_execz .LBB48_337
; %bb.336:                              ;   in Loop: Header=BB48_4 Depth=1
	v_mul_f64 v[44:45], v[3:4], v[3:4]
	v_add_f64 v[46:47], v[46:47], v[40:41]
	v_div_scale_f64 v[48:49], s[98:99], v[46:47], v[46:47], v[44:45]
	v_div_scale_f64 v[76:77], vcc, v[44:45], v[46:47], v[44:45]
	v_rcp_f64_e32 v[72:73], v[48:49]
	v_fma_f64 v[74:75], -v[48:49], v[72:73], 1.0
	v_fma_f64 v[72:73], v[72:73], v[74:75], v[72:73]
	v_fma_f64 v[74:75], -v[48:49], v[72:73], 1.0
	v_fma_f64 v[72:73], v[72:73], v[74:75], v[72:73]
	v_mul_f64 v[74:75], v[76:77], v[72:73]
	v_fma_f64 v[48:49], -v[48:49], v[74:75], v[76:77]
	v_div_fmas_f64 v[48:49], v[48:49], v[72:73], v[74:75]
	v_div_fixup_f64 v[44:45], v[48:49], v[46:47], v[44:45]
.LBB48_337:                             ;   in Loop: Header=BB48_4 Depth=1
	s_or_b64 exec, exec, s[96:97]
	s_mov_b32 s98, 0x1409212f
	s_mov_b32 s99, 0x3e43988e
                                        ; implicit-def: $vgpr46_vgpr47
.LBB48_338:                             ;   in Loop: Header=BB48_4 Depth=1
	s_andn2_saveexec_b64 s[16:17], s[16:17]
; %bb.339:                              ;   in Loop: Header=BB48_4 Depth=1
	v_add_f64 v[44:45], v[40:41], -v[46:47]
; %bb.340:                              ;   in Loop: Header=BB48_4 Depth=1
	s_or_b64 exec, exec, s[16:17]
	v_mul_f64 v[44:45], v[44:45], 0.5
	s_mov_b32 s16, 0
	s_brev_b32 s17, 8
	s_mov_b32 s39, s81
	v_fma_f64 v[11:12], v[11:12], 0.5, v[44:45]
	v_add_f64 v[44:45], v[36:37], 1.0
	v_mul_f64 v[44:45], v[44:45], v[11:12]
	v_cmp_gt_f64_e32 vcc, s[16:17], v[44:45]
	v_cndmask_b32_e32 v46, 0, v63, vcc
	v_ldexp_f64 v[44:45], v[44:45], v46
	v_rsq_f64_e32 v[46:47], v[44:45]
	v_mul_f64 v[48:49], v[44:45], v[46:47]
	v_mul_f64 v[46:47], v[46:47], 0.5
	v_fma_f64 v[72:73], -v[46:47], v[48:49], 0.5
	v_fma_f64 v[48:49], v[48:49], v[72:73], v[48:49]
	v_fma_f64 v[46:47], v[46:47], v[72:73], v[46:47]
	v_fma_f64 v[74:75], -v[48:49], v[48:49], v[44:45]
	v_fma_f64 v[48:49], v[74:75], v[46:47], v[48:49]
	v_fma_f64 v[72:73], -v[48:49], v[48:49], v[44:45]
	v_fma_f64 v[46:47], v[72:73], v[46:47], v[48:49]
	v_cndmask_b32_e32 v48, 0, v64, vcc
	v_cmp_class_f64_e32 vcc, v[44:45], v60
	v_ldexp_f64 v[46:47], v[46:47], v48
	v_cndmask_b32_e32 v45, v47, v45, vcc
	v_cndmask_b32_e32 v44, v46, v44, vcc
	v_add_f64 v[44:45], v[11:12], v[44:45]
	v_add_f64 v[11:12], v[44:45], 1.0
	v_cmp_ngt_f64_e64 s[16:17], -1.0, v[44:45]
	v_add_f64 v[46:47], v[11:12], -1.0
	v_frexp_exp_i32_f64_e32 v72, v[11:12]
	v_add_f64 v[48:49], v[46:47], -v[11:12]
	v_add_f64 v[46:47], v[44:45], -v[46:47]
	v_add_f64 v[48:49], v[48:49], 1.0
	v_add_f64 v[46:47], v[46:47], v[48:49]
	v_frexp_mant_f64_e32 v[48:49], v[11:12]
	v_cmp_gt_f64_e32 vcc, s[80:81], v[48:49]
	v_subbrev_co_u32_e32 v86, vcc, 0, v72, vcc
	v_sub_u32_e32 v48, 0, v86
	v_ldexp_f64 v[11:12], v[11:12], v48
	v_ldexp_f64 v[46:47], v[46:47], v48
	v_cmp_neq_f64_e32 vcc, s[74:75], v[44:45]
	v_add_f64 v[48:49], v[11:12], -1.0
	v_add_f64 v[72:73], v[48:49], 1.0
	v_add_f64 v[72:73], v[11:12], -v[72:73]
	v_add_f64 v[72:73], v[46:47], v[72:73]
	v_add_f64 v[74:75], v[48:49], v[72:73]
	v_add_f64 v[48:49], v[74:75], -v[48:49]
	v_add_f64 v[48:49], v[72:73], -v[48:49]
	v_add_f64 v[72:73], v[11:12], 1.0
	v_add_f64 v[76:77], v[72:73], -1.0
	v_add_f64 v[11:12], v[11:12], -v[76:77]
	v_add_f64 v[11:12], v[46:47], v[11:12]
	v_add_f64 v[46:47], v[72:73], v[11:12]
	v_add_f64 v[72:73], v[46:47], -v[72:73]
	v_add_f64 v[11:12], v[11:12], -v[72:73]
	v_rcp_f64_e32 v[72:73], v[46:47]
	v_fma_f64 v[76:77], -v[46:47], v[72:73], 1.0
	v_fma_f64 v[72:73], v[76:77], v[72:73], v[72:73]
	v_fma_f64 v[76:77], -v[46:47], v[72:73], 1.0
	v_fma_f64 v[72:73], v[76:77], v[72:73], v[72:73]
	v_mul_f64 v[76:77], v[74:75], v[72:73]
	v_mul_f64 v[78:79], v[46:47], v[76:77]
	v_fma_f64 v[80:81], v[76:77], v[46:47], -v[78:79]
	v_fma_f64 v[80:81], v[76:77], v[11:12], v[80:81]
	v_add_f64 v[82:83], v[78:79], v[80:81]
	v_add_f64 v[84:85], v[74:75], -v[82:83]
	v_add_f64 v[78:79], v[82:83], -v[78:79]
	;; [unrolled: 1-line block ×4, first 2 shown]
	v_add_f64 v[48:49], v[48:49], v[74:75]
	v_add_f64 v[74:75], v[78:79], -v[80:81]
	v_add_f64 v[48:49], v[74:75], v[48:49]
	v_add_f64 v[74:75], v[84:85], v[48:49]
	v_add_f64 v[78:79], v[84:85], -v[74:75]
	v_add_f64 v[48:49], v[48:49], v[78:79]
	v_mul_f64 v[78:79], v[72:73], v[74:75]
	v_mul_f64 v[80:81], v[46:47], v[78:79]
	v_fma_f64 v[46:47], v[78:79], v[46:47], -v[80:81]
	v_fma_f64 v[11:12], v[78:79], v[11:12], v[46:47]
	v_add_f64 v[46:47], v[80:81], v[11:12]
	v_add_f64 v[82:83], v[74:75], -v[46:47]
	v_add_f64 v[80:81], v[46:47], -v[80:81]
	;; [unrolled: 1-line block ×5, first 2 shown]
	v_cvt_f64_i32_e32 v[74:75], v86
	v_add_f64 v[46:47], v[48:49], v[46:47]
	v_add_f64 v[11:12], v[11:12], v[46:47]
	;; [unrolled: 1-line block ×4, first 2 shown]
	v_add_f64 v[48:49], v[46:47], -v[76:77]
	v_mul_f64 v[76:77], v[74:75], s[50:51]
	v_mul_f64 v[11:12], v[72:73], v[11:12]
	v_add_f64 v[48:49], v[78:79], -v[48:49]
	v_fma_f64 v[78:79], v[74:75], s[50:51], -v[76:77]
	v_add_f64 v[11:12], v[48:49], v[11:12]
	v_fma_f64 v[74:75], v[74:75], s[52:53], v[78:79]
	v_add_f64 v[48:49], v[46:47], v[11:12]
	v_add_f64 v[78:79], v[76:77], v[74:75]
	v_add_f64 v[46:47], v[48:49], -v[46:47]
	v_add_f64 v[76:77], v[78:79], -v[76:77]
	v_add_f64 v[11:12], v[11:12], -v[46:47]
	v_mul_f64 v[46:47], v[48:49], v[48:49]
	v_add_f64 v[74:75], v[74:75], -v[76:77]
	v_ldexp_f64 v[76:77], v[48:49], 1
	v_ldexp_f64 v[11:12], v[11:12], 1
	v_fma_f64 v[72:73], v[46:47], s[40:41], v[26:27]
	v_fma_f64 v[72:73], v[46:47], v[72:73], s[42:43]
	;; [unrolled: 1-line block ×6, first 2 shown]
	v_mul_f64 v[46:47], v[48:49], v[46:47]
	v_mul_f64 v[46:47], v[46:47], v[72:73]
	v_add_f64 v[48:49], v[76:77], v[46:47]
	v_add_f64 v[72:73], v[48:49], -v[76:77]
	v_add_f64 v[46:47], v[46:47], -v[72:73]
	v_add_f64 v[11:12], v[11:12], v[46:47]
	v_add_f64 v[46:47], v[48:49], v[11:12]
	v_add_f64 v[48:49], v[46:47], -v[48:49]
	v_add_f64 v[11:12], v[11:12], -v[48:49]
	v_add_f64 v[48:49], v[78:79], v[46:47]
	v_add_f64 v[72:73], v[48:49], -v[78:79]
	v_add_f64 v[76:77], v[48:49], -v[72:73]
	;; [unrolled: 1-line block ×3, first 2 shown]
	v_add_f64 v[72:73], v[74:75], v[11:12]
	v_add_f64 v[76:77], v[78:79], -v[76:77]
	v_add_f64 v[46:47], v[46:47], v[76:77]
	v_add_f64 v[76:77], v[72:73], -v[74:75]
	;; [unrolled: 2-line block ×3, first 2 shown]
	v_add_f64 v[11:12], v[11:12], -v[76:77]
	v_add_f64 v[72:73], v[48:49], v[46:47]
	v_add_f64 v[74:75], v[74:75], -v[78:79]
	v_add_f64 v[48:49], v[72:73], -v[48:49]
	v_add_f64 v[11:12], v[11:12], v[74:75]
	v_add_f64 v[46:47], v[46:47], -v[48:49]
	v_add_f64 v[11:12], v[11:12], v[46:47]
	v_add_f64 v[11:12], v[72:73], v[11:12]
	v_cndmask_b32_e32 v12, v61, v12, vcc
	v_cndmask_b32_e64 v12, v66, v12, s[16:17]
	v_cmp_nge_f64_e64 s[16:17], -1.0, v[44:45]
	s_and_b64 vcc, s[16:17], vcc
	v_cndmask_b32_e32 v11, 0, v11, vcc
	v_cmp_neq_f64_e32 vcc, -1.0, v[44:45]
	v_cndmask_b32_e32 v12, v65, v12, vcc
.LBB48_341:                             ;   in Loop: Header=BB48_4 Depth=1
	s_andn2_saveexec_b64 s[94:95], s[94:95]
	s_cbranch_execz .LBB48_347
; %bb.342:                              ;   in Loop: Header=BB48_4 Depth=1
	v_cmp_nlt_f64_e64 s[16:17], |v[1:2]|, 1.0
                                        ; implicit-def: $vgpr11_vgpr12
	s_and_saveexec_b64 s[96:97], s[16:17]
	s_xor_b64 s[96:97], exec, s[96:97]
	s_cbranch_execz .LBB48_344
; %bb.343:                              ;   in Loop: Header=BB48_4 Depth=1
	v_mul_f64 v[11:12], v[34:35], v[9:10]
	s_mov_b32 s16, 0
	s_brev_b32 s17, 8
	s_mov_b32 s39, s81
	v_cmp_gt_f64_e32 vcc, s[16:17], v[11:12]
	v_cndmask_b32_e32 v44, 0, v63, vcc
	v_ldexp_f64 v[11:12], v[11:12], v44
	v_rsq_f64_e32 v[44:45], v[11:12]
	v_mul_f64 v[46:47], v[11:12], v[44:45]
	v_mul_f64 v[44:45], v[44:45], 0.5
	v_fma_f64 v[48:49], -v[44:45], v[46:47], 0.5
	v_fma_f64 v[46:47], v[46:47], v[48:49], v[46:47]
	v_fma_f64 v[44:45], v[44:45], v[48:49], v[44:45]
	v_fma_f64 v[72:73], -v[46:47], v[46:47], v[11:12]
	v_fma_f64 v[46:47], v[72:73], v[44:45], v[46:47]
	v_fma_f64 v[48:49], -v[46:47], v[46:47], v[11:12]
	v_fma_f64 v[44:45], v[48:49], v[44:45], v[46:47]
	v_cndmask_b32_e32 v46, 0, v64, vcc
	v_cmp_class_f64_e32 vcc, v[11:12], v60
	v_ldexp_f64 v[44:45], v[44:45], v46
	v_cndmask_b32_e32 v12, v45, v12, vcc
	v_cndmask_b32_e32 v11, v44, v11, vcc
	v_add_f64 v[44:45], v[34:35], v[11:12]
	v_add_f64 v[11:12], v[44:45], 1.0
	v_cmp_ngt_f64_e64 s[16:17], -1.0, v[44:45]
	v_add_f64 v[46:47], v[11:12], -1.0
	v_frexp_exp_i32_f64_e32 v72, v[11:12]
	v_add_f64 v[48:49], v[46:47], -v[11:12]
	v_add_f64 v[46:47], v[44:45], -v[46:47]
	v_add_f64 v[48:49], v[48:49], 1.0
	v_add_f64 v[46:47], v[46:47], v[48:49]
	v_frexp_mant_f64_e32 v[48:49], v[11:12]
	v_cmp_gt_f64_e32 vcc, s[80:81], v[48:49]
	v_subbrev_co_u32_e32 v86, vcc, 0, v72, vcc
	v_sub_u32_e32 v48, 0, v86
	v_ldexp_f64 v[11:12], v[11:12], v48
	v_ldexp_f64 v[46:47], v[46:47], v48
	v_cmp_neq_f64_e32 vcc, s[74:75], v[44:45]
	v_add_f64 v[48:49], v[11:12], -1.0
	v_add_f64 v[72:73], v[48:49], 1.0
	v_add_f64 v[72:73], v[11:12], -v[72:73]
	v_add_f64 v[72:73], v[46:47], v[72:73]
	v_add_f64 v[74:75], v[48:49], v[72:73]
	v_add_f64 v[48:49], v[74:75], -v[48:49]
	v_add_f64 v[48:49], v[72:73], -v[48:49]
	v_add_f64 v[72:73], v[11:12], 1.0
	v_add_f64 v[76:77], v[72:73], -1.0
	v_add_f64 v[11:12], v[11:12], -v[76:77]
	v_add_f64 v[11:12], v[46:47], v[11:12]
	v_add_f64 v[46:47], v[72:73], v[11:12]
	v_add_f64 v[72:73], v[46:47], -v[72:73]
	v_add_f64 v[11:12], v[11:12], -v[72:73]
	v_rcp_f64_e32 v[72:73], v[46:47]
	v_fma_f64 v[76:77], -v[46:47], v[72:73], 1.0
	v_fma_f64 v[72:73], v[76:77], v[72:73], v[72:73]
	v_fma_f64 v[76:77], -v[46:47], v[72:73], 1.0
	v_fma_f64 v[72:73], v[76:77], v[72:73], v[72:73]
	v_mul_f64 v[76:77], v[74:75], v[72:73]
	v_mul_f64 v[78:79], v[46:47], v[76:77]
	v_fma_f64 v[80:81], v[76:77], v[46:47], -v[78:79]
	v_fma_f64 v[80:81], v[76:77], v[11:12], v[80:81]
	v_add_f64 v[82:83], v[78:79], v[80:81]
	v_add_f64 v[84:85], v[74:75], -v[82:83]
	v_add_f64 v[78:79], v[82:83], -v[78:79]
	;; [unrolled: 1-line block ×4, first 2 shown]
	v_add_f64 v[48:49], v[48:49], v[74:75]
	v_add_f64 v[74:75], v[78:79], -v[80:81]
	v_add_f64 v[48:49], v[74:75], v[48:49]
	v_add_f64 v[74:75], v[84:85], v[48:49]
	v_add_f64 v[78:79], v[84:85], -v[74:75]
	v_add_f64 v[48:49], v[48:49], v[78:79]
	v_mul_f64 v[78:79], v[72:73], v[74:75]
	v_mul_f64 v[80:81], v[46:47], v[78:79]
	v_fma_f64 v[46:47], v[78:79], v[46:47], -v[80:81]
	v_fma_f64 v[11:12], v[78:79], v[11:12], v[46:47]
	v_add_f64 v[46:47], v[80:81], v[11:12]
	v_add_f64 v[82:83], v[74:75], -v[46:47]
	v_add_f64 v[80:81], v[46:47], -v[80:81]
	;; [unrolled: 1-line block ×5, first 2 shown]
	v_cvt_f64_i32_e32 v[74:75], v86
	v_add_f64 v[46:47], v[48:49], v[46:47]
	v_add_f64 v[11:12], v[11:12], v[46:47]
	;; [unrolled: 1-line block ×4, first 2 shown]
	v_add_f64 v[48:49], v[46:47], -v[76:77]
	v_mul_f64 v[76:77], v[74:75], s[50:51]
	v_mul_f64 v[11:12], v[72:73], v[11:12]
	v_add_f64 v[48:49], v[78:79], -v[48:49]
	v_fma_f64 v[78:79], v[74:75], s[50:51], -v[76:77]
	v_add_f64 v[11:12], v[48:49], v[11:12]
	v_fma_f64 v[74:75], v[74:75], s[52:53], v[78:79]
	v_add_f64 v[48:49], v[46:47], v[11:12]
	v_add_f64 v[78:79], v[76:77], v[74:75]
	v_add_f64 v[46:47], v[48:49], -v[46:47]
	v_add_f64 v[76:77], v[78:79], -v[76:77]
	;; [unrolled: 1-line block ×3, first 2 shown]
	v_mul_f64 v[46:47], v[48:49], v[48:49]
	v_add_f64 v[74:75], v[74:75], -v[76:77]
	v_ldexp_f64 v[76:77], v[48:49], 1
	v_ldexp_f64 v[11:12], v[11:12], 1
	v_fma_f64 v[72:73], v[46:47], s[40:41], v[26:27]
	v_fma_f64 v[72:73], v[46:47], v[72:73], s[42:43]
	;; [unrolled: 1-line block ×6, first 2 shown]
	v_mul_f64 v[46:47], v[48:49], v[46:47]
	v_mul_f64 v[46:47], v[46:47], v[72:73]
	v_add_f64 v[48:49], v[76:77], v[46:47]
	v_add_f64 v[72:73], v[48:49], -v[76:77]
	v_add_f64 v[46:47], v[46:47], -v[72:73]
	v_add_f64 v[11:12], v[11:12], v[46:47]
	v_add_f64 v[46:47], v[48:49], v[11:12]
	v_add_f64 v[48:49], v[46:47], -v[48:49]
	v_add_f64 v[11:12], v[11:12], -v[48:49]
	v_add_f64 v[48:49], v[78:79], v[46:47]
	v_add_f64 v[72:73], v[48:49], -v[78:79]
	v_add_f64 v[76:77], v[48:49], -v[72:73]
	;; [unrolled: 1-line block ×3, first 2 shown]
	v_add_f64 v[72:73], v[74:75], v[11:12]
	v_add_f64 v[76:77], v[78:79], -v[76:77]
	v_add_f64 v[46:47], v[46:47], v[76:77]
	v_add_f64 v[76:77], v[72:73], -v[74:75]
	;; [unrolled: 2-line block ×3, first 2 shown]
	v_add_f64 v[11:12], v[11:12], -v[76:77]
	v_add_f64 v[72:73], v[48:49], v[46:47]
	v_add_f64 v[74:75], v[74:75], -v[78:79]
	v_add_f64 v[48:49], v[72:73], -v[48:49]
	v_add_f64 v[11:12], v[11:12], v[74:75]
	v_add_f64 v[46:47], v[46:47], -v[48:49]
	v_add_f64 v[11:12], v[11:12], v[46:47]
	v_add_f64 v[11:12], v[72:73], v[11:12]
	v_cndmask_b32_e32 v12, v61, v12, vcc
	v_cndmask_b32_e64 v12, v66, v12, s[16:17]
	v_cmp_nge_f64_e64 s[16:17], -1.0, v[44:45]
	s_and_b64 vcc, s[16:17], vcc
	v_cndmask_b32_e32 v11, 0, v11, vcc
	v_cmp_neq_f64_e32 vcc, -1.0, v[44:45]
	v_cndmask_b32_e32 v12, v65, v12, vcc
.LBB48_344:                             ;   in Loop: Header=BB48_4 Depth=1
	s_andn2_saveexec_b64 s[16:17], s[96:97]
	s_cbranch_execz .LBB48_346
; %bb.345:                              ;   in Loop: Header=BB48_4 Depth=1
	v_add_f64 v[11:12], -|v[1:2]|, 1.0
	s_mov_b32 s96, 0
	s_brev_b32 s97, 8
	v_mul_f64 v[11:12], v[11:12], v[9:10]
	v_cmp_gt_f64_e32 vcc, s[96:97], v[11:12]
	v_cndmask_b32_e32 v44, 0, v63, vcc
	v_ldexp_f64 v[11:12], v[11:12], v44
	v_rsq_f64_e32 v[44:45], v[11:12]
	v_mul_f64 v[46:47], v[11:12], v[44:45]
	v_mul_f64 v[44:45], v[44:45], 0.5
	v_fma_f64 v[48:49], -v[44:45], v[46:47], 0.5
	v_fma_f64 v[46:47], v[46:47], v[48:49], v[46:47]
	v_fma_f64 v[44:45], v[44:45], v[48:49], v[44:45]
	v_fma_f64 v[48:49], -v[46:47], v[46:47], v[11:12]
	v_fma_f64 v[46:47], v[48:49], v[44:45], v[46:47]
	v_fma_f64 v[48:49], -v[46:47], v[46:47], v[11:12]
	v_fma_f64 v[44:45], v[48:49], v[44:45], v[46:47]
	v_cndmask_b32_e32 v46, 0, v64, vcc
	v_cmp_class_f64_e32 vcc, v[11:12], v60
	v_mov_b32_e32 v47, v43
	v_ldexp_f64 v[44:45], v[44:45], v46
	v_mov_b32_e32 v46, v3
	v_cndmask_b32_e32 v12, v45, v12, vcc
	v_cndmask_b32_e32 v11, v44, v11, vcc
	v_div_scale_f64 v[44:45], s[96:97], v[11:12], v[11:12], v[46:47]
	v_div_scale_f64 v[46:47], vcc, v[46:47], v[11:12], v[46:47]
	v_rcp_f64_e32 v[48:49], v[44:45]
	v_fma_f64 v[72:73], -v[44:45], v[48:49], 1.0
	v_fma_f64 v[48:49], v[48:49], v[72:73], v[48:49]
	v_fma_f64 v[72:73], -v[44:45], v[48:49], 1.0
	v_fma_f64 v[48:49], v[48:49], v[72:73], v[48:49]
	v_mul_f64 v[72:73], v[46:47], v[48:49]
	v_fma_f64 v[44:45], -v[44:45], v[72:73], v[46:47]
	v_div_fmas_f64 v[44:45], v[44:45], v[48:49], v[72:73]
	v_div_fixup_f64 v[11:12], v[44:45], v[11:12], |v[3:4]|
.LBB48_346:                             ;   in Loop: Header=BB48_4 Depth=1
	s_or_b64 exec, exec, s[16:17]
.LBB48_347:                             ;   in Loop: Header=BB48_4 Depth=1
	s_or_b64 exec, exec, s[94:95]
.LBB48_348:                             ;   in Loop: Header=BB48_4 Depth=1
	s_andn2_saveexec_b64 s[16:17], s[92:93]
	s_cbranch_execz .LBB48_350
; %bb.349:                              ;   in Loop: Header=BB48_4 Depth=1
	s_mov_b32 s92, 0
	s_brev_b32 s93, 8
	v_cmp_lt_f64_e64 vcc, |v[3:4]|, s[92:93]
	v_cndmask_b32_e32 v11, 0, v63, vcc
	v_ldexp_f64 v[11:12], |v[3:4]|, v11
	v_rsq_f64_e32 v[44:45], v[11:12]
	v_mul_f64 v[46:47], v[11:12], v[44:45]
	v_mul_f64 v[44:45], v[44:45], 0.5
	v_fma_f64 v[48:49], -v[44:45], v[46:47], 0.5
	v_fma_f64 v[46:47], v[46:47], v[48:49], v[46:47]
	v_fma_f64 v[44:45], v[44:45], v[48:49], v[44:45]
	v_fma_f64 v[48:49], -v[46:47], v[46:47], v[11:12]
	v_fma_f64 v[46:47], v[48:49], v[44:45], v[46:47]
	v_fma_f64 v[48:49], -v[46:47], v[46:47], v[11:12]
	v_fma_f64 v[44:45], v[48:49], v[44:45], v[46:47]
	v_cndmask_b32_e32 v46, 0, v64, vcc
	v_cmp_class_f64_e32 vcc, v[11:12], v60
	v_ldexp_f64 v[44:45], v[44:45], v46
	v_cndmask_b32_e32 v12, v45, v12, vcc
	v_cndmask_b32_e32 v11, v44, v11, vcc
.LBB48_350:                             ;   in Loop: Header=BB48_4 Depth=1
	s_or_b64 exec, exec, s[16:17]
.LBB48_351:                             ;   in Loop: Header=BB48_4 Depth=1
	s_or_b64 exec, exec, s[18:19]
	s_mov_b32 s16, 0
	s_mov_b32 s17, 0x20200000
	v_cmp_nlt_f64_e64 s[16:17], |v[1:2]|, s[16:17]
                                        ; implicit-def: $sgpr92_sgpr93
                                        ; implicit-def: $vgpr44_vgpr45
                                        ; implicit-def: $vgpr48_vgpr49
                                        ; implicit-def: $vgpr46_vgpr47
	s_and_saveexec_b64 s[18:19], s[16:17]
	s_xor_b64 s[16:17], exec, s[18:19]
	s_cbranch_execz .LBB48_375
; %bb.352:                              ;   in Loop: Header=BB48_4 Depth=1
	v_and_b32_e32 v47, 0x7fffffff, v2
	v_mov_b32_e32 v46, v1
	v_div_scale_f64 v[44:45], s[18:19], v[36:37], v[36:37], v[46:47]
	v_div_scale_f64 v[74:75], vcc, v[46:47], v[36:37], v[46:47]
	s_mov_b32 s18, 0x703afb7f
	s_mov_b32 s19, 0x3fe488ce
	s_mov_b64 s[92:93], 0
	v_rcp_f64_e32 v[48:49], v[44:45]
	v_fma_f64 v[72:73], -v[44:45], v[48:49], 1.0
	v_fma_f64 v[48:49], v[48:49], v[72:73], v[48:49]
	v_fma_f64 v[72:73], -v[44:45], v[48:49], 1.0
	v_fma_f64 v[48:49], v[48:49], v[72:73], v[48:49]
	v_mul_f64 v[72:73], v[74:75], v[48:49]
	v_fma_f64 v[44:45], -v[44:45], v[72:73], v[74:75]
	v_div_fmas_f64 v[44:45], v[44:45], v[48:49], v[72:73]
                                        ; implicit-def: $vgpr48_vgpr49
	v_div_fixup_f64 v[44:45], v[44:45], v[36:37], |v[1:2]|
	v_cmp_lt_f64_e32 vcc, s[18:19], v[44:45]
	s_and_saveexec_b64 s[18:19], vcc
	s_cbranch_execz .LBB48_374
; %bb.353:                              ;   in Loop: Header=BB48_4 Depth=1
	s_mov_b32 s94, 0
	s_mov_b32 s95, 0x3c400000
	v_cmp_neq_f64_e64 s[92:93], |v[1:2]|, 1.0
	v_cmp_nlt_f64_e64 s[94:95], |v[3:4]|, s[94:95]
                                        ; implicit-def: $vgpr48_vgpr49
	s_or_b64 s[92:93], s[94:95], s[92:93]
	s_and_saveexec_b64 s[94:95], s[92:93]
	s_xor_b64 s[92:93], exec, s[94:95]
	s_cbranch_execz .LBB48_371
; %bb.354:                              ;   in Loop: Header=BB48_4 Depth=1
	v_ldexp_f64 v[48:49], |v[34:35]|, s57
	v_cmp_ge_f64_e64 s[94:95], |v[3:4]|, v[48:49]
                                        ; implicit-def: $vgpr48_vgpr49
	s_and_saveexec_b64 s[96:97], s[94:95]
	s_xor_b64 s[94:95], exec, s[96:97]
	s_cbranch_execz .LBB48_364
; %bb.355:                              ;   in Loop: Header=BB48_4 Depth=1
	v_cmp_neq_f64_e32 vcc, 0, v[9:10]
	v_mov_b32_e32 v49, v43
	v_mov_b32_e32 v48, v42
	s_and_saveexec_b64 s[96:97], vcc
	s_cbranch_execz .LBB48_357
; %bb.356:                              ;   in Loop: Header=BB48_4 Depth=1
	v_mul_f64 v[48:49], v[3:4], v[3:4]
	v_add_f64 v[9:10], v[9:10], v[38:39]
	v_div_scale_f64 v[38:39], s[98:99], v[9:10], v[9:10], v[48:49]
	v_div_scale_f64 v[76:77], vcc, v[48:49], v[9:10], v[48:49]
	v_rcp_f64_e32 v[72:73], v[38:39]
	v_fma_f64 v[74:75], -v[38:39], v[72:73], 1.0
	v_fma_f64 v[72:73], v[72:73], v[74:75], v[72:73]
	v_fma_f64 v[74:75], -v[38:39], v[72:73], 1.0
	v_fma_f64 v[72:73], v[72:73], v[74:75], v[72:73]
	v_mul_f64 v[74:75], v[76:77], v[72:73]
	v_fma_f64 v[38:39], -v[38:39], v[74:75], v[76:77]
	v_div_fmas_f64 v[38:39], v[38:39], v[72:73], v[74:75]
	v_div_fixup_f64 v[48:49], v[38:39], v[9:10], v[48:49]
.LBB48_357:                             ;   in Loop: Header=BB48_4 Depth=1
	s_or_b64 exec, exec, s[96:97]
	v_cmp_ngt_f64_e32 vcc, 0, v[34:35]
	s_and_saveexec_b64 s[96:97], vcc
	s_xor_b64 s[96:97], exec, s[96:97]
	s_cbranch_execz .LBB48_361
; %bb.358:                              ;   in Loop: Header=BB48_4 Depth=1
	v_cmp_neq_f64_e32 vcc, 0, v[34:35]
	s_and_saveexec_b64 s[98:99], vcc
	s_cbranch_execz .LBB48_360
; %bb.359:                              ;   in Loop: Header=BB48_4 Depth=1
	v_mul_f64 v[3:4], v[3:4], v[3:4]
	v_add_f64 v[9:10], v[34:35], v[40:41]
	v_div_scale_f64 v[34:35], vcc, v[9:10], v[9:10], v[3:4]
	v_div_scale_f64 v[42:43], vcc, v[3:4], v[9:10], v[3:4]
	v_rcp_f64_e32 v[38:39], v[34:35]
	v_fma_f64 v[40:41], -v[34:35], v[38:39], 1.0
	v_fma_f64 v[38:39], v[38:39], v[40:41], v[38:39]
	v_fma_f64 v[40:41], -v[34:35], v[38:39], 1.0
	v_fma_f64 v[38:39], v[38:39], v[40:41], v[38:39]
	v_mul_f64 v[40:41], v[42:43], v[38:39]
	v_fma_f64 v[34:35], -v[34:35], v[40:41], v[42:43]
	v_div_fmas_f64 v[34:35], v[34:35], v[38:39], v[40:41]
	v_div_fixup_f64 v[42:43], v[34:35], v[9:10], v[3:4]
.LBB48_360:                             ;   in Loop: Header=BB48_4 Depth=1
	s_or_b64 exec, exec, s[98:99]
                                        ; implicit-def: $vgpr40_vgpr41
                                        ; implicit-def: $vgpr34_vgpr35
.LBB48_361:                             ;   in Loop: Header=BB48_4 Depth=1
	s_andn2_saveexec_b64 s[96:97], s[96:97]
; %bb.362:                              ;   in Loop: Header=BB48_4 Depth=1
	v_add_f64 v[42:43], v[40:41], -v[34:35]
; %bb.363:                              ;   in Loop: Header=BB48_4 Depth=1
	s_or_b64 exec, exec, s[96:97]
	v_mul_f64 v[3:4], v[42:43], 0.5
	v_add_f64 v[9:10], |v[1:2]|, v[36:37]
	s_mov_b32 s96, 0
	s_brev_b32 s97, 8
	v_fma_f64 v[3:4], v[48:49], 0.5, v[3:4]
	v_mul_f64 v[3:4], v[9:10], v[3:4]
	v_cmp_gt_f64_e32 vcc, s[96:97], v[3:4]
	v_cndmask_b32_e32 v9, 0, v63, vcc
	v_ldexp_f64 v[3:4], v[3:4], v9
	v_rsq_f64_e32 v[9:10], v[3:4]
	v_mul_f64 v[34:35], v[3:4], v[9:10]
	v_mul_f64 v[9:10], v[9:10], 0.5
	v_fma_f64 v[36:37], -v[9:10], v[34:35], 0.5
	v_fma_f64 v[34:35], v[34:35], v[36:37], v[34:35]
	v_fma_f64 v[9:10], v[9:10], v[36:37], v[9:10]
	v_fma_f64 v[36:37], -v[34:35], v[34:35], v[3:4]
	v_fma_f64 v[34:35], v[36:37], v[9:10], v[34:35]
	v_fma_f64 v[36:37], -v[34:35], v[34:35], v[3:4]
	v_fma_f64 v[9:10], v[36:37], v[9:10], v[34:35]
	v_cndmask_b32_e32 v34, 0, v64, vcc
	v_cmp_class_f64_e32 vcc, v[3:4], v60
	v_ldexp_f64 v[9:10], v[9:10], v34
                                        ; implicit-def: $vgpr34_vgpr35
	v_cndmask_b32_e32 v49, v10, v4, vcc
	v_cndmask_b32_e32 v48, v9, v3, vcc
                                        ; implicit-def: $vgpr9_vgpr10
.LBB48_364:                             ;   in Loop: Header=BB48_4 Depth=1
	s_andn2_saveexec_b64 s[94:95], s[94:95]
	s_cbranch_execz .LBB48_370
; %bb.365:                              ;   in Loop: Header=BB48_4 Depth=1
	v_cmp_ngt_f64_e64 s[96:97], |v[1:2]|, 1.0
                                        ; implicit-def: $vgpr48_vgpr49
	s_and_saveexec_b64 s[98:99], s[96:97]
	s_xor_b64 s[96:97], exec, s[98:99]
	s_cbranch_execz .LBB48_367
; %bb.366:                              ;   in Loop: Header=BB48_4 Depth=1
	v_add_f64 v[3:4], -|v[1:2]|, 1.0
	s_mov_b32 s98, 0
	s_brev_b32 s99, 8
	v_mul_f64 v[3:4], v[3:4], v[9:10]
	v_cmp_gt_f64_e32 vcc, s[98:99], v[3:4]
	v_cndmask_b32_e32 v9, 0, v63, vcc
	v_ldexp_f64 v[3:4], v[3:4], v9
	v_rsq_f64_e32 v[9:10], v[3:4]
	v_mul_f64 v[34:35], v[3:4], v[9:10]
	v_mul_f64 v[9:10], v[9:10], 0.5
	v_fma_f64 v[36:37], -v[9:10], v[34:35], 0.5
	v_fma_f64 v[34:35], v[34:35], v[36:37], v[34:35]
	v_fma_f64 v[9:10], v[9:10], v[36:37], v[9:10]
	v_fma_f64 v[36:37], -v[34:35], v[34:35], v[3:4]
	v_fma_f64 v[34:35], v[36:37], v[9:10], v[34:35]
	v_fma_f64 v[36:37], -v[34:35], v[34:35], v[3:4]
	v_fma_f64 v[9:10], v[36:37], v[9:10], v[34:35]
	v_cndmask_b32_e32 v34, 0, v64, vcc
	v_cmp_class_f64_e32 vcc, v[3:4], v60
	v_ldexp_f64 v[9:10], v[9:10], v34
                                        ; implicit-def: $vgpr34_vgpr35
	v_cndmask_b32_e32 v49, v10, v4, vcc
	v_cndmask_b32_e32 v48, v9, v3, vcc
                                        ; implicit-def: $vgpr9_vgpr10
.LBB48_367:                             ;   in Loop: Header=BB48_4 Depth=1
	s_andn2_saveexec_b64 s[96:97], s[96:97]
	s_cbranch_execz .LBB48_369
; %bb.368:                              ;   in Loop: Header=BB48_4 Depth=1
	v_mul_f64 v[9:10], v[9:10], v[34:35]
	s_mov_b32 s98, 0
	s_brev_b32 s99, 8
	s_movk_i32 s39, 0x6a
	v_ldexp_f64 v[3:4], |v[3:4]|, s39
	v_ldexp_f64 v[46:47], |v[1:2]|, s39
	v_cmp_gt_f64_e32 vcc, s[98:99], v[9:10]
	v_mul_f64 v[3:4], |v[1:2]|, v[3:4]
	v_cndmask_b32_e32 v34, 0, v63, vcc
	v_ldexp_f64 v[9:10], v[9:10], v34
	v_rsq_f64_e32 v[34:35], v[9:10]
	v_mul_f64 v[36:37], v[9:10], v[34:35]
	v_mul_f64 v[34:35], v[34:35], 0.5
	v_fma_f64 v[38:39], -v[34:35], v[36:37], 0.5
	v_fma_f64 v[36:37], v[36:37], v[38:39], v[36:37]
	v_fma_f64 v[34:35], v[34:35], v[38:39], v[34:35]
	v_fma_f64 v[38:39], -v[36:37], v[36:37], v[9:10]
	v_fma_f64 v[36:37], v[38:39], v[34:35], v[36:37]
	v_fma_f64 v[38:39], -v[36:37], v[36:37], v[9:10]
	v_fma_f64 v[34:35], v[38:39], v[34:35], v[36:37]
	v_cndmask_b32_e32 v36, 0, v64, vcc
	v_cmp_class_f64_e32 vcc, v[9:10], v60
	v_ldexp_f64 v[34:35], v[34:35], v36
	v_cndmask_b32_e32 v10, v35, v10, vcc
	v_cndmask_b32_e32 v9, v34, v9, vcc
	v_div_scale_f64 v[34:35], s[98:99], v[9:10], v[9:10], v[3:4]
	v_rcp_f64_e32 v[36:37], v[34:35]
	v_fma_f64 v[38:39], -v[34:35], v[36:37], 1.0
	v_fma_f64 v[36:37], v[36:37], v[38:39], v[36:37]
	v_div_scale_f64 v[38:39], vcc, v[3:4], v[9:10], v[3:4]
	v_fma_f64 v[40:41], -v[34:35], v[36:37], 1.0
	v_fma_f64 v[36:37], v[36:37], v[40:41], v[36:37]
	v_mul_f64 v[40:41], v[38:39], v[36:37]
	v_fma_f64 v[34:35], -v[34:35], v[40:41], v[38:39]
	v_div_fmas_f64 v[34:35], v[34:35], v[36:37], v[40:41]
	v_div_fixup_f64 v[48:49], v[34:35], v[9:10], v[3:4]
.LBB48_369:                             ;   in Loop: Header=BB48_4 Depth=1
	s_or_b64 exec, exec, s[96:97]
.LBB48_370:                             ;   in Loop: Header=BB48_4 Depth=1
	s_or_b64 exec, exec, s[94:95]
	s_mov_b32 s98, 0x1409212f
	s_mov_b32 s99, 0x3e43988e
                                        ; implicit-def: $vgpr36_vgpr37
.LBB48_371:                             ;   in Loop: Header=BB48_4 Depth=1
	s_andn2_saveexec_b64 s[92:93], s[92:93]
	s_cbranch_execz .LBB48_373
; %bb.372:                              ;   in Loop: Header=BB48_4 Depth=1
	s_mov_b32 s94, 0
	s_brev_b32 s95, 8
	v_cmp_lt_f64_e64 vcc, |v[3:4]|, s[94:95]
	v_mov_b32_e32 v46, 0
	v_mov_b32_e32 v47, 0x3ff00000
	v_cndmask_b32_e32 v9, 0, v63, vcc
	v_ldexp_f64 v[3:4], |v[3:4]|, v9
	v_rsq_f64_e32 v[9:10], v[3:4]
	v_mul_f64 v[34:35], v[3:4], v[9:10]
	v_mul_f64 v[9:10], v[9:10], 0.5
	v_fma_f64 v[38:39], -v[9:10], v[34:35], 0.5
	v_fma_f64 v[34:35], v[34:35], v[38:39], v[34:35]
	v_fma_f64 v[9:10], v[9:10], v[38:39], v[9:10]
	v_fma_f64 v[40:41], -v[34:35], v[34:35], v[3:4]
	v_fma_f64 v[34:35], v[40:41], v[9:10], v[34:35]
	v_fma_f64 v[38:39], -v[34:35], v[34:35], v[3:4]
	v_fma_f64 v[9:10], v[38:39], v[9:10], v[34:35]
	v_cndmask_b32_e32 v34, 0, v64, vcc
	v_cmp_class_f64_e32 vcc, v[3:4], v60
	v_ldexp_f64 v[9:10], v[9:10], v34
	v_cndmask_b32_e32 v4, v10, v4, vcc
	v_cndmask_b32_e32 v3, v9, v3, vcc
	v_add_f64 v[9:10], v[36:37], 1.0
	v_mul_f64 v[9:10], v[9:10], 0.5
	v_cmp_gt_f64_e32 vcc, s[94:95], v[9:10]
	v_cndmask_b32_e32 v34, 0, v63, vcc
	v_ldexp_f64 v[9:10], v[9:10], v34
	v_rsq_f64_e32 v[34:35], v[9:10]
	v_mul_f64 v[36:37], v[9:10], v[34:35]
	v_mul_f64 v[34:35], v[34:35], 0.5
	v_fma_f64 v[38:39], -v[34:35], v[36:37], 0.5
	v_fma_f64 v[36:37], v[36:37], v[38:39], v[36:37]
	v_fma_f64 v[34:35], v[34:35], v[38:39], v[34:35]
	v_fma_f64 v[40:41], -v[36:37], v[36:37], v[9:10]
	v_fma_f64 v[36:37], v[40:41], v[34:35], v[36:37]
	v_fma_f64 v[38:39], -v[36:37], v[36:37], v[9:10]
	v_fma_f64 v[34:35], v[38:39], v[34:35], v[36:37]
	v_cndmask_b32_e32 v36, 0, v64, vcc
	v_cmp_class_f64_e32 vcc, v[9:10], v60
	v_ldexp_f64 v[34:35], v[34:35], v36
	v_cndmask_b32_e32 v10, v35, v10, vcc
	v_cndmask_b32_e32 v9, v34, v9, vcc
	v_mul_f64 v[48:49], v[3:4], v[9:10]
.LBB48_373:                             ;   in Loop: Header=BB48_4 Depth=1
	s_or_b64 exec, exec, s[92:93]
	s_mov_b64 s[92:93], exec
.LBB48_374:                             ;   in Loop: Header=BB48_4 Depth=1
	s_or_b64 exec, exec, s[18:19]
                                        ; implicit-def: $vgpr36_vgpr37
.LBB48_375:                             ;   in Loop: Header=BB48_4 Depth=1
	s_andn2_saveexec_b64 s[16:17], s[16:17]
	s_cbranch_execz .LBB48_377
; %bb.376:                              ;   in Loop: Header=BB48_4 Depth=1
	v_ldexp_f64 v[48:49], v[36:37], 53
	v_ldexp_f64 v[46:47], |v[1:2]|, 53
	s_or_b64 s[92:93], s[92:93], exec
                                        ; implicit-def: $vgpr44_vgpr45
.LBB48_377:                             ;   in Loop: Header=BB48_4 Depth=1
	s_or_b64 exec, exec, s[16:17]
	v_cmp_lt_i64_e32 vcc, -1, v[1:2]
	s_xor_b64 s[16:17], s[92:93], -1
	s_and_saveexec_b64 s[18:19], s[16:17]
	s_xor_b64 s[18:19], exec, s[18:19]
	s_cbranch_execz .LBB48_387
; %bb.378:                              ;   in Loop: Header=BB48_4 Depth=1
	v_mul_f64 v[3:4], v[44:45], v[44:45]
	v_fma_f64 v[1:2], |v[44:45]|, -0.5, 0.5
	s_and_saveexec_b64 s[16:17], vcc
	s_xor_b64 s[92:93], exec, s[16:17]
	s_cbranch_execz .LBB48_382
; %bb.379:                              ;   in Loop: Header=BB48_4 Depth=1
	v_cmp_ge_f64_e64 s[16:17], |v[44:45]|, 0.5
	s_mov_b32 s94, 0x9fea6a70
	s_mov_b32 s95, 0x3fa05985
	v_cndmask_b32_e64 v4, v4, v2, s[16:17]
	v_cndmask_b32_e64 v3, v3, v1, s[16:17]
	v_fma_f64 v[9:10], v[3:4], s[94:95], v[28:29]
	s_mov_b32 s94, 0x37024d6a
	s_mov_b32 s95, 0x3f940521
	v_fma_f64 v[9:10], v[3:4], v[9:10], s[94:95]
	s_mov_b32 s94, 0x98a70509
	s_mov_b32 s95, 0x3f7ab3a0
	;; [unrolled: 3-line block ×11, first 2 shown]
	v_mul_f64 v[3:4], v[3:4], v[9:10]
	v_fma_f64 v[9:10], v[44:45], v[3:4], v[44:45]
	v_fma_f64 v[9:10], s[94:95], v[30:31], -v[9:10]
	s_and_saveexec_b64 s[94:95], s[16:17]
	s_cbranch_execz .LBB48_381
; %bb.380:                              ;   in Loop: Header=BB48_4 Depth=1
	v_rsq_f64_e32 v[9:10], v[1:2]
	v_cmp_eq_f64_e64 s[16:17], 0, v[1:2]
	v_mul_f64 v[34:35], v[1:2], v[9:10]
	v_mul_f64 v[9:10], v[9:10], 0.5
	v_fma_f64 v[36:37], -v[9:10], v[34:35], 0.5
	v_fma_f64 v[34:35], v[34:35], v[36:37], v[34:35]
	v_fma_f64 v[9:10], v[9:10], v[36:37], v[9:10]
	v_fma_f64 v[36:37], -v[34:35], v[34:35], v[1:2]
	v_fma_f64 v[9:10], v[36:37], v[9:10], v[34:35]
	v_cndmask_b32_e64 v10, v10, v2, s[16:17]
	v_cndmask_b32_e64 v9, v9, v1, s[16:17]
	v_mul_f64 v[34:35], v[9:10], v[9:10]
	v_add_f64 v[38:39], v[1:2], -v[34:35]
	v_fma_f64 v[36:37], v[9:10], v[9:10], -v[34:35]
	v_add_f64 v[1:2], v[1:2], -v[38:39]
	v_add_f64 v[1:2], v[1:2], -v[34:35]
	v_add_f64 v[34:35], v[9:10], v[9:10]
	v_add_f64 v[1:2], v[1:2], -v[36:37]
	v_rcp_f64_e32 v[36:37], v[34:35]
	v_add_f64 v[1:2], v[38:39], v[1:2]
	v_fma_f64 v[38:39], -v[34:35], v[36:37], 1.0
	v_fma_f64 v[36:37], v[38:39], v[36:37], v[36:37]
	v_fma_f64 v[38:39], -v[34:35], v[36:37], 1.0
	v_fma_f64 v[36:37], v[38:39], v[36:37], v[36:37]
	v_mul_f64 v[38:39], v[1:2], v[36:37]
	v_fma_f64 v[1:2], -v[34:35], v[38:39], v[1:2]
	v_fma_f64 v[1:2], v[1:2], v[36:37], v[38:39]
	v_cndmask_b32_e64 v2, v2, 0, s[16:17]
	v_cndmask_b32_e64 v1, v1, 0, s[16:17]
	v_add_f64 v[34:35], v[9:10], v[1:2]
	v_cmp_neq_f64_e64 s[16:17], 1.0, v[44:45]
	v_add_f64 v[9:10], v[34:35], -v[9:10]
	v_add_f64 v[1:2], v[1:2], -v[9:10]
	v_fma_f64 v[1:2], v[34:35], v[3:4], v[1:2]
	v_add_f64 v[1:2], v[34:35], v[1:2]
	v_add_f64 v[1:2], v[1:2], v[1:2]
	v_cndmask_b32_e64 v10, 0, v2, s[16:17]
	v_cndmask_b32_e64 v9, 0, v1, s[16:17]
.LBB48_381:                             ;   in Loop: Header=BB48_4 Depth=1
	s_or_b64 exec, exec, s[94:95]
                                        ; implicit-def: $vgpr44_vgpr45
                                        ; implicit-def: $vgpr3_vgpr4
                                        ; implicit-def: $vgpr1_vgpr2
.LBB48_382:                             ;   in Loop: Header=BB48_4 Depth=1
	s_andn2_saveexec_b64 s[92:93], s[92:93]
	s_cbranch_execz .LBB48_386
; %bb.383:                              ;   in Loop: Header=BB48_4 Depth=1
	v_cmp_ge_f64_e64 s[16:17], |v[44:45]|, 0.5
	s_mov_b32 s94, 0x9fea6a70
	s_mov_b32 s95, 0x3fa05985
	v_cndmask_b32_e64 v4, v4, v2, s[16:17]
	v_cndmask_b32_e64 v3, v3, v1, s[16:17]
	v_fma_f64 v[9:10], v[3:4], s[94:95], v[28:29]
	s_mov_b32 s94, 0x37024d6a
	s_mov_b32 s95, 0x3f940521
	v_fma_f64 v[9:10], v[3:4], v[9:10], s[94:95]
	s_mov_b32 s94, 0x98a70509
	s_mov_b32 s95, 0x3f7ab3a0
	;; [unrolled: 3-line block ×11, first 2 shown]
	v_mul_f64 v[3:4], v[3:4], v[9:10]
	v_fma_f64 v[9:10], -v[44:45], v[3:4], -v[44:45]
	v_fma_f64 v[9:10], s[94:95], v[30:31], -v[9:10]
	s_and_saveexec_b64 s[94:95], s[16:17]
	s_cbranch_execz .LBB48_385
; %bb.384:                              ;   in Loop: Header=BB48_4 Depth=1
	v_rsq_f64_e32 v[9:10], v[1:2]
	v_cmp_eq_f64_e64 s[16:17], 0, v[1:2]
	v_readlane_b32 s96, v87, 2
	v_readlane_b32 s97, v87, 3
	s_mov_b32 s39, s97
	v_writelane_b32 v87, s38, 2
	v_writelane_b32 v87, s39, 3
	v_mul_f64 v[34:35], v[1:2], v[9:10]
	v_mul_f64 v[9:10], v[9:10], 0.5
	v_fma_f64 v[36:37], -v[9:10], v[34:35], 0.5
	v_fma_f64 v[34:35], v[34:35], v[36:37], v[34:35]
	v_fma_f64 v[9:10], v[9:10], v[36:37], v[9:10]
	v_fma_f64 v[36:37], -v[34:35], v[34:35], v[1:2]
	v_fma_f64 v[9:10], v[36:37], v[9:10], v[34:35]
	v_cndmask_b32_e64 v10, v10, v2, s[16:17]
	v_cndmask_b32_e64 v9, v9, v1, s[16:17]
	v_mul_f64 v[34:35], v[9:10], v[9:10]
	v_add_f64 v[38:39], v[1:2], -v[34:35]
	v_fma_f64 v[36:37], v[9:10], v[9:10], -v[34:35]
	v_add_f64 v[1:2], v[1:2], -v[38:39]
	v_add_f64 v[1:2], v[1:2], -v[34:35]
	v_add_f64 v[34:35], v[9:10], v[9:10]
	v_add_f64 v[1:2], v[1:2], -v[36:37]
	v_rcp_f64_e32 v[36:37], v[34:35]
	v_add_f64 v[1:2], v[38:39], v[1:2]
	v_fma_f64 v[38:39], -v[34:35], v[36:37], 1.0
	v_fma_f64 v[36:37], v[38:39], v[36:37], v[36:37]
	v_fma_f64 v[38:39], -v[34:35], v[36:37], 1.0
	v_fma_f64 v[36:37], v[38:39], v[36:37], v[36:37]
	v_mul_f64 v[38:39], v[1:2], v[36:37]
	v_fma_f64 v[1:2], -v[34:35], v[38:39], v[1:2]
	v_fma_f64 v[1:2], v[1:2], v[36:37], v[38:39]
	v_cndmask_b32_e64 v2, v2, 0, s[16:17]
	v_cndmask_b32_e64 v1, v1, 0, s[16:17]
	v_add_f64 v[34:35], v[9:10], v[1:2]
	s_mov_b32 s16, 0x336a0500
	s_mov_b32 s17, 0x3fedd9ad
	;; [unrolled: 1-line block ×3, first 2 shown]
	v_add_f64 v[9:10], v[34:35], -v[9:10]
	v_add_f64 v[1:2], v[1:2], -v[9:10]
	v_fma_f64 v[9:10], v[34:35], v[3:4], v[34:35]
	v_fma_f64 v[1:2], v[34:35], v[3:4], v[1:2]
	v_mul_f64 v[9:10], v[9:10], -2.0
	v_add_f64 v[1:2], v[34:35], v[1:2]
	v_fma_f64 v[9:10], s[16:17], v[30:31], v[9:10]
	v_cmp_lt_f64_e64 s[16:17], 0, v[44:45]
	v_add_f64 v[1:2], v[1:2], v[1:2]
	v_cndmask_b32_e64 v1, v1, v9, s[16:17]
	v_cndmask_b32_e64 v2, v2, v10, s[16:17]
	v_cmp_neq_f64_e64 s[16:17], 1.0, v[44:45]
	v_cndmask_b32_e64 v10, v67, v2, s[16:17]
	v_cndmask_b32_e64 v9, v68, v1, s[16:17]
.LBB48_385:                             ;   in Loop: Header=BB48_4 Depth=1
	s_or_b64 exec, exec, s[94:95]
.LBB48_386:                             ;   in Loop: Header=BB48_4 Depth=1
	s_or_b64 exec, exec, s[92:93]
                                        ; implicit-def: $vgpr46_vgpr47
                                        ; implicit-def: $vgpr48_vgpr49
.LBB48_387:                             ;   in Loop: Header=BB48_4 Depth=1
	s_andn2_saveexec_b64 s[92:93], s[18:19]
	s_cbranch_execz .LBB48_393
; %bb.388:                              ;   in Loop: Header=BB48_4 Depth=1
	v_max_f64 v[3:4], |v[48:49]|, |v[48:49]|
	v_max_f64 v[9:10], v[46:47], v[46:47]
	v_cmp_class_f64_e64 s[94:95], v[48:49], s56
	v_max_f64 v[1:2], v[9:10], v[3:4]
	v_min_f64 v[3:4], v[9:10], v[3:4]
	s_and_saveexec_b64 s[16:17], vcc
	s_xor_b64 s[96:97], exec, s[16:17]
	s_cbranch_execz .LBB48_390
; %bb.389:                              ;   in Loop: Header=BB48_4 Depth=1
	v_div_scale_f64 v[9:10], s[16:17], v[1:2], v[1:2], v[3:4]
	s_mov_b32 s16, 0xb5e68a13
	s_mov_b32 s17, 0x3eeba404
	s_mov_b32 s72, s4
	v_cmp_eq_f64_e64 s[18:19], s[74:75], v[46:47]
	v_rcp_f64_e32 v[34:35], v[9:10]
	v_fma_f64 v[36:37], -v[9:10], v[34:35], 1.0
	v_fma_f64 v[34:35], v[34:35], v[36:37], v[34:35]
	v_div_scale_f64 v[36:37], vcc, v[3:4], v[1:2], v[3:4]
	v_fma_f64 v[38:39], -v[9:10], v[34:35], 1.0
	v_fma_f64 v[34:35], v[34:35], v[38:39], v[34:35]
	v_mul_f64 v[38:39], v[36:37], v[34:35]
	v_fma_f64 v[9:10], -v[9:10], v[38:39], v[36:37]
	v_div_fmas_f64 v[9:10], v[9:10], v[34:35], v[38:39]
	v_cmp_lt_f64_e64 vcc, v[46:47], |v[48:49]|
	v_div_fixup_f64 v[1:2], v[9:10], v[1:2], v[3:4]
	v_mul_f64 v[3:4], v[1:2], v[1:2]
	v_fma_f64 v[9:10], v[3:4], s[16:17], v[32:33]
	s_mov_b32 s16, 0x69efb384
	s_mov_b32 s17, 0x3f4b2bb0
	v_fma_f64 v[9:10], v[3:4], v[9:10], s[16:17]
	s_mov_b32 s16, 0xaf56de9b
	s_mov_b32 s17, 0xbf67952d
	v_fma_f64 v[9:10], v[3:4], v[9:10], s[16:17]
	s_mov_b32 s16, 0xa595c56f
	s_mov_b32 s17, 0x3f7d6d43
	v_fma_f64 v[9:10], v[3:4], v[9:10], s[16:17]
	s_mov_b32 s16, 0xa57d9582
	s_mov_b32 s17, 0xbf8c6ea4
	v_fma_f64 v[9:10], v[3:4], v[9:10], s[16:17]
	s_mov_b32 s16, 0x5f08b19f
	s_mov_b32 s17, 0x3f967e29
	v_fma_f64 v[9:10], v[3:4], v[9:10], s[16:17]
	s_mov_b32 s16, 0xfc27006a
	s_mov_b32 s17, 0xbf9e9ae6
	v_fma_f64 v[9:10], v[3:4], v[9:10], s[16:17]
	s_mov_b32 s16, 0x5711927a
	s_mov_b32 s17, 0x3fa2c15b
	v_fma_f64 v[9:10], v[3:4], v[9:10], s[16:17]
	s_mov_b32 s16, 0xe82d3ff0
	s_mov_b32 s17, 0xbfa59976
	v_fma_f64 v[9:10], v[3:4], v[9:10], s[16:17]
	s_mov_b32 s16, 0x6ef28734
	s_mov_b32 s17, 0x3fa82d5d
	v_fma_f64 v[9:10], v[3:4], v[9:10], s[16:17]
	s_mov_b32 s16, 0x6a214619
	s_mov_b32 s17, 0xbfaae5ce
	v_fma_f64 v[9:10], v[3:4], v[9:10], s[16:17]
	s_mov_b32 s16, 0x8427b883
	s_mov_b32 s17, 0x3fae1bb4
	v_fma_f64 v[9:10], v[3:4], v[9:10], s[16:17]
	v_cmp_eq_f64_e64 s[16:17], 0, v[48:49]
	v_fma_f64 v[9:10], v[3:4], v[9:10], s[58:59]
	v_fma_f64 v[9:10], v[3:4], v[9:10], s[60:61]
	;; [unrolled: 1-line block ×7, first 2 shown]
	v_mul_f64 v[3:4], v[3:4], v[9:10]
	v_ashrrev_i32_e32 v10, 31, v47
	v_and_b32_e32 v34, 0x54442d18, v10
	v_and_b32_e32 v10, 0x400921fb, v10
	v_fma_f64 v[1:2], v[1:2], v[3:4], v[1:2]
	v_add_f64 v[3:4], -v[1:2], s[4:5]
	v_cndmask_b32_e32 v2, v2, v4, vcc
	v_cndmask_b32_e32 v1, v1, v3, vcc
	v_add_f64 v[3:4], -v[1:2], s[72:73]
	v_cmp_gt_i32_e32 vcc, 0, v47
	v_cndmask_b32_e32 v9, v68, v69, vcc
                                        ; implicit-def: $vgpr46_vgpr47
	v_cndmask_b32_e32 v1, v1, v3, vcc
	v_cndmask_b32_e32 v2, v2, v4, vcc
	;; [unrolled: 1-line block ×3, first 2 shown]
	v_cndmask_b32_e64 v1, v1, v34, s[16:17]
	v_cndmask_b32_e64 v2, v2, v10, s[16:17]
	s_and_b64 vcc, s[18:19], s[94:95]
	v_cndmask_b32_e32 v2, v2, v3, vcc
	v_cndmask_b32_e32 v1, v1, v9, vcc
	v_cmp_o_f64_e32 vcc, v[48:49], v[48:49]
                                        ; implicit-def: $vgpr3_vgpr4
	v_cndmask_b32_e32 v9, 0, v1, vcc
	v_cndmask_b32_e32 v1, v66, v2, vcc
	v_bfi_b32 v10, s55, v1, v49
                                        ; implicit-def: $vgpr1_vgpr2
                                        ; implicit-def: $vgpr48_vgpr49
.LBB48_390:                             ;   in Loop: Header=BB48_4 Depth=1
	s_andn2_saveexec_b64 s[96:97], s[96:97]
	s_cbranch_execz .LBB48_392
; %bb.391:                              ;   in Loop: Header=BB48_4 Depth=1
	v_div_scale_f64 v[9:10], s[16:17], v[1:2], v[1:2], v[3:4]
	s_mov_b32 s16, 0xb5e68a13
	s_mov_b32 s17, 0x3eeba404
	;; [unrolled: 1-line block ×3, first 2 shown]
	v_cmp_eq_f64_e64 s[18:19], s[74:75], v[46:47]
	v_rcp_f64_e32 v[34:35], v[9:10]
	v_fma_f64 v[36:37], -v[9:10], v[34:35], 1.0
	v_fma_f64 v[34:35], v[34:35], v[36:37], v[34:35]
	v_div_scale_f64 v[36:37], vcc, v[3:4], v[1:2], v[3:4]
	v_fma_f64 v[38:39], -v[9:10], v[34:35], 1.0
	v_fma_f64 v[34:35], v[34:35], v[38:39], v[34:35]
	v_mul_f64 v[38:39], v[36:37], v[34:35]
	v_fma_f64 v[9:10], -v[9:10], v[38:39], v[36:37]
	v_div_fmas_f64 v[9:10], v[9:10], v[34:35], v[38:39]
	v_cmp_lt_f64_e64 vcc, v[46:47], |v[48:49]|
	v_div_fixup_f64 v[1:2], v[9:10], v[1:2], v[3:4]
	v_mul_f64 v[3:4], v[1:2], v[1:2]
	v_fma_f64 v[9:10], v[3:4], s[16:17], v[32:33]
	s_mov_b32 s16, 0x69efb384
	s_mov_b32 s17, 0x3f4b2bb0
	v_fma_f64 v[9:10], v[3:4], v[9:10], s[16:17]
	s_mov_b32 s16, 0xaf56de9b
	s_mov_b32 s17, 0xbf67952d
	;; [unrolled: 3-line block ×11, first 2 shown]
	v_fma_f64 v[9:10], v[3:4], v[9:10], s[16:17]
	v_cmp_eq_f64_e64 s[16:17], 0, v[48:49]
	v_fma_f64 v[9:10], v[3:4], v[9:10], s[58:59]
	v_fma_f64 v[9:10], v[3:4], v[9:10], s[60:61]
	;; [unrolled: 1-line block ×7, first 2 shown]
	v_mul_f64 v[3:4], v[3:4], v[9:10]
	v_xor_b32_e32 v9, 0x80000000, v47
	v_fma_f64 v[1:2], v[1:2], v[3:4], v[1:2]
	v_add_f64 v[3:4], -v[1:2], s[4:5]
	v_cndmask_b32_e32 v2, v2, v4, vcc
	v_cndmask_b32_e32 v1, v1, v3, vcc
	v_add_f64 v[3:4], -v[1:2], s[72:73]
	v_cmp_gt_i32_e32 vcc, 0, v9
	v_ashrrev_i32_e32 v9, 31, v9
	v_and_b32_e32 v34, 0x54442d18, v9
	v_and_b32_e32 v9, 0x400921fb, v9
	v_cndmask_b32_e32 v10, v68, v69, vcc
	v_cndmask_b32_e32 v1, v1, v3, vcc
	;; [unrolled: 1-line block ×4, first 2 shown]
	v_cndmask_b32_e64 v1, v1, v34, s[16:17]
	v_cndmask_b32_e64 v2, v2, v9, s[16:17]
	s_and_b64 vcc, s[18:19], s[94:95]
	v_cndmask_b32_e32 v2, v2, v3, vcc
	v_cndmask_b32_e32 v1, v1, v10, vcc
	v_cmp_o_f64_e32 vcc, v[48:49], v[48:49]
	v_cndmask_b32_e32 v9, 0, v1, vcc
	v_cndmask_b32_e32 v1, v66, v2, vcc
	v_bfi_b32 v10, s55, v1, v49
.LBB48_392:                             ;   in Loop: Header=BB48_4 Depth=1
	s_or_b64 exec, exec, s[96:97]
.LBB48_393:                             ;   in Loop: Header=BB48_4 Depth=1
	s_or_b64 exec, exec, s[92:93]
	v_xor_b32_e32 v1, 0x80000000, v12
	v_cndmask_b32_e64 v12, v1, v12, s[14:15]
                                        ; implicit-def: $vgpr1_vgpr2
.LBB48_394:                             ;   in Loop: Header=BB48_4 Depth=1
	s_andn2_saveexec_b64 s[16:17], s[90:91]
	s_cbranch_execz .LBB48_396
; %bb.395:                              ;   in Loop: Header=BB48_4 Depth=1
	v_mov_b32_e32 v3, s24
	v_mov_b32_e32 v4, s25
	flat_load_dwordx2 v[3:4], v[3:4] glc
	s_waitcnt vmcnt(0) lgkmcnt(0)
	v_add_f64 v[1:2], v[3:4], -v[1:2]
	v_add_f64 v[9:10], v[1:2], s[4:5]
.LBB48_396:                             ;   in Loop: Header=BB48_4 Depth=1
	s_or_b64 exec, exec, s[16:17]
.LBB48_397:                             ;   in Loop: Header=BB48_4 Depth=1
	s_andn2_saveexec_b64 s[16:17], s[88:89]
	s_cbranch_execz .LBB48_399
; %bb.398:                              ;   in Loop: Header=BB48_4 Depth=1
	s_waitcnt lgkmcnt(0)
	v_mov_b32_e32 v9, 0
	v_mov_b32_e32 v10, 0
.LBB48_399:                             ;   in Loop: Header=BB48_4 Depth=1
	s_or_b64 exec, exec, s[16:17]
                                        ; implicit-def: $vgpr1_vgpr2
                                        ; implicit-def: $vgpr38_vgpr39
                                        ; implicit-def: $vgpr36_vgpr37
                                        ; implicit-def: $vgpr34_vgpr35
.LBB48_400:                             ;   in Loop: Header=BB48_4 Depth=1
	s_andn2_saveexec_b64 s[86:87], s[86:87]
	s_cbranch_execz .LBB48_410
; %bb.401:                              ;   in Loop: Header=BB48_4 Depth=1
	v_cmp_lt_f64_e64 s[16:17], |v[1:2]|, |v[3:4]|
	v_and_b32_e32 v42, 0x7fffffff, v2
	v_and_b32_e32 v43, 0x7fffffff, v4
	s_mov_b32 s18, -1
	s_mov_b32 s19, 0x7fdfffff
                                        ; implicit-def: $vgpr9_vgpr10
                                        ; implicit-def: $vgpr11_vgpr12
	v_cndmask_b32_e64 v41, v42, v43, s[16:17]
	v_cndmask_b32_e64 v40, v1, v3, s[16:17]
	v_cmp_nlt_f64_e32 vcc, s[18:19], v[40:41]
                                        ; implicit-def: $sgpr18_sgpr19
	s_and_saveexec_b64 s[88:89], vcc
	s_xor_b64 s[88:89], exec, s[88:89]
	s_cbranch_execz .LBB48_407
; %bb.402:                              ;   in Loop: Header=BB48_4 Depth=1
	s_mov_b32 s18, 0
	s_mov_b32 s19, 0x20200000
	v_cmp_nlt_f64_e32 vcc, s[18:19], v[40:41]
	s_mov_b32 s18, 0
	v_cndmask_b32_e64 v43, v43, v42, s[16:17]
	v_cndmask_b32_e64 v42, v3, v1, s[16:17]
	s_brev_b32 s19, 4
	v_cmp_ngt_f64_e64 s[18:19], s[18:19], v[42:43]
                                        ; implicit-def: $vgpr9_vgpr10
                                        ; implicit-def: $vgpr11_vgpr12
	s_and_b64 s[90:91], vcc, s[18:19]
                                        ; implicit-def: $sgpr18_sgpr19
	s_and_saveexec_b64 s[92:93], s[90:91]
	s_xor_b64 s[90:91], exec, s[92:93]
	s_cbranch_execz .LBB48_404
; %bb.403:                              ;   in Loop: Header=BB48_4 Depth=1
	s_waitcnt lgkmcnt(0)
	v_mul_f64 v[9:10], v[42:43], v[42:43]
	s_mov_b32 s39, s81
	v_cmp_class_f64_e64 s[92:93], v[1:2], s56
	v_fma_f64 v[9:10], v[40:41], v[40:41], v[9:10]
	v_frexp_mant_f64_e32 v[11:12], v[9:10]
	v_frexp_exp_i32_f64_e32 v40, v[9:10]
	v_cmp_gt_f64_e32 vcc, s[80:81], v[11:12]
	v_cndmask_b32_e64 v41, 0, 1, vcc
	v_ldexp_f64 v[11:12], v[11:12], v41
	v_subbrev_co_u32_e32 v74, vcc, 0, v40, vcc
	v_cmp_class_f64_e64 vcc, v[9:10], s56
	v_add_f64 v[42:43], v[11:12], 1.0
	v_add_f64 v[40:41], v[11:12], -1.0
	v_add_f64 v[44:45], v[42:43], -1.0
	v_add_f64 v[11:12], v[11:12], -v[44:45]
	v_rcp_f64_e32 v[44:45], v[42:43]
	v_fma_f64 v[46:47], -v[42:43], v[44:45], 1.0
	v_fma_f64 v[44:45], v[46:47], v[44:45], v[44:45]
	v_fma_f64 v[46:47], -v[42:43], v[44:45], 1.0
	v_fma_f64 v[44:45], v[46:47], v[44:45], v[44:45]
	v_mul_f64 v[46:47], v[40:41], v[44:45]
	v_mul_f64 v[48:49], v[42:43], v[46:47]
	v_fma_f64 v[42:43], v[46:47], v[42:43], -v[48:49]
	v_fma_f64 v[11:12], v[46:47], v[11:12], v[42:43]
	v_add_f64 v[42:43], v[48:49], v[11:12]
	v_add_f64 v[72:73], v[40:41], -v[42:43]
	v_add_f64 v[48:49], v[42:43], -v[48:49]
	;; [unrolled: 1-line block ×5, first 2 shown]
	v_add_f64 v[11:12], v[11:12], v[40:41]
	v_add_f64 v[11:12], v[72:73], v[11:12]
	v_mul_f64 v[11:12], v[44:45], v[11:12]
	v_add_f64 v[40:41], v[46:47], v[11:12]
	v_add_f64 v[42:43], v[40:41], -v[46:47]
	v_ldexp_f64 v[46:47], v[40:41], 1
	v_add_f64 v[11:12], v[11:12], -v[42:43]
	v_mul_f64 v[42:43], v[40:41], v[40:41]
	v_ldexp_f64 v[11:12], v[11:12], 1
	v_fma_f64 v[44:45], v[42:43], s[40:41], v[26:27]
	v_mul_f64 v[40:41], v[40:41], v[42:43]
	v_fma_f64 v[44:45], v[42:43], v[44:45], s[42:43]
	v_fma_f64 v[44:45], v[42:43], v[44:45], s[44:45]
	;; [unrolled: 1-line block ×5, first 2 shown]
	v_mul_f64 v[40:41], v[40:41], v[44:45]
	v_add_f64 v[42:43], v[46:47], v[40:41]
	v_add_f64 v[44:45], v[42:43], -v[46:47]
	v_add_f64 v[40:41], v[40:41], -v[44:45]
	v_add_f64 v[11:12], v[11:12], v[40:41]
	v_add_f64 v[40:41], v[42:43], v[11:12]
	v_add_f64 v[42:43], v[40:41], -v[42:43]
	v_add_f64 v[11:12], v[11:12], -v[42:43]
	v_cvt_f64_i32_e32 v[42:43], v74
	v_mul_f64 v[44:45], v[42:43], s[50:51]
	v_fma_f64 v[46:47], v[42:43], s[50:51], -v[44:45]
	v_fma_f64 v[42:43], v[42:43], s[52:53], v[46:47]
	v_add_f64 v[46:47], v[44:45], v[42:43]
	v_add_f64 v[44:45], v[46:47], -v[44:45]
	v_add_f64 v[42:43], v[42:43], -v[44:45]
	v_add_f64 v[44:45], v[46:47], v[40:41]
	v_add_f64 v[48:49], v[44:45], -v[46:47]
	v_add_f64 v[72:73], v[44:45], -v[48:49]
	;; [unrolled: 1-line block ×4, first 2 shown]
	v_add_f64 v[40:41], v[40:41], v[46:47]
	v_add_f64 v[46:47], v[42:43], v[11:12]
	v_add_f64 v[48:49], v[46:47], -v[42:43]
	v_add_f64 v[40:41], v[46:47], v[40:41]
	v_add_f64 v[72:73], v[46:47], -v[48:49]
	v_add_f64 v[11:12], v[11:12], -v[48:49]
	;; [unrolled: 1-line block ×3, first 2 shown]
	v_add_f64 v[11:12], v[11:12], v[42:43]
	v_add_f64 v[42:43], v[44:45], v[40:41]
	v_add_f64 v[44:45], v[42:43], -v[44:45]
	v_add_f64 v[40:41], v[40:41], -v[44:45]
	v_add_f64 v[11:12], v[11:12], v[40:41]
	v_add_f64 v[11:12], v[42:43], v[11:12]
	v_cndmask_b32_e32 v12, v12, v10, vcc
	v_cndmask_b32_e32 v11, v11, v9, vcc
	v_mul_f64 v[11:12], v[11:12], 0.5
	v_cmp_neq_f64_e32 vcc, 0, v[9:10]
	v_cndmask_b32_e32 v10, v65, v12, vcc
	v_cndmask_b32_e32 v9, 0, v11, vcc
	v_min_f64 v[11:12], v[38:39], v[36:37]
	v_div_scale_f64 v[36:37], s[18:19], v[34:35], v[34:35], v[11:12]
	s_mov_b32 s18, 0xb5e68a13
	s_mov_b32 s19, 0x3eeba404
	v_rcp_f64_e32 v[38:39], v[36:37]
	v_fma_f64 v[40:41], -v[36:37], v[38:39], 1.0
	v_fma_f64 v[38:39], v[38:39], v[40:41], v[38:39]
	v_fma_f64 v[40:41], -v[36:37], v[38:39], 1.0
	v_fma_f64 v[38:39], v[38:39], v[40:41], v[38:39]
	v_div_scale_f64 v[40:41], vcc, v[11:12], v[34:35], v[11:12]
	v_mul_f64 v[42:43], v[40:41], v[38:39]
	v_fma_f64 v[36:37], -v[36:37], v[42:43], v[40:41]
	s_nop 1
	v_div_fmas_f64 v[36:37], v[36:37], v[38:39], v[42:43]
                                        ; implicit-def: $vgpr38_vgpr39
	v_div_fixup_f64 v[11:12], v[36:37], v[34:35], v[11:12]
	v_mul_f64 v[34:35], v[11:12], v[11:12]
	v_fma_f64 v[36:37], v[34:35], s[18:19], v[32:33]
	s_mov_b32 s18, 0x69efb384
	s_mov_b32 s19, 0x3f4b2bb0
	v_fma_f64 v[36:37], v[34:35], v[36:37], s[18:19]
	s_mov_b32 s18, 0xaf56de9b
	s_mov_b32 s19, 0xbf67952d
	;; [unrolled: 3-line block ×11, first 2 shown]
	v_fma_f64 v[36:37], v[34:35], v[36:37], s[18:19]
	v_cmp_class_f64_e64 s[18:19], v[3:4], s56
	v_fma_f64 v[36:37], v[34:35], v[36:37], s[58:59]
	s_and_b64 s[18:19], s[18:19], s[92:93]
	v_fma_f64 v[36:37], v[34:35], v[36:37], s[60:61]
	v_fma_f64 v[36:37], v[34:35], v[36:37], s[62:63]
	;; [unrolled: 1-line block ×6, first 2 shown]
	v_mul_f64 v[34:35], v[34:35], v[36:37]
                                        ; implicit-def: $vgpr36_vgpr37
	v_fma_f64 v[11:12], v[11:12], v[34:35], v[11:12]
                                        ; implicit-def: $vgpr34_vgpr35
.LBB48_404:                             ;   in Loop: Header=BB48_4 Depth=1
	s_andn2_saveexec_b64 s[90:91], s[90:91]
	s_cbranch_execz .LBB48_406
; %bb.405:                              ;   in Loop: Header=BB48_4 Depth=1
	v_frexp_exp_i32_f64_e32 v44, v[34:35]
	v_cmp_class_f64_e64 s[92:93], v[1:2], s56
	v_cmp_class_f64_e64 s[94:95], v[3:4], s56
	s_mov_b32 s39, s81
	s_andn2_b64 s[18:19], s[18:19], exec
	v_sub_u32_e32 v11, 0, v44
	s_waitcnt lgkmcnt(0)
	v_ldexp_f64 v[9:10], |v[1:2]|, v11
	v_ldexp_f64 v[11:12], |v[3:4]|, v11
	v_mul_f64 v[11:12], v[11:12], v[11:12]
	v_fma_f64 v[9:10], v[9:10], v[9:10], v[11:12]
	v_rsq_f64_e32 v[11:12], v[9:10]
	v_cmp_eq_f64_e32 vcc, 0, v[9:10]
	v_mul_f64 v[40:41], v[9:10], v[11:12]
	v_mul_f64 v[11:12], v[11:12], 0.5
	v_fma_f64 v[42:43], -v[11:12], v[40:41], 0.5
	v_fma_f64 v[40:41], v[40:41], v[42:43], v[40:41]
	v_fma_f64 v[11:12], v[11:12], v[42:43], v[11:12]
	v_fma_f64 v[42:43], -v[40:41], v[40:41], v[9:10]
	v_fma_f64 v[11:12], v[42:43], v[11:12], v[40:41]
	v_cndmask_b32_e32 v10, v12, v10, vcc
	v_cndmask_b32_e32 v9, v11, v9, vcc
	v_ldexp_f64 v[9:10], v[9:10], v44
	s_or_b64 vcc, s[94:95], s[92:93]
	s_and_b64 s[92:93], s[94:95], s[92:93]
	s_and_b64 s[92:93], s[92:93], exec
	s_or_b64 s[18:19], s[18:19], s[92:93]
	v_cndmask_b32_e32 v11, v10, v61, vcc
	v_cndmask_b32_e64 v10, v9, 0, vcc
	v_frexp_mant_f64_e32 v[40:41], v[10:11]
	v_frexp_exp_i32_f64_e32 v9, v[10:11]
	v_cmp_gt_f64_e32 vcc, s[80:81], v[40:41]
	v_cndmask_b32_e64 v12, 0, 1, vcc
	v_ldexp_f64 v[40:41], v[40:41], v12
	v_subbrev_co_u32_e32 v9, vcc, 0, v9, vcc
	v_cmp_class_f64_e64 vcc, v[10:11], s56
	v_add_f64 v[44:45], v[40:41], 1.0
	v_add_f64 v[42:43], v[40:41], -1.0
	v_add_f64 v[46:47], v[44:45], -1.0
	v_add_f64 v[40:41], v[40:41], -v[46:47]
	v_rcp_f64_e32 v[46:47], v[44:45]
	v_fma_f64 v[48:49], -v[44:45], v[46:47], 1.0
	v_fma_f64 v[46:47], v[48:49], v[46:47], v[46:47]
	v_fma_f64 v[48:49], -v[44:45], v[46:47], 1.0
	v_fma_f64 v[46:47], v[48:49], v[46:47], v[46:47]
	v_mul_f64 v[48:49], v[42:43], v[46:47]
	v_mul_f64 v[72:73], v[44:45], v[48:49]
	v_fma_f64 v[44:45], v[48:49], v[44:45], -v[72:73]
	v_fma_f64 v[40:41], v[48:49], v[40:41], v[44:45]
	v_add_f64 v[44:45], v[72:73], v[40:41]
	v_add_f64 v[74:75], v[42:43], -v[44:45]
	v_add_f64 v[72:73], v[44:45], -v[72:73]
	;; [unrolled: 1-line block ×5, first 2 shown]
	v_add_f64 v[40:41], v[40:41], v[42:43]
	v_add_f64 v[40:41], v[74:75], v[40:41]
	v_mul_f64 v[40:41], v[46:47], v[40:41]
	v_add_f64 v[42:43], v[48:49], v[40:41]
	v_add_f64 v[44:45], v[42:43], -v[48:49]
	v_ldexp_f64 v[48:49], v[42:43], 1
	v_add_f64 v[40:41], v[40:41], -v[44:45]
	v_mul_f64 v[44:45], v[42:43], v[42:43]
	v_ldexp_f64 v[40:41], v[40:41], 1
	v_fma_f64 v[46:47], v[44:45], s[40:41], v[26:27]
	v_mul_f64 v[42:43], v[42:43], v[44:45]
	v_fma_f64 v[46:47], v[44:45], v[46:47], s[42:43]
	v_fma_f64 v[46:47], v[44:45], v[46:47], s[44:45]
	;; [unrolled: 1-line block ×5, first 2 shown]
	v_mul_f64 v[42:43], v[42:43], v[46:47]
	v_add_f64 v[44:45], v[48:49], v[42:43]
	v_add_f64 v[46:47], v[44:45], -v[48:49]
	v_add_f64 v[42:43], v[42:43], -v[46:47]
	v_add_f64 v[40:41], v[40:41], v[42:43]
	v_add_f64 v[42:43], v[44:45], v[40:41]
	v_add_f64 v[44:45], v[42:43], -v[44:45]
	v_add_f64 v[40:41], v[40:41], -v[44:45]
	v_cvt_f64_i32_e32 v[44:45], v9
	v_mul_f64 v[46:47], v[44:45], s[50:51]
	v_fma_f64 v[48:49], v[44:45], s[50:51], -v[46:47]
	v_fma_f64 v[44:45], v[44:45], s[52:53], v[48:49]
	v_add_f64 v[48:49], v[46:47], v[44:45]
	v_add_f64 v[46:47], v[48:49], -v[46:47]
	v_add_f64 v[44:45], v[44:45], -v[46:47]
	v_add_f64 v[46:47], v[48:49], v[42:43]
	v_add_f64 v[72:73], v[46:47], -v[48:49]
	v_add_f64 v[74:75], v[46:47], -v[72:73]
	;; [unrolled: 1-line block ×4, first 2 shown]
	v_add_f64 v[42:43], v[42:43], v[48:49]
	v_add_f64 v[48:49], v[44:45], v[40:41]
	v_add_f64 v[72:73], v[48:49], -v[44:45]
	v_add_f64 v[42:43], v[48:49], v[42:43]
	v_add_f64 v[74:75], v[48:49], -v[72:73]
	v_add_f64 v[40:41], v[40:41], -v[72:73]
	;; [unrolled: 1-line block ×3, first 2 shown]
	v_add_f64 v[40:41], v[40:41], v[44:45]
	v_add_f64 v[44:45], v[46:47], v[42:43]
	v_add_f64 v[46:47], v[44:45], -v[46:47]
	v_add_f64 v[42:43], v[42:43], -v[46:47]
	v_add_f64 v[40:41], v[40:41], v[42:43]
	v_add_f64 v[40:41], v[44:45], v[40:41]
	v_cndmask_b32_e32 v9, v40, v10, vcc
	v_cndmask_b32_e32 v12, v41, v11, vcc
	v_cmp_ngt_f64_e32 vcc, 0, v[10:11]
	v_cndmask_b32_e32 v12, v66, v12, vcc
	v_cmp_nge_f64_e32 vcc, 0, v[10:11]
	v_cndmask_b32_e32 v9, 0, v9, vcc
	v_cmp_neq_f64_e32 vcc, 0, v[10:11]
	v_cndmask_b32_e32 v10, v65, v12, vcc
	v_min_f64 v[11:12], v[38:39], v[36:37]
	v_div_scale_f64 v[36:37], s[96:97], v[34:35], v[34:35], v[11:12]
	s_mov_b32 s96, 0xb5e68a13
	s_mov_b32 s97, 0x3eeba404
	v_rcp_f64_e32 v[38:39], v[36:37]
	v_fma_f64 v[40:41], -v[36:37], v[38:39], 1.0
	v_fma_f64 v[38:39], v[38:39], v[40:41], v[38:39]
	v_fma_f64 v[40:41], -v[36:37], v[38:39], 1.0
	v_fma_f64 v[38:39], v[38:39], v[40:41], v[38:39]
	v_div_scale_f64 v[40:41], vcc, v[11:12], v[34:35], v[11:12]
	v_mul_f64 v[42:43], v[40:41], v[38:39]
	v_fma_f64 v[36:37], -v[36:37], v[42:43], v[40:41]
	s_nop 1
	v_div_fmas_f64 v[36:37], v[36:37], v[38:39], v[42:43]
	v_div_fixup_f64 v[11:12], v[36:37], v[34:35], v[11:12]
	v_mul_f64 v[34:35], v[11:12], v[11:12]
	v_fma_f64 v[36:37], v[34:35], s[96:97], v[32:33]
	s_mov_b32 s96, 0x69efb384
	s_mov_b32 s97, 0x3f4b2bb0
	v_fma_f64 v[36:37], v[34:35], v[36:37], s[96:97]
	s_mov_b32 s96, 0xaf56de9b
	s_mov_b32 s97, 0xbf67952d
	;; [unrolled: 3-line block ×11, first 2 shown]
	v_fma_f64 v[36:37], v[34:35], v[36:37], s[96:97]
	v_fma_f64 v[36:37], v[34:35], v[36:37], s[58:59]
	;; [unrolled: 1-line block ×8, first 2 shown]
	v_mul_f64 v[34:35], v[34:35], v[36:37]
	v_fma_f64 v[11:12], v[11:12], v[34:35], v[11:12]
.LBB48_406:                             ;   in Loop: Header=BB48_4 Depth=1
	s_or_b64 exec, exec, s[90:91]
                                        ; implicit-def: $vgpr38_vgpr39
                                        ; implicit-def: $vgpr36_vgpr37
                                        ; implicit-def: $vgpr34_vgpr35
.LBB48_407:                             ;   in Loop: Header=BB48_4 Depth=1
	s_andn2_saveexec_b64 s[88:89], s[88:89]
	s_cbranch_execz .LBB48_409
; %bb.408:                              ;   in Loop: Header=BB48_4 Depth=1
	s_waitcnt lgkmcnt(0)
	v_div_scale_f64 v[9:10], s[90:91], s[76:77], s[76:77], v[1:2]
	s_mov_b32 s39, s81
	s_andn2_b64 s[18:19], s[18:19], exec
	v_rcp_f64_e32 v[11:12], v[9:10]
	v_fma_f64 v[40:41], -v[9:10], v[11:12], 1.0
	v_fma_f64 v[11:12], v[11:12], v[40:41], v[11:12]
	v_fma_f64 v[40:41], -v[9:10], v[11:12], 1.0
	v_fma_f64 v[11:12], v[11:12], v[40:41], v[11:12]
	v_div_scale_f64 v[40:41], vcc, v[1:2], s[76:77], v[1:2]
	v_mul_f64 v[42:43], v[40:41], v[11:12]
	v_fma_f64 v[9:10], -v[9:10], v[42:43], v[40:41]
	s_nop 1
	v_div_fmas_f64 v[9:10], v[9:10], v[11:12], v[42:43]
	v_div_scale_f64 v[11:12], s[90:91], s[76:77], s[76:77], v[3:4]
	v_div_fixup_f64 v[9:10], v[9:10], s[76:77], v[1:2]
	v_rcp_f64_e32 v[40:41], v[11:12]
	v_cmp_class_f64_e64 s[90:91], v[9:10], s56
	v_fma_f64 v[42:43], -v[11:12], v[40:41], 1.0
	v_fma_f64 v[40:41], v[40:41], v[42:43], v[40:41]
	v_fma_f64 v[42:43], -v[11:12], v[40:41], 1.0
	v_fma_f64 v[40:41], v[40:41], v[42:43], v[40:41]
	v_div_scale_f64 v[42:43], vcc, v[3:4], s[76:77], v[3:4]
	v_mul_f64 v[44:45], v[42:43], v[40:41]
	v_fma_f64 v[11:12], -v[11:12], v[44:45], v[42:43]
	s_nop 1
	v_div_fmas_f64 v[11:12], v[11:12], v[40:41], v[44:45]
	v_div_fixup_f64 v[11:12], v[11:12], s[76:77], v[3:4]
	v_max_f64 v[40:41], |v[9:10]|, |v[11:12]|
	v_cmp_class_f64_e64 s[92:93], v[11:12], s56
	v_frexp_exp_i32_f64_e32 v48, v[40:41]
	v_sub_u32_e32 v42, 0, v48
	v_ldexp_f64 v[40:41], |v[9:10]|, v42
	v_ldexp_f64 v[42:43], |v[11:12]|, v42
	v_mul_f64 v[42:43], v[42:43], v[42:43]
	v_fma_f64 v[40:41], v[40:41], v[40:41], v[42:43]
	v_rsq_f64_e32 v[42:43], v[40:41]
	v_cmp_eq_f64_e32 vcc, 0, v[40:41]
	v_mul_f64 v[44:45], v[40:41], v[42:43]
	v_mul_f64 v[42:43], v[42:43], 0.5
	v_fma_f64 v[46:47], -v[42:43], v[44:45], 0.5
	v_fma_f64 v[44:45], v[44:45], v[46:47], v[44:45]
	v_fma_f64 v[42:43], v[42:43], v[46:47], v[42:43]
	v_fma_f64 v[46:47], -v[44:45], v[44:45], v[40:41]
	v_fma_f64 v[42:43], v[46:47], v[42:43], v[44:45]
	v_cndmask_b32_e32 v41, v43, v41, vcc
	v_cndmask_b32_e32 v40, v42, v40, vcc
	v_ldexp_f64 v[40:41], v[40:41], v48
	s_or_b64 vcc, s[92:93], s[90:91]
	v_cmp_class_f64_e64 s[92:93], v[1:2], s56
	v_cndmask_b32_e32 v11, v41, v61, vcc
	v_cndmask_b32_e64 v10, v40, 0, vcc
	v_frexp_mant_f64_e32 v[40:41], v[10:11]
	v_frexp_exp_i32_f64_e32 v9, v[10:11]
	v_cmp_gt_f64_e32 vcc, s[80:81], v[40:41]
	v_cndmask_b32_e64 v12, 0, 1, vcc
	v_ldexp_f64 v[40:41], v[40:41], v12
	v_subbrev_co_u32_e32 v9, vcc, 0, v9, vcc
	v_cmp_class_f64_e64 vcc, v[10:11], s56
	v_add_f64 v[44:45], v[40:41], 1.0
	v_add_f64 v[42:43], v[40:41], -1.0
	v_add_f64 v[46:47], v[44:45], -1.0
	v_add_f64 v[40:41], v[40:41], -v[46:47]
	v_rcp_f64_e32 v[46:47], v[44:45]
	v_fma_f64 v[48:49], -v[44:45], v[46:47], 1.0
	v_fma_f64 v[46:47], v[48:49], v[46:47], v[46:47]
	v_fma_f64 v[48:49], -v[44:45], v[46:47], 1.0
	v_fma_f64 v[46:47], v[48:49], v[46:47], v[46:47]
	v_mul_f64 v[48:49], v[42:43], v[46:47]
	v_mul_f64 v[72:73], v[44:45], v[48:49]
	v_fma_f64 v[44:45], v[48:49], v[44:45], -v[72:73]
	v_fma_f64 v[40:41], v[48:49], v[40:41], v[44:45]
	v_add_f64 v[44:45], v[72:73], v[40:41]
	v_add_f64 v[74:75], v[42:43], -v[44:45]
	v_add_f64 v[72:73], v[44:45], -v[72:73]
	;; [unrolled: 1-line block ×5, first 2 shown]
	v_add_f64 v[40:41], v[40:41], v[42:43]
	v_add_f64 v[40:41], v[74:75], v[40:41]
	v_mul_f64 v[40:41], v[46:47], v[40:41]
	v_add_f64 v[42:43], v[48:49], v[40:41]
	v_add_f64 v[44:45], v[42:43], -v[48:49]
	v_ldexp_f64 v[48:49], v[42:43], 1
	v_add_f64 v[40:41], v[40:41], -v[44:45]
	v_mul_f64 v[44:45], v[42:43], v[42:43]
	v_ldexp_f64 v[40:41], v[40:41], 1
	v_fma_f64 v[46:47], v[44:45], s[40:41], v[26:27]
	v_mul_f64 v[42:43], v[42:43], v[44:45]
	v_fma_f64 v[46:47], v[44:45], v[46:47], s[42:43]
	v_fma_f64 v[46:47], v[44:45], v[46:47], s[44:45]
	;; [unrolled: 1-line block ×5, first 2 shown]
	v_mul_f64 v[42:43], v[42:43], v[46:47]
	v_add_f64 v[44:45], v[48:49], v[42:43]
	v_add_f64 v[46:47], v[44:45], -v[48:49]
	v_add_f64 v[42:43], v[42:43], -v[46:47]
	v_add_f64 v[40:41], v[40:41], v[42:43]
	v_add_f64 v[42:43], v[44:45], v[40:41]
	v_add_f64 v[44:45], v[42:43], -v[44:45]
	v_add_f64 v[40:41], v[40:41], -v[44:45]
	v_cvt_f64_i32_e32 v[44:45], v9
	v_mul_f64 v[46:47], v[44:45], s[50:51]
	v_fma_f64 v[48:49], v[44:45], s[50:51], -v[46:47]
	v_fma_f64 v[44:45], v[44:45], s[52:53], v[48:49]
	v_add_f64 v[48:49], v[46:47], v[44:45]
	v_add_f64 v[46:47], v[48:49], -v[46:47]
	v_add_f64 v[44:45], v[44:45], -v[46:47]
	v_add_f64 v[46:47], v[48:49], v[42:43]
	v_add_f64 v[72:73], v[46:47], -v[48:49]
	v_add_f64 v[74:75], v[46:47], -v[72:73]
	;; [unrolled: 1-line block ×4, first 2 shown]
	v_add_f64 v[42:43], v[42:43], v[48:49]
	v_add_f64 v[48:49], v[44:45], v[40:41]
	v_add_f64 v[72:73], v[48:49], -v[44:45]
	v_add_f64 v[42:43], v[48:49], v[42:43]
	v_add_f64 v[74:75], v[48:49], -v[72:73]
	v_add_f64 v[40:41], v[40:41], -v[72:73]
	;; [unrolled: 1-line block ×3, first 2 shown]
	v_add_f64 v[40:41], v[40:41], v[44:45]
	v_add_f64 v[44:45], v[46:47], v[42:43]
	v_add_f64 v[46:47], v[44:45], -v[46:47]
	v_add_f64 v[42:43], v[42:43], -v[46:47]
	v_add_f64 v[40:41], v[40:41], v[42:43]
	v_add_f64 v[40:41], v[44:45], v[40:41]
	v_cndmask_b32_e32 v41, v41, v11, vcc
	v_cndmask_b32_e32 v40, v40, v10, vcc
	v_add_f64 v[40:41], v[40:41], 1.0
	v_cmp_ngt_f64_e32 vcc, 0, v[10:11]
	v_cndmask_b32_e32 v12, v66, v41, vcc
	v_cmp_nge_f64_e32 vcc, 0, v[10:11]
	v_cndmask_b32_e32 v9, 0, v40, vcc
	v_cmp_neq_f64_e32 vcc, 0, v[10:11]
	v_cndmask_b32_e32 v10, v65, v12, vcc
	v_min_f64 v[11:12], v[38:39], v[36:37]
	v_div_scale_f64 v[36:37], s[90:91], v[34:35], v[34:35], v[11:12]
	s_mov_b32 s90, 0xb5e68a13
	s_mov_b32 s91, 0x3eeba404
	v_rcp_f64_e32 v[38:39], v[36:37]
	v_fma_f64 v[40:41], -v[36:37], v[38:39], 1.0
	v_fma_f64 v[38:39], v[38:39], v[40:41], v[38:39]
	v_fma_f64 v[40:41], -v[36:37], v[38:39], 1.0
	v_fma_f64 v[38:39], v[38:39], v[40:41], v[38:39]
	v_div_scale_f64 v[40:41], vcc, v[11:12], v[34:35], v[11:12]
	v_mul_f64 v[42:43], v[40:41], v[38:39]
	v_fma_f64 v[36:37], -v[36:37], v[42:43], v[40:41]
	s_nop 1
	v_div_fmas_f64 v[36:37], v[36:37], v[38:39], v[42:43]
	v_div_fixup_f64 v[11:12], v[36:37], v[34:35], v[11:12]
	v_mul_f64 v[34:35], v[11:12], v[11:12]
	v_fma_f64 v[36:37], v[34:35], s[90:91], v[32:33]
	s_mov_b32 s90, 0x69efb384
	s_mov_b32 s91, 0x3f4b2bb0
	v_fma_f64 v[36:37], v[34:35], v[36:37], s[90:91]
	s_mov_b32 s90, 0xaf56de9b
	s_mov_b32 s91, 0xbf67952d
	;; [unrolled: 3-line block ×11, first 2 shown]
	v_fma_f64 v[36:37], v[34:35], v[36:37], s[90:91]
	v_cmp_class_f64_e64 s[90:91], v[3:4], s56
	v_fma_f64 v[36:37], v[34:35], v[36:37], s[58:59]
	s_and_b64 s[90:91], s[90:91], s[92:93]
	s_and_b64 s[90:91], s[90:91], exec
	s_or_b64 s[18:19], s[18:19], s[90:91]
	v_fma_f64 v[36:37], v[34:35], v[36:37], s[60:61]
	v_fma_f64 v[36:37], v[34:35], v[36:37], s[62:63]
	;; [unrolled: 1-line block ×6, first 2 shown]
	v_mul_f64 v[34:35], v[34:35], v[36:37]
	v_fma_f64 v[11:12], v[11:12], v[34:35], v[11:12]
.LBB48_409:                             ;   in Loop: Header=BB48_4 Depth=1
	s_or_b64 exec, exec, s[88:89]
	v_add_f64 v[34:35], -v[11:12], s[4:5]
	s_mov_b32 s72, s4
	v_cmp_gt_i32_e32 vcc, 0, v2
	v_ashrrev_i32_e32 v2, 31, v2
	v_cndmask_b32_e32 v1, v68, v69, vcc
	v_cndmask_b32_e64 v35, v12, v35, s[16:17]
	v_cndmask_b32_e64 v34, v11, v34, s[16:17]
	v_add_f64 v[36:37], -v[34:35], s[72:73]
	v_cmp_eq_f64_e64 s[16:17], 0, v[3:4]
	s_waitcnt lgkmcnt(0)
	v_add_f64 v[11:12], v[9:10], s[50:51]
	v_and_b32_e32 v9, 0x54442d18, v2
	v_cndmask_b32_e32 v3, v70, v71, vcc
	v_and_b32_e32 v2, 0x400921fb, v2
	v_bfi_b32 v3, s55, v3, v4
	v_cndmask_b32_e32 v10, v34, v36, vcc
	v_cndmask_b32_e32 v34, v35, v37, vcc
	v_cndmask_b32_e64 v9, v10, v9, s[16:17]
	v_cndmask_b32_e64 v9, v9, v1, s[18:19]
	;; [unrolled: 1-line block ×3, first 2 shown]
	v_xor_b32_e32 v4, 0x80000000, v12
	v_cndmask_b32_e64 v1, v1, v3, s[18:19]
	v_and_b32_e32 v10, 0x7fffffff, v1
	v_cndmask_b32_e64 v12, v4, v12, s[14:15]
.LBB48_410:                             ;   in Loop: Header=BB48_4 Depth=1
	s_or_b64 exec, exec, s[86:87]
                                        ; implicit-def: $vgpr3_vgpr4
	s_andn2_saveexec_b64 s[14:15], s[84:85]
	s_cbranch_execz .LBB48_320
.LBB48_411:                             ;   in Loop: Header=BB48_4 Depth=1
	v_cmp_neq_f64_e64 s[16:17], |v[1:2]|, s[74:75]
                                        ; implicit-def: $vgpr11_vgpr12
	s_and_saveexec_b64 s[18:19], s[16:17]
	s_xor_b64 s[16:17], exec, s[18:19]
	s_cbranch_execz .LBB48_421
; %bb.412:                              ;   in Loop: Header=BB48_4 Depth=1
	v_cmp_neq_f64_e64 s[18:19], |v[3:4]|, s[74:75]
	s_waitcnt lgkmcnt(0)
	v_xor_b32_e32 v12, 0x80000000, v4
	v_mov_b32_e32 v11, v3
	s_and_saveexec_b64 s[84:85], s[18:19]
	s_xor_b64 s[18:19], exec, s[84:85]
	s_cbranch_execz .LBB48_418
; %bb.413:                              ;   in Loop: Header=BB48_4 Depth=1
	v_cmp_neq_f64_e32 vcc, 0, v[1:2]
                                        ; implicit-def: $vgpr11_vgpr12
	s_and_saveexec_b64 s[84:85], vcc
	s_xor_b64 s[84:85], exec, s[84:85]
	s_cbranch_execz .LBB48_415
; %bb.414:                              ;   in Loop: Header=BB48_4 Depth=1
	v_add_f64 v[3:4], v[3:4], 0
	v_add_f64 v[11:12], v[1:2], v[3:4]
                                        ; implicit-def: $vgpr3_vgpr4
.LBB48_415:                             ;   in Loop: Header=BB48_4 Depth=1
	s_or_saveexec_b64 s[84:85], s[84:85]
	v_mov_b32_e32 v9, v11
	v_mov_b32_e32 v10, v12
	s_xor_b64 exec, exec, s[84:85]
	s_cbranch_execz .LBB48_417
; %bb.416:                              ;   in Loop: Header=BB48_4 Depth=1
	v_mov_b32_e32 v1, s24
	v_mov_b32_e32 v2, s25
	flat_load_dwordx2 v[1:2], v[1:2] glc
	s_waitcnt vmcnt(0)
	v_add_f64 v[11:12], v[3:4], v[3:4]
	s_waitcnt lgkmcnt(0)
	v_add_f64 v[9:10], v[1:2], s[4:5]
.LBB48_417:                             ;   in Loop: Header=BB48_4 Depth=1
	s_or_b64 exec, exec, s[84:85]
                                        ; implicit-def: $vgpr1_vgpr2
.LBB48_418:                             ;   in Loop: Header=BB48_4 Depth=1
	s_andn2_saveexec_b64 s[18:19], s[18:19]
; %bb.419:                              ;   in Loop: Header=BB48_4 Depth=1
	v_add_f64 v[9:10], v[1:2], v[1:2]
; %bb.420:                              ;   in Loop: Header=BB48_4 Depth=1
	s_or_b64 exec, exec, s[18:19]
                                        ; implicit-def: $vgpr3_vgpr4
.LBB48_421:                             ;   in Loop: Header=BB48_4 Depth=1
	s_andn2_saveexec_b64 s[16:17], s[16:17]
	s_cbranch_execz .LBB48_423
; %bb.422:                              ;   in Loop: Header=BB48_4 Depth=1
	s_waitcnt lgkmcnt(0)
	v_add_f64 v[9:10], v[3:4], v[3:4]
	v_mov_b32_e32 v11, 0
	v_mov_b32_e32 v12, 0xfff00000
.LBB48_423:                             ;   in Loop: Header=BB48_4 Depth=1
	s_or_b64 exec, exec, s[16:17]
	s_or_b64 exec, exec, s[14:15]
	s_and_saveexec_b64 s[14:15], s[6:7]
	s_xor_b64 s[6:7], exec, s[14:15]
	s_cbranch_execz .LBB48_321
.LBB48_424:                             ;   in Loop: Header=BB48_4 Depth=1
	v_mov_b32_e32 v2, s21
	v_add_co_u32_e32 v1, vcc, s20, v21
	v_addc_co_u32_e32 v2, vcc, 0, v2, vcc
	s_waitcnt lgkmcnt(0)
	global_store_dwordx4 v[1:2], v[5:8], off
	s_or_b64 exec, exec, s[6:7]
	s_and_saveexec_b64 s[6:7], s[8:9]
	s_cbranch_execz .LBB48_322
.LBB48_425:                             ;   in Loop: Header=BB48_4 Depth=1
	v_mov_b32_e32 v2, s21
	v_add_co_u32_e32 v1, vcc, s20, v54
	v_addc_co_u32_e32 v2, vcc, 0, v2, vcc
	s_waitcnt lgkmcnt(0)
	global_store_dwordx4 v[1:2], v[13:16], off
	s_or_b64 exec, exec, s[6:7]
	s_and_saveexec_b64 s[6:7], s[10:11]
	s_cbranch_execz .LBB48_323
.LBB48_426:                             ;   in Loop: Header=BB48_4 Depth=1
	v_mov_b32_e32 v2, s21
	v_add_co_u32_e32 v1, vcc, s20, v56
	v_addc_co_u32_e32 v2, vcc, v2, v55, vcc
	s_waitcnt lgkmcnt(0)
	global_store_dwordx4 v[1:2], v[17:20], off offset:-8
	s_or_b64 exec, exec, s[6:7]
	s_and_saveexec_b64 s[6:7], s[12:13]
	s_cbranch_execz .LBB48_3
.LBB48_427:                             ;   in Loop: Header=BB48_4 Depth=1
	v_mov_b32_e32 v2, s21
	v_add_co_u32_e32 v1, vcc, s20, v22
	v_addc_co_u32_e32 v2, vcc, v2, v23, vcc
	s_waitcnt lgkmcnt(0)
	global_store_dwordx4 v[1:2], v[9:12], off offset:-8
	s_branch .LBB48_3
.LBB48_428:
	s_cbranch_execz .LBB48_430
	s_branch .LBB48_841
.LBB48_429:
.LBB48_430:
	v_mov_b32_e32 v1, 0x10000
	v_mov_b32_e32 v2, 0
	v_cmp_lt_i64_e32 vcc, s[22:23], v[1:2]
	v_mov_b32_e32 v2, 0
	s_and_b64 s[4:5], vcc, exec
	s_cselect_b32 s11, s23, 0
	s_cselect_b32 s10, s22, 0x10000
	v_lshlrev_b32_e32 v1, 2, v0
	v_cmp_gt_i64_e32 vcc, s[10:11], v[1:2]
	s_and_saveexec_b64 s[4:5], vcc
	s_cbranch_execz .LBB48_841
; %bb.431:
	v_readlane_b32 s4, v87, 0
	s_mov_b64 s[12:13], src_private_base
	v_readlane_b32 s5, v87, 1
	s_add_u32 s14, s4, 0xd30
	s_addc_u32 s15, s5, 0
	s_mov_b32 s12, 8
	v_mov_b32_e32 v25, s13
	s_mov_b32 s62, 0x55555555
	s_mov_b32 s24, 0xbf559e2b
	;; [unrolled: 1-line block ×29, first 2 shown]
	v_mov_b32_e32 v1, v2
	s_mov_b32 s16, 0
	s_mov_b32 s17, s13
	;; [unrolled: 1-line block ×4, first 2 shown]
	v_mov_b32_e32 v52, s83
	v_mov_b32_e32 v22, 0x33145c07
	;; [unrolled: 1-line block ×6, first 2 shown]
	s_mov_b32 s63, 0x3fe55555
	s_mov_b32 s25, 0x3fc3ab76
	;; [unrolled: 1-line block ×26, first 2 shown]
	v_mov_b32_e32 v55, 0x7ff00000
	v_mov_b32_e32 v56, 0x3ff00000
	v_mov_b32_e32 v57, 0x100
	v_mov_b32_e32 v58, 0xffffff80
	v_mov_b32_e32 v26, 0x6b47b09a
	v_mov_b32_e32 v27, 0x3fc38538
	v_mov_b32_e32 v59, 0xfff00000
	v_mov_b32_e32 v60, 0x7ff80000
	v_mov_b32_e32 v28, 0x78a05eaf
	v_mov_b32_e32 v29, 0xbf90a5a3
	v_mov_b32_e32 v30, 0xeeb562d6
	v_mov_b32_e32 v31, 0x3ffaf154
	v_mov_b32_e32 v61, 0x400921fb
	v_mov_b32_e32 v62, 0x54442d18
	v_mov_b32_e32 v32, 0xbd3237f4
	v_mov_b32_e32 v33, 0xbf23e260
	v_mov_b32_e32 v63, 0x7f3321d2
	v_mov_b32_e32 v64, 0x3fe921fb
	v_mov_b32_e32 v65, 0x4002d97c
	s_brev_b32 s33, -2
	s_movk_i32 s83, 0x204
	s_mov_b64 s[52:53], 0
	s_mov_b32 s55, 0x43300000
	s_mov_b32 s57, 0x7ff00000
	;; [unrolled: 1-line block ×3, first 2 shown]
	v_writelane_b32 v87, s4, 0
	s_mov_b32 s47, 0x400921fb
	v_writelane_b32 v87, s5, 1
	s_branch .LBB48_434
.LBB48_432:                             ;   in Loop: Header=BB48_434 Depth=1
	s_or_b64 exec, exec, s[6:7]
.LBB48_433:                             ;   in Loop: Header=BB48_434 Depth=1
	s_or_b64 exec, exec, s[4:5]
	s_waitcnt lgkmcnt(0)
	global_store_dwordx4 v[34:35], v[6:9], off
	global_store_dwordx4 v[34:35], v[14:17], off offset:16
	global_store_dwordx4 v[34:35], v[18:21], off offset:32
	;; [unrolled: 1-line block ×3, first 2 shown]
	s_load_dword s4, s[14:15], 0xc
	s_waitcnt lgkmcnt(0)
	s_and_b32 s4, s4, 0xffff
	v_add_co_u32_e32 v0, vcc, s4, v0
	v_addc_co_u32_e32 v1, vcc, 0, v1, vcc
	v_lshlrev_b64 v[2:3], 2, v[0:1]
	v_cmp_le_i64_e32 vcc, s[10:11], v[2:3]
	s_or_b64 s[52:53], vcc, s[52:53]
	s_andn2_b64 exec, exec, s[52:53]
	s_cbranch_execz .LBB48_841
.LBB48_434:                             ; =>This Inner Loop Header: Depth=1
	v_lshlrev_b64 v[2:3], 6, v[0:1]
                                        ; implicit-def: $vgpr8_vgpr9
	v_add_co_u32_e32 v34, vcc, s82, v2
	v_addc_co_u32_e32 v35, vcc, v52, v3, vcc
	s_waitcnt lgkmcnt(0)
	global_load_dwordx4 v[14:17], v[34:35], off
	global_load_dwordx4 v[18:21], v[34:35], off offset:16
	global_load_dwordx4 v[2:5], v[34:35], off offset:48
	;; [unrolled: 1-line block ×3, first 2 shown]
	s_waitcnt vmcnt(3)
	v_cmp_o_f64_e32 vcc, v[14:15], v[16:17]
	flat_store_dwordx2 v[24:25], v[22:23]
	s_waitcnt vmcnt(0)
	s_and_saveexec_b64 s[4:5], vcc
	s_xor_b64 s[58:59], exec, s[4:5]
	s_cbranch_execz .LBB48_522
; %bb.435:                              ;   in Loop: Header=BB48_434 Depth=1
	v_max_f64 v[38:39], |v[16:17]|, |v[16:17]|
	v_max_f64 v[40:41], |v[14:15]|, |v[14:15]|
	v_cmp_gt_i64_e64 s[4:5], 0, v[16:17]
                                        ; implicit-def: $vgpr8_vgpr9
	v_max_f64 v[36:37], v[40:41], v[38:39]
	v_cmp_nlt_f64_e32 vcc, s[54:55], v[36:37]
	s_and_saveexec_b64 s[6:7], vcc
	s_xor_b64 s[64:65], exec, s[6:7]
	s_cbranch_execz .LBB48_511
; %bb.436:                              ;   in Loop: Header=BB48_434 Depth=1
	v_cmp_neq_f64_e32 vcc, 1.0, v[14:15]
	v_cmp_neq_f64_e64 s[6:7], 0, v[16:17]
	v_xor_b32_e32 v9, 0x80000000, v17
	v_mov_b32_e32 v8, v16
	s_or_b64 s[6:7], vcc, s[6:7]
	s_and_saveexec_b64 s[8:9], s[6:7]
	s_xor_b64 s[20:21], exec, s[8:9]
	s_cbranch_execz .LBB48_508
; %bb.437:                              ;   in Loop: Header=BB48_434 Depth=1
	v_mov_b32_e32 v6, s16
	v_mov_b32_e32 v7, s17
	flat_store_dword v[6:7], v53
	s_waitcnt vmcnt(0)
	flat_load_dword v6, v[6:7] glc
	s_waitcnt vmcnt(0)
	s_mov_b32 s8, 0x1409212f
	s_mov_b32 s9, 0x3e43988e
	v_cmp_nlt_f64_e64 s[6:7], |v[14:15]|, s[8:9]
	v_cmp_nlt_f64_e64 s[8:9], |v[16:17]|, s[8:9]
	s_or_b64 s[6:7], s[6:7], s[8:9]
	s_waitcnt lgkmcnt(0)
	v_add_f32_e32 v8, 1.0, v6
	v_mov_b32_e32 v6, s18
	v_mov_b32_e32 v7, s19
	flat_store_dword v[6:7], v8
	s_waitcnt vmcnt(0)
	flat_load_dword v6, v[6:7] glc
	s_waitcnt vmcnt(0)
	v_mov_b32_e32 v8, v16
	s_and_saveexec_b64 s[8:9], s[6:7]
	s_xor_b64 s[48:49], exec, s[8:9]
	s_cbranch_execz .LBB48_505
; %bb.438:                              ;   in Loop: Header=BB48_434 Depth=1
	v_add_f64 v[36:37], |v[14:15]|, 1.0
	s_waitcnt lgkmcnt(0)
	v_add_f64 v[6:7], |v[14:15]|, -1.0
	v_max_f64 v[8:9], v[38:39], v[36:37]
	v_max_f64 v[38:39], v[38:39], |v[6:7]|
	v_frexp_exp_i32_f64_e32 v66, v[8:9]
	v_frexp_exp_i32_f64_e32 v67, v[38:39]
	v_sub_u32_e32 v40, 0, v66
	v_sub_u32_e32 v42, 0, v67
	v_ldexp_f64 v[8:9], v[36:37], v40
	v_ldexp_f64 v[38:39], |v[6:7]|, v42
	v_ldexp_f64 v[40:41], |v[16:17]|, v40
	;; [unrolled: 1-line block ×3, first 2 shown]
	v_mul_f64 v[8:9], v[8:9], v[8:9]
	v_mul_f64 v[38:39], v[38:39], v[38:39]
	v_fma_f64 v[8:9], v[40:41], v[40:41], v[8:9]
	v_fma_f64 v[38:39], v[42:43], v[42:43], v[38:39]
	v_rsq_f64_e32 v[40:41], v[8:9]
	v_rsq_f64_e32 v[42:43], v[38:39]
	v_cmp_eq_f64_e32 vcc, 0, v[8:9]
	v_cmp_eq_f64_e64 s[6:7], 0, v[38:39]
	v_mul_f64 v[44:45], v[8:9], v[40:41]
	v_mul_f64 v[40:41], v[40:41], 0.5
	v_mul_f64 v[46:47], v[38:39], v[42:43]
	v_mul_f64 v[42:43], v[42:43], 0.5
	v_fma_f64 v[48:49], -v[40:41], v[44:45], 0.5
	v_fma_f64 v[50:51], -v[42:43], v[46:47], 0.5
	v_fma_f64 v[44:45], v[44:45], v[48:49], v[44:45]
	v_fma_f64 v[40:41], v[40:41], v[48:49], v[40:41]
	;; [unrolled: 1-line block ×4, first 2 shown]
	v_fma_f64 v[48:49], -v[44:45], v[44:45], v[8:9]
	v_fma_f64 v[50:51], -v[46:47], v[46:47], v[38:39]
	v_fma_f64 v[40:41], v[48:49], v[40:41], v[44:45]
	v_fma_f64 v[42:43], v[50:51], v[42:43], v[46:47]
	v_cndmask_b32_e32 v9, v41, v9, vcc
	v_cndmask_b32_e32 v8, v40, v8, vcc
	v_cndmask_b32_e64 v39, v43, v39, s[6:7]
	v_cndmask_b32_e64 v38, v42, v38, s[6:7]
	v_ldexp_f64 v[8:9], v[8:9], v66
	v_cmp_neq_f64_e32 vcc, s[56:57], v[36:37]
	v_ldexp_f64 v[38:39], v[38:39], v67
	v_cmp_neq_f64_e64 s[6:7], |v[6:7]|, s[56:57]
	v_cndmask_b32_e32 v43, v55, v9, vcc
	v_cndmask_b32_e32 v42, 0, v8, vcc
	v_cndmask_b32_e64 v41, v55, v39, s[6:7]
	v_cndmask_b32_e64 v40, 0, v38, s[6:7]
	v_add_f64 v[8:9], v[42:43], v[40:41]
	s_mov_b32 s6, 0
	s_mov_b32 s7, 0x40240000
	v_mul_f64 v[8:9], v[8:9], 0.5
	v_cmp_ngt_f64_e32 vcc, 1.0, v[8:9]
	v_cndmask_b32_e32 v39, v56, v9, vcc
	v_cndmask_b32_e32 v38, 0, v8, vcc
	v_cmp_ngt_f64_e32 vcc, s[6:7], v[38:39]
                                        ; implicit-def: $vgpr8_vgpr9
	s_and_saveexec_b64 s[6:7], vcc
	s_xor_b64 s[6:7], exec, s[6:7]
	s_cbranch_execz .LBB48_440
; %bb.439:                              ;   in Loop: Header=BB48_434 Depth=1
	v_fma_f64 v[8:9], v[38:39], v[38:39], -1.0
	s_mov_b32 s8, 0
	s_brev_b32 s9, 8
	s_mov_b32 s23, s63
	v_cmp_gt_f64_e32 vcc, s[8:9], v[8:9]
	v_cndmask_b32_e32 v44, 0, v57, vcc
	v_ldexp_f64 v[8:9], v[8:9], v44
	v_rsq_f64_e32 v[44:45], v[8:9]
	v_mul_f64 v[46:47], v[8:9], v[44:45]
	v_mul_f64 v[44:45], v[44:45], 0.5
	v_fma_f64 v[48:49], -v[44:45], v[46:47], 0.5
	v_fma_f64 v[46:47], v[46:47], v[48:49], v[46:47]
	v_fma_f64 v[44:45], v[44:45], v[48:49], v[44:45]
	v_fma_f64 v[48:49], -v[46:47], v[46:47], v[8:9]
	v_fma_f64 v[46:47], v[48:49], v[44:45], v[46:47]
	v_fma_f64 v[48:49], -v[46:47], v[46:47], v[8:9]
	v_fma_f64 v[44:45], v[48:49], v[44:45], v[46:47]
	v_cndmask_b32_e32 v46, 0, v58, vcc
	v_cmp_class_f64_e32 vcc, v[8:9], v54
	v_ldexp_f64 v[44:45], v[44:45], v46
	v_cndmask_b32_e32 v9, v45, v9, vcc
	v_cndmask_b32_e32 v8, v44, v8, vcc
	v_add_f64 v[8:9], v[38:39], v[8:9]
	v_frexp_mant_f64_e32 v[44:45], v[8:9]
	v_cmp_gt_f64_e32 vcc, s[62:63], v[44:45]
	v_cndmask_b32_e64 v46, 0, 1, vcc
	v_ldexp_f64 v[44:45], v[44:45], v46
	v_add_f64 v[46:47], v[44:45], 1.0
	v_add_f64 v[66:67], v[44:45], -1.0
	v_rcp_f64_e32 v[48:49], v[46:47]
	v_add_f64 v[68:69], v[46:47], -1.0
	v_add_f64 v[44:45], v[44:45], -v[68:69]
	v_fma_f64 v[50:51], -v[46:47], v[48:49], 1.0
	v_fma_f64 v[48:49], v[50:51], v[48:49], v[48:49]
	v_fma_f64 v[50:51], -v[46:47], v[48:49], 1.0
	v_fma_f64 v[48:49], v[50:51], v[48:49], v[48:49]
	v_mul_f64 v[50:51], v[66:67], v[48:49]
	v_mul_f64 v[70:71], v[46:47], v[50:51]
	v_fma_f64 v[46:47], v[50:51], v[46:47], -v[70:71]
	v_fma_f64 v[44:45], v[50:51], v[44:45], v[46:47]
	v_add_f64 v[46:47], v[70:71], v[44:45]
	v_add_f64 v[68:69], v[66:67], -v[46:47]
	v_add_f64 v[70:71], v[46:47], -v[70:71]
	;; [unrolled: 1-line block ×5, first 2 shown]
	v_add_f64 v[44:45], v[44:45], v[46:47]
	v_add_f64 v[44:45], v[68:69], v[44:45]
	v_mul_f64 v[44:45], v[48:49], v[44:45]
	v_add_f64 v[46:47], v[50:51], v[44:45]
	v_mul_f64 v[48:49], v[46:47], v[46:47]
	v_fma_f64 v[66:67], v[48:49], s[24:25], v[26:27]
	v_mul_f64 v[68:69], v[46:47], v[48:49]
	v_fma_f64 v[66:67], v[48:49], v[66:67], s[26:27]
	v_fma_f64 v[66:67], v[48:49], v[66:67], s[28:29]
	;; [unrolled: 1-line block ×5, first 2 shown]
	v_ldexp_f64 v[66:67], v[46:47], 1
	v_add_f64 v[46:47], v[46:47], -v[50:51]
	v_mul_f64 v[48:49], v[68:69], v[48:49]
	v_frexp_exp_i32_f64_e32 v68, v[8:9]
	v_add_f64 v[44:45], v[44:45], -v[46:47]
	v_add_f64 v[50:51], v[66:67], v[48:49]
	v_subbrev_co_u32_e32 v68, vcc, 0, v68, vcc
	v_cvt_f64_i32_e32 v[68:69], v68
	v_ldexp_f64 v[44:45], v[44:45], 1
	v_cmp_class_f64_e64 vcc, v[8:9], s83
	v_mul_f64 v[70:71], v[68:69], s[36:37]
	v_add_f64 v[46:47], v[50:51], -v[66:67]
	v_fma_f64 v[66:67], v[68:69], s[36:37], -v[70:71]
	v_add_f64 v[46:47], v[48:49], -v[46:47]
	v_fma_f64 v[48:49], v[68:69], s[38:39], v[66:67]
	v_add_f64 v[44:45], v[44:45], v[46:47]
	v_add_f64 v[46:47], v[70:71], v[48:49]
	;; [unrolled: 1-line block ×3, first 2 shown]
	v_add_f64 v[70:71], v[46:47], -v[70:71]
	v_add_f64 v[68:69], v[46:47], v[66:67]
	v_add_f64 v[50:51], v[66:67], -v[50:51]
	v_add_f64 v[48:49], v[48:49], -v[70:71]
	v_add_f64 v[72:73], v[68:69], -v[46:47]
	v_add_f64 v[44:45], v[44:45], -v[50:51]
	v_add_f64 v[74:75], v[68:69], -v[72:73]
	v_add_f64 v[50:51], v[66:67], -v[72:73]
	v_add_f64 v[66:67], v[48:49], v[44:45]
	v_add_f64 v[46:47], v[46:47], -v[74:75]
	v_add_f64 v[46:47], v[50:51], v[46:47]
	v_add_f64 v[50:51], v[66:67], -v[48:49]
	;; [unrolled: 2-line block ×3, first 2 shown]
	v_add_f64 v[44:45], v[44:45], -v[50:51]
	v_add_f64 v[70:71], v[68:69], v[46:47]
	v_add_f64 v[48:49], v[48:49], -v[66:67]
	v_add_f64 v[50:51], v[70:71], -v[68:69]
	v_add_f64 v[44:45], v[44:45], v[48:49]
	v_add_f64 v[46:47], v[46:47], -v[50:51]
	v_add_f64 v[44:45], v[44:45], v[46:47]
	v_add_f64 v[44:45], v[70:71], v[44:45]
	v_cndmask_b32_e32 v44, v44, v8, vcc
	v_cndmask_b32_e32 v45, v45, v9, vcc
	v_cmp_neq_f64_e32 vcc, 0, v[8:9]
	v_cndmask_b32_e32 v9, v59, v45, vcc
	v_cndmask_b32_e32 v8, 0, v44, vcc
.LBB48_440:                             ;   in Loop: Header=BB48_434 Depth=1
	s_or_saveexec_b64 s[8:9], s[6:7]
	v_and_b32_e32 v45, 0x7fffffff, v17
	v_mov_b32_e32 v44, v16
	s_xor_b64 exec, exec, s[8:9]
	s_cbranch_execz .LBB48_462
; %bb.441:                              ;   in Loop: Header=BB48_434 Depth=1
	s_mov_b32 s66, 0
	s_mov_b32 s67, 0x39000000
	v_cmp_neq_f64_e64 s[6:7], |v[14:15]|, 1.0
	v_cmp_nlt_f64_e64 s[66:67], |v[16:17]|, s[66:67]
                                        ; implicit-def: $vgpr8_vgpr9
	s_or_b64 s[6:7], s[6:7], s[66:67]
	s_and_saveexec_b64 s[66:67], s[6:7]
	s_xor_b64 s[66:67], exec, s[66:67]
	s_cbranch_execz .LBB48_459
; %bb.442:                              ;   in Loop: Header=BB48_434 Depth=1
	s_movk_i32 s6, 0xffcc
	v_ldexp_f64 v[8:9], |v[6:7]|, s6
	v_cmp_ge_f64_e64 s[6:7], |v[16:17]|, v[8:9]
                                        ; implicit-def: $vgpr8_vgpr9
	s_and_saveexec_b64 s[68:69], s[6:7]
	s_xor_b64 s[68:69], exec, s[68:69]
	s_cbranch_execz .LBB48_452
; %bb.443:                              ;   in Loop: Header=BB48_434 Depth=1
	v_cmp_neq_f64_e32 vcc, 0, v[36:37]
	v_mov_b32_e32 v8, v44
	v_mov_b32_e32 v9, v45
	s_and_saveexec_b64 s[6:7], vcc
	s_cbranch_execz .LBB48_445
; %bb.444:                              ;   in Loop: Header=BB48_434 Depth=1
	v_mul_f64 v[8:9], v[16:17], v[16:17]
	v_add_f64 v[46:47], v[36:37], v[42:43]
	v_div_scale_f64 v[48:49], s[70:71], v[46:47], v[46:47], v[8:9]
	v_div_scale_f64 v[68:69], vcc, v[8:9], v[46:47], v[8:9]
	v_rcp_f64_e32 v[50:51], v[48:49]
	v_fma_f64 v[66:67], -v[48:49], v[50:51], 1.0
	v_fma_f64 v[50:51], v[50:51], v[66:67], v[50:51]
	v_fma_f64 v[66:67], -v[48:49], v[50:51], 1.0
	v_fma_f64 v[50:51], v[50:51], v[66:67], v[50:51]
	v_mul_f64 v[66:67], v[68:69], v[50:51]
	v_fma_f64 v[48:49], -v[48:49], v[66:67], v[68:69]
	v_div_fmas_f64 v[48:49], v[48:49], v[50:51], v[66:67]
	v_div_fixup_f64 v[8:9], v[48:49], v[46:47], v[8:9]
.LBB48_445:                             ;   in Loop: Header=BB48_434 Depth=1
	s_or_b64 exec, exec, s[6:7]
	v_add_f64 v[48:49], -|v[14:15]|, 1.0
                                        ; implicit-def: $vgpr46_vgpr47
	v_cmp_ngt_f64_e32 vcc, 0, v[48:49]
	s_and_saveexec_b64 s[6:7], vcc
	s_xor_b64 s[6:7], exec, s[6:7]
	s_cbranch_execz .LBB48_449
; %bb.446:                              ;   in Loop: Header=BB48_434 Depth=1
	v_cmp_neq_f64_e32 vcc, 0, v[48:49]
	v_mov_b32_e32 v47, v45
	v_mov_b32_e32 v46, v44
	s_and_saveexec_b64 s[70:71], vcc
	s_cbranch_execz .LBB48_448
; %bb.447:                              ;   in Loop: Header=BB48_434 Depth=1
	v_mul_f64 v[46:47], v[16:17], v[16:17]
	v_add_f64 v[48:49], v[48:49], v[40:41]
	v_div_scale_f64 v[50:51], s[72:73], v[48:49], v[48:49], v[46:47]
	v_div_scale_f64 v[70:71], vcc, v[46:47], v[48:49], v[46:47]
	v_rcp_f64_e32 v[66:67], v[50:51]
	v_fma_f64 v[68:69], -v[50:51], v[66:67], 1.0
	v_fma_f64 v[66:67], v[66:67], v[68:69], v[66:67]
	v_fma_f64 v[68:69], -v[50:51], v[66:67], 1.0
	v_fma_f64 v[66:67], v[66:67], v[68:69], v[66:67]
	v_mul_f64 v[68:69], v[70:71], v[66:67]
	v_fma_f64 v[50:51], -v[50:51], v[68:69], v[70:71]
	v_div_fmas_f64 v[50:51], v[50:51], v[66:67], v[68:69]
	v_div_fixup_f64 v[46:47], v[50:51], v[48:49], v[46:47]
.LBB48_448:                             ;   in Loop: Header=BB48_434 Depth=1
	s_or_b64 exec, exec, s[70:71]
	s_mov_b32 s72, 0xb5e68a13
                                        ; implicit-def: $vgpr48_vgpr49
	s_mov_b32 s73, 0x3eeba404
.LBB48_449:                             ;   in Loop: Header=BB48_434 Depth=1
	s_andn2_saveexec_b64 s[6:7], s[6:7]
; %bb.450:                              ;   in Loop: Header=BB48_434 Depth=1
	v_add_f64 v[46:47], v[40:41], -v[48:49]
; %bb.451:                              ;   in Loop: Header=BB48_434 Depth=1
	s_or_b64 exec, exec, s[6:7]
	v_mul_f64 v[46:47], v[46:47], 0.5
	s_mov_b32 s6, 0
	s_brev_b32 s7, 8
	s_mov_b32 s23, s63
	v_fma_f64 v[8:9], v[8:9], 0.5, v[46:47]
	v_add_f64 v[46:47], v[38:39], 1.0
	v_mul_f64 v[46:47], v[46:47], v[8:9]
	v_cmp_gt_f64_e32 vcc, s[6:7], v[46:47]
	v_cndmask_b32_e32 v48, 0, v57, vcc
	v_ldexp_f64 v[46:47], v[46:47], v48
	v_rsq_f64_e32 v[48:49], v[46:47]
	v_mul_f64 v[50:51], v[46:47], v[48:49]
	v_mul_f64 v[48:49], v[48:49], 0.5
	v_fma_f64 v[66:67], -v[48:49], v[50:51], 0.5
	v_fma_f64 v[50:51], v[50:51], v[66:67], v[50:51]
	v_fma_f64 v[48:49], v[48:49], v[66:67], v[48:49]
	v_fma_f64 v[68:69], -v[50:51], v[50:51], v[46:47]
	v_fma_f64 v[50:51], v[68:69], v[48:49], v[50:51]
	v_fma_f64 v[66:67], -v[50:51], v[50:51], v[46:47]
	v_fma_f64 v[48:49], v[66:67], v[48:49], v[50:51]
	v_cndmask_b32_e32 v50, 0, v58, vcc
	v_cmp_class_f64_e32 vcc, v[46:47], v54
	v_ldexp_f64 v[48:49], v[48:49], v50
	v_cndmask_b32_e32 v47, v49, v47, vcc
	v_cndmask_b32_e32 v46, v48, v46, vcc
	v_add_f64 v[46:47], v[8:9], v[46:47]
	v_add_f64 v[8:9], v[46:47], 1.0
	v_cmp_ngt_f64_e64 s[6:7], -1.0, v[46:47]
	v_add_f64 v[48:49], v[8:9], -1.0
	v_frexp_exp_i32_f64_e32 v66, v[8:9]
	v_add_f64 v[50:51], v[48:49], -v[8:9]
	v_add_f64 v[48:49], v[46:47], -v[48:49]
	v_add_f64 v[50:51], v[50:51], 1.0
	v_add_f64 v[48:49], v[48:49], v[50:51]
	v_frexp_mant_f64_e32 v[50:51], v[8:9]
	v_cmp_gt_f64_e32 vcc, s[62:63], v[50:51]
	v_subbrev_co_u32_e32 v80, vcc, 0, v66, vcc
	v_sub_u32_e32 v50, 0, v80
	v_ldexp_f64 v[8:9], v[8:9], v50
	v_ldexp_f64 v[48:49], v[48:49], v50
	v_cmp_neq_f64_e32 vcc, s[56:57], v[46:47]
	v_add_f64 v[50:51], v[8:9], -1.0
	v_add_f64 v[66:67], v[50:51], 1.0
	v_add_f64 v[66:67], v[8:9], -v[66:67]
	v_add_f64 v[66:67], v[48:49], v[66:67]
	v_add_f64 v[68:69], v[50:51], v[66:67]
	v_add_f64 v[50:51], v[68:69], -v[50:51]
	v_add_f64 v[50:51], v[66:67], -v[50:51]
	v_add_f64 v[66:67], v[8:9], 1.0
	v_add_f64 v[70:71], v[66:67], -1.0
	v_add_f64 v[8:9], v[8:9], -v[70:71]
	v_add_f64 v[8:9], v[48:49], v[8:9]
	v_add_f64 v[48:49], v[66:67], v[8:9]
	v_add_f64 v[66:67], v[48:49], -v[66:67]
	v_add_f64 v[8:9], v[8:9], -v[66:67]
	v_rcp_f64_e32 v[66:67], v[48:49]
	v_fma_f64 v[70:71], -v[48:49], v[66:67], 1.0
	v_fma_f64 v[66:67], v[70:71], v[66:67], v[66:67]
	v_fma_f64 v[70:71], -v[48:49], v[66:67], 1.0
	v_fma_f64 v[66:67], v[70:71], v[66:67], v[66:67]
	v_mul_f64 v[70:71], v[68:69], v[66:67]
	v_mul_f64 v[72:73], v[48:49], v[70:71]
	v_fma_f64 v[74:75], v[70:71], v[48:49], -v[72:73]
	v_fma_f64 v[74:75], v[70:71], v[8:9], v[74:75]
	v_add_f64 v[76:77], v[72:73], v[74:75]
	v_add_f64 v[78:79], v[68:69], -v[76:77]
	v_add_f64 v[72:73], v[76:77], -v[72:73]
	;; [unrolled: 1-line block ×4, first 2 shown]
	v_add_f64 v[50:51], v[50:51], v[68:69]
	v_add_f64 v[68:69], v[72:73], -v[74:75]
	v_add_f64 v[50:51], v[68:69], v[50:51]
	v_add_f64 v[68:69], v[78:79], v[50:51]
	v_add_f64 v[72:73], v[78:79], -v[68:69]
	v_add_f64 v[50:51], v[50:51], v[72:73]
	v_mul_f64 v[72:73], v[66:67], v[68:69]
	v_mul_f64 v[74:75], v[48:49], v[72:73]
	v_fma_f64 v[48:49], v[72:73], v[48:49], -v[74:75]
	v_fma_f64 v[8:9], v[72:73], v[8:9], v[48:49]
	v_add_f64 v[48:49], v[74:75], v[8:9]
	v_add_f64 v[76:77], v[68:69], -v[48:49]
	v_add_f64 v[74:75], v[48:49], -v[74:75]
	;; [unrolled: 1-line block ×5, first 2 shown]
	v_cvt_f64_i32_e32 v[68:69], v80
	v_add_f64 v[48:49], v[50:51], v[48:49]
	v_add_f64 v[8:9], v[8:9], v[48:49]
	;; [unrolled: 1-line block ×4, first 2 shown]
	v_add_f64 v[50:51], v[48:49], -v[70:71]
	v_mul_f64 v[70:71], v[68:69], s[36:37]
	v_mul_f64 v[8:9], v[66:67], v[8:9]
	v_add_f64 v[50:51], v[72:73], -v[50:51]
	v_fma_f64 v[72:73], v[68:69], s[36:37], -v[70:71]
	v_add_f64 v[8:9], v[50:51], v[8:9]
	v_fma_f64 v[68:69], v[68:69], s[38:39], v[72:73]
	v_add_f64 v[50:51], v[48:49], v[8:9]
	v_add_f64 v[72:73], v[70:71], v[68:69]
	v_add_f64 v[48:49], v[50:51], -v[48:49]
	v_add_f64 v[70:71], v[72:73], -v[70:71]
	;; [unrolled: 1-line block ×3, first 2 shown]
	v_mul_f64 v[48:49], v[50:51], v[50:51]
	v_add_f64 v[68:69], v[68:69], -v[70:71]
	v_ldexp_f64 v[70:71], v[50:51], 1
	v_ldexp_f64 v[8:9], v[8:9], 1
	v_fma_f64 v[66:67], v[48:49], s[24:25], v[26:27]
	v_fma_f64 v[66:67], v[48:49], v[66:67], s[26:27]
	;; [unrolled: 1-line block ×6, first 2 shown]
	v_mul_f64 v[48:49], v[50:51], v[48:49]
	v_mul_f64 v[48:49], v[48:49], v[66:67]
	v_add_f64 v[50:51], v[70:71], v[48:49]
	v_add_f64 v[66:67], v[50:51], -v[70:71]
	v_add_f64 v[48:49], v[48:49], -v[66:67]
	v_add_f64 v[8:9], v[8:9], v[48:49]
	v_add_f64 v[48:49], v[50:51], v[8:9]
	v_add_f64 v[50:51], v[48:49], -v[50:51]
	v_add_f64 v[8:9], v[8:9], -v[50:51]
	v_add_f64 v[50:51], v[72:73], v[48:49]
	v_add_f64 v[66:67], v[50:51], -v[72:73]
	v_add_f64 v[70:71], v[50:51], -v[66:67]
	;; [unrolled: 1-line block ×3, first 2 shown]
	v_add_f64 v[66:67], v[68:69], v[8:9]
	v_add_f64 v[70:71], v[72:73], -v[70:71]
	v_add_f64 v[48:49], v[48:49], v[70:71]
	v_add_f64 v[70:71], v[66:67], -v[68:69]
	;; [unrolled: 2-line block ×3, first 2 shown]
	v_add_f64 v[8:9], v[8:9], -v[70:71]
	v_add_f64 v[66:67], v[50:51], v[48:49]
	v_add_f64 v[68:69], v[68:69], -v[72:73]
	v_add_f64 v[50:51], v[66:67], -v[50:51]
	v_add_f64 v[8:9], v[8:9], v[68:69]
	v_add_f64 v[48:49], v[48:49], -v[50:51]
	v_add_f64 v[8:9], v[8:9], v[48:49]
	v_add_f64 v[8:9], v[66:67], v[8:9]
	v_cndmask_b32_e32 v9, v55, v9, vcc
	v_cndmask_b32_e64 v9, v60, v9, s[6:7]
	v_cmp_nge_f64_e64 s[6:7], -1.0, v[46:47]
	s_and_b64 vcc, s[6:7], vcc
	v_cndmask_b32_e32 v8, 0, v8, vcc
	v_cmp_neq_f64_e32 vcc, -1.0, v[46:47]
	v_cndmask_b32_e32 v9, v59, v9, vcc
.LBB48_452:                             ;   in Loop: Header=BB48_434 Depth=1
	s_andn2_saveexec_b64 s[68:69], s[68:69]
	s_cbranch_execz .LBB48_458
; %bb.453:                              ;   in Loop: Header=BB48_434 Depth=1
	v_cmp_nlt_f64_e64 s[6:7], |v[14:15]|, 1.0
                                        ; implicit-def: $vgpr8_vgpr9
	s_and_saveexec_b64 s[70:71], s[6:7]
	s_xor_b64 s[70:71], exec, s[70:71]
	s_cbranch_execz .LBB48_455
; %bb.454:                              ;   in Loop: Header=BB48_434 Depth=1
	v_mul_f64 v[8:9], v[6:7], v[36:37]
	s_mov_b32 s6, 0
	s_brev_b32 s7, 8
	s_mov_b32 s23, s63
	v_cmp_gt_f64_e32 vcc, s[6:7], v[8:9]
	v_cndmask_b32_e32 v46, 0, v57, vcc
	v_ldexp_f64 v[8:9], v[8:9], v46
	v_rsq_f64_e32 v[46:47], v[8:9]
	v_mul_f64 v[48:49], v[8:9], v[46:47]
	v_mul_f64 v[46:47], v[46:47], 0.5
	v_fma_f64 v[50:51], -v[46:47], v[48:49], 0.5
	v_fma_f64 v[48:49], v[48:49], v[50:51], v[48:49]
	v_fma_f64 v[46:47], v[46:47], v[50:51], v[46:47]
	v_fma_f64 v[66:67], -v[48:49], v[48:49], v[8:9]
	v_fma_f64 v[48:49], v[66:67], v[46:47], v[48:49]
	v_fma_f64 v[50:51], -v[48:49], v[48:49], v[8:9]
	v_fma_f64 v[46:47], v[50:51], v[46:47], v[48:49]
	v_cndmask_b32_e32 v48, 0, v58, vcc
	v_cmp_class_f64_e32 vcc, v[8:9], v54
	v_ldexp_f64 v[46:47], v[46:47], v48
	v_cndmask_b32_e32 v9, v47, v9, vcc
	v_cndmask_b32_e32 v8, v46, v8, vcc
	v_add_f64 v[46:47], v[6:7], v[8:9]
	v_add_f64 v[8:9], v[46:47], 1.0
	v_cmp_ngt_f64_e64 s[6:7], -1.0, v[46:47]
	v_add_f64 v[48:49], v[8:9], -1.0
	v_frexp_exp_i32_f64_e32 v66, v[8:9]
	v_add_f64 v[50:51], v[48:49], -v[8:9]
	v_add_f64 v[48:49], v[46:47], -v[48:49]
	v_add_f64 v[50:51], v[50:51], 1.0
	v_add_f64 v[48:49], v[48:49], v[50:51]
	v_frexp_mant_f64_e32 v[50:51], v[8:9]
	v_cmp_gt_f64_e32 vcc, s[62:63], v[50:51]
	v_subbrev_co_u32_e32 v80, vcc, 0, v66, vcc
	v_sub_u32_e32 v50, 0, v80
	v_ldexp_f64 v[8:9], v[8:9], v50
	v_ldexp_f64 v[48:49], v[48:49], v50
	v_cmp_neq_f64_e32 vcc, s[56:57], v[46:47]
	v_add_f64 v[50:51], v[8:9], -1.0
	v_add_f64 v[66:67], v[50:51], 1.0
	v_add_f64 v[66:67], v[8:9], -v[66:67]
	v_add_f64 v[66:67], v[48:49], v[66:67]
	v_add_f64 v[68:69], v[50:51], v[66:67]
	v_add_f64 v[50:51], v[68:69], -v[50:51]
	v_add_f64 v[50:51], v[66:67], -v[50:51]
	v_add_f64 v[66:67], v[8:9], 1.0
	v_add_f64 v[70:71], v[66:67], -1.0
	v_add_f64 v[8:9], v[8:9], -v[70:71]
	v_add_f64 v[8:9], v[48:49], v[8:9]
	v_add_f64 v[48:49], v[66:67], v[8:9]
	v_add_f64 v[66:67], v[48:49], -v[66:67]
	v_add_f64 v[8:9], v[8:9], -v[66:67]
	v_rcp_f64_e32 v[66:67], v[48:49]
	v_fma_f64 v[70:71], -v[48:49], v[66:67], 1.0
	v_fma_f64 v[66:67], v[70:71], v[66:67], v[66:67]
	v_fma_f64 v[70:71], -v[48:49], v[66:67], 1.0
	v_fma_f64 v[66:67], v[70:71], v[66:67], v[66:67]
	v_mul_f64 v[70:71], v[68:69], v[66:67]
	v_mul_f64 v[72:73], v[48:49], v[70:71]
	v_fma_f64 v[74:75], v[70:71], v[48:49], -v[72:73]
	v_fma_f64 v[74:75], v[70:71], v[8:9], v[74:75]
	v_add_f64 v[76:77], v[72:73], v[74:75]
	v_add_f64 v[78:79], v[68:69], -v[76:77]
	v_add_f64 v[72:73], v[76:77], -v[72:73]
	;; [unrolled: 1-line block ×4, first 2 shown]
	v_add_f64 v[50:51], v[50:51], v[68:69]
	v_add_f64 v[68:69], v[72:73], -v[74:75]
	v_add_f64 v[50:51], v[68:69], v[50:51]
	v_add_f64 v[68:69], v[78:79], v[50:51]
	v_add_f64 v[72:73], v[78:79], -v[68:69]
	v_add_f64 v[50:51], v[50:51], v[72:73]
	v_mul_f64 v[72:73], v[66:67], v[68:69]
	v_mul_f64 v[74:75], v[48:49], v[72:73]
	v_fma_f64 v[48:49], v[72:73], v[48:49], -v[74:75]
	v_fma_f64 v[8:9], v[72:73], v[8:9], v[48:49]
	v_add_f64 v[48:49], v[74:75], v[8:9]
	v_add_f64 v[76:77], v[68:69], -v[48:49]
	v_add_f64 v[74:75], v[48:49], -v[74:75]
	;; [unrolled: 1-line block ×5, first 2 shown]
	v_cvt_f64_i32_e32 v[68:69], v80
	v_add_f64 v[48:49], v[50:51], v[48:49]
	v_add_f64 v[8:9], v[8:9], v[48:49]
	;; [unrolled: 1-line block ×4, first 2 shown]
	v_add_f64 v[50:51], v[48:49], -v[70:71]
	v_mul_f64 v[70:71], v[68:69], s[36:37]
	v_mul_f64 v[8:9], v[66:67], v[8:9]
	v_add_f64 v[50:51], v[72:73], -v[50:51]
	v_fma_f64 v[72:73], v[68:69], s[36:37], -v[70:71]
	v_add_f64 v[8:9], v[50:51], v[8:9]
	v_fma_f64 v[68:69], v[68:69], s[38:39], v[72:73]
	v_add_f64 v[50:51], v[48:49], v[8:9]
	v_add_f64 v[72:73], v[70:71], v[68:69]
	v_add_f64 v[48:49], v[50:51], -v[48:49]
	v_add_f64 v[70:71], v[72:73], -v[70:71]
	;; [unrolled: 1-line block ×3, first 2 shown]
	v_mul_f64 v[48:49], v[50:51], v[50:51]
	v_add_f64 v[68:69], v[68:69], -v[70:71]
	v_ldexp_f64 v[70:71], v[50:51], 1
	v_ldexp_f64 v[8:9], v[8:9], 1
	v_fma_f64 v[66:67], v[48:49], s[24:25], v[26:27]
	v_fma_f64 v[66:67], v[48:49], v[66:67], s[26:27]
	;; [unrolled: 1-line block ×6, first 2 shown]
	v_mul_f64 v[48:49], v[50:51], v[48:49]
	v_mul_f64 v[48:49], v[48:49], v[66:67]
	v_add_f64 v[50:51], v[70:71], v[48:49]
	v_add_f64 v[66:67], v[50:51], -v[70:71]
	v_add_f64 v[48:49], v[48:49], -v[66:67]
	v_add_f64 v[8:9], v[8:9], v[48:49]
	v_add_f64 v[48:49], v[50:51], v[8:9]
	v_add_f64 v[50:51], v[48:49], -v[50:51]
	v_add_f64 v[8:9], v[8:9], -v[50:51]
	v_add_f64 v[50:51], v[72:73], v[48:49]
	v_add_f64 v[66:67], v[50:51], -v[72:73]
	v_add_f64 v[70:71], v[50:51], -v[66:67]
	;; [unrolled: 1-line block ×3, first 2 shown]
	v_add_f64 v[66:67], v[68:69], v[8:9]
	v_add_f64 v[70:71], v[72:73], -v[70:71]
	v_add_f64 v[48:49], v[48:49], v[70:71]
	v_add_f64 v[70:71], v[66:67], -v[68:69]
	;; [unrolled: 2-line block ×3, first 2 shown]
	v_add_f64 v[8:9], v[8:9], -v[70:71]
	v_add_f64 v[66:67], v[50:51], v[48:49]
	v_add_f64 v[68:69], v[68:69], -v[72:73]
	v_add_f64 v[50:51], v[66:67], -v[50:51]
	v_add_f64 v[8:9], v[8:9], v[68:69]
	v_add_f64 v[48:49], v[48:49], -v[50:51]
	v_add_f64 v[8:9], v[8:9], v[48:49]
	v_add_f64 v[8:9], v[66:67], v[8:9]
	v_cndmask_b32_e32 v9, v55, v9, vcc
	v_cndmask_b32_e64 v9, v60, v9, s[6:7]
	v_cmp_nge_f64_e64 s[6:7], -1.0, v[46:47]
	s_and_b64 vcc, s[6:7], vcc
	v_cndmask_b32_e32 v8, 0, v8, vcc
	v_cmp_neq_f64_e32 vcc, -1.0, v[46:47]
	v_cndmask_b32_e32 v9, v59, v9, vcc
.LBB48_455:                             ;   in Loop: Header=BB48_434 Depth=1
	s_andn2_saveexec_b64 s[6:7], s[70:71]
	s_cbranch_execz .LBB48_457
; %bb.456:                              ;   in Loop: Header=BB48_434 Depth=1
	v_add_f64 v[8:9], -|v[14:15]|, 1.0
	s_mov_b32 s70, 0
	s_brev_b32 s71, 8
	v_mul_f64 v[8:9], v[8:9], v[36:37]
	v_cmp_gt_f64_e32 vcc, s[70:71], v[8:9]
	v_cndmask_b32_e32 v46, 0, v57, vcc
	v_ldexp_f64 v[8:9], v[8:9], v46
	v_rsq_f64_e32 v[46:47], v[8:9]
	v_mul_f64 v[48:49], v[8:9], v[46:47]
	v_mul_f64 v[46:47], v[46:47], 0.5
	v_fma_f64 v[50:51], -v[46:47], v[48:49], 0.5
	v_fma_f64 v[48:49], v[48:49], v[50:51], v[48:49]
	v_fma_f64 v[46:47], v[46:47], v[50:51], v[46:47]
	v_fma_f64 v[50:51], -v[48:49], v[48:49], v[8:9]
	v_fma_f64 v[48:49], v[50:51], v[46:47], v[48:49]
	v_fma_f64 v[50:51], -v[48:49], v[48:49], v[8:9]
	v_fma_f64 v[46:47], v[50:51], v[46:47], v[48:49]
	v_cndmask_b32_e32 v48, 0, v58, vcc
	v_cmp_class_f64_e32 vcc, v[8:9], v54
	v_mov_b32_e32 v49, v45
	v_ldexp_f64 v[46:47], v[46:47], v48
	v_mov_b32_e32 v48, v16
	v_cndmask_b32_e32 v9, v47, v9, vcc
	v_cndmask_b32_e32 v8, v46, v8, vcc
	v_div_scale_f64 v[46:47], s[70:71], v[8:9], v[8:9], v[48:49]
	v_div_scale_f64 v[48:49], vcc, v[48:49], v[8:9], v[48:49]
	v_rcp_f64_e32 v[50:51], v[46:47]
	v_fma_f64 v[66:67], -v[46:47], v[50:51], 1.0
	v_fma_f64 v[50:51], v[50:51], v[66:67], v[50:51]
	v_fma_f64 v[66:67], -v[46:47], v[50:51], 1.0
	v_fma_f64 v[50:51], v[50:51], v[66:67], v[50:51]
	v_mul_f64 v[66:67], v[48:49], v[50:51]
	v_fma_f64 v[46:47], -v[46:47], v[66:67], v[48:49]
	v_div_fmas_f64 v[46:47], v[46:47], v[50:51], v[66:67]
	v_div_fixup_f64 v[8:9], v[46:47], v[8:9], |v[16:17]|
.LBB48_457:                             ;   in Loop: Header=BB48_434 Depth=1
	s_or_b64 exec, exec, s[6:7]
.LBB48_458:                             ;   in Loop: Header=BB48_434 Depth=1
	s_or_b64 exec, exec, s[68:69]
.LBB48_459:                             ;   in Loop: Header=BB48_434 Depth=1
	s_andn2_saveexec_b64 s[6:7], s[66:67]
	s_cbranch_execz .LBB48_461
; %bb.460:                              ;   in Loop: Header=BB48_434 Depth=1
	s_mov_b32 s66, 0
	s_brev_b32 s67, 8
	v_cmp_lt_f64_e64 vcc, |v[16:17]|, s[66:67]
	v_cndmask_b32_e32 v8, 0, v57, vcc
	v_ldexp_f64 v[8:9], |v[16:17]|, v8
	v_rsq_f64_e32 v[46:47], v[8:9]
	v_mul_f64 v[48:49], v[8:9], v[46:47]
	v_mul_f64 v[46:47], v[46:47], 0.5
	v_fma_f64 v[50:51], -v[46:47], v[48:49], 0.5
	v_fma_f64 v[48:49], v[48:49], v[50:51], v[48:49]
	v_fma_f64 v[46:47], v[46:47], v[50:51], v[46:47]
	v_fma_f64 v[50:51], -v[48:49], v[48:49], v[8:9]
	v_fma_f64 v[48:49], v[50:51], v[46:47], v[48:49]
	v_fma_f64 v[50:51], -v[48:49], v[48:49], v[8:9]
	v_fma_f64 v[46:47], v[50:51], v[46:47], v[48:49]
	v_cndmask_b32_e32 v48, 0, v58, vcc
	v_cmp_class_f64_e32 vcc, v[8:9], v54
	v_ldexp_f64 v[46:47], v[46:47], v48
	v_cndmask_b32_e32 v9, v47, v9, vcc
	v_cndmask_b32_e32 v8, v46, v8, vcc
.LBB48_461:                             ;   in Loop: Header=BB48_434 Depth=1
	s_or_b64 exec, exec, s[6:7]
.LBB48_462:                             ;   in Loop: Header=BB48_434 Depth=1
	s_or_b64 exec, exec, s[8:9]
	s_mov_b32 s6, 0
	s_mov_b32 s7, 0x20200000
	v_cmp_nlt_f64_e64 s[8:9], |v[14:15]|, s[6:7]
                                        ; implicit-def: $sgpr6_sgpr7
                                        ; implicit-def: $vgpr46_vgpr47
                                        ; implicit-def: $vgpr50_vgpr51
                                        ; implicit-def: $vgpr48_vgpr49
	s_and_saveexec_b64 s[66:67], s[8:9]
	s_xor_b64 s[8:9], exec, s[66:67]
	s_cbranch_execz .LBB48_486
; %bb.463:                              ;   in Loop: Header=BB48_434 Depth=1
	v_and_b32_e32 v49, 0x7fffffff, v15
	v_mov_b32_e32 v48, v14
	v_div_scale_f64 v[46:47], s[6:7], v[38:39], v[38:39], v[48:49]
	v_div_scale_f64 v[68:69], vcc, v[48:49], v[38:39], v[48:49]
	s_mov_b32 s6, 0x703afb7f
	s_mov_b32 s7, 0x3fe488ce
	v_rcp_f64_e32 v[50:51], v[46:47]
	v_fma_f64 v[66:67], -v[46:47], v[50:51], 1.0
	v_fma_f64 v[50:51], v[50:51], v[66:67], v[50:51]
	v_fma_f64 v[66:67], -v[46:47], v[50:51], 1.0
	v_fma_f64 v[50:51], v[50:51], v[66:67], v[50:51]
	v_mul_f64 v[66:67], v[68:69], v[50:51]
	v_fma_f64 v[46:47], -v[46:47], v[66:67], v[68:69]
	v_div_fmas_f64 v[46:47], v[46:47], v[50:51], v[66:67]
                                        ; implicit-def: $vgpr50_vgpr51
	v_div_fixup_f64 v[46:47], v[46:47], v[38:39], |v[14:15]|
	v_cmp_lt_f64_e32 vcc, s[6:7], v[46:47]
	s_mov_b64 s[6:7], 0
	s_and_saveexec_b64 s[66:67], vcc
	s_cbranch_execz .LBB48_485
; %bb.464:                              ;   in Loop: Header=BB48_434 Depth=1
	s_mov_b32 s68, 0
	s_mov_b32 s69, 0x3c400000
	v_cmp_neq_f64_e64 s[6:7], |v[14:15]|, 1.0
	v_cmp_nlt_f64_e64 s[68:69], |v[16:17]|, s[68:69]
                                        ; implicit-def: $vgpr50_vgpr51
	s_or_b64 s[6:7], s[6:7], s[68:69]
	s_and_saveexec_b64 s[68:69], s[6:7]
	s_xor_b64 s[6:7], exec, s[68:69]
	s_cbranch_execz .LBB48_482
; %bb.465:                              ;   in Loop: Header=BB48_434 Depth=1
	s_movk_i32 s23, 0xffcc
	v_ldexp_f64 v[50:51], |v[6:7]|, s23
	v_cmp_ge_f64_e64 s[68:69], |v[16:17]|, v[50:51]
                                        ; implicit-def: $vgpr50_vgpr51
	s_and_saveexec_b64 s[70:71], s[68:69]
	s_xor_b64 s[68:69], exec, s[70:71]
	s_cbranch_execz .LBB48_475
; %bb.466:                              ;   in Loop: Header=BB48_434 Depth=1
	v_cmp_neq_f64_e32 vcc, 0, v[36:37]
	v_mov_b32_e32 v51, v45
	v_mov_b32_e32 v50, v44
	s_and_saveexec_b64 s[70:71], vcc
	s_cbranch_execz .LBB48_468
; %bb.467:                              ;   in Loop: Header=BB48_434 Depth=1
	v_mul_f64 v[50:51], v[16:17], v[16:17]
	v_add_f64 v[36:37], v[36:37], v[42:43]
	v_div_scale_f64 v[42:43], s[72:73], v[36:37], v[36:37], v[50:51]
	v_div_scale_f64 v[70:71], vcc, v[50:51], v[36:37], v[50:51]
	v_rcp_f64_e32 v[66:67], v[42:43]
	v_fma_f64 v[68:69], -v[42:43], v[66:67], 1.0
	v_fma_f64 v[66:67], v[66:67], v[68:69], v[66:67]
	v_fma_f64 v[68:69], -v[42:43], v[66:67], 1.0
	v_fma_f64 v[66:67], v[66:67], v[68:69], v[66:67]
	v_mul_f64 v[68:69], v[70:71], v[66:67]
	v_fma_f64 v[42:43], -v[42:43], v[68:69], v[70:71]
	v_div_fmas_f64 v[42:43], v[42:43], v[66:67], v[68:69]
	v_div_fixup_f64 v[50:51], v[42:43], v[36:37], v[50:51]
.LBB48_468:                             ;   in Loop: Header=BB48_434 Depth=1
	s_or_b64 exec, exec, s[70:71]
	v_cmp_ngt_f64_e32 vcc, 0, v[6:7]
	s_and_saveexec_b64 s[70:71], vcc
	s_xor_b64 s[70:71], exec, s[70:71]
	s_cbranch_execz .LBB48_472
; %bb.469:                              ;   in Loop: Header=BB48_434 Depth=1
	v_cmp_neq_f64_e32 vcc, 0, v[6:7]
	s_and_saveexec_b64 s[72:73], vcc
	s_cbranch_execz .LBB48_471
; %bb.470:                              ;   in Loop: Header=BB48_434 Depth=1
	v_mul_f64 v[16:17], v[16:17], v[16:17]
	v_add_f64 v[6:7], v[6:7], v[40:41]
	v_div_scale_f64 v[36:37], vcc, v[6:7], v[6:7], v[16:17]
	v_div_scale_f64 v[44:45], vcc, v[16:17], v[6:7], v[16:17]
	v_rcp_f64_e32 v[40:41], v[36:37]
	v_fma_f64 v[42:43], -v[36:37], v[40:41], 1.0
	v_fma_f64 v[40:41], v[40:41], v[42:43], v[40:41]
	v_fma_f64 v[42:43], -v[36:37], v[40:41], 1.0
	v_fma_f64 v[40:41], v[40:41], v[42:43], v[40:41]
	v_mul_f64 v[42:43], v[44:45], v[40:41]
	v_fma_f64 v[36:37], -v[36:37], v[42:43], v[44:45]
	v_div_fmas_f64 v[36:37], v[36:37], v[40:41], v[42:43]
	v_div_fixup_f64 v[44:45], v[36:37], v[6:7], v[16:17]
.LBB48_471:                             ;   in Loop: Header=BB48_434 Depth=1
	s_or_b64 exec, exec, s[72:73]
                                        ; implicit-def: $vgpr40_vgpr41
                                        ; implicit-def: $vgpr6_vgpr7
.LBB48_472:                             ;   in Loop: Header=BB48_434 Depth=1
	s_andn2_saveexec_b64 s[70:71], s[70:71]
; %bb.473:                              ;   in Loop: Header=BB48_434 Depth=1
	v_add_f64 v[44:45], v[40:41], -v[6:7]
; %bb.474:                              ;   in Loop: Header=BB48_434 Depth=1
	s_or_b64 exec, exec, s[70:71]
	v_mul_f64 v[6:7], v[44:45], 0.5
	v_add_f64 v[16:17], |v[14:15]|, v[38:39]
	s_mov_b32 s70, 0
	s_brev_b32 s71, 8
	v_fma_f64 v[6:7], v[50:51], 0.5, v[6:7]
	v_mul_f64 v[6:7], v[16:17], v[6:7]
	v_cmp_gt_f64_e32 vcc, s[70:71], v[6:7]
	v_cndmask_b32_e32 v16, 0, v57, vcc
	v_ldexp_f64 v[6:7], v[6:7], v16
	v_rsq_f64_e32 v[16:17], v[6:7]
	v_mul_f64 v[36:37], v[6:7], v[16:17]
	v_mul_f64 v[16:17], v[16:17], 0.5
	v_fma_f64 v[38:39], -v[16:17], v[36:37], 0.5
	v_fma_f64 v[36:37], v[36:37], v[38:39], v[36:37]
	v_fma_f64 v[16:17], v[16:17], v[38:39], v[16:17]
	v_fma_f64 v[38:39], -v[36:37], v[36:37], v[6:7]
	v_fma_f64 v[36:37], v[38:39], v[16:17], v[36:37]
	v_fma_f64 v[38:39], -v[36:37], v[36:37], v[6:7]
	v_fma_f64 v[16:17], v[38:39], v[16:17], v[36:37]
	v_cndmask_b32_e32 v36, 0, v58, vcc
	v_cmp_class_f64_e32 vcc, v[6:7], v54
	v_ldexp_f64 v[16:17], v[16:17], v36
                                        ; implicit-def: $vgpr36_vgpr37
	v_cndmask_b32_e32 v51, v17, v7, vcc
	v_cndmask_b32_e32 v50, v16, v6, vcc
                                        ; implicit-def: $vgpr6_vgpr7
.LBB48_475:                             ;   in Loop: Header=BB48_434 Depth=1
	s_andn2_saveexec_b64 s[68:69], s[68:69]
	s_cbranch_execz .LBB48_481
; %bb.476:                              ;   in Loop: Header=BB48_434 Depth=1
	v_cmp_ngt_f64_e64 s[70:71], |v[14:15]|, 1.0
                                        ; implicit-def: $vgpr50_vgpr51
	s_and_saveexec_b64 s[72:73], s[70:71]
	s_xor_b64 s[70:71], exec, s[72:73]
	s_cbranch_execz .LBB48_478
; %bb.477:                              ;   in Loop: Header=BB48_434 Depth=1
	v_add_f64 v[6:7], -|v[14:15]|, 1.0
	s_mov_b32 s72, 0
	s_brev_b32 s73, 8
	v_mul_f64 v[6:7], v[6:7], v[36:37]
	v_cmp_gt_f64_e32 vcc, s[72:73], v[6:7]
	v_cndmask_b32_e32 v16, 0, v57, vcc
	v_ldexp_f64 v[6:7], v[6:7], v16
	v_rsq_f64_e32 v[16:17], v[6:7]
	v_mul_f64 v[36:37], v[6:7], v[16:17]
	v_mul_f64 v[16:17], v[16:17], 0.5
	v_fma_f64 v[38:39], -v[16:17], v[36:37], 0.5
	v_fma_f64 v[36:37], v[36:37], v[38:39], v[36:37]
	v_fma_f64 v[16:17], v[16:17], v[38:39], v[16:17]
	v_fma_f64 v[38:39], -v[36:37], v[36:37], v[6:7]
	v_fma_f64 v[36:37], v[38:39], v[16:17], v[36:37]
	v_fma_f64 v[38:39], -v[36:37], v[36:37], v[6:7]
	v_fma_f64 v[16:17], v[38:39], v[16:17], v[36:37]
	v_cndmask_b32_e32 v36, 0, v58, vcc
	v_cmp_class_f64_e32 vcc, v[6:7], v54
	v_ldexp_f64 v[16:17], v[16:17], v36
                                        ; implicit-def: $vgpr36_vgpr37
	v_cndmask_b32_e32 v51, v17, v7, vcc
	v_cndmask_b32_e32 v50, v16, v6, vcc
                                        ; implicit-def: $vgpr6_vgpr7
.LBB48_478:                             ;   in Loop: Header=BB48_434 Depth=1
	s_andn2_saveexec_b64 s[70:71], s[70:71]
	s_cbranch_execz .LBB48_480
; %bb.479:                              ;   in Loop: Header=BB48_434 Depth=1
	v_mul_f64 v[6:7], v[36:37], v[6:7]
	s_mov_b32 s72, 0
	s_brev_b32 s73, 8
	s_movk_i32 s23, 0x6a
	v_ldexp_f64 v[16:17], |v[16:17]|, s23
	v_ldexp_f64 v[48:49], |v[14:15]|, s23
	v_cmp_gt_f64_e32 vcc, s[72:73], v[6:7]
	v_mul_f64 v[16:17], |v[14:15]|, v[16:17]
	v_cndmask_b32_e32 v36, 0, v57, vcc
	v_ldexp_f64 v[6:7], v[6:7], v36
	v_rsq_f64_e32 v[36:37], v[6:7]
	v_mul_f64 v[38:39], v[6:7], v[36:37]
	v_mul_f64 v[36:37], v[36:37], 0.5
	v_fma_f64 v[40:41], -v[36:37], v[38:39], 0.5
	v_fma_f64 v[38:39], v[38:39], v[40:41], v[38:39]
	v_fma_f64 v[36:37], v[36:37], v[40:41], v[36:37]
	v_fma_f64 v[40:41], -v[38:39], v[38:39], v[6:7]
	v_fma_f64 v[38:39], v[40:41], v[36:37], v[38:39]
	v_fma_f64 v[40:41], -v[38:39], v[38:39], v[6:7]
	v_fma_f64 v[36:37], v[40:41], v[36:37], v[38:39]
	v_cndmask_b32_e32 v38, 0, v58, vcc
	v_cmp_class_f64_e32 vcc, v[6:7], v54
	v_ldexp_f64 v[36:37], v[36:37], v38
	v_cndmask_b32_e32 v7, v37, v7, vcc
	v_cndmask_b32_e32 v6, v36, v6, vcc
	v_div_scale_f64 v[36:37], s[72:73], v[6:7], v[6:7], v[16:17]
	v_rcp_f64_e32 v[38:39], v[36:37]
	v_fma_f64 v[40:41], -v[36:37], v[38:39], 1.0
	v_fma_f64 v[38:39], v[38:39], v[40:41], v[38:39]
	v_div_scale_f64 v[40:41], vcc, v[16:17], v[6:7], v[16:17]
	v_fma_f64 v[42:43], -v[36:37], v[38:39], 1.0
	v_fma_f64 v[38:39], v[38:39], v[42:43], v[38:39]
	v_mul_f64 v[42:43], v[40:41], v[38:39]
	v_fma_f64 v[36:37], -v[36:37], v[42:43], v[40:41]
	v_div_fmas_f64 v[36:37], v[36:37], v[38:39], v[42:43]
	v_div_fixup_f64 v[50:51], v[36:37], v[6:7], v[16:17]
.LBB48_480:                             ;   in Loop: Header=BB48_434 Depth=1
	s_or_b64 exec, exec, s[70:71]
.LBB48_481:                             ;   in Loop: Header=BB48_434 Depth=1
	s_or_b64 exec, exec, s[68:69]
	s_mov_b32 s72, 0xb5e68a13
                                        ; implicit-def: $vgpr38_vgpr39
	s_mov_b32 s73, 0x3eeba404
.LBB48_482:                             ;   in Loop: Header=BB48_434 Depth=1
	s_andn2_saveexec_b64 s[68:69], s[6:7]
	s_cbranch_execz .LBB48_484
; %bb.483:                              ;   in Loop: Header=BB48_434 Depth=1
	v_add_f64 v[6:7], v[38:39], 1.0
	s_mov_b32 s6, 0
	s_brev_b32 s7, 8
	v_cmp_lt_f64_e64 vcc, |v[16:17]|, s[6:7]
	v_mul_f64 v[6:7], v[6:7], 0.5
	v_cndmask_b32_e32 v36, 0, v57, vcc
	v_ldexp_f64 v[16:17], |v[16:17]|, v36
	v_cmp_gt_f64_e64 s[6:7], s[6:7], v[6:7]
	v_cndmask_b32_e64 v36, 0, v57, s[6:7]
	v_ldexp_f64 v[6:7], v[6:7], v36
	v_rsq_f64_e32 v[36:37], v[16:17]
	v_rsq_f64_e32 v[38:39], v[6:7]
	v_mul_f64 v[40:41], v[16:17], v[36:37]
	v_mul_f64 v[36:37], v[36:37], 0.5
	v_mul_f64 v[42:43], v[6:7], v[38:39]
	v_mul_f64 v[38:39], v[38:39], 0.5
	v_fma_f64 v[44:45], -v[36:37], v[40:41], 0.5
	v_fma_f64 v[48:49], -v[38:39], v[42:43], 0.5
	v_fma_f64 v[40:41], v[40:41], v[44:45], v[40:41]
	v_fma_f64 v[36:37], v[36:37], v[44:45], v[36:37]
	;; [unrolled: 1-line block ×3, first 2 shown]
	v_fma_f64 v[44:45], -v[40:41], v[40:41], v[16:17]
	v_fma_f64 v[38:39], v[38:39], v[48:49], v[38:39]
	v_fma_f64 v[48:49], -v[42:43], v[42:43], v[6:7]
	v_fma_f64 v[40:41], v[44:45], v[36:37], v[40:41]
	v_fma_f64 v[42:43], v[48:49], v[38:39], v[42:43]
	v_fma_f64 v[44:45], -v[40:41], v[40:41], v[16:17]
	v_fma_f64 v[48:49], -v[42:43], v[42:43], v[6:7]
	v_fma_f64 v[36:37], v[44:45], v[36:37], v[40:41]
	v_cndmask_b32_e32 v40, 0, v58, vcc
	v_cndmask_b32_e64 v41, 0, v58, s[6:7]
	v_cmp_class_f64_e32 vcc, v[16:17], v54
	v_cmp_class_f64_e64 s[6:7], v[6:7], v54
	v_fma_f64 v[38:39], v[48:49], v[38:39], v[42:43]
	v_ldexp_f64 v[36:37], v[36:37], v40
	v_mov_b32_e32 v48, 0
	v_mov_b32_e32 v49, 0x3ff00000
	v_ldexp_f64 v[38:39], v[38:39], v41
	v_cndmask_b32_e32 v17, v37, v17, vcc
	v_cndmask_b32_e32 v16, v36, v16, vcc
	v_cndmask_b32_e64 v7, v39, v7, s[6:7]
	v_cndmask_b32_e64 v6, v38, v6, s[6:7]
	v_mul_f64 v[50:51], v[16:17], v[6:7]
.LBB48_484:                             ;   in Loop: Header=BB48_434 Depth=1
	s_or_b64 exec, exec, s[68:69]
	s_mov_b64 s[6:7], exec
.LBB48_485:                             ;   in Loop: Header=BB48_434 Depth=1
	s_or_b64 exec, exec, s[66:67]
                                        ; implicit-def: $vgpr38_vgpr39
.LBB48_486:                             ;   in Loop: Header=BB48_434 Depth=1
	s_andn2_saveexec_b64 s[8:9], s[8:9]
	s_cbranch_execz .LBB48_488
; %bb.487:                              ;   in Loop: Header=BB48_434 Depth=1
	v_ldexp_f64 v[50:51], v[38:39], 53
	v_ldexp_f64 v[48:49], |v[14:15]|, 53
	s_or_b64 s[6:7], s[6:7], exec
                                        ; implicit-def: $vgpr46_vgpr47
.LBB48_488:                             ;   in Loop: Header=BB48_434 Depth=1
	s_or_b64 exec, exec, s[8:9]
	v_cmp_lt_i64_e32 vcc, -1, v[14:15]
	s_xor_b64 s[6:7], s[6:7], -1
	s_and_saveexec_b64 s[8:9], s[6:7]
	s_xor_b64 s[8:9], exec, s[8:9]
	s_cbranch_execz .LBB48_498
; %bb.489:                              ;   in Loop: Header=BB48_434 Depth=1
	s_and_saveexec_b64 s[6:7], vcc
	s_xor_b64 s[66:67], exec, s[6:7]
	s_cbranch_execz .LBB48_493
; %bb.490:                              ;   in Loop: Header=BB48_434 Depth=1
	v_fma_f64 v[14:15], |v[46:47]|, -0.5, 0.5
	v_mul_f64 v[6:7], v[46:47], v[46:47]
	v_cmp_ge_f64_e64 s[6:7], |v[46:47]|, 0.5
	s_mov_b32 s68, 0x9fea6a70
	s_mov_b32 s69, 0x3fa05985
	v_cndmask_b32_e64 v7, v7, v15, s[6:7]
	v_cndmask_b32_e64 v6, v6, v14, s[6:7]
	v_fma_f64 v[16:17], v[6:7], s[68:69], v[28:29]
	s_mov_b32 s68, 0x37024d6a
	s_mov_b32 s69, 0x3f940521
	v_fma_f64 v[16:17], v[6:7], v[16:17], s[68:69]
	s_mov_b32 s68, 0x98a70509
	s_mov_b32 s69, 0x3f7ab3a0
	v_fma_f64 v[16:17], v[6:7], v[16:17], s[68:69]
	s_mov_b32 s68, 0xa300c8d2
	s_mov_b32 s69, 0x3f88ed60
	v_fma_f64 v[16:17], v[6:7], v[16:17], s[68:69]
	s_mov_b32 s68, 0x4b77012b
	s_mov_b32 s69, 0x3f8c6fa8
	v_fma_f64 v[16:17], v[6:7], v[16:17], s[68:69]
	s_mov_b32 s68, 0x11dccb70
	s_mov_b32 s69, 0x3f91c6c1
	v_fma_f64 v[16:17], v[6:7], v[16:17], s[68:69]
	s_mov_b32 s68, 0xa0adacf
	s_mov_b32 s69, 0x3f96e89f
	v_fma_f64 v[16:17], v[6:7], v[16:17], s[68:69]
	s_mov_b32 s68, 0xc668963f
	s_mov_b32 s69, 0x3f9f1c72
	v_fma_f64 v[16:17], v[6:7], v[16:17], s[68:69]
	s_mov_b32 s68, 0xb41ce4bd
	s_mov_b32 s69, 0x3fa6db6d
	v_fma_f64 v[16:17], v[6:7], v[16:17], s[68:69]
	s_mov_b32 s68, 0x3336fd5b
	s_mov_b32 s69, 0x3fb33333
	v_fma_f64 v[16:17], v[6:7], v[16:17], s[68:69]
	s_mov_b32 s68, 0x55555380
	s_mov_b32 s69, 0x3fc55555
	v_fma_f64 v[16:17], v[6:7], v[16:17], s[68:69]
	s_mov_b32 s68, 0x336a0500
	s_mov_b32 s69, 0x3fedd9ad
	v_mul_f64 v[16:17], v[6:7], v[16:17]
	v_fma_f64 v[6:7], v[46:47], v[16:17], v[46:47]
	v_fma_f64 v[6:7], s[68:69], v[30:31], -v[6:7]
	s_and_saveexec_b64 s[68:69], s[6:7]
	s_cbranch_execz .LBB48_492
; %bb.491:                              ;   in Loop: Header=BB48_434 Depth=1
	v_rsq_f64_e32 v[6:7], v[14:15]
	v_cmp_eq_f64_e64 s[6:7], 0, v[14:15]
	v_mul_f64 v[36:37], v[14:15], v[6:7]
	v_mul_f64 v[6:7], v[6:7], 0.5
	v_fma_f64 v[38:39], -v[6:7], v[36:37], 0.5
	v_fma_f64 v[36:37], v[36:37], v[38:39], v[36:37]
	v_fma_f64 v[6:7], v[6:7], v[38:39], v[6:7]
	v_fma_f64 v[38:39], -v[36:37], v[36:37], v[14:15]
	v_fma_f64 v[6:7], v[38:39], v[6:7], v[36:37]
	v_cndmask_b32_e64 v7, v7, v15, s[6:7]
	v_cndmask_b32_e64 v6, v6, v14, s[6:7]
	v_add_f64 v[36:37], v[6:7], v[6:7]
	v_mul_f64 v[38:39], v[6:7], v[6:7]
	v_rcp_f64_e32 v[40:41], v[36:37]
	v_add_f64 v[42:43], v[14:15], -v[38:39]
	v_fma_f64 v[48:49], v[6:7], v[6:7], -v[38:39]
	v_add_f64 v[14:15], v[14:15], -v[42:43]
	v_fma_f64 v[44:45], -v[36:37], v[40:41], 1.0
	v_add_f64 v[14:15], v[14:15], -v[38:39]
	v_fma_f64 v[38:39], v[44:45], v[40:41], v[40:41]
	v_add_f64 v[14:15], v[14:15], -v[48:49]
	v_fma_f64 v[40:41], -v[36:37], v[38:39], 1.0
	v_add_f64 v[14:15], v[42:43], v[14:15]
	v_fma_f64 v[38:39], v[40:41], v[38:39], v[38:39]
	v_mul_f64 v[40:41], v[14:15], v[38:39]
	v_fma_f64 v[14:15], -v[36:37], v[40:41], v[14:15]
	v_fma_f64 v[14:15], v[14:15], v[38:39], v[40:41]
	v_cndmask_b32_e64 v15, v15, 0, s[6:7]
	v_cndmask_b32_e64 v14, v14, 0, s[6:7]
	v_add_f64 v[36:37], v[6:7], v[14:15]
	v_cmp_neq_f64_e64 s[6:7], 1.0, v[46:47]
	v_add_f64 v[6:7], v[36:37], -v[6:7]
	v_add_f64 v[6:7], v[14:15], -v[6:7]
	v_fma_f64 v[6:7], v[36:37], v[16:17], v[6:7]
	v_add_f64 v[6:7], v[36:37], v[6:7]
	v_add_f64 v[6:7], v[6:7], v[6:7]
	v_cndmask_b32_e64 v7, 0, v7, s[6:7]
	v_cndmask_b32_e64 v6, 0, v6, s[6:7]
.LBB48_492:                             ;   in Loop: Header=BB48_434 Depth=1
	s_or_b64 exec, exec, s[68:69]
                                        ; implicit-def: $vgpr46_vgpr47
.LBB48_493:                             ;   in Loop: Header=BB48_434 Depth=1
	s_andn2_saveexec_b64 s[66:67], s[66:67]
	s_cbranch_execz .LBB48_497
; %bb.494:                              ;   in Loop: Header=BB48_434 Depth=1
	v_fma_f64 v[14:15], |v[46:47]|, -0.5, 0.5
	v_mul_f64 v[6:7], v[46:47], v[46:47]
	v_cmp_ge_f64_e64 s[6:7], |v[46:47]|, 0.5
	s_mov_b32 s68, 0x9fea6a70
	s_mov_b32 s69, 0x3fa05985
	v_cndmask_b32_e64 v7, v7, v15, s[6:7]
	v_cndmask_b32_e64 v6, v6, v14, s[6:7]
	v_fma_f64 v[16:17], v[6:7], s[68:69], v[28:29]
	s_mov_b32 s68, 0x37024d6a
	s_mov_b32 s69, 0x3f940521
	v_fma_f64 v[16:17], v[6:7], v[16:17], s[68:69]
	s_mov_b32 s68, 0x98a70509
	s_mov_b32 s69, 0x3f7ab3a0
	;; [unrolled: 3-line block ×11, first 2 shown]
	v_mul_f64 v[16:17], v[6:7], v[16:17]
	v_fma_f64 v[6:7], -v[46:47], v[16:17], -v[46:47]
	v_fma_f64 v[6:7], s[68:69], v[30:31], -v[6:7]
	s_and_saveexec_b64 s[68:69], s[6:7]
	s_cbranch_execz .LBB48_496
; %bb.495:                              ;   in Loop: Header=BB48_434 Depth=1
	v_rsq_f64_e32 v[6:7], v[14:15]
	v_cmp_eq_f64_e64 s[6:7], 0, v[14:15]
	v_readlane_b32 s70, v87, 0
	v_readlane_b32 s71, v87, 1
	s_mov_b32 s23, s71
	v_writelane_b32 v87, s22, 0
	v_writelane_b32 v87, s23, 1
	v_mul_f64 v[36:37], v[14:15], v[6:7]
	v_mul_f64 v[6:7], v[6:7], 0.5
	v_fma_f64 v[38:39], -v[6:7], v[36:37], 0.5
	v_fma_f64 v[36:37], v[36:37], v[38:39], v[36:37]
	v_fma_f64 v[6:7], v[6:7], v[38:39], v[6:7]
	v_fma_f64 v[38:39], -v[36:37], v[36:37], v[14:15]
	v_fma_f64 v[6:7], v[38:39], v[6:7], v[36:37]
	v_cndmask_b32_e64 v7, v7, v15, s[6:7]
	v_cndmask_b32_e64 v6, v6, v14, s[6:7]
	v_add_f64 v[36:37], v[6:7], v[6:7]
	v_mul_f64 v[38:39], v[6:7], v[6:7]
	v_rcp_f64_e32 v[40:41], v[36:37]
	v_add_f64 v[42:43], v[14:15], -v[38:39]
	v_fma_f64 v[48:49], v[6:7], v[6:7], -v[38:39]
	v_add_f64 v[14:15], v[14:15], -v[42:43]
	v_fma_f64 v[44:45], -v[36:37], v[40:41], 1.0
	v_add_f64 v[14:15], v[14:15], -v[38:39]
	v_fma_f64 v[38:39], v[44:45], v[40:41], v[40:41]
	v_add_f64 v[14:15], v[14:15], -v[48:49]
	v_fma_f64 v[40:41], -v[36:37], v[38:39], 1.0
	v_add_f64 v[14:15], v[42:43], v[14:15]
	v_fma_f64 v[38:39], v[40:41], v[38:39], v[38:39]
	v_mul_f64 v[40:41], v[14:15], v[38:39]
	v_fma_f64 v[14:15], -v[36:37], v[40:41], v[14:15]
	v_fma_f64 v[14:15], v[14:15], v[38:39], v[40:41]
	v_cndmask_b32_e64 v15, v15, 0, s[6:7]
	v_cndmask_b32_e64 v14, v14, 0, s[6:7]
	v_add_f64 v[36:37], v[6:7], v[14:15]
	s_mov_b32 s6, 0x336a0500
	s_mov_b32 s7, 0x3fedd9ad
	s_mov_b32 s7, s71
	v_add_f64 v[6:7], v[36:37], -v[6:7]
	v_add_f64 v[6:7], v[14:15], -v[6:7]
	v_fma_f64 v[14:15], v[36:37], v[16:17], v[36:37]
	v_fma_f64 v[6:7], v[36:37], v[16:17], v[6:7]
	v_mul_f64 v[14:15], v[14:15], -2.0
	v_add_f64 v[6:7], v[36:37], v[6:7]
	v_fma_f64 v[14:15], s[6:7], v[30:31], v[14:15]
	v_cmp_lt_f64_e64 s[6:7], 0, v[46:47]
	v_add_f64 v[6:7], v[6:7], v[6:7]
	v_cndmask_b32_e64 v6, v6, v14, s[6:7]
	v_cndmask_b32_e64 v7, v7, v15, s[6:7]
	v_cmp_neq_f64_e64 s[6:7], 1.0, v[46:47]
	v_cndmask_b32_e64 v7, v61, v7, s[6:7]
	v_cndmask_b32_e64 v6, v62, v6, s[6:7]
.LBB48_496:                             ;   in Loop: Header=BB48_434 Depth=1
	s_or_b64 exec, exec, s[68:69]
.LBB48_497:                             ;   in Loop: Header=BB48_434 Depth=1
	s_or_b64 exec, exec, s[66:67]
                                        ; implicit-def: $vgpr48_vgpr49
                                        ; implicit-def: $vgpr50_vgpr51
.LBB48_498:                             ;   in Loop: Header=BB48_434 Depth=1
	s_andn2_saveexec_b64 s[66:67], s[8:9]
	s_cbranch_execz .LBB48_504
; %bb.499:                              ;   in Loop: Header=BB48_434 Depth=1
	s_and_saveexec_b64 s[6:7], vcc
	s_xor_b64 s[68:69], exec, s[6:7]
	s_cbranch_execz .LBB48_501
; %bb.500:                              ;   in Loop: Header=BB48_434 Depth=1
	v_max_f64 v[6:7], |v[50:51]|, |v[50:51]|
	v_max_f64 v[14:15], v[48:49], v[48:49]
	s_mov_b32 s46, s60
	v_cmp_class_f64_e64 s[70:71], v[50:51], s83
	v_cmp_eq_f64_e64 s[8:9], s[56:57], v[48:49]
	v_max_f64 v[16:17], v[14:15], v[6:7]
	v_min_f64 v[6:7], v[14:15], v[6:7]
	v_div_scale_f64 v[14:15], s[6:7], v[16:17], v[16:17], v[6:7]
	s_mov_b32 s6, 0x69efb384
	s_mov_b32 s7, 0x3f4b2bb0
	v_rcp_f64_e32 v[36:37], v[14:15]
	v_fma_f64 v[38:39], -v[14:15], v[36:37], 1.0
	v_fma_f64 v[36:37], v[36:37], v[38:39], v[36:37]
	v_div_scale_f64 v[38:39], vcc, v[6:7], v[16:17], v[6:7]
	v_fma_f64 v[40:41], -v[14:15], v[36:37], 1.0
	v_fma_f64 v[36:37], v[36:37], v[40:41], v[36:37]
	v_mul_f64 v[40:41], v[38:39], v[36:37]
	v_fma_f64 v[14:15], -v[14:15], v[40:41], v[38:39]
	v_div_fmas_f64 v[14:15], v[14:15], v[36:37], v[40:41]
	v_cmp_lt_f64_e64 vcc, v[48:49], |v[50:51]|
	v_div_fixup_f64 v[6:7], v[14:15], v[16:17], v[6:7]
	v_mul_f64 v[14:15], v[6:7], v[6:7]
	v_fma_f64 v[16:17], v[14:15], s[72:73], v[32:33]
	v_fma_f64 v[16:17], v[14:15], v[16:17], s[6:7]
	s_mov_b32 s6, 0xaf56de9b
	s_mov_b32 s7, 0xbf67952d
	v_fma_f64 v[16:17], v[14:15], v[16:17], s[6:7]
	s_mov_b32 s6, 0xa595c56f
	s_mov_b32 s7, 0x3f7d6d43
	v_fma_f64 v[16:17], v[14:15], v[16:17], s[6:7]
	v_cmp_eq_f64_e64 s[6:7], 0, v[50:51]
	v_fma_f64 v[16:17], v[14:15], v[16:17], s[74:75]
	v_fma_f64 v[16:17], v[14:15], v[16:17], s[76:77]
	v_fma_f64 v[16:17], v[14:15], v[16:17], s[78:79]
	v_fma_f64 v[16:17], v[14:15], v[16:17], s[80:81]
	v_fma_f64 v[16:17], v[14:15], v[16:17], s[84:85]
	v_fma_f64 v[16:17], v[14:15], v[16:17], s[86:87]
	v_fma_f64 v[16:17], v[14:15], v[16:17], s[88:89]
	v_fma_f64 v[16:17], v[14:15], v[16:17], s[90:91]
	v_fma_f64 v[16:17], v[14:15], v[16:17], s[92:93]
	v_fma_f64 v[16:17], v[14:15], v[16:17], s[94:95]
	v_fma_f64 v[16:17], v[14:15], v[16:17], s[96:97]
	v_fma_f64 v[16:17], v[14:15], v[16:17], s[98:99]
	v_fma_f64 v[16:17], v[14:15], v[16:17], s[40:41]
	v_fma_f64 v[16:17], v[14:15], v[16:17], s[42:43]
	v_fma_f64 v[16:17], v[14:15], v[16:17], s[44:45]
	v_mul_f64 v[14:15], v[14:15], v[16:17]
	v_ashrrev_i32_e32 v16, 31, v49
	v_and_b32_e32 v36, 0x54442d18, v16
	v_and_b32_e32 v16, 0x400921fb, v16
	v_fma_f64 v[6:7], v[6:7], v[14:15], v[6:7]
	v_add_f64 v[14:15], -v[6:7], s[60:61]
	v_cndmask_b32_e32 v7, v7, v15, vcc
	v_cndmask_b32_e32 v6, v6, v14, vcc
	v_add_f64 v[14:15], -v[6:7], s[46:47]
	v_cmp_gt_i32_e32 vcc, 0, v49
	v_cndmask_b32_e32 v17, v62, v63, vcc
                                        ; implicit-def: $vgpr48_vgpr49
	v_cndmask_b32_e32 v6, v6, v14, vcc
	v_cndmask_b32_e32 v7, v7, v15, vcc
	;; [unrolled: 1-line block ×3, first 2 shown]
	v_cndmask_b32_e64 v6, v6, v36, s[6:7]
	v_cndmask_b32_e64 v7, v7, v16, s[6:7]
	s_and_b64 vcc, s[8:9], s[70:71]
	v_cndmask_b32_e32 v7, v7, v14, vcc
	v_cndmask_b32_e32 v6, v6, v17, vcc
	v_cmp_o_f64_e32 vcc, v[50:51], v[50:51]
	v_cndmask_b32_e32 v7, v60, v7, vcc
	v_cndmask_b32_e32 v6, 0, v6, vcc
	v_bfi_b32 v7, s33, v7, v51
                                        ; implicit-def: $vgpr50_vgpr51
.LBB48_501:                             ;   in Loop: Header=BB48_434 Depth=1
	s_andn2_saveexec_b64 s[68:69], s[68:69]
	s_cbranch_execz .LBB48_503
; %bb.502:                              ;   in Loop: Header=BB48_434 Depth=1
	v_max_f64 v[6:7], |v[50:51]|, |v[50:51]|
	v_max_f64 v[14:15], v[48:49], v[48:49]
	s_mov_b32 s46, s60
	v_cmp_class_f64_e64 s[70:71], v[50:51], s83
	v_cmp_eq_f64_e64 s[8:9], s[56:57], v[48:49]
	v_max_f64 v[16:17], v[14:15], v[6:7]
	v_min_f64 v[6:7], v[14:15], v[6:7]
	v_div_scale_f64 v[14:15], s[6:7], v[16:17], v[16:17], v[6:7]
	s_mov_b32 s6, 0x69efb384
	s_mov_b32 s7, 0x3f4b2bb0
	v_rcp_f64_e32 v[36:37], v[14:15]
	v_fma_f64 v[38:39], -v[14:15], v[36:37], 1.0
	v_fma_f64 v[36:37], v[36:37], v[38:39], v[36:37]
	v_div_scale_f64 v[38:39], vcc, v[6:7], v[16:17], v[6:7]
	v_fma_f64 v[40:41], -v[14:15], v[36:37], 1.0
	v_fma_f64 v[36:37], v[36:37], v[40:41], v[36:37]
	v_mul_f64 v[40:41], v[38:39], v[36:37]
	v_fma_f64 v[14:15], -v[14:15], v[40:41], v[38:39]
	v_div_fmas_f64 v[14:15], v[14:15], v[36:37], v[40:41]
	v_cmp_lt_f64_e64 vcc, v[48:49], |v[50:51]|
	v_div_fixup_f64 v[6:7], v[14:15], v[16:17], v[6:7]
	v_mul_f64 v[14:15], v[6:7], v[6:7]
	v_fma_f64 v[16:17], v[14:15], s[72:73], v[32:33]
	v_fma_f64 v[16:17], v[14:15], v[16:17], s[6:7]
	s_mov_b32 s6, 0xaf56de9b
	s_mov_b32 s7, 0xbf67952d
	v_fma_f64 v[16:17], v[14:15], v[16:17], s[6:7]
	s_mov_b32 s6, 0xa595c56f
	s_mov_b32 s7, 0x3f7d6d43
	v_fma_f64 v[16:17], v[14:15], v[16:17], s[6:7]
	v_cmp_eq_f64_e64 s[6:7], 0, v[50:51]
	v_fma_f64 v[16:17], v[14:15], v[16:17], s[74:75]
	v_fma_f64 v[16:17], v[14:15], v[16:17], s[76:77]
	v_fma_f64 v[16:17], v[14:15], v[16:17], s[78:79]
	v_fma_f64 v[16:17], v[14:15], v[16:17], s[80:81]
	v_fma_f64 v[16:17], v[14:15], v[16:17], s[84:85]
	v_fma_f64 v[16:17], v[14:15], v[16:17], s[86:87]
	v_fma_f64 v[16:17], v[14:15], v[16:17], s[88:89]
	v_fma_f64 v[16:17], v[14:15], v[16:17], s[90:91]
	v_fma_f64 v[16:17], v[14:15], v[16:17], s[92:93]
	v_fma_f64 v[16:17], v[14:15], v[16:17], s[94:95]
	v_fma_f64 v[16:17], v[14:15], v[16:17], s[96:97]
	v_fma_f64 v[16:17], v[14:15], v[16:17], s[98:99]
	v_fma_f64 v[16:17], v[14:15], v[16:17], s[40:41]
	v_fma_f64 v[16:17], v[14:15], v[16:17], s[42:43]
	v_fma_f64 v[16:17], v[14:15], v[16:17], s[44:45]
	v_mul_f64 v[14:15], v[14:15], v[16:17]
	v_xor_b32_e32 v16, 0x80000000, v49
	v_ashrrev_i32_e32 v17, 31, v16
	v_and_b32_e32 v36, 0x54442d18, v17
	v_and_b32_e32 v17, 0x400921fb, v17
	v_fma_f64 v[6:7], v[6:7], v[14:15], v[6:7]
	v_add_f64 v[14:15], -v[6:7], s[60:61]
	v_cndmask_b32_e32 v7, v7, v15, vcc
	v_cndmask_b32_e32 v6, v6, v14, vcc
	v_add_f64 v[14:15], -v[6:7], s[46:47]
	v_cmp_gt_i32_e32 vcc, 0, v16
	v_cndmask_b32_e32 v16, v62, v63, vcc
	v_cndmask_b32_e32 v6, v6, v14, vcc
	v_cndmask_b32_e32 v7, v7, v15, vcc
	v_cndmask_b32_e32 v14, v64, v65, vcc
	v_cndmask_b32_e64 v6, v6, v36, s[6:7]
	v_cndmask_b32_e64 v7, v7, v17, s[6:7]
	s_and_b64 vcc, s[8:9], s[70:71]
	v_cndmask_b32_e32 v7, v7, v14, vcc
	v_cndmask_b32_e32 v6, v6, v16, vcc
	v_cmp_o_f64_e32 vcc, v[50:51], v[50:51]
	v_cndmask_b32_e32 v7, v60, v7, vcc
	v_cndmask_b32_e32 v6, 0, v6, vcc
	v_bfi_b32 v7, s33, v7, v51
.LBB48_503:                             ;   in Loop: Header=BB48_434 Depth=1
	s_or_b64 exec, exec, s[68:69]
.LBB48_504:                             ;   in Loop: Header=BB48_434 Depth=1
	s_or_b64 exec, exec, s[66:67]
	v_xor_b32_e32 v14, 0x80000000, v9
	v_cndmask_b32_e64 v9, v14, v9, s[4:5]
                                        ; implicit-def: $vgpr14_vgpr15
.LBB48_505:                             ;   in Loop: Header=BB48_434 Depth=1
	s_andn2_saveexec_b64 s[6:7], s[48:49]
	s_cbranch_execz .LBB48_507
; %bb.506:                              ;   in Loop: Header=BB48_434 Depth=1
	s_waitcnt lgkmcnt(0)
	v_mov_b32_e32 v6, s12
	v_mov_b32_e32 v7, s13
	flat_load_dwordx2 v[6:7], v[6:7] glc
	s_waitcnt vmcnt(0) lgkmcnt(0)
	v_add_f64 v[6:7], v[6:7], -v[14:15]
	v_add_f64 v[6:7], v[6:7], s[60:61]
.LBB48_507:                             ;   in Loop: Header=BB48_434 Depth=1
	s_or_b64 exec, exec, s[6:7]
.LBB48_508:                             ;   in Loop: Header=BB48_434 Depth=1
	s_andn2_saveexec_b64 s[6:7], s[20:21]
	s_cbranch_execz .LBB48_510
; %bb.509:                              ;   in Loop: Header=BB48_434 Depth=1
	s_waitcnt lgkmcnt(0)
	v_mov_b32_e32 v6, 0
	v_mov_b32_e32 v7, 0
.LBB48_510:                             ;   in Loop: Header=BB48_434 Depth=1
	s_or_b64 exec, exec, s[6:7]
                                        ; implicit-def: $vgpr14_vgpr15
                                        ; implicit-def: $vgpr40_vgpr41
                                        ; implicit-def: $vgpr38_vgpr39
                                        ; implicit-def: $vgpr36_vgpr37
.LBB48_511:                             ;   in Loop: Header=BB48_434 Depth=1
	s_andn2_saveexec_b64 s[20:21], s[64:65]
	s_cbranch_execz .LBB48_521
; %bb.512:                              ;   in Loop: Header=BB48_434 Depth=1
	v_cmp_lt_f64_e64 s[6:7], |v[14:15]|, |v[16:17]|
	v_and_b32_e32 v44, 0x7fffffff, v15
	v_and_b32_e32 v45, 0x7fffffff, v17
	s_mov_b32 s8, -1
	s_mov_b32 s9, 0x7fdfffff
                                        ; implicit-def: $sgpr48_sgpr49
                                        ; implicit-def: $vgpr42_vgpr43
                                        ; implicit-def: $vgpr8_vgpr9
	v_cndmask_b32_e64 v7, v44, v45, s[6:7]
	s_waitcnt lgkmcnt(0)
	v_cndmask_b32_e64 v6, v14, v16, s[6:7]
	v_cmp_nlt_f64_e32 vcc, s[8:9], v[6:7]
	s_and_saveexec_b64 s[8:9], vcc
	s_xor_b64 s[64:65], exec, s[8:9]
	s_cbranch_execz .LBB48_518
; %bb.513:                              ;   in Loop: Header=BB48_434 Depth=1
	s_mov_b32 s8, 0
	s_mov_b32 s9, 0x20200000
	v_cmp_nlt_f64_e32 vcc, s[8:9], v[6:7]
	s_mov_b32 s8, 0
	v_cndmask_b32_e64 v45, v45, v44, s[6:7]
	v_cndmask_b32_e64 v44, v16, v14, s[6:7]
	s_brev_b32 s9, 4
	v_cmp_ngt_f64_e64 s[8:9], s[8:9], v[44:45]
                                        ; implicit-def: $sgpr48_sgpr49
                                        ; implicit-def: $vgpr42_vgpr43
                                        ; implicit-def: $vgpr8_vgpr9
	s_and_b64 s[8:9], vcc, s[8:9]
	s_and_saveexec_b64 s[66:67], s[8:9]
	s_xor_b64 s[66:67], exec, s[66:67]
	s_cbranch_execz .LBB48_515
; %bb.514:                              ;   in Loop: Header=BB48_434 Depth=1
	v_mul_f64 v[8:9], v[44:45], v[44:45]
	v_min_f64 v[38:39], v[40:41], v[38:39]
	s_mov_b32 s23, s63
	v_fma_f64 v[6:7], v[6:7], v[6:7], v[8:9]
	v_frexp_mant_f64_e32 v[8:9], v[6:7]
	v_cmp_gt_f64_e64 s[8:9], s[62:63], v[8:9]
	v_cndmask_b32_e64 v42, 0, 1, s[8:9]
	v_ldexp_f64 v[8:9], v[8:9], v42
	v_add_f64 v[42:43], v[8:9], 1.0
	v_add_f64 v[48:49], v[8:9], -1.0
	v_rcp_f64_e32 v[44:45], v[42:43]
	v_add_f64 v[50:51], v[42:43], -1.0
	v_add_f64 v[8:9], v[8:9], -v[50:51]
	v_fma_f64 v[46:47], -v[42:43], v[44:45], 1.0
	v_fma_f64 v[44:45], v[46:47], v[44:45], v[44:45]
	v_fma_f64 v[46:47], -v[42:43], v[44:45], 1.0
	v_fma_f64 v[44:45], v[46:47], v[44:45], v[44:45]
	v_mul_f64 v[46:47], v[48:49], v[44:45]
	v_mul_f64 v[66:67], v[42:43], v[46:47]
	v_fma_f64 v[40:41], v[46:47], v[42:43], -v[66:67]
	v_div_scale_f64 v[42:43], s[48:49], v[36:37], v[36:37], v[38:39]
	s_mov_b32 s48, 0x69efb384
	s_mov_b32 s49, 0x3f4b2bb0
	v_fma_f64 v[8:9], v[46:47], v[8:9], v[40:41]
	v_add_f64 v[40:41], v[66:67], v[8:9]
	v_rcp_f64_e32 v[50:51], v[42:43]
	v_add_f64 v[68:69], v[48:49], -v[40:41]
	v_add_f64 v[66:67], v[40:41], -v[66:67]
	;; [unrolled: 1-line block ×3, first 2 shown]
	v_fma_f64 v[70:71], -v[42:43], v[50:51], 1.0
	v_add_f64 v[8:9], v[66:67], -v[8:9]
	v_frexp_exp_i32_f64_e32 v66, v[6:7]
	v_add_f64 v[40:41], v[48:49], -v[40:41]
	v_fma_f64 v[48:49], v[50:51], v[70:71], v[50:51]
	v_add_f64 v[8:9], v[8:9], v[40:41]
	v_div_scale_f64 v[40:41], vcc, v[38:39], v[36:37], v[38:39]
	v_fma_f64 v[50:51], -v[42:43], v[48:49], 1.0
	v_add_f64 v[8:9], v[68:69], v[8:9]
	v_fma_f64 v[48:49], v[48:49], v[50:51], v[48:49]
	v_mul_f64 v[8:9], v[44:45], v[8:9]
	v_mul_f64 v[44:45], v[40:41], v[48:49]
	v_add_f64 v[50:51], v[46:47], v[8:9]
	v_fma_f64 v[40:41], -v[42:43], v[44:45], v[40:41]
	v_mul_f64 v[42:43], v[50:51], v[50:51]
	v_add_f64 v[46:47], v[50:51], -v[46:47]
	v_div_fmas_f64 v[40:41], v[40:41], v[48:49], v[44:45]
	v_fma_f64 v[44:45], v[42:43], s[24:25], v[26:27]
	v_mul_f64 v[48:49], v[50:51], v[42:43]
	v_add_f64 v[8:9], v[8:9], -v[46:47]
	v_fma_f64 v[44:45], v[42:43], v[44:45], s[26:27]
	v_ldexp_f64 v[8:9], v[8:9], 1
	v_div_fixup_f64 v[36:37], v[40:41], v[36:37], v[38:39]
	v_fma_f64 v[38:39], v[42:43], v[44:45], s[28:29]
	v_mul_f64 v[40:41], v[36:37], v[36:37]
	v_fma_f64 v[38:39], v[42:43], v[38:39], s[30:31]
	v_fma_f64 v[44:45], v[40:41], s[72:73], v[32:33]
	;; [unrolled: 1-line block ×4, first 2 shown]
	s_mov_b32 s48, 0xaf56de9b
	s_mov_b32 s49, 0xbf67952d
	v_fma_f64 v[38:39], v[42:43], v[38:39], s[22:23]
	v_fma_f64 v[42:43], v[40:41], v[44:45], s[48:49]
	v_ldexp_f64 v[44:45], v[50:51], 1
	s_mov_b32 s48, 0xa595c56f
	s_mov_b32 s49, 0x3f7d6d43
	v_subbrev_co_u32_e64 v50, vcc, 0, v66, s[8:9]
	v_mul_f64 v[38:39], v[48:49], v[38:39]
	v_cvt_f64_i32_e32 v[50:51], v50
	v_fma_f64 v[42:43], v[40:41], v[42:43], s[48:49]
	v_cmp_class_f64_e64 vcc, v[6:7], s83
	v_cmp_class_f64_e64 s[8:9], v[16:17], s83
	v_mul_f64 v[66:67], v[50:51], s[36:37]
	v_cmp_class_f64_e64 s[48:49], v[14:15], s83
	v_add_f64 v[48:49], v[44:45], v[38:39]
	v_fma_f64 v[42:43], v[40:41], v[42:43], s[74:75]
	v_fma_f64 v[46:47], v[50:51], s[36:37], -v[66:67]
	s_and_b64 s[48:49], s[48:49], s[8:9]
	v_add_f64 v[44:45], v[48:49], -v[44:45]
	v_fma_f64 v[42:43], v[40:41], v[42:43], s[76:77]
	v_add_f64 v[38:39], v[38:39], -v[44:45]
	v_fma_f64 v[44:45], v[50:51], s[38:39], v[46:47]
	v_fma_f64 v[42:43], v[40:41], v[42:43], s[78:79]
	v_add_f64 v[8:9], v[8:9], v[38:39]
	v_fma_f64 v[38:39], v[40:41], v[42:43], s[80:81]
	v_add_f64 v[42:43], v[66:67], v[44:45]
	v_add_f64 v[46:47], v[48:49], v[8:9]
	v_fma_f64 v[38:39], v[40:41], v[38:39], s[84:85]
	v_add_f64 v[66:67], v[42:43], -v[66:67]
	v_add_f64 v[50:51], v[42:43], v[46:47]
	v_add_f64 v[48:49], v[46:47], -v[48:49]
	v_fma_f64 v[38:39], v[40:41], v[38:39], s[86:87]
	v_add_f64 v[44:45], v[44:45], -v[66:67]
	v_add_f64 v[68:69], v[50:51], -v[42:43]
	v_add_f64 v[8:9], v[8:9], -v[48:49]
	v_fma_f64 v[38:39], v[40:41], v[38:39], s[88:89]
	v_add_f64 v[70:71], v[50:51], -v[68:69]
	v_add_f64 v[46:47], v[46:47], -v[68:69]
	v_fma_f64 v[38:39], v[40:41], v[38:39], s[90:91]
	v_add_f64 v[48:49], v[44:45], v[8:9]
	v_add_f64 v[42:43], v[42:43], -v[70:71]
	v_fma_f64 v[38:39], v[40:41], v[38:39], s[92:93]
	v_add_f64 v[42:43], v[46:47], v[42:43]
	;; [unrolled: 3-line block ×3, first 2 shown]
	v_add_f64 v[48:49], v[48:49], -v[46:47]
	v_fma_f64 v[38:39], v[40:41], v[38:39], s[96:97]
	v_add_f64 v[8:9], v[8:9], -v[46:47]
	v_add_f64 v[66:67], v[50:51], v[42:43]
	v_add_f64 v[44:45], v[44:45], -v[48:49]
	v_fma_f64 v[38:39], v[40:41], v[38:39], s[98:99]
	v_add_f64 v[46:47], v[66:67], -v[50:51]
	v_add_f64 v[8:9], v[8:9], v[44:45]
	v_fma_f64 v[38:39], v[40:41], v[38:39], s[40:41]
	v_add_f64 v[42:43], v[42:43], -v[46:47]
	v_fma_f64 v[38:39], v[40:41], v[38:39], s[42:43]
	v_add_f64 v[8:9], v[8:9], v[42:43]
	v_fma_f64 v[38:39], v[40:41], v[38:39], s[44:45]
	v_add_f64 v[8:9], v[66:67], v[8:9]
	v_mul_f64 v[38:39], v[40:41], v[38:39]
	v_cndmask_b32_e32 v9, v9, v7, vcc
	v_cndmask_b32_e32 v8, v8, v6, vcc
	v_mul_f64 v[40:41], v[8:9], 0.5
	v_cmp_neq_f64_e32 vcc, 0, v[6:7]
	v_fma_f64 v[8:9], v[36:37], v[38:39], v[36:37]
                                        ; implicit-def: $vgpr36_vgpr37
                                        ; implicit-def: $vgpr38_vgpr39
	v_cndmask_b32_e32 v43, v59, v41, vcc
	v_cndmask_b32_e32 v42, 0, v40, vcc
                                        ; implicit-def: $vgpr40_vgpr41
.LBB48_515:                             ;   in Loop: Header=BB48_434 Depth=1
	s_andn2_saveexec_b64 s[66:67], s[66:67]
	s_cbranch_execz .LBB48_517
; %bb.516:                              ;   in Loop: Header=BB48_434 Depth=1
	v_frexp_exp_i32_f64_e32 v46, v[36:37]
	v_cmp_class_f64_e64 s[68:69], v[14:15], s83
	v_cmp_class_f64_e64 s[70:71], v[16:17], s83
	v_min_f64 v[38:39], v[40:41], v[38:39]
	s_mov_b32 s23, s63
	v_sub_u32_e32 v8, 0, v46
	v_ldexp_f64 v[6:7], |v[16:17]|, v8
	v_ldexp_f64 v[8:9], |v[14:15]|, v8
	v_div_scale_f64 v[66:67], s[72:73], v[36:37], v[36:37], v[38:39]
	s_mov_b32 s72, 0xb5e68a13
	s_mov_b32 s73, 0x3eeba404
	v_mul_f64 v[6:7], v[6:7], v[6:7]
	v_fma_f64 v[6:7], v[8:9], v[8:9], v[6:7]
	v_rsq_f64_e32 v[8:9], v[6:7]
	v_cmp_eq_f64_e32 vcc, 0, v[6:7]
	v_mul_f64 v[42:43], v[6:7], v[8:9]
	v_mul_f64 v[8:9], v[8:9], 0.5
	v_fma_f64 v[44:45], -v[8:9], v[42:43], 0.5
	v_fma_f64 v[42:43], v[42:43], v[44:45], v[42:43]
	v_fma_f64 v[8:9], v[8:9], v[44:45], v[8:9]
	v_fma_f64 v[44:45], -v[42:43], v[42:43], v[6:7]
	v_fma_f64 v[8:9], v[44:45], v[8:9], v[42:43]
	v_cndmask_b32_e32 v7, v9, v7, vcc
	v_cndmask_b32_e32 v6, v8, v6, vcc
	v_ldexp_f64 v[6:7], v[6:7], v46
	s_or_b64 vcc, s[68:69], s[70:71]
	v_cndmask_b32_e32 v7, v7, v55, vcc
	v_cndmask_b32_e64 v6, v6, 0, vcc
	v_frexp_mant_f64_e32 v[8:9], v[6:7]
	v_cmp_gt_f64_e64 s[8:9], s[62:63], v[8:9]
	v_cndmask_b32_e64 v42, 0, 1, s[8:9]
	v_ldexp_f64 v[8:9], v[8:9], v42
	v_add_f64 v[42:43], v[8:9], 1.0
	v_add_f64 v[48:49], v[8:9], -1.0
	v_rcp_f64_e32 v[44:45], v[42:43]
	v_add_f64 v[40:41], v[42:43], -1.0
	v_add_f64 v[8:9], v[8:9], -v[40:41]
	v_fma_f64 v[46:47], -v[42:43], v[44:45], 1.0
	v_fma_f64 v[44:45], v[46:47], v[44:45], v[44:45]
	v_fma_f64 v[46:47], -v[42:43], v[44:45], 1.0
	v_fma_f64 v[44:45], v[46:47], v[44:45], v[44:45]
	v_mul_f64 v[46:47], v[48:49], v[44:45]
	v_mul_f64 v[50:51], v[42:43], v[46:47]
	v_fma_f64 v[40:41], v[46:47], v[42:43], -v[50:51]
	v_fma_f64 v[8:9], v[46:47], v[8:9], v[40:41]
	v_rcp_f64_e32 v[40:41], v[66:67]
	v_add_f64 v[42:43], v[50:51], v[8:9]
	v_add_f64 v[68:69], v[48:49], -v[42:43]
	v_fma_f64 v[70:71], -v[66:67], v[40:41], 1.0
	v_add_f64 v[50:51], v[42:43], -v[50:51]
	v_add_f64 v[48:49], v[48:49], -v[68:69]
	v_fma_f64 v[40:41], v[40:41], v[70:71], v[40:41]
	v_add_f64 v[8:9], v[50:51], -v[8:9]
	v_add_f64 v[42:43], v[48:49], -v[42:43]
	v_div_scale_f64 v[48:49], vcc, v[38:39], v[36:37], v[38:39]
	v_fma_f64 v[50:51], -v[66:67], v[40:41], 1.0
	v_add_f64 v[8:9], v[8:9], v[42:43]
	v_fma_f64 v[40:41], v[40:41], v[50:51], v[40:41]
	v_add_f64 v[8:9], v[68:69], v[8:9]
	v_mul_f64 v[42:43], v[48:49], v[40:41]
	v_mul_f64 v[8:9], v[44:45], v[8:9]
	v_fma_f64 v[44:45], -v[66:67], v[42:43], v[48:49]
	v_add_f64 v[48:49], v[46:47], v[8:9]
	v_div_fmas_f64 v[40:41], v[44:45], v[40:41], v[42:43]
	s_mov_b32 vcc_lo, 0x69efb384
	s_mov_b32 vcc_hi, 0x3f4b2bb0
	v_mul_f64 v[42:43], v[48:49], v[48:49]
	v_add_f64 v[46:47], v[48:49], -v[46:47]
	v_fma_f64 v[44:45], v[42:43], s[24:25], v[26:27]
	v_mul_f64 v[50:51], v[48:49], v[42:43]
	v_add_f64 v[8:9], v[8:9], -v[46:47]
	v_div_fixup_f64 v[36:37], v[40:41], v[36:37], v[38:39]
	v_fma_f64 v[38:39], v[42:43], v[44:45], s[26:27]
	v_ldexp_f64 v[8:9], v[8:9], 1
	v_mul_f64 v[40:41], v[36:37], v[36:37]
	v_fma_f64 v[38:39], v[42:43], v[38:39], s[28:29]
	v_fma_f64 v[44:45], v[40:41], s[72:73], v[32:33]
	;; [unrolled: 1-line block ×3, first 2 shown]
	v_fma_f64 v[44:45], v[40:41], v[44:45], vcc
	s_mov_b32 vcc_lo, 0xaf56de9b
	s_mov_b32 vcc_hi, 0xbf67952d
	v_fma_f64 v[38:39], v[42:43], v[38:39], s[34:35]
	v_fma_f64 v[44:45], v[40:41], v[44:45], vcc
	s_mov_b32 vcc_lo, 0xa595c56f
	s_mov_b32 vcc_hi, 0x3f7d6d43
	v_fma_f64 v[38:39], v[42:43], v[38:39], s[22:23]
	v_fma_f64 v[42:43], v[40:41], v[44:45], vcc
	v_ldexp_f64 v[44:45], v[48:49], 1
	v_mul_f64 v[38:39], v[50:51], v[38:39]
	v_frexp_exp_i32_f64_e32 v50, v[6:7]
	v_fma_f64 v[42:43], v[40:41], v[42:43], s[74:75]
	v_add_f64 v[48:49], v[44:45], v[38:39]
	v_subbrev_co_u32_e64 v50, vcc, 0, v50, s[8:9]
	v_cvt_f64_i32_e32 v[50:51], v50
	v_fma_f64 v[42:43], v[40:41], v[42:43], s[76:77]
	v_cmp_class_f64_e64 vcc, v[6:7], s83
	s_andn2_b64 s[8:9], s[48:49], exec
	v_mul_f64 v[66:67], v[50:51], s[36:37]
	v_add_f64 v[44:45], v[48:49], -v[44:45]
	s_and_b64 s[48:49], s[68:69], s[70:71]
	s_and_b64 s[48:49], s[48:49], exec
	s_or_b64 s[48:49], s[8:9], s[48:49]
	v_fma_f64 v[42:43], v[40:41], v[42:43], s[78:79]
	v_fma_f64 v[46:47], v[50:51], s[36:37], -v[66:67]
	v_add_f64 v[38:39], v[38:39], -v[44:45]
	v_fma_f64 v[42:43], v[40:41], v[42:43], s[80:81]
	v_fma_f64 v[44:45], v[50:51], s[38:39], v[46:47]
	v_add_f64 v[8:9], v[8:9], v[38:39]
	v_fma_f64 v[38:39], v[40:41], v[42:43], s[84:85]
	v_add_f64 v[42:43], v[66:67], v[44:45]
	v_add_f64 v[46:47], v[48:49], v[8:9]
	v_fma_f64 v[38:39], v[40:41], v[38:39], s[86:87]
	v_add_f64 v[66:67], v[42:43], -v[66:67]
	v_add_f64 v[50:51], v[42:43], v[46:47]
	v_add_f64 v[48:49], v[46:47], -v[48:49]
	v_fma_f64 v[38:39], v[40:41], v[38:39], s[88:89]
	v_add_f64 v[44:45], v[44:45], -v[66:67]
	v_add_f64 v[68:69], v[50:51], -v[42:43]
	;; [unrolled: 1-line block ×3, first 2 shown]
	v_fma_f64 v[38:39], v[40:41], v[38:39], s[90:91]
	v_add_f64 v[70:71], v[50:51], -v[68:69]
	v_add_f64 v[46:47], v[46:47], -v[68:69]
	v_add_f64 v[48:49], v[44:45], v[8:9]
	v_fma_f64 v[38:39], v[40:41], v[38:39], s[92:93]
	v_add_f64 v[42:43], v[42:43], -v[70:71]
	v_fma_f64 v[38:39], v[40:41], v[38:39], s[94:95]
	v_add_f64 v[42:43], v[46:47], v[42:43]
	v_add_f64 v[46:47], v[48:49], -v[44:45]
	v_fma_f64 v[38:39], v[40:41], v[38:39], s[96:97]
	v_add_f64 v[42:43], v[48:49], v[42:43]
	v_add_f64 v[48:49], v[48:49], -v[46:47]
	v_add_f64 v[8:9], v[8:9], -v[46:47]
	v_fma_f64 v[38:39], v[40:41], v[38:39], s[98:99]
	v_add_f64 v[66:67], v[50:51], v[42:43]
	v_add_f64 v[44:45], v[44:45], -v[48:49]
	v_fma_f64 v[38:39], v[40:41], v[38:39], s[40:41]
	v_add_f64 v[46:47], v[66:67], -v[50:51]
	v_add_f64 v[8:9], v[8:9], v[44:45]
	v_fma_f64 v[38:39], v[40:41], v[38:39], s[42:43]
	v_add_f64 v[42:43], v[42:43], -v[46:47]
	v_fma_f64 v[38:39], v[40:41], v[38:39], s[44:45]
	v_add_f64 v[8:9], v[8:9], v[42:43]
	v_mul_f64 v[38:39], v[40:41], v[38:39]
	v_add_f64 v[40:41], v[66:67], v[8:9]
	v_fma_f64 v[8:9], v[36:37], v[38:39], v[36:37]
	v_cndmask_b32_e32 v36, v40, v6, vcc
	v_cndmask_b32_e32 v37, v41, v7, vcc
	v_cmp_ngt_f64_e32 vcc, 0, v[6:7]
	v_cndmask_b32_e32 v37, v60, v37, vcc
	v_cmp_nge_f64_e32 vcc, 0, v[6:7]
	v_cndmask_b32_e32 v42, 0, v36, vcc
	v_cmp_neq_f64_e32 vcc, 0, v[6:7]
	v_cndmask_b32_e32 v43, v59, v37, vcc
.LBB48_517:                             ;   in Loop: Header=BB48_434 Depth=1
	s_or_b64 exec, exec, s[66:67]
                                        ; implicit-def: $vgpr40_vgpr41
                                        ; implicit-def: $vgpr38_vgpr39
                                        ; implicit-def: $vgpr36_vgpr37
.LBB48_518:                             ;   in Loop: Header=BB48_434 Depth=1
	s_andn2_saveexec_b64 s[64:65], s[64:65]
	s_cbranch_execz .LBB48_520
; %bb.519:                              ;   in Loop: Header=BB48_434 Depth=1
	v_div_scale_f64 v[6:7], s[8:9], s[50:51], s[50:51], v[14:15]
	v_div_scale_f64 v[8:9], s[8:9], s[50:51], s[50:51], v[16:17]
	;; [unrolled: 1-line block ×3, first 2 shown]
	v_min_f64 v[38:39], v[40:41], v[38:39]
	s_mov_b32 s23, s63
	s_andn2_b64 s[48:49], s[48:49], exec
	v_rcp_f64_e32 v[42:43], v[6:7]
	v_rcp_f64_e32 v[44:45], v[8:9]
	v_fma_f64 v[46:47], -v[6:7], v[42:43], 1.0
	v_fma_f64 v[48:49], -v[8:9], v[44:45], 1.0
	v_fma_f64 v[42:43], v[42:43], v[46:47], v[42:43]
	v_div_scale_f64 v[46:47], vcc, v[14:15], s[50:51], v[14:15]
	v_fma_f64 v[44:45], v[44:45], v[48:49], v[44:45]
	v_fma_f64 v[48:49], -v[6:7], v[42:43], 1.0
	v_fma_f64 v[66:67], -v[8:9], v[44:45], 1.0
	v_fma_f64 v[42:43], v[42:43], v[48:49], v[42:43]
	v_fma_f64 v[44:45], v[44:45], v[66:67], v[44:45]
	v_mul_f64 v[48:49], v[46:47], v[42:43]
	v_mul_f64 v[66:67], v[50:51], v[44:45]
	v_fma_f64 v[6:7], -v[6:7], v[48:49], v[46:47]
	v_fma_f64 v[8:9], -v[8:9], v[66:67], v[50:51]
	v_div_fmas_f64 v[6:7], v[6:7], v[42:43], v[48:49]
	s_mov_b64 vcc, s[8:9]
	v_div_fmas_f64 v[8:9], v[8:9], v[44:45], v[66:67]
	v_div_fixup_f64 v[6:7], v[6:7], s[50:51], v[14:15]
	v_div_fixup_f64 v[8:9], v[8:9], s[50:51], v[16:17]
	v_cmp_class_f64_e64 s[8:9], v[6:7], s83
	v_max_f64 v[42:43], |v[6:7]|, |v[8:9]|
	v_cmp_class_f64_e64 s[66:67], v[8:9], s83
	v_frexp_exp_i32_f64_e32 v50, v[42:43]
	v_sub_u32_e32 v44, 0, v50
	v_ldexp_f64 v[42:43], |v[8:9]|, v44
	v_ldexp_f64 v[44:45], |v[6:7]|, v44
	v_mul_f64 v[42:43], v[42:43], v[42:43]
	v_fma_f64 v[42:43], v[44:45], v[44:45], v[42:43]
	v_rsq_f64_e32 v[44:45], v[42:43]
	v_cmp_eq_f64_e32 vcc, 0, v[42:43]
	v_mul_f64 v[46:47], v[42:43], v[44:45]
	v_mul_f64 v[44:45], v[44:45], 0.5
	v_fma_f64 v[48:49], -v[44:45], v[46:47], 0.5
	v_fma_f64 v[46:47], v[46:47], v[48:49], v[46:47]
	v_fma_f64 v[44:45], v[44:45], v[48:49], v[44:45]
	v_fma_f64 v[48:49], -v[46:47], v[46:47], v[42:43]
	v_fma_f64 v[44:45], v[48:49], v[44:45], v[46:47]
	v_cndmask_b32_e32 v7, v45, v43, vcc
	v_cndmask_b32_e32 v6, v44, v42, vcc
	v_ldexp_f64 v[6:7], v[6:7], v50
	s_or_b64 vcc, s[8:9], s[66:67]
	v_cndmask_b32_e32 v7, v7, v55, vcc
	v_cndmask_b32_e64 v6, v6, 0, vcc
	v_frexp_mant_f64_e32 v[8:9], v[6:7]
	v_cmp_gt_f64_e64 s[8:9], s[62:63], v[8:9]
	v_cndmask_b32_e64 v42, 0, 1, s[8:9]
	v_ldexp_f64 v[8:9], v[8:9], v42
	v_add_f64 v[42:43], v[8:9], 1.0
	v_add_f64 v[48:49], v[8:9], -1.0
	v_rcp_f64_e32 v[44:45], v[42:43]
	v_add_f64 v[50:51], v[42:43], -1.0
	v_add_f64 v[8:9], v[8:9], -v[50:51]
	v_fma_f64 v[46:47], -v[42:43], v[44:45], 1.0
	v_fma_f64 v[44:45], v[46:47], v[44:45], v[44:45]
	v_fma_f64 v[46:47], -v[42:43], v[44:45], 1.0
	v_fma_f64 v[44:45], v[46:47], v[44:45], v[44:45]
	v_mul_f64 v[46:47], v[48:49], v[44:45]
	v_mul_f64 v[66:67], v[42:43], v[46:47]
	v_fma_f64 v[40:41], v[46:47], v[42:43], -v[66:67]
	v_div_scale_f64 v[42:43], s[66:67], v[36:37], v[36:37], v[38:39]
	s_mov_b32 s66, 0x69efb384
	s_mov_b32 s67, 0x3f4b2bb0
	v_fma_f64 v[8:9], v[46:47], v[8:9], v[40:41]
	v_add_f64 v[40:41], v[66:67], v[8:9]
	v_rcp_f64_e32 v[50:51], v[42:43]
	v_add_f64 v[68:69], v[48:49], -v[40:41]
	v_add_f64 v[66:67], v[40:41], -v[66:67]
	;; [unrolled: 1-line block ×3, first 2 shown]
	v_fma_f64 v[70:71], -v[42:43], v[50:51], 1.0
	v_add_f64 v[8:9], v[66:67], -v[8:9]
	v_frexp_exp_i32_f64_e32 v66, v[6:7]
	v_add_f64 v[40:41], v[48:49], -v[40:41]
	v_fma_f64 v[48:49], v[50:51], v[70:71], v[50:51]
	v_add_f64 v[8:9], v[8:9], v[40:41]
	v_div_scale_f64 v[40:41], vcc, v[38:39], v[36:37], v[38:39]
	v_fma_f64 v[50:51], -v[42:43], v[48:49], 1.0
	v_add_f64 v[8:9], v[68:69], v[8:9]
	v_fma_f64 v[48:49], v[48:49], v[50:51], v[48:49]
	v_mul_f64 v[8:9], v[44:45], v[8:9]
	v_mul_f64 v[44:45], v[40:41], v[48:49]
	v_add_f64 v[50:51], v[46:47], v[8:9]
	v_fma_f64 v[40:41], -v[42:43], v[44:45], v[40:41]
	v_mul_f64 v[42:43], v[50:51], v[50:51]
	v_add_f64 v[46:47], v[50:51], -v[46:47]
	v_div_fmas_f64 v[40:41], v[40:41], v[48:49], v[44:45]
	v_fma_f64 v[44:45], v[42:43], s[24:25], v[26:27]
	v_mul_f64 v[48:49], v[50:51], v[42:43]
	v_add_f64 v[8:9], v[8:9], -v[46:47]
	v_fma_f64 v[44:45], v[42:43], v[44:45], s[26:27]
	v_ldexp_f64 v[8:9], v[8:9], 1
	v_div_fixup_f64 v[36:37], v[40:41], v[36:37], v[38:39]
	v_fma_f64 v[38:39], v[42:43], v[44:45], s[28:29]
	v_mul_f64 v[40:41], v[36:37], v[36:37]
	v_fma_f64 v[38:39], v[42:43], v[38:39], s[30:31]
	v_fma_f64 v[44:45], v[40:41], s[72:73], v[32:33]
	v_fma_f64 v[38:39], v[42:43], v[38:39], s[34:35]
	v_fma_f64 v[44:45], v[40:41], v[44:45], s[66:67]
	s_mov_b32 s66, 0xaf56de9b
	s_mov_b32 s67, 0xbf67952d
	v_fma_f64 v[38:39], v[42:43], v[38:39], s[22:23]
	v_fma_f64 v[42:43], v[40:41], v[44:45], s[66:67]
	v_ldexp_f64 v[44:45], v[50:51], 1
	s_mov_b32 s66, 0xa595c56f
	s_mov_b32 s67, 0x3f7d6d43
	v_subbrev_co_u32_e64 v50, vcc, 0, v66, s[8:9]
	v_mul_f64 v[38:39], v[48:49], v[38:39]
	v_cvt_f64_i32_e32 v[50:51], v50
	v_fma_f64 v[42:43], v[40:41], v[42:43], s[66:67]
	v_cmp_class_f64_e64 vcc, v[6:7], s83
	v_cmp_class_f64_e64 s[66:67], v[14:15], s83
	v_mul_f64 v[66:67], v[50:51], s[36:37]
	v_cmp_class_f64_e64 s[8:9], v[16:17], s83
	v_add_f64 v[48:49], v[44:45], v[38:39]
	v_fma_f64 v[42:43], v[40:41], v[42:43], s[74:75]
	v_fma_f64 v[46:47], v[50:51], s[36:37], -v[66:67]
	s_and_b64 s[8:9], s[66:67], s[8:9]
	s_and_b64 s[8:9], s[8:9], exec
	v_add_f64 v[44:45], v[48:49], -v[44:45]
	s_or_b64 s[48:49], s[48:49], s[8:9]
	v_fma_f64 v[42:43], v[40:41], v[42:43], s[76:77]
	v_add_f64 v[38:39], v[38:39], -v[44:45]
	v_fma_f64 v[44:45], v[50:51], s[38:39], v[46:47]
	v_fma_f64 v[42:43], v[40:41], v[42:43], s[78:79]
	v_add_f64 v[8:9], v[8:9], v[38:39]
	v_fma_f64 v[38:39], v[40:41], v[42:43], s[80:81]
	v_add_f64 v[42:43], v[66:67], v[44:45]
	v_add_f64 v[46:47], v[48:49], v[8:9]
	v_fma_f64 v[38:39], v[40:41], v[38:39], s[84:85]
	v_add_f64 v[66:67], v[42:43], -v[66:67]
	v_add_f64 v[50:51], v[42:43], v[46:47]
	v_add_f64 v[48:49], v[46:47], -v[48:49]
	v_fma_f64 v[38:39], v[40:41], v[38:39], s[86:87]
	v_add_f64 v[44:45], v[44:45], -v[66:67]
	v_add_f64 v[68:69], v[50:51], -v[42:43]
	;; [unrolled: 1-line block ×3, first 2 shown]
	v_fma_f64 v[38:39], v[40:41], v[38:39], s[88:89]
	v_add_f64 v[70:71], v[50:51], -v[68:69]
	v_add_f64 v[46:47], v[46:47], -v[68:69]
	v_fma_f64 v[38:39], v[40:41], v[38:39], s[90:91]
	v_add_f64 v[48:49], v[44:45], v[8:9]
	v_add_f64 v[42:43], v[42:43], -v[70:71]
	v_fma_f64 v[38:39], v[40:41], v[38:39], s[92:93]
	v_add_f64 v[42:43], v[46:47], v[42:43]
	;; [unrolled: 3-line block ×3, first 2 shown]
	v_add_f64 v[48:49], v[48:49], -v[46:47]
	v_fma_f64 v[38:39], v[40:41], v[38:39], s[96:97]
	v_add_f64 v[8:9], v[8:9], -v[46:47]
	v_add_f64 v[66:67], v[50:51], v[42:43]
	v_add_f64 v[44:45], v[44:45], -v[48:49]
	v_fma_f64 v[38:39], v[40:41], v[38:39], s[98:99]
	v_add_f64 v[46:47], v[66:67], -v[50:51]
	v_add_f64 v[8:9], v[8:9], v[44:45]
	v_fma_f64 v[38:39], v[40:41], v[38:39], s[40:41]
	v_add_f64 v[42:43], v[42:43], -v[46:47]
	v_fma_f64 v[38:39], v[40:41], v[38:39], s[42:43]
	v_add_f64 v[8:9], v[8:9], v[42:43]
	v_fma_f64 v[38:39], v[40:41], v[38:39], s[44:45]
	v_add_f64 v[8:9], v[66:67], v[8:9]
	v_mul_f64 v[38:39], v[40:41], v[38:39]
	v_cndmask_b32_e32 v9, v9, v7, vcc
	v_cndmask_b32_e32 v8, v8, v6, vcc
	v_add_f64 v[40:41], v[8:9], 1.0
	v_cmp_ngt_f64_e32 vcc, 0, v[6:7]
	v_fma_f64 v[8:9], v[36:37], v[38:39], v[36:37]
	v_cndmask_b32_e32 v14, v60, v41, vcc
	v_cmp_nge_f64_e32 vcc, 0, v[6:7]
	v_cndmask_b32_e32 v42, 0, v40, vcc
	v_cmp_neq_f64_e32 vcc, 0, v[6:7]
	v_cndmask_b32_e32 v43, v59, v14, vcc
.LBB48_520:                             ;   in Loop: Header=BB48_434 Depth=1
	s_or_b64 exec, exec, s[64:65]
	v_add_f64 v[6:7], -v[8:9], s[60:61]
	s_mov_b32 s46, s60
	v_ashrrev_i32_e32 v14, 31, v15
	v_cmp_gt_i32_e32 vcc, 0, v15
	v_and_b32_e32 v38, 0x54442d18, v14
	v_and_b32_e32 v14, 0x400921fb, v14
	v_cndmask_b32_e32 v15, v62, v63, vcc
	v_cndmask_b32_e64 v7, v9, v7, s[6:7]
	v_cndmask_b32_e64 v6, v8, v6, s[6:7]
	v_add_f64 v[36:37], -v[6:7], s[46:47]
	v_cmp_eq_f64_e64 s[6:7], 0, v[16:17]
	v_add_f64 v[8:9], v[42:43], s[36:37]
	v_cndmask_b32_e32 v16, v64, v65, vcc
	v_bfi_b32 v16, s33, v16, v17
	v_cndmask_b32_e32 v7, v7, v37, vcc
	v_cndmask_b32_e32 v6, v6, v36, vcc
	v_cndmask_b32_e64 v7, v7, v14, s[6:7]
	v_xor_b32_e32 v17, 0x80000000, v9
	v_cndmask_b32_e64 v6, v6, v38, s[6:7]
	v_cndmask_b32_e64 v7, v7, v16, s[48:49]
	;; [unrolled: 1-line block ×3, first 2 shown]
	v_and_b32_e32 v7, 0x7fffffff, v7
	v_cndmask_b32_e64 v9, v17, v9, s[4:5]
.LBB48_521:                             ;   in Loop: Header=BB48_434 Depth=1
	s_or_b64 exec, exec, s[20:21]
                                        ; implicit-def: $vgpr16_vgpr17
.LBB48_522:                             ;   in Loop: Header=BB48_434 Depth=1
	s_andn2_saveexec_b64 s[4:5], s[58:59]
	s_cbranch_execz .LBB48_536
; %bb.523:                              ;   in Loop: Header=BB48_434 Depth=1
	v_cmp_neq_f64_e64 s[6:7], |v[14:15]|, s[56:57]
                                        ; implicit-def: $vgpr8_vgpr9
	s_and_saveexec_b64 s[8:9], s[6:7]
	s_xor_b64 s[6:7], exec, s[8:9]
	s_cbranch_execz .LBB48_533
; %bb.524:                              ;   in Loop: Header=BB48_434 Depth=1
	v_cmp_neq_f64_e64 s[8:9], |v[16:17]|, s[56:57]
	s_waitcnt lgkmcnt(0)
	v_xor_b32_e32 v9, 0x80000000, v17
	v_mov_b32_e32 v8, v16
	s_and_saveexec_b64 s[20:21], s[8:9]
	s_xor_b64 s[8:9], exec, s[20:21]
	s_cbranch_execz .LBB48_530
; %bb.525:                              ;   in Loop: Header=BB48_434 Depth=1
	v_cmp_neq_f64_e32 vcc, 0, v[14:15]
                                        ; implicit-def: $vgpr8_vgpr9
	s_and_saveexec_b64 s[20:21], vcc
	s_xor_b64 s[20:21], exec, s[20:21]
	s_cbranch_execz .LBB48_527
; %bb.526:                              ;   in Loop: Header=BB48_434 Depth=1
	v_add_f64 v[6:7], v[16:17], 0
                                        ; implicit-def: $vgpr16_vgpr17
	v_add_f64 v[8:9], v[14:15], v[6:7]
.LBB48_527:                             ;   in Loop: Header=BB48_434 Depth=1
	s_or_saveexec_b64 s[20:21], s[20:21]
	v_mov_b32_e32 v6, v8
	v_mov_b32_e32 v7, v9
	s_xor_b64 exec, exec, s[20:21]
	s_cbranch_execz .LBB48_529
; %bb.528:                              ;   in Loop: Header=BB48_434 Depth=1
	v_mov_b32_e32 v6, s12
	v_mov_b32_e32 v7, s13
	flat_load_dwordx2 v[6:7], v[6:7] glc
	s_waitcnt vmcnt(0)
	v_add_f64 v[8:9], v[16:17], v[16:17]
	s_waitcnt lgkmcnt(0)
	v_add_f64 v[6:7], v[6:7], s[60:61]
.LBB48_529:                             ;   in Loop: Header=BB48_434 Depth=1
	s_or_b64 exec, exec, s[20:21]
                                        ; implicit-def: $vgpr14_vgpr15
.LBB48_530:                             ;   in Loop: Header=BB48_434 Depth=1
	s_andn2_saveexec_b64 s[8:9], s[8:9]
; %bb.531:                              ;   in Loop: Header=BB48_434 Depth=1
	v_add_f64 v[6:7], v[14:15], v[14:15]
; %bb.532:                              ;   in Loop: Header=BB48_434 Depth=1
	s_or_b64 exec, exec, s[8:9]
                                        ; implicit-def: $vgpr16_vgpr17
.LBB48_533:                             ;   in Loop: Header=BB48_434 Depth=1
	s_andn2_saveexec_b64 s[6:7], s[6:7]
	s_cbranch_execz .LBB48_535
; %bb.534:                              ;   in Loop: Header=BB48_434 Depth=1
	s_waitcnt lgkmcnt(0)
	v_add_f64 v[6:7], v[16:17], v[16:17]
	v_mov_b32_e32 v8, 0
	v_mov_b32_e32 v9, 0xfff00000
.LBB48_535:                             ;   in Loop: Header=BB48_434 Depth=1
	s_or_b64 exec, exec, s[6:7]
.LBB48_536:                             ;   in Loop: Header=BB48_434 Depth=1
	s_or_b64 exec, exec, s[4:5]
	v_cmp_o_f64_e32 vcc, v[18:19], v[20:21]
	v_mov_b32_e32 v15, s13
	v_mov_b32_e32 v14, s12
	flat_store_dwordx2 v[14:15], v[22:23]
	s_waitcnt vmcnt(0)
                                        ; implicit-def: $vgpr16_vgpr17
	s_and_saveexec_b64 s[4:5], vcc
	s_xor_b64 s[58:59], exec, s[4:5]
	s_cbranch_execz .LBB48_624
; %bb.537:                              ;   in Loop: Header=BB48_434 Depth=1
	v_max_f64 v[38:39], |v[20:21]|, |v[20:21]|
	v_max_f64 v[40:41], |v[18:19]|, |v[18:19]|
	v_cmp_gt_i64_e64 s[4:5], 0, v[20:21]
                                        ; implicit-def: $vgpr16_vgpr17
	v_max_f64 v[36:37], v[40:41], v[38:39]
	v_cmp_nlt_f64_e32 vcc, s[54:55], v[36:37]
	s_and_saveexec_b64 s[6:7], vcc
	s_xor_b64 s[64:65], exec, s[6:7]
	s_cbranch_execz .LBB48_613
; %bb.538:                              ;   in Loop: Header=BB48_434 Depth=1
	v_cmp_neq_f64_e32 vcc, 1.0, v[18:19]
	v_cmp_neq_f64_e64 s[6:7], 0, v[20:21]
	v_xor_b32_e32 v17, 0x80000000, v21
	v_mov_b32_e32 v16, v20
	s_or_b64 s[6:7], vcc, s[6:7]
	s_and_saveexec_b64 s[8:9], s[6:7]
	s_xor_b64 s[20:21], exec, s[8:9]
	s_cbranch_execz .LBB48_610
; %bb.539:                              ;   in Loop: Header=BB48_434 Depth=1
	v_mov_b32_e32 v14, s16
	v_mov_b32_e32 v15, s17
	flat_store_dword v[14:15], v53
	s_waitcnt vmcnt(0)
	flat_load_dword v14, v[14:15] glc
	s_waitcnt vmcnt(0)
	s_mov_b32 s8, 0x1409212f
	s_mov_b32 s9, 0x3e43988e
	v_cmp_nlt_f64_e64 s[6:7], |v[18:19]|, s[8:9]
	v_cmp_nlt_f64_e64 s[8:9], |v[20:21]|, s[8:9]
	s_or_b64 s[6:7], s[6:7], s[8:9]
	s_waitcnt lgkmcnt(0)
	v_add_f32_e32 v16, 1.0, v14
	v_mov_b32_e32 v14, s18
	v_mov_b32_e32 v15, s19
	flat_store_dword v[14:15], v16
	s_waitcnt vmcnt(0)
	flat_load_dword v14, v[14:15] glc
	s_waitcnt vmcnt(0)
	v_mov_b32_e32 v16, v20
	s_and_saveexec_b64 s[8:9], s[6:7]
	s_xor_b64 s[48:49], exec, s[8:9]
	s_cbranch_execz .LBB48_607
; %bb.540:                              ;   in Loop: Header=BB48_434 Depth=1
	v_add_f64 v[36:37], |v[18:19]|, 1.0
	s_waitcnt lgkmcnt(0)
	v_add_f64 v[14:15], |v[18:19]|, -1.0
	v_max_f64 v[16:17], v[38:39], v[36:37]
	v_max_f64 v[38:39], v[38:39], |v[14:15]|
	v_frexp_exp_i32_f64_e32 v66, v[16:17]
	v_frexp_exp_i32_f64_e32 v67, v[38:39]
	v_sub_u32_e32 v40, 0, v66
	v_sub_u32_e32 v42, 0, v67
	v_ldexp_f64 v[16:17], v[36:37], v40
	v_ldexp_f64 v[38:39], |v[14:15]|, v42
	v_ldexp_f64 v[40:41], |v[20:21]|, v40
	;; [unrolled: 1-line block ×3, first 2 shown]
	v_mul_f64 v[16:17], v[16:17], v[16:17]
	v_mul_f64 v[38:39], v[38:39], v[38:39]
	v_fma_f64 v[16:17], v[40:41], v[40:41], v[16:17]
	v_fma_f64 v[38:39], v[42:43], v[42:43], v[38:39]
	v_rsq_f64_e32 v[40:41], v[16:17]
	v_rsq_f64_e32 v[42:43], v[38:39]
	v_cmp_eq_f64_e32 vcc, 0, v[16:17]
	v_cmp_eq_f64_e64 s[6:7], 0, v[38:39]
	v_mul_f64 v[44:45], v[16:17], v[40:41]
	v_mul_f64 v[40:41], v[40:41], 0.5
	v_mul_f64 v[46:47], v[38:39], v[42:43]
	v_mul_f64 v[42:43], v[42:43], 0.5
	v_fma_f64 v[48:49], -v[40:41], v[44:45], 0.5
	v_fma_f64 v[50:51], -v[42:43], v[46:47], 0.5
	v_fma_f64 v[44:45], v[44:45], v[48:49], v[44:45]
	v_fma_f64 v[40:41], v[40:41], v[48:49], v[40:41]
	;; [unrolled: 1-line block ×4, first 2 shown]
	v_fma_f64 v[48:49], -v[44:45], v[44:45], v[16:17]
	v_fma_f64 v[50:51], -v[46:47], v[46:47], v[38:39]
	v_fma_f64 v[40:41], v[48:49], v[40:41], v[44:45]
	v_fma_f64 v[42:43], v[50:51], v[42:43], v[46:47]
	v_cndmask_b32_e32 v17, v41, v17, vcc
	v_cndmask_b32_e32 v16, v40, v16, vcc
	v_cndmask_b32_e64 v39, v43, v39, s[6:7]
	v_cndmask_b32_e64 v38, v42, v38, s[6:7]
	v_ldexp_f64 v[16:17], v[16:17], v66
	v_cmp_neq_f64_e32 vcc, s[56:57], v[36:37]
	v_ldexp_f64 v[38:39], v[38:39], v67
	v_cmp_neq_f64_e64 s[6:7], |v[14:15]|, s[56:57]
	v_cndmask_b32_e32 v43, v55, v17, vcc
	v_cndmask_b32_e32 v42, 0, v16, vcc
	v_cndmask_b32_e64 v41, v55, v39, s[6:7]
	v_cndmask_b32_e64 v40, 0, v38, s[6:7]
	v_add_f64 v[16:17], v[42:43], v[40:41]
	s_mov_b32 s6, 0
	s_mov_b32 s7, 0x40240000
	v_mul_f64 v[16:17], v[16:17], 0.5
	v_cmp_ngt_f64_e32 vcc, 1.0, v[16:17]
	v_cndmask_b32_e32 v39, v56, v17, vcc
	v_cndmask_b32_e32 v38, 0, v16, vcc
	v_cmp_ngt_f64_e32 vcc, s[6:7], v[38:39]
                                        ; implicit-def: $vgpr16_vgpr17
	s_and_saveexec_b64 s[6:7], vcc
	s_xor_b64 s[6:7], exec, s[6:7]
	s_cbranch_execz .LBB48_542
; %bb.541:                              ;   in Loop: Header=BB48_434 Depth=1
	v_fma_f64 v[16:17], v[38:39], v[38:39], -1.0
	s_mov_b32 s8, 0
	s_brev_b32 s9, 8
	s_mov_b32 s23, s63
	v_cmp_gt_f64_e32 vcc, s[8:9], v[16:17]
	v_cndmask_b32_e32 v44, 0, v57, vcc
	v_ldexp_f64 v[16:17], v[16:17], v44
	v_rsq_f64_e32 v[44:45], v[16:17]
	v_mul_f64 v[46:47], v[16:17], v[44:45]
	v_mul_f64 v[44:45], v[44:45], 0.5
	v_fma_f64 v[48:49], -v[44:45], v[46:47], 0.5
	v_fma_f64 v[46:47], v[46:47], v[48:49], v[46:47]
	v_fma_f64 v[44:45], v[44:45], v[48:49], v[44:45]
	v_fma_f64 v[48:49], -v[46:47], v[46:47], v[16:17]
	v_fma_f64 v[46:47], v[48:49], v[44:45], v[46:47]
	v_fma_f64 v[48:49], -v[46:47], v[46:47], v[16:17]
	v_fma_f64 v[44:45], v[48:49], v[44:45], v[46:47]
	v_cndmask_b32_e32 v46, 0, v58, vcc
	v_cmp_class_f64_e32 vcc, v[16:17], v54
	v_ldexp_f64 v[44:45], v[44:45], v46
	v_cndmask_b32_e32 v17, v45, v17, vcc
	v_cndmask_b32_e32 v16, v44, v16, vcc
	v_add_f64 v[16:17], v[38:39], v[16:17]
	v_frexp_mant_f64_e32 v[44:45], v[16:17]
	v_cmp_gt_f64_e32 vcc, s[62:63], v[44:45]
	v_cndmask_b32_e64 v46, 0, 1, vcc
	v_ldexp_f64 v[44:45], v[44:45], v46
	v_add_f64 v[46:47], v[44:45], 1.0
	v_add_f64 v[66:67], v[44:45], -1.0
	v_rcp_f64_e32 v[48:49], v[46:47]
	v_add_f64 v[68:69], v[46:47], -1.0
	v_add_f64 v[44:45], v[44:45], -v[68:69]
	v_fma_f64 v[50:51], -v[46:47], v[48:49], 1.0
	v_fma_f64 v[48:49], v[50:51], v[48:49], v[48:49]
	v_fma_f64 v[50:51], -v[46:47], v[48:49], 1.0
	v_fma_f64 v[48:49], v[50:51], v[48:49], v[48:49]
	v_mul_f64 v[50:51], v[66:67], v[48:49]
	v_mul_f64 v[70:71], v[46:47], v[50:51]
	v_fma_f64 v[46:47], v[50:51], v[46:47], -v[70:71]
	v_fma_f64 v[44:45], v[50:51], v[44:45], v[46:47]
	v_add_f64 v[46:47], v[70:71], v[44:45]
	v_add_f64 v[68:69], v[66:67], -v[46:47]
	v_add_f64 v[70:71], v[46:47], -v[70:71]
	;; [unrolled: 1-line block ×5, first 2 shown]
	v_add_f64 v[44:45], v[44:45], v[46:47]
	v_add_f64 v[44:45], v[68:69], v[44:45]
	v_mul_f64 v[44:45], v[48:49], v[44:45]
	v_add_f64 v[46:47], v[50:51], v[44:45]
	v_mul_f64 v[48:49], v[46:47], v[46:47]
	v_fma_f64 v[66:67], v[48:49], s[24:25], v[26:27]
	v_mul_f64 v[68:69], v[46:47], v[48:49]
	v_fma_f64 v[66:67], v[48:49], v[66:67], s[26:27]
	v_fma_f64 v[66:67], v[48:49], v[66:67], s[28:29]
	;; [unrolled: 1-line block ×5, first 2 shown]
	v_ldexp_f64 v[66:67], v[46:47], 1
	v_add_f64 v[46:47], v[46:47], -v[50:51]
	v_mul_f64 v[48:49], v[68:69], v[48:49]
	v_frexp_exp_i32_f64_e32 v68, v[16:17]
	v_add_f64 v[44:45], v[44:45], -v[46:47]
	v_add_f64 v[50:51], v[66:67], v[48:49]
	v_subbrev_co_u32_e32 v68, vcc, 0, v68, vcc
	v_cvt_f64_i32_e32 v[68:69], v68
	v_ldexp_f64 v[44:45], v[44:45], 1
	v_cmp_class_f64_e64 vcc, v[16:17], s83
	v_mul_f64 v[70:71], v[68:69], s[36:37]
	v_add_f64 v[46:47], v[50:51], -v[66:67]
	v_fma_f64 v[66:67], v[68:69], s[36:37], -v[70:71]
	v_add_f64 v[46:47], v[48:49], -v[46:47]
	v_fma_f64 v[48:49], v[68:69], s[38:39], v[66:67]
	v_add_f64 v[44:45], v[44:45], v[46:47]
	v_add_f64 v[46:47], v[70:71], v[48:49]
	;; [unrolled: 1-line block ×3, first 2 shown]
	v_add_f64 v[70:71], v[46:47], -v[70:71]
	v_add_f64 v[68:69], v[46:47], v[66:67]
	v_add_f64 v[50:51], v[66:67], -v[50:51]
	v_add_f64 v[48:49], v[48:49], -v[70:71]
	;; [unrolled: 1-line block ×6, first 2 shown]
	v_add_f64 v[66:67], v[48:49], v[44:45]
	v_add_f64 v[46:47], v[46:47], -v[74:75]
	v_add_f64 v[46:47], v[50:51], v[46:47]
	v_add_f64 v[50:51], v[66:67], -v[48:49]
	;; [unrolled: 2-line block ×3, first 2 shown]
	v_add_f64 v[44:45], v[44:45], -v[50:51]
	v_add_f64 v[70:71], v[68:69], v[46:47]
	v_add_f64 v[48:49], v[48:49], -v[66:67]
	v_add_f64 v[50:51], v[70:71], -v[68:69]
	v_add_f64 v[44:45], v[44:45], v[48:49]
	v_add_f64 v[46:47], v[46:47], -v[50:51]
	v_add_f64 v[44:45], v[44:45], v[46:47]
	v_add_f64 v[44:45], v[70:71], v[44:45]
	v_cndmask_b32_e32 v44, v44, v16, vcc
	v_cndmask_b32_e32 v45, v45, v17, vcc
	v_cmp_neq_f64_e32 vcc, 0, v[16:17]
	v_cndmask_b32_e32 v17, v59, v45, vcc
	v_cndmask_b32_e32 v16, 0, v44, vcc
.LBB48_542:                             ;   in Loop: Header=BB48_434 Depth=1
	s_or_saveexec_b64 s[8:9], s[6:7]
	v_and_b32_e32 v45, 0x7fffffff, v21
	v_mov_b32_e32 v44, v20
	s_xor_b64 exec, exec, s[8:9]
	s_cbranch_execz .LBB48_564
; %bb.543:                              ;   in Loop: Header=BB48_434 Depth=1
	s_mov_b32 s66, 0
	s_mov_b32 s67, 0x39000000
	v_cmp_neq_f64_e64 s[6:7], |v[18:19]|, 1.0
	v_cmp_nlt_f64_e64 s[66:67], |v[20:21]|, s[66:67]
                                        ; implicit-def: $vgpr16_vgpr17
	s_or_b64 s[6:7], s[6:7], s[66:67]
	s_and_saveexec_b64 s[66:67], s[6:7]
	s_xor_b64 s[66:67], exec, s[66:67]
	s_cbranch_execz .LBB48_561
; %bb.544:                              ;   in Loop: Header=BB48_434 Depth=1
	s_movk_i32 s6, 0xffcc
	v_ldexp_f64 v[16:17], |v[14:15]|, s6
	v_cmp_ge_f64_e64 s[6:7], |v[20:21]|, v[16:17]
                                        ; implicit-def: $vgpr16_vgpr17
	s_and_saveexec_b64 s[68:69], s[6:7]
	s_xor_b64 s[68:69], exec, s[68:69]
	s_cbranch_execz .LBB48_554
; %bb.545:                              ;   in Loop: Header=BB48_434 Depth=1
	v_cmp_neq_f64_e32 vcc, 0, v[36:37]
	v_mov_b32_e32 v16, v44
	v_mov_b32_e32 v17, v45
	s_and_saveexec_b64 s[6:7], vcc
	s_cbranch_execz .LBB48_547
; %bb.546:                              ;   in Loop: Header=BB48_434 Depth=1
	v_mul_f64 v[16:17], v[20:21], v[20:21]
	v_add_f64 v[46:47], v[36:37], v[42:43]
	v_div_scale_f64 v[48:49], s[70:71], v[46:47], v[46:47], v[16:17]
	v_div_scale_f64 v[68:69], vcc, v[16:17], v[46:47], v[16:17]
	v_rcp_f64_e32 v[50:51], v[48:49]
	v_fma_f64 v[66:67], -v[48:49], v[50:51], 1.0
	v_fma_f64 v[50:51], v[50:51], v[66:67], v[50:51]
	v_fma_f64 v[66:67], -v[48:49], v[50:51], 1.0
	v_fma_f64 v[50:51], v[50:51], v[66:67], v[50:51]
	v_mul_f64 v[66:67], v[68:69], v[50:51]
	v_fma_f64 v[48:49], -v[48:49], v[66:67], v[68:69]
	v_div_fmas_f64 v[48:49], v[48:49], v[50:51], v[66:67]
	v_div_fixup_f64 v[16:17], v[48:49], v[46:47], v[16:17]
.LBB48_547:                             ;   in Loop: Header=BB48_434 Depth=1
	s_or_b64 exec, exec, s[6:7]
	v_add_f64 v[48:49], -|v[18:19]|, 1.0
                                        ; implicit-def: $vgpr46_vgpr47
	v_cmp_ngt_f64_e32 vcc, 0, v[48:49]
	s_and_saveexec_b64 s[6:7], vcc
	s_xor_b64 s[6:7], exec, s[6:7]
	s_cbranch_execz .LBB48_551
; %bb.548:                              ;   in Loop: Header=BB48_434 Depth=1
	v_cmp_neq_f64_e32 vcc, 0, v[48:49]
	v_mov_b32_e32 v47, v45
	v_mov_b32_e32 v46, v44
	s_and_saveexec_b64 s[70:71], vcc
	s_cbranch_execz .LBB48_550
; %bb.549:                              ;   in Loop: Header=BB48_434 Depth=1
	v_mul_f64 v[46:47], v[20:21], v[20:21]
	v_add_f64 v[48:49], v[48:49], v[40:41]
	v_div_scale_f64 v[50:51], s[72:73], v[48:49], v[48:49], v[46:47]
	v_div_scale_f64 v[70:71], vcc, v[46:47], v[48:49], v[46:47]
	v_rcp_f64_e32 v[66:67], v[50:51]
	v_fma_f64 v[68:69], -v[50:51], v[66:67], 1.0
	v_fma_f64 v[66:67], v[66:67], v[68:69], v[66:67]
	v_fma_f64 v[68:69], -v[50:51], v[66:67], 1.0
	v_fma_f64 v[66:67], v[66:67], v[68:69], v[66:67]
	v_mul_f64 v[68:69], v[70:71], v[66:67]
	v_fma_f64 v[50:51], -v[50:51], v[68:69], v[70:71]
	v_div_fmas_f64 v[50:51], v[50:51], v[66:67], v[68:69]
	v_div_fixup_f64 v[46:47], v[50:51], v[48:49], v[46:47]
.LBB48_550:                             ;   in Loop: Header=BB48_434 Depth=1
	s_or_b64 exec, exec, s[70:71]
	s_mov_b32 s72, 0xb5e68a13
	s_mov_b32 s73, 0x3eeba404
                                        ; implicit-def: $vgpr48_vgpr49
.LBB48_551:                             ;   in Loop: Header=BB48_434 Depth=1
	s_andn2_saveexec_b64 s[6:7], s[6:7]
; %bb.552:                              ;   in Loop: Header=BB48_434 Depth=1
	v_add_f64 v[46:47], v[40:41], -v[48:49]
; %bb.553:                              ;   in Loop: Header=BB48_434 Depth=1
	s_or_b64 exec, exec, s[6:7]
	v_mul_f64 v[46:47], v[46:47], 0.5
	s_mov_b32 s6, 0
	s_brev_b32 s7, 8
	s_mov_b32 s23, s63
	v_fma_f64 v[16:17], v[16:17], 0.5, v[46:47]
	v_add_f64 v[46:47], v[38:39], 1.0
	v_mul_f64 v[46:47], v[46:47], v[16:17]
	v_cmp_gt_f64_e32 vcc, s[6:7], v[46:47]
	v_cndmask_b32_e32 v48, 0, v57, vcc
	v_ldexp_f64 v[46:47], v[46:47], v48
	v_rsq_f64_e32 v[48:49], v[46:47]
	v_mul_f64 v[50:51], v[46:47], v[48:49]
	v_mul_f64 v[48:49], v[48:49], 0.5
	v_fma_f64 v[66:67], -v[48:49], v[50:51], 0.5
	v_fma_f64 v[50:51], v[50:51], v[66:67], v[50:51]
	v_fma_f64 v[48:49], v[48:49], v[66:67], v[48:49]
	v_fma_f64 v[68:69], -v[50:51], v[50:51], v[46:47]
	v_fma_f64 v[50:51], v[68:69], v[48:49], v[50:51]
	v_fma_f64 v[66:67], -v[50:51], v[50:51], v[46:47]
	v_fma_f64 v[48:49], v[66:67], v[48:49], v[50:51]
	v_cndmask_b32_e32 v50, 0, v58, vcc
	v_cmp_class_f64_e32 vcc, v[46:47], v54
	v_ldexp_f64 v[48:49], v[48:49], v50
	v_cndmask_b32_e32 v47, v49, v47, vcc
	v_cndmask_b32_e32 v46, v48, v46, vcc
	v_add_f64 v[46:47], v[16:17], v[46:47]
	v_add_f64 v[16:17], v[46:47], 1.0
	v_cmp_ngt_f64_e64 s[6:7], -1.0, v[46:47]
	v_add_f64 v[48:49], v[16:17], -1.0
	v_frexp_exp_i32_f64_e32 v66, v[16:17]
	v_add_f64 v[50:51], v[48:49], -v[16:17]
	v_add_f64 v[48:49], v[46:47], -v[48:49]
	v_add_f64 v[50:51], v[50:51], 1.0
	v_add_f64 v[48:49], v[48:49], v[50:51]
	v_frexp_mant_f64_e32 v[50:51], v[16:17]
	v_cmp_gt_f64_e32 vcc, s[62:63], v[50:51]
	v_subbrev_co_u32_e32 v80, vcc, 0, v66, vcc
	v_sub_u32_e32 v50, 0, v80
	v_ldexp_f64 v[16:17], v[16:17], v50
	v_ldexp_f64 v[48:49], v[48:49], v50
	v_cmp_neq_f64_e32 vcc, s[56:57], v[46:47]
	v_add_f64 v[50:51], v[16:17], -1.0
	v_add_f64 v[66:67], v[50:51], 1.0
	v_add_f64 v[66:67], v[16:17], -v[66:67]
	v_add_f64 v[66:67], v[48:49], v[66:67]
	v_add_f64 v[68:69], v[50:51], v[66:67]
	v_add_f64 v[50:51], v[68:69], -v[50:51]
	v_add_f64 v[50:51], v[66:67], -v[50:51]
	v_add_f64 v[66:67], v[16:17], 1.0
	v_add_f64 v[70:71], v[66:67], -1.0
	v_add_f64 v[16:17], v[16:17], -v[70:71]
	v_add_f64 v[16:17], v[48:49], v[16:17]
	v_add_f64 v[48:49], v[66:67], v[16:17]
	v_add_f64 v[66:67], v[48:49], -v[66:67]
	v_add_f64 v[16:17], v[16:17], -v[66:67]
	v_rcp_f64_e32 v[66:67], v[48:49]
	v_fma_f64 v[70:71], -v[48:49], v[66:67], 1.0
	v_fma_f64 v[66:67], v[70:71], v[66:67], v[66:67]
	v_fma_f64 v[70:71], -v[48:49], v[66:67], 1.0
	v_fma_f64 v[66:67], v[70:71], v[66:67], v[66:67]
	v_mul_f64 v[70:71], v[68:69], v[66:67]
	v_mul_f64 v[72:73], v[48:49], v[70:71]
	v_fma_f64 v[74:75], v[70:71], v[48:49], -v[72:73]
	v_fma_f64 v[74:75], v[70:71], v[16:17], v[74:75]
	v_add_f64 v[76:77], v[72:73], v[74:75]
	v_add_f64 v[78:79], v[68:69], -v[76:77]
	v_add_f64 v[72:73], v[76:77], -v[72:73]
	v_add_f64 v[68:69], v[68:69], -v[78:79]
	v_add_f64 v[68:69], v[68:69], -v[76:77]
	v_add_f64 v[50:51], v[50:51], v[68:69]
	v_add_f64 v[68:69], v[72:73], -v[74:75]
	v_add_f64 v[50:51], v[68:69], v[50:51]
	v_add_f64 v[68:69], v[78:79], v[50:51]
	v_add_f64 v[72:73], v[78:79], -v[68:69]
	v_add_f64 v[50:51], v[50:51], v[72:73]
	v_mul_f64 v[72:73], v[66:67], v[68:69]
	v_mul_f64 v[74:75], v[48:49], v[72:73]
	v_fma_f64 v[48:49], v[72:73], v[48:49], -v[74:75]
	v_fma_f64 v[16:17], v[72:73], v[16:17], v[48:49]
	v_add_f64 v[48:49], v[74:75], v[16:17]
	v_add_f64 v[76:77], v[68:69], -v[48:49]
	v_add_f64 v[74:75], v[48:49], -v[74:75]
	;; [unrolled: 1-line block ×5, first 2 shown]
	v_cvt_f64_i32_e32 v[68:69], v80
	v_add_f64 v[48:49], v[50:51], v[48:49]
	v_add_f64 v[16:17], v[16:17], v[48:49]
	;; [unrolled: 1-line block ×4, first 2 shown]
	v_add_f64 v[50:51], v[48:49], -v[70:71]
	v_mul_f64 v[70:71], v[68:69], s[36:37]
	v_mul_f64 v[16:17], v[66:67], v[16:17]
	v_add_f64 v[50:51], v[72:73], -v[50:51]
	v_fma_f64 v[72:73], v[68:69], s[36:37], -v[70:71]
	v_add_f64 v[16:17], v[50:51], v[16:17]
	v_fma_f64 v[68:69], v[68:69], s[38:39], v[72:73]
	v_add_f64 v[50:51], v[48:49], v[16:17]
	v_add_f64 v[72:73], v[70:71], v[68:69]
	v_add_f64 v[48:49], v[50:51], -v[48:49]
	v_add_f64 v[70:71], v[72:73], -v[70:71]
	;; [unrolled: 1-line block ×3, first 2 shown]
	v_mul_f64 v[48:49], v[50:51], v[50:51]
	v_add_f64 v[68:69], v[68:69], -v[70:71]
	v_ldexp_f64 v[70:71], v[50:51], 1
	v_ldexp_f64 v[16:17], v[16:17], 1
	v_fma_f64 v[66:67], v[48:49], s[24:25], v[26:27]
	v_fma_f64 v[66:67], v[48:49], v[66:67], s[26:27]
	;; [unrolled: 1-line block ×6, first 2 shown]
	v_mul_f64 v[48:49], v[50:51], v[48:49]
	v_mul_f64 v[48:49], v[48:49], v[66:67]
	v_add_f64 v[50:51], v[70:71], v[48:49]
	v_add_f64 v[66:67], v[50:51], -v[70:71]
	v_add_f64 v[48:49], v[48:49], -v[66:67]
	v_add_f64 v[16:17], v[16:17], v[48:49]
	v_add_f64 v[48:49], v[50:51], v[16:17]
	v_add_f64 v[50:51], v[48:49], -v[50:51]
	v_add_f64 v[16:17], v[16:17], -v[50:51]
	v_add_f64 v[50:51], v[72:73], v[48:49]
	v_add_f64 v[66:67], v[50:51], -v[72:73]
	v_add_f64 v[70:71], v[50:51], -v[66:67]
	;; [unrolled: 1-line block ×3, first 2 shown]
	v_add_f64 v[66:67], v[68:69], v[16:17]
	v_add_f64 v[70:71], v[72:73], -v[70:71]
	v_add_f64 v[48:49], v[48:49], v[70:71]
	v_add_f64 v[70:71], v[66:67], -v[68:69]
	v_add_f64 v[48:49], v[66:67], v[48:49]
	v_add_f64 v[72:73], v[66:67], -v[70:71]
	v_add_f64 v[16:17], v[16:17], -v[70:71]
	v_add_f64 v[66:67], v[50:51], v[48:49]
	v_add_f64 v[68:69], v[68:69], -v[72:73]
	v_add_f64 v[50:51], v[66:67], -v[50:51]
	v_add_f64 v[16:17], v[16:17], v[68:69]
	v_add_f64 v[48:49], v[48:49], -v[50:51]
	v_add_f64 v[16:17], v[16:17], v[48:49]
	v_add_f64 v[16:17], v[66:67], v[16:17]
	v_cndmask_b32_e32 v17, v55, v17, vcc
	v_cndmask_b32_e64 v17, v60, v17, s[6:7]
	v_cmp_nge_f64_e64 s[6:7], -1.0, v[46:47]
	s_and_b64 vcc, s[6:7], vcc
	v_cndmask_b32_e32 v16, 0, v16, vcc
	v_cmp_neq_f64_e32 vcc, -1.0, v[46:47]
	v_cndmask_b32_e32 v17, v59, v17, vcc
.LBB48_554:                             ;   in Loop: Header=BB48_434 Depth=1
	s_andn2_saveexec_b64 s[68:69], s[68:69]
	s_cbranch_execz .LBB48_560
; %bb.555:                              ;   in Loop: Header=BB48_434 Depth=1
	v_cmp_nlt_f64_e64 s[6:7], |v[18:19]|, 1.0
                                        ; implicit-def: $vgpr16_vgpr17
	s_and_saveexec_b64 s[70:71], s[6:7]
	s_xor_b64 s[70:71], exec, s[70:71]
	s_cbranch_execz .LBB48_557
; %bb.556:                              ;   in Loop: Header=BB48_434 Depth=1
	v_mul_f64 v[16:17], v[14:15], v[36:37]
	s_mov_b32 s6, 0
	s_brev_b32 s7, 8
	s_mov_b32 s23, s63
	v_cmp_gt_f64_e32 vcc, s[6:7], v[16:17]
	v_cndmask_b32_e32 v46, 0, v57, vcc
	v_ldexp_f64 v[16:17], v[16:17], v46
	v_rsq_f64_e32 v[46:47], v[16:17]
	v_mul_f64 v[48:49], v[16:17], v[46:47]
	v_mul_f64 v[46:47], v[46:47], 0.5
	v_fma_f64 v[50:51], -v[46:47], v[48:49], 0.5
	v_fma_f64 v[48:49], v[48:49], v[50:51], v[48:49]
	v_fma_f64 v[46:47], v[46:47], v[50:51], v[46:47]
	v_fma_f64 v[66:67], -v[48:49], v[48:49], v[16:17]
	v_fma_f64 v[48:49], v[66:67], v[46:47], v[48:49]
	v_fma_f64 v[50:51], -v[48:49], v[48:49], v[16:17]
	v_fma_f64 v[46:47], v[50:51], v[46:47], v[48:49]
	v_cndmask_b32_e32 v48, 0, v58, vcc
	v_cmp_class_f64_e32 vcc, v[16:17], v54
	v_ldexp_f64 v[46:47], v[46:47], v48
	v_cndmask_b32_e32 v17, v47, v17, vcc
	v_cndmask_b32_e32 v16, v46, v16, vcc
	v_add_f64 v[46:47], v[14:15], v[16:17]
	v_add_f64 v[16:17], v[46:47], 1.0
	v_cmp_ngt_f64_e64 s[6:7], -1.0, v[46:47]
	v_add_f64 v[48:49], v[16:17], -1.0
	v_frexp_exp_i32_f64_e32 v66, v[16:17]
	v_add_f64 v[50:51], v[48:49], -v[16:17]
	v_add_f64 v[48:49], v[46:47], -v[48:49]
	v_add_f64 v[50:51], v[50:51], 1.0
	v_add_f64 v[48:49], v[48:49], v[50:51]
	v_frexp_mant_f64_e32 v[50:51], v[16:17]
	v_cmp_gt_f64_e32 vcc, s[62:63], v[50:51]
	v_subbrev_co_u32_e32 v80, vcc, 0, v66, vcc
	v_sub_u32_e32 v50, 0, v80
	v_ldexp_f64 v[16:17], v[16:17], v50
	v_ldexp_f64 v[48:49], v[48:49], v50
	v_cmp_neq_f64_e32 vcc, s[56:57], v[46:47]
	v_add_f64 v[50:51], v[16:17], -1.0
	v_add_f64 v[66:67], v[50:51], 1.0
	v_add_f64 v[66:67], v[16:17], -v[66:67]
	v_add_f64 v[66:67], v[48:49], v[66:67]
	v_add_f64 v[68:69], v[50:51], v[66:67]
	v_add_f64 v[50:51], v[68:69], -v[50:51]
	v_add_f64 v[50:51], v[66:67], -v[50:51]
	v_add_f64 v[66:67], v[16:17], 1.0
	v_add_f64 v[70:71], v[66:67], -1.0
	v_add_f64 v[16:17], v[16:17], -v[70:71]
	v_add_f64 v[16:17], v[48:49], v[16:17]
	v_add_f64 v[48:49], v[66:67], v[16:17]
	v_add_f64 v[66:67], v[48:49], -v[66:67]
	v_add_f64 v[16:17], v[16:17], -v[66:67]
	v_rcp_f64_e32 v[66:67], v[48:49]
	v_fma_f64 v[70:71], -v[48:49], v[66:67], 1.0
	v_fma_f64 v[66:67], v[70:71], v[66:67], v[66:67]
	v_fma_f64 v[70:71], -v[48:49], v[66:67], 1.0
	v_fma_f64 v[66:67], v[70:71], v[66:67], v[66:67]
	v_mul_f64 v[70:71], v[68:69], v[66:67]
	v_mul_f64 v[72:73], v[48:49], v[70:71]
	v_fma_f64 v[74:75], v[70:71], v[48:49], -v[72:73]
	v_fma_f64 v[74:75], v[70:71], v[16:17], v[74:75]
	v_add_f64 v[76:77], v[72:73], v[74:75]
	v_add_f64 v[78:79], v[68:69], -v[76:77]
	v_add_f64 v[72:73], v[76:77], -v[72:73]
	v_add_f64 v[68:69], v[68:69], -v[78:79]
	v_add_f64 v[68:69], v[68:69], -v[76:77]
	v_add_f64 v[50:51], v[50:51], v[68:69]
	v_add_f64 v[68:69], v[72:73], -v[74:75]
	v_add_f64 v[50:51], v[68:69], v[50:51]
	v_add_f64 v[68:69], v[78:79], v[50:51]
	v_add_f64 v[72:73], v[78:79], -v[68:69]
	v_add_f64 v[50:51], v[50:51], v[72:73]
	v_mul_f64 v[72:73], v[66:67], v[68:69]
	v_mul_f64 v[74:75], v[48:49], v[72:73]
	v_fma_f64 v[48:49], v[72:73], v[48:49], -v[74:75]
	v_fma_f64 v[16:17], v[72:73], v[16:17], v[48:49]
	v_add_f64 v[48:49], v[74:75], v[16:17]
	v_add_f64 v[76:77], v[68:69], -v[48:49]
	v_add_f64 v[74:75], v[48:49], -v[74:75]
	;; [unrolled: 1-line block ×5, first 2 shown]
	v_cvt_f64_i32_e32 v[68:69], v80
	v_add_f64 v[48:49], v[50:51], v[48:49]
	v_add_f64 v[16:17], v[16:17], v[48:49]
	;; [unrolled: 1-line block ×4, first 2 shown]
	v_add_f64 v[50:51], v[48:49], -v[70:71]
	v_mul_f64 v[70:71], v[68:69], s[36:37]
	v_mul_f64 v[16:17], v[66:67], v[16:17]
	v_add_f64 v[50:51], v[72:73], -v[50:51]
	v_fma_f64 v[72:73], v[68:69], s[36:37], -v[70:71]
	v_add_f64 v[16:17], v[50:51], v[16:17]
	v_fma_f64 v[68:69], v[68:69], s[38:39], v[72:73]
	v_add_f64 v[50:51], v[48:49], v[16:17]
	v_add_f64 v[72:73], v[70:71], v[68:69]
	v_add_f64 v[48:49], v[50:51], -v[48:49]
	v_add_f64 v[70:71], v[72:73], -v[70:71]
	;; [unrolled: 1-line block ×3, first 2 shown]
	v_mul_f64 v[48:49], v[50:51], v[50:51]
	v_add_f64 v[68:69], v[68:69], -v[70:71]
	v_ldexp_f64 v[70:71], v[50:51], 1
	v_ldexp_f64 v[16:17], v[16:17], 1
	v_fma_f64 v[66:67], v[48:49], s[24:25], v[26:27]
	v_fma_f64 v[66:67], v[48:49], v[66:67], s[26:27]
	;; [unrolled: 1-line block ×6, first 2 shown]
	v_mul_f64 v[48:49], v[50:51], v[48:49]
	v_mul_f64 v[48:49], v[48:49], v[66:67]
	v_add_f64 v[50:51], v[70:71], v[48:49]
	v_add_f64 v[66:67], v[50:51], -v[70:71]
	v_add_f64 v[48:49], v[48:49], -v[66:67]
	v_add_f64 v[16:17], v[16:17], v[48:49]
	v_add_f64 v[48:49], v[50:51], v[16:17]
	v_add_f64 v[50:51], v[48:49], -v[50:51]
	v_add_f64 v[16:17], v[16:17], -v[50:51]
	v_add_f64 v[50:51], v[72:73], v[48:49]
	v_add_f64 v[66:67], v[50:51], -v[72:73]
	v_add_f64 v[70:71], v[50:51], -v[66:67]
	;; [unrolled: 1-line block ×3, first 2 shown]
	v_add_f64 v[66:67], v[68:69], v[16:17]
	v_add_f64 v[70:71], v[72:73], -v[70:71]
	v_add_f64 v[48:49], v[48:49], v[70:71]
	v_add_f64 v[70:71], v[66:67], -v[68:69]
	;; [unrolled: 2-line block ×3, first 2 shown]
	v_add_f64 v[16:17], v[16:17], -v[70:71]
	v_add_f64 v[66:67], v[50:51], v[48:49]
	v_add_f64 v[68:69], v[68:69], -v[72:73]
	v_add_f64 v[50:51], v[66:67], -v[50:51]
	v_add_f64 v[16:17], v[16:17], v[68:69]
	v_add_f64 v[48:49], v[48:49], -v[50:51]
	v_add_f64 v[16:17], v[16:17], v[48:49]
	v_add_f64 v[16:17], v[66:67], v[16:17]
	v_cndmask_b32_e32 v17, v55, v17, vcc
	v_cndmask_b32_e64 v17, v60, v17, s[6:7]
	v_cmp_nge_f64_e64 s[6:7], -1.0, v[46:47]
	s_and_b64 vcc, s[6:7], vcc
	v_cndmask_b32_e32 v16, 0, v16, vcc
	v_cmp_neq_f64_e32 vcc, -1.0, v[46:47]
	v_cndmask_b32_e32 v17, v59, v17, vcc
.LBB48_557:                             ;   in Loop: Header=BB48_434 Depth=1
	s_andn2_saveexec_b64 s[6:7], s[70:71]
	s_cbranch_execz .LBB48_559
; %bb.558:                              ;   in Loop: Header=BB48_434 Depth=1
	v_add_f64 v[16:17], -|v[18:19]|, 1.0
	s_mov_b32 s70, 0
	s_brev_b32 s71, 8
	v_mul_f64 v[16:17], v[16:17], v[36:37]
	v_cmp_gt_f64_e32 vcc, s[70:71], v[16:17]
	v_cndmask_b32_e32 v46, 0, v57, vcc
	v_ldexp_f64 v[16:17], v[16:17], v46
	v_rsq_f64_e32 v[46:47], v[16:17]
	v_mul_f64 v[48:49], v[16:17], v[46:47]
	v_mul_f64 v[46:47], v[46:47], 0.5
	v_fma_f64 v[50:51], -v[46:47], v[48:49], 0.5
	v_fma_f64 v[48:49], v[48:49], v[50:51], v[48:49]
	v_fma_f64 v[46:47], v[46:47], v[50:51], v[46:47]
	v_fma_f64 v[50:51], -v[48:49], v[48:49], v[16:17]
	v_fma_f64 v[48:49], v[50:51], v[46:47], v[48:49]
	v_fma_f64 v[50:51], -v[48:49], v[48:49], v[16:17]
	v_fma_f64 v[46:47], v[50:51], v[46:47], v[48:49]
	v_cndmask_b32_e32 v48, 0, v58, vcc
	v_cmp_class_f64_e32 vcc, v[16:17], v54
	v_mov_b32_e32 v49, v45
	v_ldexp_f64 v[46:47], v[46:47], v48
	v_mov_b32_e32 v48, v20
	v_cndmask_b32_e32 v17, v47, v17, vcc
	v_cndmask_b32_e32 v16, v46, v16, vcc
	v_div_scale_f64 v[46:47], s[70:71], v[16:17], v[16:17], v[48:49]
	v_div_scale_f64 v[48:49], vcc, v[48:49], v[16:17], v[48:49]
	v_rcp_f64_e32 v[50:51], v[46:47]
	v_fma_f64 v[66:67], -v[46:47], v[50:51], 1.0
	v_fma_f64 v[50:51], v[50:51], v[66:67], v[50:51]
	v_fma_f64 v[66:67], -v[46:47], v[50:51], 1.0
	v_fma_f64 v[50:51], v[50:51], v[66:67], v[50:51]
	v_mul_f64 v[66:67], v[48:49], v[50:51]
	v_fma_f64 v[46:47], -v[46:47], v[66:67], v[48:49]
	v_div_fmas_f64 v[46:47], v[46:47], v[50:51], v[66:67]
	v_div_fixup_f64 v[16:17], v[46:47], v[16:17], |v[20:21]|
.LBB48_559:                             ;   in Loop: Header=BB48_434 Depth=1
	s_or_b64 exec, exec, s[6:7]
.LBB48_560:                             ;   in Loop: Header=BB48_434 Depth=1
	s_or_b64 exec, exec, s[68:69]
.LBB48_561:                             ;   in Loop: Header=BB48_434 Depth=1
	s_andn2_saveexec_b64 s[6:7], s[66:67]
	s_cbranch_execz .LBB48_563
; %bb.562:                              ;   in Loop: Header=BB48_434 Depth=1
	s_mov_b32 s66, 0
	s_brev_b32 s67, 8
	v_cmp_lt_f64_e64 vcc, |v[20:21]|, s[66:67]
	v_cndmask_b32_e32 v16, 0, v57, vcc
	v_ldexp_f64 v[16:17], |v[20:21]|, v16
	v_rsq_f64_e32 v[46:47], v[16:17]
	v_mul_f64 v[48:49], v[16:17], v[46:47]
	v_mul_f64 v[46:47], v[46:47], 0.5
	v_fma_f64 v[50:51], -v[46:47], v[48:49], 0.5
	v_fma_f64 v[48:49], v[48:49], v[50:51], v[48:49]
	v_fma_f64 v[46:47], v[46:47], v[50:51], v[46:47]
	v_fma_f64 v[50:51], -v[48:49], v[48:49], v[16:17]
	v_fma_f64 v[48:49], v[50:51], v[46:47], v[48:49]
	v_fma_f64 v[50:51], -v[48:49], v[48:49], v[16:17]
	v_fma_f64 v[46:47], v[50:51], v[46:47], v[48:49]
	v_cndmask_b32_e32 v48, 0, v58, vcc
	v_cmp_class_f64_e32 vcc, v[16:17], v54
	v_ldexp_f64 v[46:47], v[46:47], v48
	v_cndmask_b32_e32 v17, v47, v17, vcc
	v_cndmask_b32_e32 v16, v46, v16, vcc
.LBB48_563:                             ;   in Loop: Header=BB48_434 Depth=1
	s_or_b64 exec, exec, s[6:7]
.LBB48_564:                             ;   in Loop: Header=BB48_434 Depth=1
	s_or_b64 exec, exec, s[8:9]
	s_mov_b32 s6, 0
	s_mov_b32 s7, 0x20200000
	v_cmp_nlt_f64_e64 s[8:9], |v[18:19]|, s[6:7]
                                        ; implicit-def: $sgpr6_sgpr7
                                        ; implicit-def: $vgpr46_vgpr47
                                        ; implicit-def: $vgpr50_vgpr51
                                        ; implicit-def: $vgpr48_vgpr49
	s_and_saveexec_b64 s[66:67], s[8:9]
	s_xor_b64 s[8:9], exec, s[66:67]
	s_cbranch_execz .LBB48_588
; %bb.565:                              ;   in Loop: Header=BB48_434 Depth=1
	v_and_b32_e32 v49, 0x7fffffff, v19
	v_mov_b32_e32 v48, v18
	v_div_scale_f64 v[46:47], s[6:7], v[38:39], v[38:39], v[48:49]
	v_div_scale_f64 v[68:69], vcc, v[48:49], v[38:39], v[48:49]
	s_mov_b32 s6, 0x703afb7f
	s_mov_b32 s7, 0x3fe488ce
	v_rcp_f64_e32 v[50:51], v[46:47]
	v_fma_f64 v[66:67], -v[46:47], v[50:51], 1.0
	v_fma_f64 v[50:51], v[50:51], v[66:67], v[50:51]
	v_fma_f64 v[66:67], -v[46:47], v[50:51], 1.0
	v_fma_f64 v[50:51], v[50:51], v[66:67], v[50:51]
	v_mul_f64 v[66:67], v[68:69], v[50:51]
	v_fma_f64 v[46:47], -v[46:47], v[66:67], v[68:69]
	v_div_fmas_f64 v[46:47], v[46:47], v[50:51], v[66:67]
                                        ; implicit-def: $vgpr50_vgpr51
	v_div_fixup_f64 v[46:47], v[46:47], v[38:39], |v[18:19]|
	v_cmp_lt_f64_e32 vcc, s[6:7], v[46:47]
	s_mov_b64 s[6:7], 0
	s_and_saveexec_b64 s[66:67], vcc
	s_cbranch_execz .LBB48_587
; %bb.566:                              ;   in Loop: Header=BB48_434 Depth=1
	s_mov_b32 s68, 0
	s_mov_b32 s69, 0x3c400000
	v_cmp_neq_f64_e64 s[6:7], |v[18:19]|, 1.0
	v_cmp_nlt_f64_e64 s[68:69], |v[20:21]|, s[68:69]
                                        ; implicit-def: $vgpr50_vgpr51
	s_or_b64 s[6:7], s[6:7], s[68:69]
	s_and_saveexec_b64 s[68:69], s[6:7]
	s_xor_b64 s[6:7], exec, s[68:69]
	s_cbranch_execz .LBB48_584
; %bb.567:                              ;   in Loop: Header=BB48_434 Depth=1
	s_movk_i32 s23, 0xffcc
	v_ldexp_f64 v[50:51], |v[14:15]|, s23
	v_cmp_ge_f64_e64 s[68:69], |v[20:21]|, v[50:51]
                                        ; implicit-def: $vgpr50_vgpr51
	s_and_saveexec_b64 s[70:71], s[68:69]
	s_xor_b64 s[68:69], exec, s[70:71]
	s_cbranch_execz .LBB48_577
; %bb.568:                              ;   in Loop: Header=BB48_434 Depth=1
	v_cmp_neq_f64_e32 vcc, 0, v[36:37]
	v_mov_b32_e32 v51, v45
	v_mov_b32_e32 v50, v44
	s_and_saveexec_b64 s[70:71], vcc
	s_cbranch_execz .LBB48_570
; %bb.569:                              ;   in Loop: Header=BB48_434 Depth=1
	v_mul_f64 v[50:51], v[20:21], v[20:21]
	v_add_f64 v[36:37], v[36:37], v[42:43]
	v_div_scale_f64 v[42:43], s[72:73], v[36:37], v[36:37], v[50:51]
	v_div_scale_f64 v[70:71], vcc, v[50:51], v[36:37], v[50:51]
	v_rcp_f64_e32 v[66:67], v[42:43]
	v_fma_f64 v[68:69], -v[42:43], v[66:67], 1.0
	v_fma_f64 v[66:67], v[66:67], v[68:69], v[66:67]
	v_fma_f64 v[68:69], -v[42:43], v[66:67], 1.0
	v_fma_f64 v[66:67], v[66:67], v[68:69], v[66:67]
	v_mul_f64 v[68:69], v[70:71], v[66:67]
	v_fma_f64 v[42:43], -v[42:43], v[68:69], v[70:71]
	v_div_fmas_f64 v[42:43], v[42:43], v[66:67], v[68:69]
	v_div_fixup_f64 v[50:51], v[42:43], v[36:37], v[50:51]
.LBB48_570:                             ;   in Loop: Header=BB48_434 Depth=1
	s_or_b64 exec, exec, s[70:71]
	v_cmp_ngt_f64_e32 vcc, 0, v[14:15]
	s_and_saveexec_b64 s[70:71], vcc
	s_xor_b64 s[70:71], exec, s[70:71]
	s_cbranch_execz .LBB48_574
; %bb.571:                              ;   in Loop: Header=BB48_434 Depth=1
	v_cmp_neq_f64_e32 vcc, 0, v[14:15]
	s_and_saveexec_b64 s[72:73], vcc
	s_cbranch_execz .LBB48_573
; %bb.572:                              ;   in Loop: Header=BB48_434 Depth=1
	v_mul_f64 v[20:21], v[20:21], v[20:21]
	v_add_f64 v[14:15], v[14:15], v[40:41]
	v_div_scale_f64 v[36:37], vcc, v[14:15], v[14:15], v[20:21]
	v_div_scale_f64 v[44:45], vcc, v[20:21], v[14:15], v[20:21]
	v_rcp_f64_e32 v[40:41], v[36:37]
	v_fma_f64 v[42:43], -v[36:37], v[40:41], 1.0
	v_fma_f64 v[40:41], v[40:41], v[42:43], v[40:41]
	v_fma_f64 v[42:43], -v[36:37], v[40:41], 1.0
	v_fma_f64 v[40:41], v[40:41], v[42:43], v[40:41]
	v_mul_f64 v[42:43], v[44:45], v[40:41]
	v_fma_f64 v[36:37], -v[36:37], v[42:43], v[44:45]
	v_div_fmas_f64 v[36:37], v[36:37], v[40:41], v[42:43]
	v_div_fixup_f64 v[44:45], v[36:37], v[14:15], v[20:21]
.LBB48_573:                             ;   in Loop: Header=BB48_434 Depth=1
	s_or_b64 exec, exec, s[72:73]
                                        ; implicit-def: $vgpr40_vgpr41
                                        ; implicit-def: $vgpr14_vgpr15
.LBB48_574:                             ;   in Loop: Header=BB48_434 Depth=1
	s_andn2_saveexec_b64 s[70:71], s[70:71]
; %bb.575:                              ;   in Loop: Header=BB48_434 Depth=1
	v_add_f64 v[44:45], v[40:41], -v[14:15]
; %bb.576:                              ;   in Loop: Header=BB48_434 Depth=1
	s_or_b64 exec, exec, s[70:71]
	v_mul_f64 v[14:15], v[44:45], 0.5
	v_add_f64 v[20:21], |v[18:19]|, v[38:39]
	s_mov_b32 s70, 0
	s_brev_b32 s71, 8
	v_fma_f64 v[14:15], v[50:51], 0.5, v[14:15]
	v_mul_f64 v[14:15], v[20:21], v[14:15]
	v_cmp_gt_f64_e32 vcc, s[70:71], v[14:15]
	v_cndmask_b32_e32 v20, 0, v57, vcc
	v_ldexp_f64 v[14:15], v[14:15], v20
	v_rsq_f64_e32 v[20:21], v[14:15]
	v_mul_f64 v[36:37], v[14:15], v[20:21]
	v_mul_f64 v[20:21], v[20:21], 0.5
	v_fma_f64 v[38:39], -v[20:21], v[36:37], 0.5
	v_fma_f64 v[36:37], v[36:37], v[38:39], v[36:37]
	v_fma_f64 v[20:21], v[20:21], v[38:39], v[20:21]
	v_fma_f64 v[38:39], -v[36:37], v[36:37], v[14:15]
	v_fma_f64 v[36:37], v[38:39], v[20:21], v[36:37]
	v_fma_f64 v[38:39], -v[36:37], v[36:37], v[14:15]
	v_fma_f64 v[20:21], v[38:39], v[20:21], v[36:37]
	v_cndmask_b32_e32 v36, 0, v58, vcc
	v_cmp_class_f64_e32 vcc, v[14:15], v54
	v_ldexp_f64 v[20:21], v[20:21], v36
                                        ; implicit-def: $vgpr36_vgpr37
	v_cndmask_b32_e32 v51, v21, v15, vcc
	v_cndmask_b32_e32 v50, v20, v14, vcc
                                        ; implicit-def: $vgpr14_vgpr15
.LBB48_577:                             ;   in Loop: Header=BB48_434 Depth=1
	s_andn2_saveexec_b64 s[68:69], s[68:69]
	s_cbranch_execz .LBB48_583
; %bb.578:                              ;   in Loop: Header=BB48_434 Depth=1
	v_cmp_ngt_f64_e64 s[70:71], |v[18:19]|, 1.0
                                        ; implicit-def: $vgpr50_vgpr51
	s_and_saveexec_b64 s[72:73], s[70:71]
	s_xor_b64 s[70:71], exec, s[72:73]
	s_cbranch_execz .LBB48_580
; %bb.579:                              ;   in Loop: Header=BB48_434 Depth=1
	v_add_f64 v[14:15], -|v[18:19]|, 1.0
	s_mov_b32 s72, 0
	s_brev_b32 s73, 8
	v_mul_f64 v[14:15], v[14:15], v[36:37]
	v_cmp_gt_f64_e32 vcc, s[72:73], v[14:15]
	v_cndmask_b32_e32 v20, 0, v57, vcc
	v_ldexp_f64 v[14:15], v[14:15], v20
	v_rsq_f64_e32 v[20:21], v[14:15]
	v_mul_f64 v[36:37], v[14:15], v[20:21]
	v_mul_f64 v[20:21], v[20:21], 0.5
	v_fma_f64 v[38:39], -v[20:21], v[36:37], 0.5
	v_fma_f64 v[36:37], v[36:37], v[38:39], v[36:37]
	v_fma_f64 v[20:21], v[20:21], v[38:39], v[20:21]
	v_fma_f64 v[38:39], -v[36:37], v[36:37], v[14:15]
	v_fma_f64 v[36:37], v[38:39], v[20:21], v[36:37]
	v_fma_f64 v[38:39], -v[36:37], v[36:37], v[14:15]
	v_fma_f64 v[20:21], v[38:39], v[20:21], v[36:37]
	v_cndmask_b32_e32 v36, 0, v58, vcc
	v_cmp_class_f64_e32 vcc, v[14:15], v54
	v_ldexp_f64 v[20:21], v[20:21], v36
                                        ; implicit-def: $vgpr36_vgpr37
	v_cndmask_b32_e32 v51, v21, v15, vcc
	v_cndmask_b32_e32 v50, v20, v14, vcc
                                        ; implicit-def: $vgpr14_vgpr15
.LBB48_580:                             ;   in Loop: Header=BB48_434 Depth=1
	s_andn2_saveexec_b64 s[70:71], s[70:71]
	s_cbranch_execz .LBB48_582
; %bb.581:                              ;   in Loop: Header=BB48_434 Depth=1
	v_mul_f64 v[14:15], v[36:37], v[14:15]
	s_mov_b32 s72, 0
	s_brev_b32 s73, 8
	s_movk_i32 s23, 0x6a
	v_ldexp_f64 v[20:21], |v[20:21]|, s23
	v_ldexp_f64 v[48:49], |v[18:19]|, s23
	v_cmp_gt_f64_e32 vcc, s[72:73], v[14:15]
	v_mul_f64 v[20:21], |v[18:19]|, v[20:21]
	v_cndmask_b32_e32 v36, 0, v57, vcc
	v_ldexp_f64 v[14:15], v[14:15], v36
	v_rsq_f64_e32 v[36:37], v[14:15]
	v_mul_f64 v[38:39], v[14:15], v[36:37]
	v_mul_f64 v[36:37], v[36:37], 0.5
	v_fma_f64 v[40:41], -v[36:37], v[38:39], 0.5
	v_fma_f64 v[38:39], v[38:39], v[40:41], v[38:39]
	v_fma_f64 v[36:37], v[36:37], v[40:41], v[36:37]
	v_fma_f64 v[40:41], -v[38:39], v[38:39], v[14:15]
	v_fma_f64 v[38:39], v[40:41], v[36:37], v[38:39]
	v_fma_f64 v[40:41], -v[38:39], v[38:39], v[14:15]
	v_fma_f64 v[36:37], v[40:41], v[36:37], v[38:39]
	v_cndmask_b32_e32 v38, 0, v58, vcc
	v_cmp_class_f64_e32 vcc, v[14:15], v54
	v_ldexp_f64 v[36:37], v[36:37], v38
	v_cndmask_b32_e32 v15, v37, v15, vcc
	v_cndmask_b32_e32 v14, v36, v14, vcc
	v_div_scale_f64 v[36:37], s[72:73], v[14:15], v[14:15], v[20:21]
	v_rcp_f64_e32 v[38:39], v[36:37]
	v_fma_f64 v[40:41], -v[36:37], v[38:39], 1.0
	v_fma_f64 v[38:39], v[38:39], v[40:41], v[38:39]
	v_div_scale_f64 v[40:41], vcc, v[20:21], v[14:15], v[20:21]
	v_fma_f64 v[42:43], -v[36:37], v[38:39], 1.0
	v_fma_f64 v[38:39], v[38:39], v[42:43], v[38:39]
	v_mul_f64 v[42:43], v[40:41], v[38:39]
	v_fma_f64 v[36:37], -v[36:37], v[42:43], v[40:41]
	v_div_fmas_f64 v[36:37], v[36:37], v[38:39], v[42:43]
	v_div_fixup_f64 v[50:51], v[36:37], v[14:15], v[20:21]
.LBB48_582:                             ;   in Loop: Header=BB48_434 Depth=1
	s_or_b64 exec, exec, s[70:71]
.LBB48_583:                             ;   in Loop: Header=BB48_434 Depth=1
	s_or_b64 exec, exec, s[68:69]
	s_mov_b32 s72, 0xb5e68a13
	s_mov_b32 s73, 0x3eeba404
                                        ; implicit-def: $vgpr38_vgpr39
.LBB48_584:                             ;   in Loop: Header=BB48_434 Depth=1
	s_andn2_saveexec_b64 s[68:69], s[6:7]
	s_cbranch_execz .LBB48_586
; %bb.585:                              ;   in Loop: Header=BB48_434 Depth=1
	v_add_f64 v[14:15], v[38:39], 1.0
	s_mov_b32 s6, 0
	s_brev_b32 s7, 8
	v_cmp_lt_f64_e64 vcc, |v[20:21]|, s[6:7]
	v_mul_f64 v[14:15], v[14:15], 0.5
	v_cndmask_b32_e32 v36, 0, v57, vcc
	v_ldexp_f64 v[20:21], |v[20:21]|, v36
	v_cmp_gt_f64_e64 s[6:7], s[6:7], v[14:15]
	v_cndmask_b32_e64 v36, 0, v57, s[6:7]
	v_ldexp_f64 v[14:15], v[14:15], v36
	v_rsq_f64_e32 v[36:37], v[20:21]
	v_rsq_f64_e32 v[38:39], v[14:15]
	v_mul_f64 v[40:41], v[20:21], v[36:37]
	v_mul_f64 v[36:37], v[36:37], 0.5
	v_mul_f64 v[42:43], v[14:15], v[38:39]
	v_mul_f64 v[38:39], v[38:39], 0.5
	v_fma_f64 v[44:45], -v[36:37], v[40:41], 0.5
	v_fma_f64 v[48:49], -v[38:39], v[42:43], 0.5
	v_fma_f64 v[40:41], v[40:41], v[44:45], v[40:41]
	v_fma_f64 v[36:37], v[36:37], v[44:45], v[36:37]
	;; [unrolled: 1-line block ×3, first 2 shown]
	v_fma_f64 v[44:45], -v[40:41], v[40:41], v[20:21]
	v_fma_f64 v[38:39], v[38:39], v[48:49], v[38:39]
	v_fma_f64 v[48:49], -v[42:43], v[42:43], v[14:15]
	v_fma_f64 v[40:41], v[44:45], v[36:37], v[40:41]
	v_fma_f64 v[42:43], v[48:49], v[38:39], v[42:43]
	v_fma_f64 v[44:45], -v[40:41], v[40:41], v[20:21]
	v_fma_f64 v[48:49], -v[42:43], v[42:43], v[14:15]
	v_fma_f64 v[36:37], v[44:45], v[36:37], v[40:41]
	v_cndmask_b32_e32 v40, 0, v58, vcc
	v_cndmask_b32_e64 v41, 0, v58, s[6:7]
	v_cmp_class_f64_e32 vcc, v[20:21], v54
	v_cmp_class_f64_e64 s[6:7], v[14:15], v54
	v_fma_f64 v[38:39], v[48:49], v[38:39], v[42:43]
	v_ldexp_f64 v[36:37], v[36:37], v40
	v_mov_b32_e32 v48, 0
	v_mov_b32_e32 v49, 0x3ff00000
	v_ldexp_f64 v[38:39], v[38:39], v41
	v_cndmask_b32_e32 v21, v37, v21, vcc
	v_cndmask_b32_e32 v20, v36, v20, vcc
	v_cndmask_b32_e64 v15, v39, v15, s[6:7]
	v_cndmask_b32_e64 v14, v38, v14, s[6:7]
	v_mul_f64 v[50:51], v[20:21], v[14:15]
.LBB48_586:                             ;   in Loop: Header=BB48_434 Depth=1
	s_or_b64 exec, exec, s[68:69]
	s_mov_b64 s[6:7], exec
.LBB48_587:                             ;   in Loop: Header=BB48_434 Depth=1
	s_or_b64 exec, exec, s[66:67]
                                        ; implicit-def: $vgpr38_vgpr39
.LBB48_588:                             ;   in Loop: Header=BB48_434 Depth=1
	s_andn2_saveexec_b64 s[8:9], s[8:9]
	s_cbranch_execz .LBB48_590
; %bb.589:                              ;   in Loop: Header=BB48_434 Depth=1
	v_ldexp_f64 v[50:51], v[38:39], 53
	v_ldexp_f64 v[48:49], |v[18:19]|, 53
	s_or_b64 s[6:7], s[6:7], exec
                                        ; implicit-def: $vgpr46_vgpr47
.LBB48_590:                             ;   in Loop: Header=BB48_434 Depth=1
	s_or_b64 exec, exec, s[8:9]
	v_cmp_lt_i64_e32 vcc, -1, v[18:19]
	s_xor_b64 s[6:7], s[6:7], -1
	s_and_saveexec_b64 s[8:9], s[6:7]
	s_xor_b64 s[8:9], exec, s[8:9]
	s_cbranch_execz .LBB48_600
; %bb.591:                              ;   in Loop: Header=BB48_434 Depth=1
	s_and_saveexec_b64 s[6:7], vcc
	s_xor_b64 s[66:67], exec, s[6:7]
	s_cbranch_execz .LBB48_595
; %bb.592:                              ;   in Loop: Header=BB48_434 Depth=1
	v_fma_f64 v[18:19], |v[46:47]|, -0.5, 0.5
	v_mul_f64 v[14:15], v[46:47], v[46:47]
	v_cmp_ge_f64_e64 s[6:7], |v[46:47]|, 0.5
	s_mov_b32 s68, 0x9fea6a70
	s_mov_b32 s69, 0x3fa05985
	v_cndmask_b32_e64 v15, v15, v19, s[6:7]
	v_cndmask_b32_e64 v14, v14, v18, s[6:7]
	v_fma_f64 v[20:21], v[14:15], s[68:69], v[28:29]
	s_mov_b32 s68, 0x37024d6a
	s_mov_b32 s69, 0x3f940521
	v_fma_f64 v[20:21], v[14:15], v[20:21], s[68:69]
	s_mov_b32 s68, 0x98a70509
	s_mov_b32 s69, 0x3f7ab3a0
	;; [unrolled: 3-line block ×11, first 2 shown]
	v_mul_f64 v[20:21], v[14:15], v[20:21]
	v_fma_f64 v[14:15], v[46:47], v[20:21], v[46:47]
	v_fma_f64 v[14:15], s[68:69], v[30:31], -v[14:15]
	s_and_saveexec_b64 s[68:69], s[6:7]
	s_cbranch_execz .LBB48_594
; %bb.593:                              ;   in Loop: Header=BB48_434 Depth=1
	v_rsq_f64_e32 v[14:15], v[18:19]
	v_cmp_eq_f64_e64 s[6:7], 0, v[18:19]
	v_mul_f64 v[36:37], v[18:19], v[14:15]
	v_mul_f64 v[14:15], v[14:15], 0.5
	v_fma_f64 v[38:39], -v[14:15], v[36:37], 0.5
	v_fma_f64 v[36:37], v[36:37], v[38:39], v[36:37]
	v_fma_f64 v[14:15], v[14:15], v[38:39], v[14:15]
	v_fma_f64 v[38:39], -v[36:37], v[36:37], v[18:19]
	v_fma_f64 v[14:15], v[38:39], v[14:15], v[36:37]
	v_cndmask_b32_e64 v15, v15, v19, s[6:7]
	v_cndmask_b32_e64 v14, v14, v18, s[6:7]
	v_add_f64 v[36:37], v[14:15], v[14:15]
	v_mul_f64 v[38:39], v[14:15], v[14:15]
	v_rcp_f64_e32 v[40:41], v[36:37]
	v_add_f64 v[42:43], v[18:19], -v[38:39]
	v_fma_f64 v[48:49], v[14:15], v[14:15], -v[38:39]
	v_add_f64 v[18:19], v[18:19], -v[42:43]
	v_fma_f64 v[44:45], -v[36:37], v[40:41], 1.0
	v_add_f64 v[18:19], v[18:19], -v[38:39]
	v_fma_f64 v[38:39], v[44:45], v[40:41], v[40:41]
	v_add_f64 v[18:19], v[18:19], -v[48:49]
	v_fma_f64 v[40:41], -v[36:37], v[38:39], 1.0
	v_add_f64 v[18:19], v[42:43], v[18:19]
	v_fma_f64 v[38:39], v[40:41], v[38:39], v[38:39]
	v_mul_f64 v[40:41], v[18:19], v[38:39]
	v_fma_f64 v[18:19], -v[36:37], v[40:41], v[18:19]
	v_fma_f64 v[18:19], v[18:19], v[38:39], v[40:41]
	v_cndmask_b32_e64 v19, v19, 0, s[6:7]
	v_cndmask_b32_e64 v18, v18, 0, s[6:7]
	v_add_f64 v[36:37], v[14:15], v[18:19]
	v_cmp_neq_f64_e64 s[6:7], 1.0, v[46:47]
	v_add_f64 v[14:15], v[36:37], -v[14:15]
	v_add_f64 v[14:15], v[18:19], -v[14:15]
	v_fma_f64 v[14:15], v[36:37], v[20:21], v[14:15]
	v_add_f64 v[14:15], v[36:37], v[14:15]
	v_add_f64 v[14:15], v[14:15], v[14:15]
	v_cndmask_b32_e64 v15, 0, v15, s[6:7]
	v_cndmask_b32_e64 v14, 0, v14, s[6:7]
.LBB48_594:                             ;   in Loop: Header=BB48_434 Depth=1
	s_or_b64 exec, exec, s[68:69]
                                        ; implicit-def: $vgpr46_vgpr47
.LBB48_595:                             ;   in Loop: Header=BB48_434 Depth=1
	s_andn2_saveexec_b64 s[66:67], s[66:67]
	s_cbranch_execz .LBB48_599
; %bb.596:                              ;   in Loop: Header=BB48_434 Depth=1
	v_fma_f64 v[18:19], |v[46:47]|, -0.5, 0.5
	v_mul_f64 v[14:15], v[46:47], v[46:47]
	v_cmp_ge_f64_e64 s[6:7], |v[46:47]|, 0.5
	s_mov_b32 s68, 0x9fea6a70
	s_mov_b32 s69, 0x3fa05985
	v_cndmask_b32_e64 v15, v15, v19, s[6:7]
	v_cndmask_b32_e64 v14, v14, v18, s[6:7]
	v_fma_f64 v[20:21], v[14:15], s[68:69], v[28:29]
	s_mov_b32 s68, 0x37024d6a
	s_mov_b32 s69, 0x3f940521
	v_fma_f64 v[20:21], v[14:15], v[20:21], s[68:69]
	s_mov_b32 s68, 0x98a70509
	s_mov_b32 s69, 0x3f7ab3a0
	;; [unrolled: 3-line block ×11, first 2 shown]
	v_mul_f64 v[20:21], v[14:15], v[20:21]
	v_fma_f64 v[14:15], -v[46:47], v[20:21], -v[46:47]
	v_fma_f64 v[14:15], s[68:69], v[30:31], -v[14:15]
	s_and_saveexec_b64 s[68:69], s[6:7]
	s_cbranch_execz .LBB48_598
; %bb.597:                              ;   in Loop: Header=BB48_434 Depth=1
	v_rsq_f64_e32 v[14:15], v[18:19]
	v_cmp_eq_f64_e64 s[6:7], 0, v[18:19]
	v_readlane_b32 s70, v87, 0
	v_readlane_b32 s71, v87, 1
	s_mov_b32 s23, s71
	v_writelane_b32 v87, s22, 0
	v_writelane_b32 v87, s23, 1
	v_mul_f64 v[36:37], v[18:19], v[14:15]
	v_mul_f64 v[14:15], v[14:15], 0.5
	v_fma_f64 v[38:39], -v[14:15], v[36:37], 0.5
	v_fma_f64 v[36:37], v[36:37], v[38:39], v[36:37]
	v_fma_f64 v[14:15], v[14:15], v[38:39], v[14:15]
	v_fma_f64 v[38:39], -v[36:37], v[36:37], v[18:19]
	v_fma_f64 v[14:15], v[38:39], v[14:15], v[36:37]
	v_cndmask_b32_e64 v15, v15, v19, s[6:7]
	v_cndmask_b32_e64 v14, v14, v18, s[6:7]
	v_add_f64 v[36:37], v[14:15], v[14:15]
	v_mul_f64 v[38:39], v[14:15], v[14:15]
	v_rcp_f64_e32 v[40:41], v[36:37]
	v_add_f64 v[42:43], v[18:19], -v[38:39]
	v_fma_f64 v[48:49], v[14:15], v[14:15], -v[38:39]
	v_add_f64 v[18:19], v[18:19], -v[42:43]
	v_fma_f64 v[44:45], -v[36:37], v[40:41], 1.0
	v_add_f64 v[18:19], v[18:19], -v[38:39]
	v_fma_f64 v[38:39], v[44:45], v[40:41], v[40:41]
	v_add_f64 v[18:19], v[18:19], -v[48:49]
	v_fma_f64 v[40:41], -v[36:37], v[38:39], 1.0
	v_add_f64 v[18:19], v[42:43], v[18:19]
	v_fma_f64 v[38:39], v[40:41], v[38:39], v[38:39]
	v_mul_f64 v[40:41], v[18:19], v[38:39]
	v_fma_f64 v[18:19], -v[36:37], v[40:41], v[18:19]
	v_fma_f64 v[18:19], v[18:19], v[38:39], v[40:41]
	v_cndmask_b32_e64 v19, v19, 0, s[6:7]
	v_cndmask_b32_e64 v18, v18, 0, s[6:7]
	v_add_f64 v[36:37], v[14:15], v[18:19]
	s_mov_b32 s6, 0x336a0500
	s_mov_b32 s7, 0x3fedd9ad
	;; [unrolled: 1-line block ×3, first 2 shown]
	v_add_f64 v[14:15], v[36:37], -v[14:15]
	v_add_f64 v[14:15], v[18:19], -v[14:15]
	v_fma_f64 v[18:19], v[36:37], v[20:21], v[36:37]
	v_fma_f64 v[14:15], v[36:37], v[20:21], v[14:15]
	v_mul_f64 v[18:19], v[18:19], -2.0
	v_add_f64 v[14:15], v[36:37], v[14:15]
	v_fma_f64 v[18:19], s[6:7], v[30:31], v[18:19]
	v_cmp_lt_f64_e64 s[6:7], 0, v[46:47]
	v_add_f64 v[14:15], v[14:15], v[14:15]
	v_cndmask_b32_e64 v14, v14, v18, s[6:7]
	v_cndmask_b32_e64 v15, v15, v19, s[6:7]
	v_cmp_neq_f64_e64 s[6:7], 1.0, v[46:47]
	v_cndmask_b32_e64 v15, v61, v15, s[6:7]
	v_cndmask_b32_e64 v14, v62, v14, s[6:7]
.LBB48_598:                             ;   in Loop: Header=BB48_434 Depth=1
	s_or_b64 exec, exec, s[68:69]
.LBB48_599:                             ;   in Loop: Header=BB48_434 Depth=1
	s_or_b64 exec, exec, s[66:67]
                                        ; implicit-def: $vgpr48_vgpr49
                                        ; implicit-def: $vgpr50_vgpr51
.LBB48_600:                             ;   in Loop: Header=BB48_434 Depth=1
	s_andn2_saveexec_b64 s[66:67], s[8:9]
	s_cbranch_execz .LBB48_606
; %bb.601:                              ;   in Loop: Header=BB48_434 Depth=1
	s_and_saveexec_b64 s[6:7], vcc
	s_xor_b64 s[68:69], exec, s[6:7]
	s_cbranch_execz .LBB48_603
; %bb.602:                              ;   in Loop: Header=BB48_434 Depth=1
	v_max_f64 v[14:15], |v[50:51]|, |v[50:51]|
	v_max_f64 v[18:19], v[48:49], v[48:49]
	s_mov_b32 s46, s60
	v_cmp_class_f64_e64 s[70:71], v[50:51], s83
	v_cmp_eq_f64_e64 s[8:9], s[56:57], v[48:49]
	v_max_f64 v[20:21], v[18:19], v[14:15]
	v_min_f64 v[14:15], v[18:19], v[14:15]
	v_div_scale_f64 v[18:19], s[6:7], v[20:21], v[20:21], v[14:15]
	s_mov_b32 s6, 0x69efb384
	s_mov_b32 s7, 0x3f4b2bb0
	v_rcp_f64_e32 v[36:37], v[18:19]
	v_fma_f64 v[38:39], -v[18:19], v[36:37], 1.0
	v_fma_f64 v[36:37], v[36:37], v[38:39], v[36:37]
	v_div_scale_f64 v[38:39], vcc, v[14:15], v[20:21], v[14:15]
	v_fma_f64 v[40:41], -v[18:19], v[36:37], 1.0
	v_fma_f64 v[36:37], v[36:37], v[40:41], v[36:37]
	v_mul_f64 v[40:41], v[38:39], v[36:37]
	v_fma_f64 v[18:19], -v[18:19], v[40:41], v[38:39]
	v_div_fmas_f64 v[18:19], v[18:19], v[36:37], v[40:41]
	v_cmp_lt_f64_e64 vcc, v[48:49], |v[50:51]|
	v_div_fixup_f64 v[14:15], v[18:19], v[20:21], v[14:15]
	v_mul_f64 v[18:19], v[14:15], v[14:15]
	v_fma_f64 v[20:21], v[18:19], s[72:73], v[32:33]
	v_fma_f64 v[20:21], v[18:19], v[20:21], s[6:7]
	s_mov_b32 s6, 0xaf56de9b
	s_mov_b32 s7, 0xbf67952d
	v_fma_f64 v[20:21], v[18:19], v[20:21], s[6:7]
	s_mov_b32 s6, 0xa595c56f
	s_mov_b32 s7, 0x3f7d6d43
	v_fma_f64 v[20:21], v[18:19], v[20:21], s[6:7]
	v_cmp_eq_f64_e64 s[6:7], 0, v[50:51]
	v_fma_f64 v[20:21], v[18:19], v[20:21], s[74:75]
	v_fma_f64 v[20:21], v[18:19], v[20:21], s[76:77]
	;; [unrolled: 1-line block ×15, first 2 shown]
	v_mul_f64 v[18:19], v[18:19], v[20:21]
	v_ashrrev_i32_e32 v20, 31, v49
	v_and_b32_e32 v36, 0x54442d18, v20
	v_and_b32_e32 v20, 0x400921fb, v20
	v_fma_f64 v[14:15], v[14:15], v[18:19], v[14:15]
	v_add_f64 v[18:19], -v[14:15], s[60:61]
	v_cndmask_b32_e32 v15, v15, v19, vcc
	v_cndmask_b32_e32 v14, v14, v18, vcc
	v_add_f64 v[18:19], -v[14:15], s[46:47]
	v_cmp_gt_i32_e32 vcc, 0, v49
	v_cndmask_b32_e32 v21, v62, v63, vcc
                                        ; implicit-def: $vgpr48_vgpr49
	v_cndmask_b32_e32 v14, v14, v18, vcc
	v_cndmask_b32_e32 v15, v15, v19, vcc
	;; [unrolled: 1-line block ×3, first 2 shown]
	v_cndmask_b32_e64 v14, v14, v36, s[6:7]
	v_cndmask_b32_e64 v15, v15, v20, s[6:7]
	s_and_b64 vcc, s[8:9], s[70:71]
	v_cndmask_b32_e32 v15, v15, v18, vcc
	v_cndmask_b32_e32 v14, v14, v21, vcc
	v_cmp_o_f64_e32 vcc, v[50:51], v[50:51]
	v_cndmask_b32_e32 v15, v60, v15, vcc
	v_cndmask_b32_e32 v14, 0, v14, vcc
	v_bfi_b32 v15, s33, v15, v51
                                        ; implicit-def: $vgpr50_vgpr51
.LBB48_603:                             ;   in Loop: Header=BB48_434 Depth=1
	s_andn2_saveexec_b64 s[68:69], s[68:69]
	s_cbranch_execz .LBB48_605
; %bb.604:                              ;   in Loop: Header=BB48_434 Depth=1
	v_max_f64 v[14:15], |v[50:51]|, |v[50:51]|
	v_max_f64 v[18:19], v[48:49], v[48:49]
	s_mov_b32 s46, s60
	v_cmp_class_f64_e64 s[70:71], v[50:51], s83
	v_cmp_eq_f64_e64 s[8:9], s[56:57], v[48:49]
	v_max_f64 v[20:21], v[18:19], v[14:15]
	v_min_f64 v[14:15], v[18:19], v[14:15]
	v_div_scale_f64 v[18:19], s[6:7], v[20:21], v[20:21], v[14:15]
	s_mov_b32 s6, 0x69efb384
	s_mov_b32 s7, 0x3f4b2bb0
	v_rcp_f64_e32 v[36:37], v[18:19]
	v_fma_f64 v[38:39], -v[18:19], v[36:37], 1.0
	v_fma_f64 v[36:37], v[36:37], v[38:39], v[36:37]
	v_div_scale_f64 v[38:39], vcc, v[14:15], v[20:21], v[14:15]
	v_fma_f64 v[40:41], -v[18:19], v[36:37], 1.0
	v_fma_f64 v[36:37], v[36:37], v[40:41], v[36:37]
	v_mul_f64 v[40:41], v[38:39], v[36:37]
	v_fma_f64 v[18:19], -v[18:19], v[40:41], v[38:39]
	v_div_fmas_f64 v[18:19], v[18:19], v[36:37], v[40:41]
	v_cmp_lt_f64_e64 vcc, v[48:49], |v[50:51]|
	v_div_fixup_f64 v[14:15], v[18:19], v[20:21], v[14:15]
	v_mul_f64 v[18:19], v[14:15], v[14:15]
	v_fma_f64 v[20:21], v[18:19], s[72:73], v[32:33]
	v_fma_f64 v[20:21], v[18:19], v[20:21], s[6:7]
	s_mov_b32 s6, 0xaf56de9b
	s_mov_b32 s7, 0xbf67952d
	v_fma_f64 v[20:21], v[18:19], v[20:21], s[6:7]
	s_mov_b32 s6, 0xa595c56f
	s_mov_b32 s7, 0x3f7d6d43
	v_fma_f64 v[20:21], v[18:19], v[20:21], s[6:7]
	v_cmp_eq_f64_e64 s[6:7], 0, v[50:51]
	v_fma_f64 v[20:21], v[18:19], v[20:21], s[74:75]
	v_fma_f64 v[20:21], v[18:19], v[20:21], s[76:77]
	;; [unrolled: 1-line block ×15, first 2 shown]
	v_mul_f64 v[18:19], v[18:19], v[20:21]
	v_xor_b32_e32 v20, 0x80000000, v49
	v_ashrrev_i32_e32 v21, 31, v20
	v_and_b32_e32 v36, 0x54442d18, v21
	v_and_b32_e32 v21, 0x400921fb, v21
	v_fma_f64 v[14:15], v[14:15], v[18:19], v[14:15]
	v_add_f64 v[18:19], -v[14:15], s[60:61]
	v_cndmask_b32_e32 v15, v15, v19, vcc
	v_cndmask_b32_e32 v14, v14, v18, vcc
	v_add_f64 v[18:19], -v[14:15], s[46:47]
	v_cmp_gt_i32_e32 vcc, 0, v20
	v_cndmask_b32_e32 v20, v62, v63, vcc
	v_cndmask_b32_e32 v14, v14, v18, vcc
	;; [unrolled: 1-line block ×4, first 2 shown]
	v_cndmask_b32_e64 v14, v14, v36, s[6:7]
	v_cndmask_b32_e64 v15, v15, v21, s[6:7]
	s_and_b64 vcc, s[8:9], s[70:71]
	v_cndmask_b32_e32 v15, v15, v18, vcc
	v_cndmask_b32_e32 v14, v14, v20, vcc
	v_cmp_o_f64_e32 vcc, v[50:51], v[50:51]
	v_cndmask_b32_e32 v15, v60, v15, vcc
	v_cndmask_b32_e32 v14, 0, v14, vcc
	v_bfi_b32 v15, s33, v15, v51
.LBB48_605:                             ;   in Loop: Header=BB48_434 Depth=1
	s_or_b64 exec, exec, s[68:69]
.LBB48_606:                             ;   in Loop: Header=BB48_434 Depth=1
	s_or_b64 exec, exec, s[66:67]
	v_xor_b32_e32 v18, 0x80000000, v17
	v_cndmask_b32_e64 v17, v18, v17, s[4:5]
                                        ; implicit-def: $vgpr18_vgpr19
.LBB48_607:                             ;   in Loop: Header=BB48_434 Depth=1
	s_andn2_saveexec_b64 s[6:7], s[48:49]
	s_cbranch_execz .LBB48_609
; %bb.608:                              ;   in Loop: Header=BB48_434 Depth=1
	s_waitcnt lgkmcnt(0)
	v_mov_b32_e32 v15, s13
	v_mov_b32_e32 v14, s12
	flat_load_dwordx2 v[14:15], v[14:15] glc
	s_waitcnt vmcnt(0) lgkmcnt(0)
	v_add_f64 v[14:15], v[14:15], -v[18:19]
	v_add_f64 v[14:15], v[14:15], s[60:61]
.LBB48_609:                             ;   in Loop: Header=BB48_434 Depth=1
	s_or_b64 exec, exec, s[6:7]
.LBB48_610:                             ;   in Loop: Header=BB48_434 Depth=1
	s_andn2_saveexec_b64 s[6:7], s[20:21]
	s_cbranch_execz .LBB48_612
; %bb.611:                              ;   in Loop: Header=BB48_434 Depth=1
	s_waitcnt lgkmcnt(0)
	v_mov_b32_e32 v14, 0
	v_mov_b32_e32 v15, 0
.LBB48_612:                             ;   in Loop: Header=BB48_434 Depth=1
	s_or_b64 exec, exec, s[6:7]
                                        ; implicit-def: $vgpr18_vgpr19
                                        ; implicit-def: $vgpr40_vgpr41
                                        ; implicit-def: $vgpr38_vgpr39
                                        ; implicit-def: $vgpr36_vgpr37
.LBB48_613:                             ;   in Loop: Header=BB48_434 Depth=1
	s_andn2_saveexec_b64 s[20:21], s[64:65]
	s_cbranch_execz .LBB48_623
; %bb.614:                              ;   in Loop: Header=BB48_434 Depth=1
	v_cmp_lt_f64_e64 s[6:7], |v[18:19]|, |v[20:21]|
	v_and_b32_e32 v44, 0x7fffffff, v19
	v_and_b32_e32 v45, 0x7fffffff, v21
	s_mov_b32 s8, -1
	s_mov_b32 s9, 0x7fdfffff
                                        ; implicit-def: $sgpr48_sgpr49
                                        ; implicit-def: $vgpr42_vgpr43
                                        ; implicit-def: $vgpr16_vgpr17
	v_cndmask_b32_e64 v15, v44, v45, s[6:7]
	s_waitcnt lgkmcnt(0)
	v_cndmask_b32_e64 v14, v18, v20, s[6:7]
	v_cmp_nlt_f64_e32 vcc, s[8:9], v[14:15]
	s_and_saveexec_b64 s[8:9], vcc
	s_xor_b64 s[64:65], exec, s[8:9]
	s_cbranch_execz .LBB48_620
; %bb.615:                              ;   in Loop: Header=BB48_434 Depth=1
	s_mov_b32 s8, 0
	s_mov_b32 s9, 0x20200000
	v_cmp_nlt_f64_e32 vcc, s[8:9], v[14:15]
	s_mov_b32 s8, 0
	v_cndmask_b32_e64 v45, v45, v44, s[6:7]
	v_cndmask_b32_e64 v44, v20, v18, s[6:7]
	s_brev_b32 s9, 4
	v_cmp_ngt_f64_e64 s[8:9], s[8:9], v[44:45]
                                        ; implicit-def: $sgpr48_sgpr49
                                        ; implicit-def: $vgpr42_vgpr43
                                        ; implicit-def: $vgpr16_vgpr17
	s_and_b64 s[8:9], vcc, s[8:9]
	s_and_saveexec_b64 s[66:67], s[8:9]
	s_xor_b64 s[66:67], exec, s[66:67]
	s_cbranch_execz .LBB48_617
; %bb.616:                              ;   in Loop: Header=BB48_434 Depth=1
	v_mul_f64 v[16:17], v[44:45], v[44:45]
	v_min_f64 v[38:39], v[40:41], v[38:39]
	s_mov_b32 s23, s63
	v_fma_f64 v[14:15], v[14:15], v[14:15], v[16:17]
	v_frexp_mant_f64_e32 v[16:17], v[14:15]
	v_cmp_gt_f64_e64 s[8:9], s[62:63], v[16:17]
	v_cndmask_b32_e64 v42, 0, 1, s[8:9]
	v_ldexp_f64 v[16:17], v[16:17], v42
	v_add_f64 v[42:43], v[16:17], 1.0
	v_add_f64 v[48:49], v[16:17], -1.0
	v_rcp_f64_e32 v[44:45], v[42:43]
	v_add_f64 v[50:51], v[42:43], -1.0
	v_add_f64 v[16:17], v[16:17], -v[50:51]
	v_fma_f64 v[46:47], -v[42:43], v[44:45], 1.0
	v_fma_f64 v[44:45], v[46:47], v[44:45], v[44:45]
	v_fma_f64 v[46:47], -v[42:43], v[44:45], 1.0
	v_fma_f64 v[44:45], v[46:47], v[44:45], v[44:45]
	v_mul_f64 v[46:47], v[48:49], v[44:45]
	v_mul_f64 v[66:67], v[42:43], v[46:47]
	v_fma_f64 v[40:41], v[46:47], v[42:43], -v[66:67]
	v_div_scale_f64 v[42:43], s[48:49], v[36:37], v[36:37], v[38:39]
	s_mov_b32 s48, 0x69efb384
	s_mov_b32 s49, 0x3f4b2bb0
	v_fma_f64 v[16:17], v[46:47], v[16:17], v[40:41]
	v_add_f64 v[40:41], v[66:67], v[16:17]
	v_rcp_f64_e32 v[50:51], v[42:43]
	v_add_f64 v[68:69], v[48:49], -v[40:41]
	v_add_f64 v[66:67], v[40:41], -v[66:67]
	;; [unrolled: 1-line block ×3, first 2 shown]
	v_fma_f64 v[70:71], -v[42:43], v[50:51], 1.0
	v_add_f64 v[16:17], v[66:67], -v[16:17]
	v_frexp_exp_i32_f64_e32 v66, v[14:15]
	v_add_f64 v[40:41], v[48:49], -v[40:41]
	v_fma_f64 v[48:49], v[50:51], v[70:71], v[50:51]
	v_add_f64 v[16:17], v[16:17], v[40:41]
	v_div_scale_f64 v[40:41], vcc, v[38:39], v[36:37], v[38:39]
	v_fma_f64 v[50:51], -v[42:43], v[48:49], 1.0
	v_add_f64 v[16:17], v[68:69], v[16:17]
	v_fma_f64 v[48:49], v[48:49], v[50:51], v[48:49]
	v_mul_f64 v[16:17], v[44:45], v[16:17]
	v_mul_f64 v[44:45], v[40:41], v[48:49]
	v_add_f64 v[50:51], v[46:47], v[16:17]
	v_fma_f64 v[40:41], -v[42:43], v[44:45], v[40:41]
	v_mul_f64 v[42:43], v[50:51], v[50:51]
	v_add_f64 v[46:47], v[50:51], -v[46:47]
	v_div_fmas_f64 v[40:41], v[40:41], v[48:49], v[44:45]
	v_fma_f64 v[44:45], v[42:43], s[24:25], v[26:27]
	v_mul_f64 v[48:49], v[50:51], v[42:43]
	v_add_f64 v[16:17], v[16:17], -v[46:47]
	v_fma_f64 v[44:45], v[42:43], v[44:45], s[26:27]
	v_ldexp_f64 v[16:17], v[16:17], 1
	v_div_fixup_f64 v[36:37], v[40:41], v[36:37], v[38:39]
	v_fma_f64 v[38:39], v[42:43], v[44:45], s[28:29]
	v_mul_f64 v[40:41], v[36:37], v[36:37]
	v_fma_f64 v[38:39], v[42:43], v[38:39], s[30:31]
	v_fma_f64 v[44:45], v[40:41], s[72:73], v[32:33]
	;; [unrolled: 1-line block ×4, first 2 shown]
	s_mov_b32 s48, 0xaf56de9b
	s_mov_b32 s49, 0xbf67952d
	v_fma_f64 v[38:39], v[42:43], v[38:39], s[22:23]
	v_fma_f64 v[42:43], v[40:41], v[44:45], s[48:49]
	v_ldexp_f64 v[44:45], v[50:51], 1
	s_mov_b32 s48, 0xa595c56f
	s_mov_b32 s49, 0x3f7d6d43
	v_subbrev_co_u32_e64 v50, vcc, 0, v66, s[8:9]
	v_mul_f64 v[38:39], v[48:49], v[38:39]
	v_cvt_f64_i32_e32 v[50:51], v50
	v_fma_f64 v[42:43], v[40:41], v[42:43], s[48:49]
	v_cmp_class_f64_e64 vcc, v[14:15], s83
	v_cmp_class_f64_e64 s[8:9], v[20:21], s83
	v_mul_f64 v[66:67], v[50:51], s[36:37]
	v_cmp_class_f64_e64 s[48:49], v[18:19], s83
	v_add_f64 v[48:49], v[44:45], v[38:39]
	v_fma_f64 v[42:43], v[40:41], v[42:43], s[74:75]
	v_fma_f64 v[46:47], v[50:51], s[36:37], -v[66:67]
	s_and_b64 s[48:49], s[48:49], s[8:9]
	v_add_f64 v[44:45], v[48:49], -v[44:45]
	v_fma_f64 v[42:43], v[40:41], v[42:43], s[76:77]
	v_add_f64 v[38:39], v[38:39], -v[44:45]
	v_fma_f64 v[44:45], v[50:51], s[38:39], v[46:47]
	v_fma_f64 v[42:43], v[40:41], v[42:43], s[78:79]
	v_add_f64 v[16:17], v[16:17], v[38:39]
	v_fma_f64 v[38:39], v[40:41], v[42:43], s[80:81]
	v_add_f64 v[42:43], v[66:67], v[44:45]
	v_add_f64 v[46:47], v[48:49], v[16:17]
	v_fma_f64 v[38:39], v[40:41], v[38:39], s[84:85]
	v_add_f64 v[66:67], v[42:43], -v[66:67]
	v_add_f64 v[50:51], v[42:43], v[46:47]
	v_add_f64 v[48:49], v[46:47], -v[48:49]
	v_fma_f64 v[38:39], v[40:41], v[38:39], s[86:87]
	v_add_f64 v[44:45], v[44:45], -v[66:67]
	v_add_f64 v[68:69], v[50:51], -v[42:43]
	;; [unrolled: 1-line block ×3, first 2 shown]
	v_fma_f64 v[38:39], v[40:41], v[38:39], s[88:89]
	v_add_f64 v[70:71], v[50:51], -v[68:69]
	v_add_f64 v[46:47], v[46:47], -v[68:69]
	v_fma_f64 v[38:39], v[40:41], v[38:39], s[90:91]
	v_add_f64 v[48:49], v[44:45], v[16:17]
	v_add_f64 v[42:43], v[42:43], -v[70:71]
	v_fma_f64 v[38:39], v[40:41], v[38:39], s[92:93]
	v_add_f64 v[42:43], v[46:47], v[42:43]
	;; [unrolled: 3-line block ×3, first 2 shown]
	v_add_f64 v[48:49], v[48:49], -v[46:47]
	v_fma_f64 v[38:39], v[40:41], v[38:39], s[96:97]
	v_add_f64 v[16:17], v[16:17], -v[46:47]
	v_add_f64 v[66:67], v[50:51], v[42:43]
	v_add_f64 v[44:45], v[44:45], -v[48:49]
	v_fma_f64 v[38:39], v[40:41], v[38:39], s[98:99]
	v_add_f64 v[46:47], v[66:67], -v[50:51]
	v_add_f64 v[16:17], v[16:17], v[44:45]
	v_fma_f64 v[38:39], v[40:41], v[38:39], s[40:41]
	v_add_f64 v[42:43], v[42:43], -v[46:47]
	v_fma_f64 v[38:39], v[40:41], v[38:39], s[42:43]
	v_add_f64 v[16:17], v[16:17], v[42:43]
	v_fma_f64 v[38:39], v[40:41], v[38:39], s[44:45]
	v_add_f64 v[16:17], v[66:67], v[16:17]
	v_mul_f64 v[38:39], v[40:41], v[38:39]
	v_cndmask_b32_e32 v17, v17, v15, vcc
	v_cndmask_b32_e32 v16, v16, v14, vcc
	v_mul_f64 v[40:41], v[16:17], 0.5
	v_cmp_neq_f64_e32 vcc, 0, v[14:15]
	v_fma_f64 v[16:17], v[36:37], v[38:39], v[36:37]
                                        ; implicit-def: $vgpr36_vgpr37
                                        ; implicit-def: $vgpr38_vgpr39
	v_cndmask_b32_e32 v43, v59, v41, vcc
	v_cndmask_b32_e32 v42, 0, v40, vcc
                                        ; implicit-def: $vgpr40_vgpr41
.LBB48_617:                             ;   in Loop: Header=BB48_434 Depth=1
	s_andn2_saveexec_b64 s[66:67], s[66:67]
	s_cbranch_execz .LBB48_619
; %bb.618:                              ;   in Loop: Header=BB48_434 Depth=1
	v_frexp_exp_i32_f64_e32 v46, v[36:37]
	v_cmp_class_f64_e64 s[68:69], v[18:19], s83
	v_cmp_class_f64_e64 s[70:71], v[20:21], s83
	v_min_f64 v[38:39], v[40:41], v[38:39]
	s_mov_b32 s23, s63
	v_sub_u32_e32 v16, 0, v46
	v_ldexp_f64 v[14:15], |v[20:21]|, v16
	v_ldexp_f64 v[16:17], |v[18:19]|, v16
	v_div_scale_f64 v[66:67], s[72:73], v[36:37], v[36:37], v[38:39]
	s_mov_b32 s72, 0xb5e68a13
	s_mov_b32 s73, 0x3eeba404
	v_mul_f64 v[14:15], v[14:15], v[14:15]
	v_fma_f64 v[14:15], v[16:17], v[16:17], v[14:15]
	v_rsq_f64_e32 v[16:17], v[14:15]
	v_cmp_eq_f64_e32 vcc, 0, v[14:15]
	v_mul_f64 v[42:43], v[14:15], v[16:17]
	v_mul_f64 v[16:17], v[16:17], 0.5
	v_fma_f64 v[44:45], -v[16:17], v[42:43], 0.5
	v_fma_f64 v[42:43], v[42:43], v[44:45], v[42:43]
	v_fma_f64 v[16:17], v[16:17], v[44:45], v[16:17]
	v_fma_f64 v[44:45], -v[42:43], v[42:43], v[14:15]
	v_fma_f64 v[16:17], v[44:45], v[16:17], v[42:43]
	v_cndmask_b32_e32 v15, v17, v15, vcc
	v_cndmask_b32_e32 v14, v16, v14, vcc
	v_ldexp_f64 v[14:15], v[14:15], v46
	s_or_b64 vcc, s[68:69], s[70:71]
	v_cndmask_b32_e32 v15, v15, v55, vcc
	v_cndmask_b32_e64 v14, v14, 0, vcc
	v_frexp_mant_f64_e32 v[16:17], v[14:15]
	v_cmp_gt_f64_e64 s[8:9], s[62:63], v[16:17]
	v_cndmask_b32_e64 v42, 0, 1, s[8:9]
	v_ldexp_f64 v[16:17], v[16:17], v42
	v_add_f64 v[42:43], v[16:17], 1.0
	v_add_f64 v[48:49], v[16:17], -1.0
	v_rcp_f64_e32 v[44:45], v[42:43]
	v_add_f64 v[40:41], v[42:43], -1.0
	v_add_f64 v[16:17], v[16:17], -v[40:41]
	v_fma_f64 v[46:47], -v[42:43], v[44:45], 1.0
	v_fma_f64 v[44:45], v[46:47], v[44:45], v[44:45]
	v_fma_f64 v[46:47], -v[42:43], v[44:45], 1.0
	v_fma_f64 v[44:45], v[46:47], v[44:45], v[44:45]
	v_mul_f64 v[46:47], v[48:49], v[44:45]
	v_mul_f64 v[50:51], v[42:43], v[46:47]
	v_fma_f64 v[40:41], v[46:47], v[42:43], -v[50:51]
	v_fma_f64 v[16:17], v[46:47], v[16:17], v[40:41]
	v_rcp_f64_e32 v[40:41], v[66:67]
	v_add_f64 v[42:43], v[50:51], v[16:17]
	v_add_f64 v[68:69], v[48:49], -v[42:43]
	v_fma_f64 v[70:71], -v[66:67], v[40:41], 1.0
	v_add_f64 v[50:51], v[42:43], -v[50:51]
	v_add_f64 v[48:49], v[48:49], -v[68:69]
	v_fma_f64 v[40:41], v[40:41], v[70:71], v[40:41]
	v_add_f64 v[16:17], v[50:51], -v[16:17]
	v_add_f64 v[42:43], v[48:49], -v[42:43]
	v_div_scale_f64 v[48:49], vcc, v[38:39], v[36:37], v[38:39]
	v_fma_f64 v[50:51], -v[66:67], v[40:41], 1.0
	v_add_f64 v[16:17], v[16:17], v[42:43]
	v_fma_f64 v[40:41], v[40:41], v[50:51], v[40:41]
	v_add_f64 v[16:17], v[68:69], v[16:17]
	v_mul_f64 v[42:43], v[48:49], v[40:41]
	v_mul_f64 v[16:17], v[44:45], v[16:17]
	v_fma_f64 v[44:45], -v[66:67], v[42:43], v[48:49]
	v_add_f64 v[48:49], v[46:47], v[16:17]
	v_div_fmas_f64 v[40:41], v[44:45], v[40:41], v[42:43]
	s_mov_b32 vcc_lo, 0x69efb384
	s_mov_b32 vcc_hi, 0x3f4b2bb0
	v_mul_f64 v[42:43], v[48:49], v[48:49]
	v_add_f64 v[46:47], v[48:49], -v[46:47]
	v_fma_f64 v[44:45], v[42:43], s[24:25], v[26:27]
	v_mul_f64 v[50:51], v[48:49], v[42:43]
	v_add_f64 v[16:17], v[16:17], -v[46:47]
	v_div_fixup_f64 v[36:37], v[40:41], v[36:37], v[38:39]
	v_fma_f64 v[38:39], v[42:43], v[44:45], s[26:27]
	v_ldexp_f64 v[16:17], v[16:17], 1
	v_mul_f64 v[40:41], v[36:37], v[36:37]
	v_fma_f64 v[38:39], v[42:43], v[38:39], s[28:29]
	v_fma_f64 v[44:45], v[40:41], s[72:73], v[32:33]
	;; [unrolled: 1-line block ×3, first 2 shown]
	v_fma_f64 v[44:45], v[40:41], v[44:45], vcc
	s_mov_b32 vcc_lo, 0xaf56de9b
	s_mov_b32 vcc_hi, 0xbf67952d
	v_fma_f64 v[38:39], v[42:43], v[38:39], s[34:35]
	v_fma_f64 v[44:45], v[40:41], v[44:45], vcc
	s_mov_b32 vcc_lo, 0xa595c56f
	s_mov_b32 vcc_hi, 0x3f7d6d43
	v_fma_f64 v[38:39], v[42:43], v[38:39], s[22:23]
	v_fma_f64 v[42:43], v[40:41], v[44:45], vcc
	v_ldexp_f64 v[44:45], v[48:49], 1
	v_mul_f64 v[38:39], v[50:51], v[38:39]
	v_frexp_exp_i32_f64_e32 v50, v[14:15]
	v_fma_f64 v[42:43], v[40:41], v[42:43], s[74:75]
	v_add_f64 v[48:49], v[44:45], v[38:39]
	v_subbrev_co_u32_e64 v50, vcc, 0, v50, s[8:9]
	v_cvt_f64_i32_e32 v[50:51], v50
	v_fma_f64 v[42:43], v[40:41], v[42:43], s[76:77]
	v_cmp_class_f64_e64 vcc, v[14:15], s83
	s_andn2_b64 s[8:9], s[48:49], exec
	v_mul_f64 v[66:67], v[50:51], s[36:37]
	v_add_f64 v[44:45], v[48:49], -v[44:45]
	s_and_b64 s[48:49], s[68:69], s[70:71]
	s_and_b64 s[48:49], s[48:49], exec
	s_or_b64 s[48:49], s[8:9], s[48:49]
	v_fma_f64 v[42:43], v[40:41], v[42:43], s[78:79]
	v_fma_f64 v[46:47], v[50:51], s[36:37], -v[66:67]
	v_add_f64 v[38:39], v[38:39], -v[44:45]
	v_fma_f64 v[42:43], v[40:41], v[42:43], s[80:81]
	v_fma_f64 v[44:45], v[50:51], s[38:39], v[46:47]
	v_add_f64 v[16:17], v[16:17], v[38:39]
	v_fma_f64 v[38:39], v[40:41], v[42:43], s[84:85]
	v_add_f64 v[42:43], v[66:67], v[44:45]
	v_add_f64 v[46:47], v[48:49], v[16:17]
	v_fma_f64 v[38:39], v[40:41], v[38:39], s[86:87]
	v_add_f64 v[66:67], v[42:43], -v[66:67]
	v_add_f64 v[50:51], v[42:43], v[46:47]
	v_add_f64 v[48:49], v[46:47], -v[48:49]
	v_fma_f64 v[38:39], v[40:41], v[38:39], s[88:89]
	v_add_f64 v[44:45], v[44:45], -v[66:67]
	v_add_f64 v[68:69], v[50:51], -v[42:43]
	v_add_f64 v[16:17], v[16:17], -v[48:49]
	v_fma_f64 v[38:39], v[40:41], v[38:39], s[90:91]
	v_add_f64 v[70:71], v[50:51], -v[68:69]
	v_add_f64 v[46:47], v[46:47], -v[68:69]
	v_add_f64 v[48:49], v[44:45], v[16:17]
	v_fma_f64 v[38:39], v[40:41], v[38:39], s[92:93]
	v_add_f64 v[42:43], v[42:43], -v[70:71]
	v_fma_f64 v[38:39], v[40:41], v[38:39], s[94:95]
	v_add_f64 v[42:43], v[46:47], v[42:43]
	v_add_f64 v[46:47], v[48:49], -v[44:45]
	v_fma_f64 v[38:39], v[40:41], v[38:39], s[96:97]
	v_add_f64 v[42:43], v[48:49], v[42:43]
	v_add_f64 v[48:49], v[48:49], -v[46:47]
	v_add_f64 v[16:17], v[16:17], -v[46:47]
	v_fma_f64 v[38:39], v[40:41], v[38:39], s[98:99]
	v_add_f64 v[66:67], v[50:51], v[42:43]
	v_add_f64 v[44:45], v[44:45], -v[48:49]
	v_fma_f64 v[38:39], v[40:41], v[38:39], s[40:41]
	v_add_f64 v[46:47], v[66:67], -v[50:51]
	v_add_f64 v[16:17], v[16:17], v[44:45]
	v_fma_f64 v[38:39], v[40:41], v[38:39], s[42:43]
	v_add_f64 v[42:43], v[42:43], -v[46:47]
	v_fma_f64 v[38:39], v[40:41], v[38:39], s[44:45]
	v_add_f64 v[16:17], v[16:17], v[42:43]
	v_mul_f64 v[38:39], v[40:41], v[38:39]
	v_add_f64 v[40:41], v[66:67], v[16:17]
	v_fma_f64 v[16:17], v[36:37], v[38:39], v[36:37]
	v_cndmask_b32_e32 v36, v40, v14, vcc
	v_cndmask_b32_e32 v37, v41, v15, vcc
	v_cmp_ngt_f64_e32 vcc, 0, v[14:15]
	v_cndmask_b32_e32 v37, v60, v37, vcc
	v_cmp_nge_f64_e32 vcc, 0, v[14:15]
	v_cndmask_b32_e32 v42, 0, v36, vcc
	v_cmp_neq_f64_e32 vcc, 0, v[14:15]
	v_cndmask_b32_e32 v43, v59, v37, vcc
.LBB48_619:                             ;   in Loop: Header=BB48_434 Depth=1
	s_or_b64 exec, exec, s[66:67]
                                        ; implicit-def: $vgpr40_vgpr41
                                        ; implicit-def: $vgpr38_vgpr39
                                        ; implicit-def: $vgpr36_vgpr37
.LBB48_620:                             ;   in Loop: Header=BB48_434 Depth=1
	s_andn2_saveexec_b64 s[64:65], s[64:65]
	s_cbranch_execz .LBB48_622
; %bb.621:                              ;   in Loop: Header=BB48_434 Depth=1
	v_div_scale_f64 v[14:15], s[8:9], s[50:51], s[50:51], v[18:19]
	v_div_scale_f64 v[16:17], s[8:9], s[50:51], s[50:51], v[20:21]
	;; [unrolled: 1-line block ×3, first 2 shown]
	v_min_f64 v[38:39], v[40:41], v[38:39]
	s_mov_b32 s23, s63
	s_andn2_b64 s[48:49], s[48:49], exec
	v_rcp_f64_e32 v[42:43], v[14:15]
	v_rcp_f64_e32 v[44:45], v[16:17]
	v_fma_f64 v[46:47], -v[14:15], v[42:43], 1.0
	v_fma_f64 v[48:49], -v[16:17], v[44:45], 1.0
	v_fma_f64 v[42:43], v[42:43], v[46:47], v[42:43]
	v_div_scale_f64 v[46:47], vcc, v[18:19], s[50:51], v[18:19]
	v_fma_f64 v[44:45], v[44:45], v[48:49], v[44:45]
	v_fma_f64 v[48:49], -v[14:15], v[42:43], 1.0
	v_fma_f64 v[66:67], -v[16:17], v[44:45], 1.0
	v_fma_f64 v[42:43], v[42:43], v[48:49], v[42:43]
	v_fma_f64 v[44:45], v[44:45], v[66:67], v[44:45]
	v_mul_f64 v[48:49], v[46:47], v[42:43]
	v_mul_f64 v[66:67], v[50:51], v[44:45]
	v_fma_f64 v[14:15], -v[14:15], v[48:49], v[46:47]
	v_fma_f64 v[16:17], -v[16:17], v[66:67], v[50:51]
	v_div_fmas_f64 v[14:15], v[14:15], v[42:43], v[48:49]
	s_mov_b64 vcc, s[8:9]
	v_div_fmas_f64 v[16:17], v[16:17], v[44:45], v[66:67]
	v_div_fixup_f64 v[14:15], v[14:15], s[50:51], v[18:19]
	v_div_fixup_f64 v[16:17], v[16:17], s[50:51], v[20:21]
	v_cmp_class_f64_e64 s[8:9], v[14:15], s83
	v_max_f64 v[42:43], |v[14:15]|, |v[16:17]|
	v_cmp_class_f64_e64 s[66:67], v[16:17], s83
	v_frexp_exp_i32_f64_e32 v50, v[42:43]
	v_sub_u32_e32 v44, 0, v50
	v_ldexp_f64 v[42:43], |v[16:17]|, v44
	v_ldexp_f64 v[44:45], |v[14:15]|, v44
	v_mul_f64 v[42:43], v[42:43], v[42:43]
	v_fma_f64 v[42:43], v[44:45], v[44:45], v[42:43]
	v_rsq_f64_e32 v[44:45], v[42:43]
	v_cmp_eq_f64_e32 vcc, 0, v[42:43]
	v_mul_f64 v[46:47], v[42:43], v[44:45]
	v_mul_f64 v[44:45], v[44:45], 0.5
	v_fma_f64 v[48:49], -v[44:45], v[46:47], 0.5
	v_fma_f64 v[46:47], v[46:47], v[48:49], v[46:47]
	v_fma_f64 v[44:45], v[44:45], v[48:49], v[44:45]
	v_fma_f64 v[48:49], -v[46:47], v[46:47], v[42:43]
	v_fma_f64 v[44:45], v[48:49], v[44:45], v[46:47]
	v_cndmask_b32_e32 v15, v45, v43, vcc
	v_cndmask_b32_e32 v14, v44, v42, vcc
	v_ldexp_f64 v[14:15], v[14:15], v50
	s_or_b64 vcc, s[8:9], s[66:67]
	v_cndmask_b32_e32 v15, v15, v55, vcc
	v_cndmask_b32_e64 v14, v14, 0, vcc
	v_frexp_mant_f64_e32 v[16:17], v[14:15]
	v_cmp_gt_f64_e64 s[8:9], s[62:63], v[16:17]
	v_cndmask_b32_e64 v42, 0, 1, s[8:9]
	v_ldexp_f64 v[16:17], v[16:17], v42
	v_add_f64 v[42:43], v[16:17], 1.0
	v_add_f64 v[48:49], v[16:17], -1.0
	v_rcp_f64_e32 v[44:45], v[42:43]
	v_add_f64 v[50:51], v[42:43], -1.0
	v_add_f64 v[16:17], v[16:17], -v[50:51]
	v_fma_f64 v[46:47], -v[42:43], v[44:45], 1.0
	v_fma_f64 v[44:45], v[46:47], v[44:45], v[44:45]
	v_fma_f64 v[46:47], -v[42:43], v[44:45], 1.0
	v_fma_f64 v[44:45], v[46:47], v[44:45], v[44:45]
	v_mul_f64 v[46:47], v[48:49], v[44:45]
	v_mul_f64 v[66:67], v[42:43], v[46:47]
	v_fma_f64 v[40:41], v[46:47], v[42:43], -v[66:67]
	v_div_scale_f64 v[42:43], s[66:67], v[36:37], v[36:37], v[38:39]
	s_mov_b32 s66, 0x69efb384
	s_mov_b32 s67, 0x3f4b2bb0
	v_fma_f64 v[16:17], v[46:47], v[16:17], v[40:41]
	v_add_f64 v[40:41], v[66:67], v[16:17]
	v_rcp_f64_e32 v[50:51], v[42:43]
	v_add_f64 v[68:69], v[48:49], -v[40:41]
	v_add_f64 v[66:67], v[40:41], -v[66:67]
	;; [unrolled: 1-line block ×3, first 2 shown]
	v_fma_f64 v[70:71], -v[42:43], v[50:51], 1.0
	v_add_f64 v[16:17], v[66:67], -v[16:17]
	v_frexp_exp_i32_f64_e32 v66, v[14:15]
	v_add_f64 v[40:41], v[48:49], -v[40:41]
	v_fma_f64 v[48:49], v[50:51], v[70:71], v[50:51]
	v_add_f64 v[16:17], v[16:17], v[40:41]
	v_div_scale_f64 v[40:41], vcc, v[38:39], v[36:37], v[38:39]
	v_fma_f64 v[50:51], -v[42:43], v[48:49], 1.0
	v_add_f64 v[16:17], v[68:69], v[16:17]
	v_fma_f64 v[48:49], v[48:49], v[50:51], v[48:49]
	v_mul_f64 v[16:17], v[44:45], v[16:17]
	v_mul_f64 v[44:45], v[40:41], v[48:49]
	v_add_f64 v[50:51], v[46:47], v[16:17]
	v_fma_f64 v[40:41], -v[42:43], v[44:45], v[40:41]
	v_mul_f64 v[42:43], v[50:51], v[50:51]
	v_add_f64 v[46:47], v[50:51], -v[46:47]
	v_div_fmas_f64 v[40:41], v[40:41], v[48:49], v[44:45]
	v_fma_f64 v[44:45], v[42:43], s[24:25], v[26:27]
	v_mul_f64 v[48:49], v[50:51], v[42:43]
	v_add_f64 v[16:17], v[16:17], -v[46:47]
	v_fma_f64 v[44:45], v[42:43], v[44:45], s[26:27]
	v_ldexp_f64 v[16:17], v[16:17], 1
	v_div_fixup_f64 v[36:37], v[40:41], v[36:37], v[38:39]
	v_fma_f64 v[38:39], v[42:43], v[44:45], s[28:29]
	v_mul_f64 v[40:41], v[36:37], v[36:37]
	v_fma_f64 v[38:39], v[42:43], v[38:39], s[30:31]
	v_fma_f64 v[44:45], v[40:41], s[72:73], v[32:33]
	;; [unrolled: 1-line block ×4, first 2 shown]
	s_mov_b32 s66, 0xaf56de9b
	s_mov_b32 s67, 0xbf67952d
	v_fma_f64 v[38:39], v[42:43], v[38:39], s[22:23]
	v_fma_f64 v[42:43], v[40:41], v[44:45], s[66:67]
	v_ldexp_f64 v[44:45], v[50:51], 1
	s_mov_b32 s66, 0xa595c56f
	s_mov_b32 s67, 0x3f7d6d43
	v_subbrev_co_u32_e64 v50, vcc, 0, v66, s[8:9]
	v_mul_f64 v[38:39], v[48:49], v[38:39]
	v_cvt_f64_i32_e32 v[50:51], v50
	v_fma_f64 v[42:43], v[40:41], v[42:43], s[66:67]
	v_cmp_class_f64_e64 vcc, v[14:15], s83
	v_cmp_class_f64_e64 s[66:67], v[18:19], s83
	v_mul_f64 v[66:67], v[50:51], s[36:37]
	v_cmp_class_f64_e64 s[8:9], v[20:21], s83
	v_add_f64 v[48:49], v[44:45], v[38:39]
	v_fma_f64 v[42:43], v[40:41], v[42:43], s[74:75]
	v_fma_f64 v[46:47], v[50:51], s[36:37], -v[66:67]
	s_and_b64 s[8:9], s[66:67], s[8:9]
	s_and_b64 s[8:9], s[8:9], exec
	v_add_f64 v[44:45], v[48:49], -v[44:45]
	s_or_b64 s[48:49], s[48:49], s[8:9]
	v_fma_f64 v[42:43], v[40:41], v[42:43], s[76:77]
	v_add_f64 v[38:39], v[38:39], -v[44:45]
	v_fma_f64 v[44:45], v[50:51], s[38:39], v[46:47]
	v_fma_f64 v[42:43], v[40:41], v[42:43], s[78:79]
	v_add_f64 v[16:17], v[16:17], v[38:39]
	v_fma_f64 v[38:39], v[40:41], v[42:43], s[80:81]
	v_add_f64 v[42:43], v[66:67], v[44:45]
	v_add_f64 v[46:47], v[48:49], v[16:17]
	v_fma_f64 v[38:39], v[40:41], v[38:39], s[84:85]
	v_add_f64 v[66:67], v[42:43], -v[66:67]
	v_add_f64 v[50:51], v[42:43], v[46:47]
	v_add_f64 v[48:49], v[46:47], -v[48:49]
	v_fma_f64 v[38:39], v[40:41], v[38:39], s[86:87]
	v_add_f64 v[44:45], v[44:45], -v[66:67]
	v_add_f64 v[68:69], v[50:51], -v[42:43]
	;; [unrolled: 1-line block ×3, first 2 shown]
	v_fma_f64 v[38:39], v[40:41], v[38:39], s[88:89]
	v_add_f64 v[70:71], v[50:51], -v[68:69]
	v_add_f64 v[46:47], v[46:47], -v[68:69]
	v_fma_f64 v[38:39], v[40:41], v[38:39], s[90:91]
	v_add_f64 v[48:49], v[44:45], v[16:17]
	v_add_f64 v[42:43], v[42:43], -v[70:71]
	v_fma_f64 v[38:39], v[40:41], v[38:39], s[92:93]
	v_add_f64 v[42:43], v[46:47], v[42:43]
	;; [unrolled: 3-line block ×3, first 2 shown]
	v_add_f64 v[48:49], v[48:49], -v[46:47]
	v_fma_f64 v[38:39], v[40:41], v[38:39], s[96:97]
	v_add_f64 v[16:17], v[16:17], -v[46:47]
	v_add_f64 v[66:67], v[50:51], v[42:43]
	v_add_f64 v[44:45], v[44:45], -v[48:49]
	v_fma_f64 v[38:39], v[40:41], v[38:39], s[98:99]
	v_add_f64 v[46:47], v[66:67], -v[50:51]
	v_add_f64 v[16:17], v[16:17], v[44:45]
	v_fma_f64 v[38:39], v[40:41], v[38:39], s[40:41]
	v_add_f64 v[42:43], v[42:43], -v[46:47]
	v_fma_f64 v[38:39], v[40:41], v[38:39], s[42:43]
	v_add_f64 v[16:17], v[16:17], v[42:43]
	v_fma_f64 v[38:39], v[40:41], v[38:39], s[44:45]
	v_add_f64 v[16:17], v[66:67], v[16:17]
	v_mul_f64 v[38:39], v[40:41], v[38:39]
	v_cndmask_b32_e32 v17, v17, v15, vcc
	v_cndmask_b32_e32 v16, v16, v14, vcc
	v_add_f64 v[40:41], v[16:17], 1.0
	v_cmp_ngt_f64_e32 vcc, 0, v[14:15]
	v_fma_f64 v[16:17], v[36:37], v[38:39], v[36:37]
	v_cndmask_b32_e32 v18, v60, v41, vcc
	v_cmp_nge_f64_e32 vcc, 0, v[14:15]
	v_cndmask_b32_e32 v42, 0, v40, vcc
	v_cmp_neq_f64_e32 vcc, 0, v[14:15]
	v_cndmask_b32_e32 v43, v59, v18, vcc
.LBB48_622:                             ;   in Loop: Header=BB48_434 Depth=1
	s_or_b64 exec, exec, s[64:65]
	v_add_f64 v[14:15], -v[16:17], s[60:61]
	s_mov_b32 s46, s60
	v_ashrrev_i32_e32 v18, 31, v19
	v_cmp_gt_i32_e32 vcc, 0, v19
	v_and_b32_e32 v38, 0x54442d18, v18
	v_and_b32_e32 v18, 0x400921fb, v18
	v_cndmask_b32_e32 v19, v62, v63, vcc
	v_cndmask_b32_e64 v15, v17, v15, s[6:7]
	v_cndmask_b32_e64 v14, v16, v14, s[6:7]
	v_add_f64 v[36:37], -v[14:15], s[46:47]
	v_cmp_eq_f64_e64 s[6:7], 0, v[20:21]
	v_add_f64 v[16:17], v[42:43], s[36:37]
	v_cndmask_b32_e32 v20, v64, v65, vcc
	v_bfi_b32 v20, s33, v20, v21
	v_cndmask_b32_e32 v15, v15, v37, vcc
	v_cndmask_b32_e32 v14, v14, v36, vcc
	v_cndmask_b32_e64 v15, v15, v18, s[6:7]
	v_xor_b32_e32 v21, 0x80000000, v17
	v_cndmask_b32_e64 v14, v14, v38, s[6:7]
	v_cndmask_b32_e64 v15, v15, v20, s[48:49]
	;; [unrolled: 1-line block ×3, first 2 shown]
	v_and_b32_e32 v15, 0x7fffffff, v15
	v_cndmask_b32_e64 v17, v21, v17, s[4:5]
.LBB48_623:                             ;   in Loop: Header=BB48_434 Depth=1
	s_or_b64 exec, exec, s[20:21]
                                        ; implicit-def: $vgpr20_vgpr21
.LBB48_624:                             ;   in Loop: Header=BB48_434 Depth=1
	s_andn2_saveexec_b64 s[4:5], s[58:59]
	s_cbranch_execz .LBB48_638
; %bb.625:                              ;   in Loop: Header=BB48_434 Depth=1
	v_cmp_neq_f64_e64 s[6:7], |v[18:19]|, s[56:57]
                                        ; implicit-def: $vgpr16_vgpr17
	s_and_saveexec_b64 s[8:9], s[6:7]
	s_xor_b64 s[6:7], exec, s[8:9]
	s_cbranch_execz .LBB48_635
; %bb.626:                              ;   in Loop: Header=BB48_434 Depth=1
	v_cmp_neq_f64_e64 s[8:9], |v[20:21]|, s[56:57]
	s_waitcnt lgkmcnt(0)
	v_xor_b32_e32 v17, 0x80000000, v21
	v_mov_b32_e32 v16, v20
	s_and_saveexec_b64 s[20:21], s[8:9]
	s_xor_b64 s[8:9], exec, s[20:21]
	s_cbranch_execz .LBB48_632
; %bb.627:                              ;   in Loop: Header=BB48_434 Depth=1
	v_cmp_neq_f64_e32 vcc, 0, v[18:19]
                                        ; implicit-def: $vgpr16_vgpr17
	s_and_saveexec_b64 s[20:21], vcc
	s_xor_b64 s[20:21], exec, s[20:21]
	s_cbranch_execz .LBB48_629
; %bb.628:                              ;   in Loop: Header=BB48_434 Depth=1
	v_add_f64 v[14:15], v[20:21], 0
                                        ; implicit-def: $vgpr20_vgpr21
	v_add_f64 v[16:17], v[18:19], v[14:15]
.LBB48_629:                             ;   in Loop: Header=BB48_434 Depth=1
	s_or_saveexec_b64 s[20:21], s[20:21]
	v_mov_b32_e32 v14, v16
	v_mov_b32_e32 v15, v17
	s_xor_b64 exec, exec, s[20:21]
	s_cbranch_execz .LBB48_631
; %bb.630:                              ;   in Loop: Header=BB48_434 Depth=1
	v_mov_b32_e32 v15, s13
	v_mov_b32_e32 v14, s12
	flat_load_dwordx2 v[14:15], v[14:15] glc
	s_waitcnt vmcnt(0)
	v_add_f64 v[16:17], v[20:21], v[20:21]
	s_waitcnt lgkmcnt(0)
	v_add_f64 v[14:15], v[14:15], s[60:61]
.LBB48_631:                             ;   in Loop: Header=BB48_434 Depth=1
	s_or_b64 exec, exec, s[20:21]
                                        ; implicit-def: $vgpr18_vgpr19
.LBB48_632:                             ;   in Loop: Header=BB48_434 Depth=1
	s_andn2_saveexec_b64 s[8:9], s[8:9]
; %bb.633:                              ;   in Loop: Header=BB48_434 Depth=1
	v_add_f64 v[14:15], v[18:19], v[18:19]
; %bb.634:                              ;   in Loop: Header=BB48_434 Depth=1
	s_or_b64 exec, exec, s[8:9]
                                        ; implicit-def: $vgpr20_vgpr21
.LBB48_635:                             ;   in Loop: Header=BB48_434 Depth=1
	s_andn2_saveexec_b64 s[6:7], s[6:7]
	s_cbranch_execz .LBB48_637
; %bb.636:                              ;   in Loop: Header=BB48_434 Depth=1
	s_waitcnt lgkmcnt(0)
	v_add_f64 v[14:15], v[20:21], v[20:21]
	v_mov_b32_e32 v16, 0
	v_mov_b32_e32 v17, 0xfff00000
.LBB48_637:                             ;   in Loop: Header=BB48_434 Depth=1
	s_or_b64 exec, exec, s[6:7]
.LBB48_638:                             ;   in Loop: Header=BB48_434 Depth=1
	s_or_b64 exec, exec, s[4:5]
	v_cmp_o_f64_e32 vcc, v[10:11], v[12:13]
	v_mov_b32_e32 v19, s13
	v_mov_b32_e32 v18, s12
	flat_store_dwordx2 v[18:19], v[22:23]
	s_waitcnt vmcnt(0)
                                        ; implicit-def: $vgpr20_vgpr21
	s_and_saveexec_b64 s[4:5], vcc
	s_xor_b64 s[58:59], exec, s[4:5]
	s_cbranch_execz .LBB48_726
; %bb.639:                              ;   in Loop: Header=BB48_434 Depth=1
	v_max_f64 v[38:39], |v[12:13]|, |v[12:13]|
	v_max_f64 v[40:41], |v[10:11]|, |v[10:11]|
	v_cmp_gt_i64_e64 s[4:5], 0, v[12:13]
                                        ; implicit-def: $vgpr20_vgpr21
	v_max_f64 v[36:37], v[40:41], v[38:39]
	v_cmp_nlt_f64_e32 vcc, s[54:55], v[36:37]
	s_and_saveexec_b64 s[6:7], vcc
	s_xor_b64 s[64:65], exec, s[6:7]
	s_cbranch_execz .LBB48_715
; %bb.640:                              ;   in Loop: Header=BB48_434 Depth=1
	v_cmp_neq_f64_e32 vcc, 1.0, v[10:11]
	v_cmp_neq_f64_e64 s[6:7], 0, v[12:13]
	v_xor_b32_e32 v21, 0x80000000, v13
	v_mov_b32_e32 v20, v12
	s_or_b64 s[6:7], vcc, s[6:7]
	s_and_saveexec_b64 s[8:9], s[6:7]
	s_xor_b64 s[20:21], exec, s[8:9]
	s_cbranch_execz .LBB48_712
; %bb.641:                              ;   in Loop: Header=BB48_434 Depth=1
	v_mov_b32_e32 v19, s17
	v_mov_b32_e32 v18, s16
	flat_store_dword v[18:19], v53
	s_waitcnt vmcnt(0)
	flat_load_dword v18, v[18:19] glc
	s_waitcnt vmcnt(0)
	s_mov_b32 s8, 0x1409212f
	s_mov_b32 s9, 0x3e43988e
	v_cmp_nlt_f64_e64 s[6:7], |v[10:11]|, s[8:9]
	v_cmp_nlt_f64_e64 s[8:9], |v[12:13]|, s[8:9]
	s_or_b64 s[6:7], s[6:7], s[8:9]
	s_waitcnt lgkmcnt(0)
	v_add_f32_e32 v20, 1.0, v18
	v_mov_b32_e32 v18, s18
	v_mov_b32_e32 v19, s19
	flat_store_dword v[18:19], v20
	s_waitcnt vmcnt(0)
	flat_load_dword v18, v[18:19] glc
	s_waitcnt vmcnt(0)
	v_mov_b32_e32 v20, v12
	s_and_saveexec_b64 s[8:9], s[6:7]
	s_xor_b64 s[48:49], exec, s[8:9]
	s_cbranch_execz .LBB48_709
; %bb.642:                              ;   in Loop: Header=BB48_434 Depth=1
	v_add_f64 v[36:37], |v[10:11]|, 1.0
	s_waitcnt lgkmcnt(0)
	v_add_f64 v[18:19], |v[10:11]|, -1.0
	v_max_f64 v[20:21], v[38:39], v[36:37]
	v_max_f64 v[38:39], v[38:39], |v[18:19]|
	v_frexp_exp_i32_f64_e32 v66, v[20:21]
	v_frexp_exp_i32_f64_e32 v67, v[38:39]
	v_sub_u32_e32 v40, 0, v66
	v_sub_u32_e32 v42, 0, v67
	v_ldexp_f64 v[20:21], v[36:37], v40
	v_ldexp_f64 v[38:39], |v[18:19]|, v42
	v_ldexp_f64 v[40:41], |v[12:13]|, v40
	;; [unrolled: 1-line block ×3, first 2 shown]
	v_mul_f64 v[20:21], v[20:21], v[20:21]
	v_mul_f64 v[38:39], v[38:39], v[38:39]
	v_fma_f64 v[20:21], v[40:41], v[40:41], v[20:21]
	v_fma_f64 v[38:39], v[42:43], v[42:43], v[38:39]
	v_rsq_f64_e32 v[40:41], v[20:21]
	v_rsq_f64_e32 v[42:43], v[38:39]
	v_cmp_eq_f64_e32 vcc, 0, v[20:21]
	v_cmp_eq_f64_e64 s[6:7], 0, v[38:39]
	v_mul_f64 v[44:45], v[20:21], v[40:41]
	v_mul_f64 v[40:41], v[40:41], 0.5
	v_mul_f64 v[46:47], v[38:39], v[42:43]
	v_mul_f64 v[42:43], v[42:43], 0.5
	v_fma_f64 v[48:49], -v[40:41], v[44:45], 0.5
	v_fma_f64 v[50:51], -v[42:43], v[46:47], 0.5
	v_fma_f64 v[44:45], v[44:45], v[48:49], v[44:45]
	v_fma_f64 v[40:41], v[40:41], v[48:49], v[40:41]
	;; [unrolled: 1-line block ×4, first 2 shown]
	v_fma_f64 v[48:49], -v[44:45], v[44:45], v[20:21]
	v_fma_f64 v[50:51], -v[46:47], v[46:47], v[38:39]
	v_fma_f64 v[40:41], v[48:49], v[40:41], v[44:45]
	v_fma_f64 v[42:43], v[50:51], v[42:43], v[46:47]
	v_cndmask_b32_e32 v21, v41, v21, vcc
	v_cndmask_b32_e32 v20, v40, v20, vcc
	v_cndmask_b32_e64 v39, v43, v39, s[6:7]
	v_cndmask_b32_e64 v38, v42, v38, s[6:7]
	v_ldexp_f64 v[20:21], v[20:21], v66
	v_cmp_neq_f64_e32 vcc, s[56:57], v[36:37]
	v_ldexp_f64 v[38:39], v[38:39], v67
	v_cmp_neq_f64_e64 s[6:7], |v[18:19]|, s[56:57]
	v_cndmask_b32_e32 v43, v55, v21, vcc
	v_cndmask_b32_e32 v42, 0, v20, vcc
	v_cndmask_b32_e64 v41, v55, v39, s[6:7]
	v_cndmask_b32_e64 v40, 0, v38, s[6:7]
	v_add_f64 v[20:21], v[42:43], v[40:41]
	s_mov_b32 s6, 0
	s_mov_b32 s7, 0x40240000
	v_mul_f64 v[20:21], v[20:21], 0.5
	v_cmp_ngt_f64_e32 vcc, 1.0, v[20:21]
	v_cndmask_b32_e32 v39, v56, v21, vcc
	v_cndmask_b32_e32 v38, 0, v20, vcc
	v_cmp_ngt_f64_e32 vcc, s[6:7], v[38:39]
                                        ; implicit-def: $vgpr20_vgpr21
	s_and_saveexec_b64 s[6:7], vcc
	s_xor_b64 s[6:7], exec, s[6:7]
	s_cbranch_execz .LBB48_644
; %bb.643:                              ;   in Loop: Header=BB48_434 Depth=1
	v_fma_f64 v[20:21], v[38:39], v[38:39], -1.0
	s_mov_b32 s8, 0
	s_brev_b32 s9, 8
	s_mov_b32 s23, s63
	v_cmp_gt_f64_e32 vcc, s[8:9], v[20:21]
	v_cndmask_b32_e32 v44, 0, v57, vcc
	v_ldexp_f64 v[20:21], v[20:21], v44
	v_rsq_f64_e32 v[44:45], v[20:21]
	v_mul_f64 v[46:47], v[20:21], v[44:45]
	v_mul_f64 v[44:45], v[44:45], 0.5
	v_fma_f64 v[48:49], -v[44:45], v[46:47], 0.5
	v_fma_f64 v[46:47], v[46:47], v[48:49], v[46:47]
	v_fma_f64 v[44:45], v[44:45], v[48:49], v[44:45]
	v_fma_f64 v[48:49], -v[46:47], v[46:47], v[20:21]
	v_fma_f64 v[46:47], v[48:49], v[44:45], v[46:47]
	v_fma_f64 v[48:49], -v[46:47], v[46:47], v[20:21]
	v_fma_f64 v[44:45], v[48:49], v[44:45], v[46:47]
	v_cndmask_b32_e32 v46, 0, v58, vcc
	v_cmp_class_f64_e32 vcc, v[20:21], v54
	v_ldexp_f64 v[44:45], v[44:45], v46
	v_cndmask_b32_e32 v21, v45, v21, vcc
	v_cndmask_b32_e32 v20, v44, v20, vcc
	v_add_f64 v[20:21], v[38:39], v[20:21]
	v_frexp_mant_f64_e32 v[44:45], v[20:21]
	v_cmp_gt_f64_e32 vcc, s[62:63], v[44:45]
	v_cndmask_b32_e64 v46, 0, 1, vcc
	v_ldexp_f64 v[44:45], v[44:45], v46
	v_add_f64 v[46:47], v[44:45], 1.0
	v_add_f64 v[66:67], v[44:45], -1.0
	v_rcp_f64_e32 v[48:49], v[46:47]
	v_add_f64 v[68:69], v[46:47], -1.0
	v_add_f64 v[44:45], v[44:45], -v[68:69]
	v_fma_f64 v[50:51], -v[46:47], v[48:49], 1.0
	v_fma_f64 v[48:49], v[50:51], v[48:49], v[48:49]
	v_fma_f64 v[50:51], -v[46:47], v[48:49], 1.0
	v_fma_f64 v[48:49], v[50:51], v[48:49], v[48:49]
	v_mul_f64 v[50:51], v[66:67], v[48:49]
	v_mul_f64 v[70:71], v[46:47], v[50:51]
	v_fma_f64 v[46:47], v[50:51], v[46:47], -v[70:71]
	v_fma_f64 v[44:45], v[50:51], v[44:45], v[46:47]
	v_add_f64 v[46:47], v[70:71], v[44:45]
	v_add_f64 v[68:69], v[66:67], -v[46:47]
	v_add_f64 v[70:71], v[46:47], -v[70:71]
	;; [unrolled: 1-line block ×5, first 2 shown]
	v_add_f64 v[44:45], v[44:45], v[46:47]
	v_add_f64 v[44:45], v[68:69], v[44:45]
	v_mul_f64 v[44:45], v[48:49], v[44:45]
	v_add_f64 v[46:47], v[50:51], v[44:45]
	v_mul_f64 v[48:49], v[46:47], v[46:47]
	v_fma_f64 v[66:67], v[48:49], s[24:25], v[26:27]
	v_mul_f64 v[68:69], v[46:47], v[48:49]
	v_fma_f64 v[66:67], v[48:49], v[66:67], s[26:27]
	v_fma_f64 v[66:67], v[48:49], v[66:67], s[28:29]
	;; [unrolled: 1-line block ×5, first 2 shown]
	v_ldexp_f64 v[66:67], v[46:47], 1
	v_add_f64 v[46:47], v[46:47], -v[50:51]
	v_mul_f64 v[48:49], v[68:69], v[48:49]
	v_frexp_exp_i32_f64_e32 v68, v[20:21]
	v_add_f64 v[44:45], v[44:45], -v[46:47]
	v_add_f64 v[50:51], v[66:67], v[48:49]
	v_subbrev_co_u32_e32 v68, vcc, 0, v68, vcc
	v_cvt_f64_i32_e32 v[68:69], v68
	v_ldexp_f64 v[44:45], v[44:45], 1
	v_cmp_class_f64_e64 vcc, v[20:21], s83
	v_mul_f64 v[70:71], v[68:69], s[36:37]
	v_add_f64 v[46:47], v[50:51], -v[66:67]
	v_fma_f64 v[66:67], v[68:69], s[36:37], -v[70:71]
	v_add_f64 v[46:47], v[48:49], -v[46:47]
	v_fma_f64 v[48:49], v[68:69], s[38:39], v[66:67]
	v_add_f64 v[44:45], v[44:45], v[46:47]
	v_add_f64 v[46:47], v[70:71], v[48:49]
	;; [unrolled: 1-line block ×3, first 2 shown]
	v_add_f64 v[70:71], v[46:47], -v[70:71]
	v_add_f64 v[68:69], v[46:47], v[66:67]
	v_add_f64 v[50:51], v[66:67], -v[50:51]
	v_add_f64 v[48:49], v[48:49], -v[70:71]
	;; [unrolled: 1-line block ×6, first 2 shown]
	v_add_f64 v[66:67], v[48:49], v[44:45]
	v_add_f64 v[46:47], v[46:47], -v[74:75]
	v_add_f64 v[46:47], v[50:51], v[46:47]
	v_add_f64 v[50:51], v[66:67], -v[48:49]
	;; [unrolled: 2-line block ×3, first 2 shown]
	v_add_f64 v[44:45], v[44:45], -v[50:51]
	v_add_f64 v[70:71], v[68:69], v[46:47]
	v_add_f64 v[48:49], v[48:49], -v[66:67]
	v_add_f64 v[50:51], v[70:71], -v[68:69]
	v_add_f64 v[44:45], v[44:45], v[48:49]
	v_add_f64 v[46:47], v[46:47], -v[50:51]
	v_add_f64 v[44:45], v[44:45], v[46:47]
	v_add_f64 v[44:45], v[70:71], v[44:45]
	v_cndmask_b32_e32 v44, v44, v20, vcc
	v_cndmask_b32_e32 v45, v45, v21, vcc
	v_cmp_neq_f64_e32 vcc, 0, v[20:21]
	v_cndmask_b32_e32 v21, v59, v45, vcc
	v_cndmask_b32_e32 v20, 0, v44, vcc
.LBB48_644:                             ;   in Loop: Header=BB48_434 Depth=1
	s_or_saveexec_b64 s[8:9], s[6:7]
	v_and_b32_e32 v45, 0x7fffffff, v13
	v_mov_b32_e32 v44, v12
	s_xor_b64 exec, exec, s[8:9]
	s_cbranch_execz .LBB48_666
; %bb.645:                              ;   in Loop: Header=BB48_434 Depth=1
	s_mov_b32 s66, 0
	s_mov_b32 s67, 0x39000000
	v_cmp_neq_f64_e64 s[6:7], |v[10:11]|, 1.0
	v_cmp_nlt_f64_e64 s[66:67], |v[12:13]|, s[66:67]
                                        ; implicit-def: $vgpr20_vgpr21
	s_or_b64 s[6:7], s[6:7], s[66:67]
	s_and_saveexec_b64 s[66:67], s[6:7]
	s_xor_b64 s[66:67], exec, s[66:67]
	s_cbranch_execz .LBB48_663
; %bb.646:                              ;   in Loop: Header=BB48_434 Depth=1
	s_movk_i32 s6, 0xffcc
	v_ldexp_f64 v[20:21], |v[18:19]|, s6
	v_cmp_ge_f64_e64 s[6:7], |v[12:13]|, v[20:21]
                                        ; implicit-def: $vgpr20_vgpr21
	s_and_saveexec_b64 s[68:69], s[6:7]
	s_xor_b64 s[68:69], exec, s[68:69]
	s_cbranch_execz .LBB48_656
; %bb.647:                              ;   in Loop: Header=BB48_434 Depth=1
	v_cmp_neq_f64_e32 vcc, 0, v[36:37]
	v_mov_b32_e32 v20, v44
	v_mov_b32_e32 v21, v45
	s_and_saveexec_b64 s[6:7], vcc
	s_cbranch_execz .LBB48_649
; %bb.648:                              ;   in Loop: Header=BB48_434 Depth=1
	v_mul_f64 v[20:21], v[12:13], v[12:13]
	v_add_f64 v[46:47], v[36:37], v[42:43]
	v_div_scale_f64 v[48:49], s[70:71], v[46:47], v[46:47], v[20:21]
	v_div_scale_f64 v[68:69], vcc, v[20:21], v[46:47], v[20:21]
	v_rcp_f64_e32 v[50:51], v[48:49]
	v_fma_f64 v[66:67], -v[48:49], v[50:51], 1.0
	v_fma_f64 v[50:51], v[50:51], v[66:67], v[50:51]
	v_fma_f64 v[66:67], -v[48:49], v[50:51], 1.0
	v_fma_f64 v[50:51], v[50:51], v[66:67], v[50:51]
	v_mul_f64 v[66:67], v[68:69], v[50:51]
	v_fma_f64 v[48:49], -v[48:49], v[66:67], v[68:69]
	v_div_fmas_f64 v[48:49], v[48:49], v[50:51], v[66:67]
	v_div_fixup_f64 v[20:21], v[48:49], v[46:47], v[20:21]
.LBB48_649:                             ;   in Loop: Header=BB48_434 Depth=1
	s_or_b64 exec, exec, s[6:7]
	v_add_f64 v[48:49], -|v[10:11]|, 1.0
                                        ; implicit-def: $vgpr46_vgpr47
	v_cmp_ngt_f64_e32 vcc, 0, v[48:49]
	s_and_saveexec_b64 s[6:7], vcc
	s_xor_b64 s[6:7], exec, s[6:7]
	s_cbranch_execz .LBB48_653
; %bb.650:                              ;   in Loop: Header=BB48_434 Depth=1
	v_cmp_neq_f64_e32 vcc, 0, v[48:49]
	v_mov_b32_e32 v47, v45
	v_mov_b32_e32 v46, v44
	s_and_saveexec_b64 s[70:71], vcc
	s_cbranch_execz .LBB48_652
; %bb.651:                              ;   in Loop: Header=BB48_434 Depth=1
	v_mul_f64 v[46:47], v[12:13], v[12:13]
	v_add_f64 v[48:49], v[48:49], v[40:41]
	v_div_scale_f64 v[50:51], s[72:73], v[48:49], v[48:49], v[46:47]
	v_div_scale_f64 v[70:71], vcc, v[46:47], v[48:49], v[46:47]
	v_rcp_f64_e32 v[66:67], v[50:51]
	v_fma_f64 v[68:69], -v[50:51], v[66:67], 1.0
	v_fma_f64 v[66:67], v[66:67], v[68:69], v[66:67]
	v_fma_f64 v[68:69], -v[50:51], v[66:67], 1.0
	v_fma_f64 v[66:67], v[66:67], v[68:69], v[66:67]
	v_mul_f64 v[68:69], v[70:71], v[66:67]
	v_fma_f64 v[50:51], -v[50:51], v[68:69], v[70:71]
	v_div_fmas_f64 v[50:51], v[50:51], v[66:67], v[68:69]
	v_div_fixup_f64 v[46:47], v[50:51], v[48:49], v[46:47]
.LBB48_652:                             ;   in Loop: Header=BB48_434 Depth=1
	s_or_b64 exec, exec, s[70:71]
	s_mov_b32 s72, 0xb5e68a13
	s_mov_b32 s73, 0x3eeba404
                                        ; implicit-def: $vgpr48_vgpr49
.LBB48_653:                             ;   in Loop: Header=BB48_434 Depth=1
	s_andn2_saveexec_b64 s[6:7], s[6:7]
; %bb.654:                              ;   in Loop: Header=BB48_434 Depth=1
	v_add_f64 v[46:47], v[40:41], -v[48:49]
; %bb.655:                              ;   in Loop: Header=BB48_434 Depth=1
	s_or_b64 exec, exec, s[6:7]
	v_mul_f64 v[46:47], v[46:47], 0.5
	s_mov_b32 s6, 0
	s_brev_b32 s7, 8
	s_mov_b32 s23, s63
	v_fma_f64 v[20:21], v[20:21], 0.5, v[46:47]
	v_add_f64 v[46:47], v[38:39], 1.0
	v_mul_f64 v[46:47], v[46:47], v[20:21]
	v_cmp_gt_f64_e32 vcc, s[6:7], v[46:47]
	v_cndmask_b32_e32 v48, 0, v57, vcc
	v_ldexp_f64 v[46:47], v[46:47], v48
	v_rsq_f64_e32 v[48:49], v[46:47]
	v_mul_f64 v[50:51], v[46:47], v[48:49]
	v_mul_f64 v[48:49], v[48:49], 0.5
	v_fma_f64 v[66:67], -v[48:49], v[50:51], 0.5
	v_fma_f64 v[50:51], v[50:51], v[66:67], v[50:51]
	v_fma_f64 v[48:49], v[48:49], v[66:67], v[48:49]
	v_fma_f64 v[68:69], -v[50:51], v[50:51], v[46:47]
	v_fma_f64 v[50:51], v[68:69], v[48:49], v[50:51]
	v_fma_f64 v[66:67], -v[50:51], v[50:51], v[46:47]
	v_fma_f64 v[48:49], v[66:67], v[48:49], v[50:51]
	v_cndmask_b32_e32 v50, 0, v58, vcc
	v_cmp_class_f64_e32 vcc, v[46:47], v54
	v_ldexp_f64 v[48:49], v[48:49], v50
	v_cndmask_b32_e32 v47, v49, v47, vcc
	v_cndmask_b32_e32 v46, v48, v46, vcc
	v_add_f64 v[46:47], v[20:21], v[46:47]
	v_add_f64 v[20:21], v[46:47], 1.0
	v_cmp_ngt_f64_e64 s[6:7], -1.0, v[46:47]
	v_add_f64 v[48:49], v[20:21], -1.0
	v_frexp_exp_i32_f64_e32 v66, v[20:21]
	v_add_f64 v[50:51], v[48:49], -v[20:21]
	v_add_f64 v[48:49], v[46:47], -v[48:49]
	v_add_f64 v[50:51], v[50:51], 1.0
	v_add_f64 v[48:49], v[48:49], v[50:51]
	v_frexp_mant_f64_e32 v[50:51], v[20:21]
	v_cmp_gt_f64_e32 vcc, s[62:63], v[50:51]
	v_subbrev_co_u32_e32 v80, vcc, 0, v66, vcc
	v_sub_u32_e32 v50, 0, v80
	v_ldexp_f64 v[20:21], v[20:21], v50
	v_ldexp_f64 v[48:49], v[48:49], v50
	v_cmp_neq_f64_e32 vcc, s[56:57], v[46:47]
	v_add_f64 v[50:51], v[20:21], -1.0
	v_add_f64 v[66:67], v[50:51], 1.0
	v_add_f64 v[66:67], v[20:21], -v[66:67]
	v_add_f64 v[66:67], v[48:49], v[66:67]
	v_add_f64 v[68:69], v[50:51], v[66:67]
	v_add_f64 v[50:51], v[68:69], -v[50:51]
	v_add_f64 v[50:51], v[66:67], -v[50:51]
	v_add_f64 v[66:67], v[20:21], 1.0
	v_add_f64 v[70:71], v[66:67], -1.0
	v_add_f64 v[20:21], v[20:21], -v[70:71]
	v_add_f64 v[20:21], v[48:49], v[20:21]
	v_add_f64 v[48:49], v[66:67], v[20:21]
	v_add_f64 v[66:67], v[48:49], -v[66:67]
	v_add_f64 v[20:21], v[20:21], -v[66:67]
	v_rcp_f64_e32 v[66:67], v[48:49]
	v_fma_f64 v[70:71], -v[48:49], v[66:67], 1.0
	v_fma_f64 v[66:67], v[70:71], v[66:67], v[66:67]
	v_fma_f64 v[70:71], -v[48:49], v[66:67], 1.0
	v_fma_f64 v[66:67], v[70:71], v[66:67], v[66:67]
	v_mul_f64 v[70:71], v[68:69], v[66:67]
	v_mul_f64 v[72:73], v[48:49], v[70:71]
	v_fma_f64 v[74:75], v[70:71], v[48:49], -v[72:73]
	v_fma_f64 v[74:75], v[70:71], v[20:21], v[74:75]
	v_add_f64 v[76:77], v[72:73], v[74:75]
	v_add_f64 v[78:79], v[68:69], -v[76:77]
	v_add_f64 v[72:73], v[76:77], -v[72:73]
	;; [unrolled: 1-line block ×4, first 2 shown]
	v_add_f64 v[50:51], v[50:51], v[68:69]
	v_add_f64 v[68:69], v[72:73], -v[74:75]
	v_add_f64 v[50:51], v[68:69], v[50:51]
	v_add_f64 v[68:69], v[78:79], v[50:51]
	v_add_f64 v[72:73], v[78:79], -v[68:69]
	v_add_f64 v[50:51], v[50:51], v[72:73]
	v_mul_f64 v[72:73], v[66:67], v[68:69]
	v_mul_f64 v[74:75], v[48:49], v[72:73]
	v_fma_f64 v[48:49], v[72:73], v[48:49], -v[74:75]
	v_fma_f64 v[20:21], v[72:73], v[20:21], v[48:49]
	v_add_f64 v[48:49], v[74:75], v[20:21]
	v_add_f64 v[76:77], v[68:69], -v[48:49]
	v_add_f64 v[74:75], v[48:49], -v[74:75]
	;; [unrolled: 1-line block ×5, first 2 shown]
	v_cvt_f64_i32_e32 v[68:69], v80
	v_add_f64 v[48:49], v[50:51], v[48:49]
	v_add_f64 v[20:21], v[20:21], v[48:49]
	;; [unrolled: 1-line block ×4, first 2 shown]
	v_add_f64 v[50:51], v[48:49], -v[70:71]
	v_mul_f64 v[70:71], v[68:69], s[36:37]
	v_mul_f64 v[20:21], v[66:67], v[20:21]
	v_add_f64 v[50:51], v[72:73], -v[50:51]
	v_fma_f64 v[72:73], v[68:69], s[36:37], -v[70:71]
	v_add_f64 v[20:21], v[50:51], v[20:21]
	v_fma_f64 v[68:69], v[68:69], s[38:39], v[72:73]
	v_add_f64 v[50:51], v[48:49], v[20:21]
	v_add_f64 v[72:73], v[70:71], v[68:69]
	v_add_f64 v[48:49], v[50:51], -v[48:49]
	v_add_f64 v[70:71], v[72:73], -v[70:71]
	;; [unrolled: 1-line block ×3, first 2 shown]
	v_mul_f64 v[48:49], v[50:51], v[50:51]
	v_add_f64 v[68:69], v[68:69], -v[70:71]
	v_ldexp_f64 v[70:71], v[50:51], 1
	v_ldexp_f64 v[20:21], v[20:21], 1
	v_fma_f64 v[66:67], v[48:49], s[24:25], v[26:27]
	v_fma_f64 v[66:67], v[48:49], v[66:67], s[26:27]
	;; [unrolled: 1-line block ×6, first 2 shown]
	v_mul_f64 v[48:49], v[50:51], v[48:49]
	v_mul_f64 v[48:49], v[48:49], v[66:67]
	v_add_f64 v[50:51], v[70:71], v[48:49]
	v_add_f64 v[66:67], v[50:51], -v[70:71]
	v_add_f64 v[48:49], v[48:49], -v[66:67]
	v_add_f64 v[20:21], v[20:21], v[48:49]
	v_add_f64 v[48:49], v[50:51], v[20:21]
	v_add_f64 v[50:51], v[48:49], -v[50:51]
	v_add_f64 v[20:21], v[20:21], -v[50:51]
	v_add_f64 v[50:51], v[72:73], v[48:49]
	v_add_f64 v[66:67], v[50:51], -v[72:73]
	v_add_f64 v[70:71], v[50:51], -v[66:67]
	v_add_f64 v[48:49], v[48:49], -v[66:67]
	v_add_f64 v[66:67], v[68:69], v[20:21]
	v_add_f64 v[70:71], v[72:73], -v[70:71]
	v_add_f64 v[48:49], v[48:49], v[70:71]
	v_add_f64 v[70:71], v[66:67], -v[68:69]
	;; [unrolled: 2-line block ×3, first 2 shown]
	v_add_f64 v[20:21], v[20:21], -v[70:71]
	v_add_f64 v[66:67], v[50:51], v[48:49]
	v_add_f64 v[68:69], v[68:69], -v[72:73]
	v_add_f64 v[50:51], v[66:67], -v[50:51]
	v_add_f64 v[20:21], v[20:21], v[68:69]
	v_add_f64 v[48:49], v[48:49], -v[50:51]
	v_add_f64 v[20:21], v[20:21], v[48:49]
	v_add_f64 v[20:21], v[66:67], v[20:21]
	v_cndmask_b32_e32 v21, v55, v21, vcc
	v_cndmask_b32_e64 v21, v60, v21, s[6:7]
	v_cmp_nge_f64_e64 s[6:7], -1.0, v[46:47]
	s_and_b64 vcc, s[6:7], vcc
	v_cndmask_b32_e32 v20, 0, v20, vcc
	v_cmp_neq_f64_e32 vcc, -1.0, v[46:47]
	v_cndmask_b32_e32 v21, v59, v21, vcc
.LBB48_656:                             ;   in Loop: Header=BB48_434 Depth=1
	s_andn2_saveexec_b64 s[68:69], s[68:69]
	s_cbranch_execz .LBB48_662
; %bb.657:                              ;   in Loop: Header=BB48_434 Depth=1
	v_cmp_nlt_f64_e64 s[6:7], |v[10:11]|, 1.0
                                        ; implicit-def: $vgpr20_vgpr21
	s_and_saveexec_b64 s[70:71], s[6:7]
	s_xor_b64 s[70:71], exec, s[70:71]
	s_cbranch_execz .LBB48_659
; %bb.658:                              ;   in Loop: Header=BB48_434 Depth=1
	v_mul_f64 v[20:21], v[18:19], v[36:37]
	s_mov_b32 s6, 0
	s_brev_b32 s7, 8
	s_mov_b32 s23, s63
	v_cmp_gt_f64_e32 vcc, s[6:7], v[20:21]
	v_cndmask_b32_e32 v46, 0, v57, vcc
	v_ldexp_f64 v[20:21], v[20:21], v46
	v_rsq_f64_e32 v[46:47], v[20:21]
	v_mul_f64 v[48:49], v[20:21], v[46:47]
	v_mul_f64 v[46:47], v[46:47], 0.5
	v_fma_f64 v[50:51], -v[46:47], v[48:49], 0.5
	v_fma_f64 v[48:49], v[48:49], v[50:51], v[48:49]
	v_fma_f64 v[46:47], v[46:47], v[50:51], v[46:47]
	v_fma_f64 v[66:67], -v[48:49], v[48:49], v[20:21]
	v_fma_f64 v[48:49], v[66:67], v[46:47], v[48:49]
	v_fma_f64 v[50:51], -v[48:49], v[48:49], v[20:21]
	v_fma_f64 v[46:47], v[50:51], v[46:47], v[48:49]
	v_cndmask_b32_e32 v48, 0, v58, vcc
	v_cmp_class_f64_e32 vcc, v[20:21], v54
	v_ldexp_f64 v[46:47], v[46:47], v48
	v_cndmask_b32_e32 v21, v47, v21, vcc
	v_cndmask_b32_e32 v20, v46, v20, vcc
	v_add_f64 v[46:47], v[18:19], v[20:21]
	v_add_f64 v[20:21], v[46:47], 1.0
	v_cmp_ngt_f64_e64 s[6:7], -1.0, v[46:47]
	v_add_f64 v[48:49], v[20:21], -1.0
	v_frexp_exp_i32_f64_e32 v66, v[20:21]
	v_add_f64 v[50:51], v[48:49], -v[20:21]
	v_add_f64 v[48:49], v[46:47], -v[48:49]
	v_add_f64 v[50:51], v[50:51], 1.0
	v_add_f64 v[48:49], v[48:49], v[50:51]
	v_frexp_mant_f64_e32 v[50:51], v[20:21]
	v_cmp_gt_f64_e32 vcc, s[62:63], v[50:51]
	v_subbrev_co_u32_e32 v80, vcc, 0, v66, vcc
	v_sub_u32_e32 v50, 0, v80
	v_ldexp_f64 v[20:21], v[20:21], v50
	v_ldexp_f64 v[48:49], v[48:49], v50
	v_cmp_neq_f64_e32 vcc, s[56:57], v[46:47]
	v_add_f64 v[50:51], v[20:21], -1.0
	v_add_f64 v[66:67], v[50:51], 1.0
	v_add_f64 v[66:67], v[20:21], -v[66:67]
	v_add_f64 v[66:67], v[48:49], v[66:67]
	v_add_f64 v[68:69], v[50:51], v[66:67]
	v_add_f64 v[50:51], v[68:69], -v[50:51]
	v_add_f64 v[50:51], v[66:67], -v[50:51]
	v_add_f64 v[66:67], v[20:21], 1.0
	v_add_f64 v[70:71], v[66:67], -1.0
	v_add_f64 v[20:21], v[20:21], -v[70:71]
	v_add_f64 v[20:21], v[48:49], v[20:21]
	v_add_f64 v[48:49], v[66:67], v[20:21]
	v_add_f64 v[66:67], v[48:49], -v[66:67]
	v_add_f64 v[20:21], v[20:21], -v[66:67]
	v_rcp_f64_e32 v[66:67], v[48:49]
	v_fma_f64 v[70:71], -v[48:49], v[66:67], 1.0
	v_fma_f64 v[66:67], v[70:71], v[66:67], v[66:67]
	v_fma_f64 v[70:71], -v[48:49], v[66:67], 1.0
	v_fma_f64 v[66:67], v[70:71], v[66:67], v[66:67]
	v_mul_f64 v[70:71], v[68:69], v[66:67]
	v_mul_f64 v[72:73], v[48:49], v[70:71]
	v_fma_f64 v[74:75], v[70:71], v[48:49], -v[72:73]
	v_fma_f64 v[74:75], v[70:71], v[20:21], v[74:75]
	v_add_f64 v[76:77], v[72:73], v[74:75]
	v_add_f64 v[78:79], v[68:69], -v[76:77]
	v_add_f64 v[72:73], v[76:77], -v[72:73]
	;; [unrolled: 1-line block ×4, first 2 shown]
	v_add_f64 v[50:51], v[50:51], v[68:69]
	v_add_f64 v[68:69], v[72:73], -v[74:75]
	v_add_f64 v[50:51], v[68:69], v[50:51]
	v_add_f64 v[68:69], v[78:79], v[50:51]
	v_add_f64 v[72:73], v[78:79], -v[68:69]
	v_add_f64 v[50:51], v[50:51], v[72:73]
	v_mul_f64 v[72:73], v[66:67], v[68:69]
	v_mul_f64 v[74:75], v[48:49], v[72:73]
	v_fma_f64 v[48:49], v[72:73], v[48:49], -v[74:75]
	v_fma_f64 v[20:21], v[72:73], v[20:21], v[48:49]
	v_add_f64 v[48:49], v[74:75], v[20:21]
	v_add_f64 v[76:77], v[68:69], -v[48:49]
	v_add_f64 v[74:75], v[48:49], -v[74:75]
	;; [unrolled: 1-line block ×5, first 2 shown]
	v_cvt_f64_i32_e32 v[68:69], v80
	v_add_f64 v[48:49], v[50:51], v[48:49]
	v_add_f64 v[20:21], v[20:21], v[48:49]
	;; [unrolled: 1-line block ×4, first 2 shown]
	v_add_f64 v[50:51], v[48:49], -v[70:71]
	v_mul_f64 v[70:71], v[68:69], s[36:37]
	v_mul_f64 v[20:21], v[66:67], v[20:21]
	v_add_f64 v[50:51], v[72:73], -v[50:51]
	v_fma_f64 v[72:73], v[68:69], s[36:37], -v[70:71]
	v_add_f64 v[20:21], v[50:51], v[20:21]
	v_fma_f64 v[68:69], v[68:69], s[38:39], v[72:73]
	v_add_f64 v[50:51], v[48:49], v[20:21]
	v_add_f64 v[72:73], v[70:71], v[68:69]
	v_add_f64 v[48:49], v[50:51], -v[48:49]
	v_add_f64 v[70:71], v[72:73], -v[70:71]
	;; [unrolled: 1-line block ×3, first 2 shown]
	v_mul_f64 v[48:49], v[50:51], v[50:51]
	v_add_f64 v[68:69], v[68:69], -v[70:71]
	v_ldexp_f64 v[70:71], v[50:51], 1
	v_ldexp_f64 v[20:21], v[20:21], 1
	v_fma_f64 v[66:67], v[48:49], s[24:25], v[26:27]
	v_fma_f64 v[66:67], v[48:49], v[66:67], s[26:27]
	;; [unrolled: 1-line block ×6, first 2 shown]
	v_mul_f64 v[48:49], v[50:51], v[48:49]
	v_mul_f64 v[48:49], v[48:49], v[66:67]
	v_add_f64 v[50:51], v[70:71], v[48:49]
	v_add_f64 v[66:67], v[50:51], -v[70:71]
	v_add_f64 v[48:49], v[48:49], -v[66:67]
	v_add_f64 v[20:21], v[20:21], v[48:49]
	v_add_f64 v[48:49], v[50:51], v[20:21]
	v_add_f64 v[50:51], v[48:49], -v[50:51]
	v_add_f64 v[20:21], v[20:21], -v[50:51]
	v_add_f64 v[50:51], v[72:73], v[48:49]
	v_add_f64 v[66:67], v[50:51], -v[72:73]
	v_add_f64 v[70:71], v[50:51], -v[66:67]
	;; [unrolled: 1-line block ×3, first 2 shown]
	v_add_f64 v[66:67], v[68:69], v[20:21]
	v_add_f64 v[70:71], v[72:73], -v[70:71]
	v_add_f64 v[48:49], v[48:49], v[70:71]
	v_add_f64 v[70:71], v[66:67], -v[68:69]
	;; [unrolled: 2-line block ×3, first 2 shown]
	v_add_f64 v[20:21], v[20:21], -v[70:71]
	v_add_f64 v[66:67], v[50:51], v[48:49]
	v_add_f64 v[68:69], v[68:69], -v[72:73]
	v_add_f64 v[50:51], v[66:67], -v[50:51]
	v_add_f64 v[20:21], v[20:21], v[68:69]
	v_add_f64 v[48:49], v[48:49], -v[50:51]
	v_add_f64 v[20:21], v[20:21], v[48:49]
	v_add_f64 v[20:21], v[66:67], v[20:21]
	v_cndmask_b32_e32 v21, v55, v21, vcc
	v_cndmask_b32_e64 v21, v60, v21, s[6:7]
	v_cmp_nge_f64_e64 s[6:7], -1.0, v[46:47]
	s_and_b64 vcc, s[6:7], vcc
	v_cndmask_b32_e32 v20, 0, v20, vcc
	v_cmp_neq_f64_e32 vcc, -1.0, v[46:47]
	v_cndmask_b32_e32 v21, v59, v21, vcc
.LBB48_659:                             ;   in Loop: Header=BB48_434 Depth=1
	s_andn2_saveexec_b64 s[6:7], s[70:71]
	s_cbranch_execz .LBB48_661
; %bb.660:                              ;   in Loop: Header=BB48_434 Depth=1
	v_add_f64 v[20:21], -|v[10:11]|, 1.0
	s_mov_b32 s70, 0
	s_brev_b32 s71, 8
	v_mul_f64 v[20:21], v[20:21], v[36:37]
	v_cmp_gt_f64_e32 vcc, s[70:71], v[20:21]
	v_cndmask_b32_e32 v46, 0, v57, vcc
	v_ldexp_f64 v[20:21], v[20:21], v46
	v_rsq_f64_e32 v[46:47], v[20:21]
	v_mul_f64 v[48:49], v[20:21], v[46:47]
	v_mul_f64 v[46:47], v[46:47], 0.5
	v_fma_f64 v[50:51], -v[46:47], v[48:49], 0.5
	v_fma_f64 v[48:49], v[48:49], v[50:51], v[48:49]
	v_fma_f64 v[46:47], v[46:47], v[50:51], v[46:47]
	v_fma_f64 v[50:51], -v[48:49], v[48:49], v[20:21]
	v_fma_f64 v[48:49], v[50:51], v[46:47], v[48:49]
	v_fma_f64 v[50:51], -v[48:49], v[48:49], v[20:21]
	v_fma_f64 v[46:47], v[50:51], v[46:47], v[48:49]
	v_cndmask_b32_e32 v48, 0, v58, vcc
	v_cmp_class_f64_e32 vcc, v[20:21], v54
	v_mov_b32_e32 v49, v45
	v_ldexp_f64 v[46:47], v[46:47], v48
	v_mov_b32_e32 v48, v12
	v_cndmask_b32_e32 v21, v47, v21, vcc
	v_cndmask_b32_e32 v20, v46, v20, vcc
	v_div_scale_f64 v[46:47], s[70:71], v[20:21], v[20:21], v[48:49]
	v_div_scale_f64 v[48:49], vcc, v[48:49], v[20:21], v[48:49]
	v_rcp_f64_e32 v[50:51], v[46:47]
	v_fma_f64 v[66:67], -v[46:47], v[50:51], 1.0
	v_fma_f64 v[50:51], v[50:51], v[66:67], v[50:51]
	v_fma_f64 v[66:67], -v[46:47], v[50:51], 1.0
	v_fma_f64 v[50:51], v[50:51], v[66:67], v[50:51]
	v_mul_f64 v[66:67], v[48:49], v[50:51]
	v_fma_f64 v[46:47], -v[46:47], v[66:67], v[48:49]
	v_div_fmas_f64 v[46:47], v[46:47], v[50:51], v[66:67]
	v_div_fixup_f64 v[20:21], v[46:47], v[20:21], |v[12:13]|
.LBB48_661:                             ;   in Loop: Header=BB48_434 Depth=1
	s_or_b64 exec, exec, s[6:7]
.LBB48_662:                             ;   in Loop: Header=BB48_434 Depth=1
	s_or_b64 exec, exec, s[68:69]
.LBB48_663:                             ;   in Loop: Header=BB48_434 Depth=1
	s_andn2_saveexec_b64 s[6:7], s[66:67]
	s_cbranch_execz .LBB48_665
; %bb.664:                              ;   in Loop: Header=BB48_434 Depth=1
	s_mov_b32 s66, 0
	s_brev_b32 s67, 8
	v_cmp_lt_f64_e64 vcc, |v[12:13]|, s[66:67]
	v_cndmask_b32_e32 v20, 0, v57, vcc
	v_ldexp_f64 v[20:21], |v[12:13]|, v20
	v_rsq_f64_e32 v[46:47], v[20:21]
	v_mul_f64 v[48:49], v[20:21], v[46:47]
	v_mul_f64 v[46:47], v[46:47], 0.5
	v_fma_f64 v[50:51], -v[46:47], v[48:49], 0.5
	v_fma_f64 v[48:49], v[48:49], v[50:51], v[48:49]
	v_fma_f64 v[46:47], v[46:47], v[50:51], v[46:47]
	v_fma_f64 v[50:51], -v[48:49], v[48:49], v[20:21]
	v_fma_f64 v[48:49], v[50:51], v[46:47], v[48:49]
	v_fma_f64 v[50:51], -v[48:49], v[48:49], v[20:21]
	v_fma_f64 v[46:47], v[50:51], v[46:47], v[48:49]
	v_cndmask_b32_e32 v48, 0, v58, vcc
	v_cmp_class_f64_e32 vcc, v[20:21], v54
	v_ldexp_f64 v[46:47], v[46:47], v48
	v_cndmask_b32_e32 v21, v47, v21, vcc
	v_cndmask_b32_e32 v20, v46, v20, vcc
.LBB48_665:                             ;   in Loop: Header=BB48_434 Depth=1
	s_or_b64 exec, exec, s[6:7]
.LBB48_666:                             ;   in Loop: Header=BB48_434 Depth=1
	s_or_b64 exec, exec, s[8:9]
	s_mov_b32 s6, 0
	s_mov_b32 s7, 0x20200000
	v_cmp_nlt_f64_e64 s[8:9], |v[10:11]|, s[6:7]
                                        ; implicit-def: $sgpr6_sgpr7
                                        ; implicit-def: $vgpr46_vgpr47
                                        ; implicit-def: $vgpr50_vgpr51
                                        ; implicit-def: $vgpr48_vgpr49
	s_and_saveexec_b64 s[66:67], s[8:9]
	s_xor_b64 s[8:9], exec, s[66:67]
	s_cbranch_execz .LBB48_690
; %bb.667:                              ;   in Loop: Header=BB48_434 Depth=1
	v_and_b32_e32 v49, 0x7fffffff, v11
	v_mov_b32_e32 v48, v10
	v_div_scale_f64 v[46:47], s[6:7], v[38:39], v[38:39], v[48:49]
	v_div_scale_f64 v[68:69], vcc, v[48:49], v[38:39], v[48:49]
	s_mov_b32 s6, 0x703afb7f
	s_mov_b32 s7, 0x3fe488ce
	v_rcp_f64_e32 v[50:51], v[46:47]
	v_fma_f64 v[66:67], -v[46:47], v[50:51], 1.0
	v_fma_f64 v[50:51], v[50:51], v[66:67], v[50:51]
	v_fma_f64 v[66:67], -v[46:47], v[50:51], 1.0
	v_fma_f64 v[50:51], v[50:51], v[66:67], v[50:51]
	v_mul_f64 v[66:67], v[68:69], v[50:51]
	v_fma_f64 v[46:47], -v[46:47], v[66:67], v[68:69]
	v_div_fmas_f64 v[46:47], v[46:47], v[50:51], v[66:67]
                                        ; implicit-def: $vgpr50_vgpr51
	v_div_fixup_f64 v[46:47], v[46:47], v[38:39], |v[10:11]|
	v_cmp_lt_f64_e32 vcc, s[6:7], v[46:47]
	s_mov_b64 s[6:7], 0
	s_and_saveexec_b64 s[66:67], vcc
	s_cbranch_execz .LBB48_689
; %bb.668:                              ;   in Loop: Header=BB48_434 Depth=1
	s_mov_b32 s68, 0
	s_mov_b32 s69, 0x3c400000
	v_cmp_neq_f64_e64 s[6:7], |v[10:11]|, 1.0
	v_cmp_nlt_f64_e64 s[68:69], |v[12:13]|, s[68:69]
                                        ; implicit-def: $vgpr50_vgpr51
	s_or_b64 s[6:7], s[6:7], s[68:69]
	s_and_saveexec_b64 s[68:69], s[6:7]
	s_xor_b64 s[6:7], exec, s[68:69]
	s_cbranch_execz .LBB48_686
; %bb.669:                              ;   in Loop: Header=BB48_434 Depth=1
	s_movk_i32 s23, 0xffcc
	v_ldexp_f64 v[50:51], |v[18:19]|, s23
	v_cmp_ge_f64_e64 s[68:69], |v[12:13]|, v[50:51]
                                        ; implicit-def: $vgpr50_vgpr51
	s_and_saveexec_b64 s[70:71], s[68:69]
	s_xor_b64 s[68:69], exec, s[70:71]
	s_cbranch_execz .LBB48_679
; %bb.670:                              ;   in Loop: Header=BB48_434 Depth=1
	v_cmp_neq_f64_e32 vcc, 0, v[36:37]
	v_mov_b32_e32 v51, v45
	v_mov_b32_e32 v50, v44
	s_and_saveexec_b64 s[70:71], vcc
	s_cbranch_execz .LBB48_672
; %bb.671:                              ;   in Loop: Header=BB48_434 Depth=1
	v_mul_f64 v[50:51], v[12:13], v[12:13]
	v_add_f64 v[36:37], v[36:37], v[42:43]
	v_div_scale_f64 v[42:43], s[72:73], v[36:37], v[36:37], v[50:51]
	v_div_scale_f64 v[70:71], vcc, v[50:51], v[36:37], v[50:51]
	v_rcp_f64_e32 v[66:67], v[42:43]
	v_fma_f64 v[68:69], -v[42:43], v[66:67], 1.0
	v_fma_f64 v[66:67], v[66:67], v[68:69], v[66:67]
	v_fma_f64 v[68:69], -v[42:43], v[66:67], 1.0
	v_fma_f64 v[66:67], v[66:67], v[68:69], v[66:67]
	v_mul_f64 v[68:69], v[70:71], v[66:67]
	v_fma_f64 v[42:43], -v[42:43], v[68:69], v[70:71]
	v_div_fmas_f64 v[42:43], v[42:43], v[66:67], v[68:69]
	v_div_fixup_f64 v[50:51], v[42:43], v[36:37], v[50:51]
.LBB48_672:                             ;   in Loop: Header=BB48_434 Depth=1
	s_or_b64 exec, exec, s[70:71]
	v_cmp_ngt_f64_e32 vcc, 0, v[18:19]
	s_and_saveexec_b64 s[70:71], vcc
	s_xor_b64 s[70:71], exec, s[70:71]
	s_cbranch_execz .LBB48_676
; %bb.673:                              ;   in Loop: Header=BB48_434 Depth=1
	v_cmp_neq_f64_e32 vcc, 0, v[18:19]
	s_and_saveexec_b64 s[72:73], vcc
	s_cbranch_execz .LBB48_675
; %bb.674:                              ;   in Loop: Header=BB48_434 Depth=1
	v_mul_f64 v[12:13], v[12:13], v[12:13]
	v_add_f64 v[18:19], v[18:19], v[40:41]
	v_div_scale_f64 v[36:37], vcc, v[18:19], v[18:19], v[12:13]
	v_div_scale_f64 v[44:45], vcc, v[12:13], v[18:19], v[12:13]
	v_rcp_f64_e32 v[40:41], v[36:37]
	v_fma_f64 v[42:43], -v[36:37], v[40:41], 1.0
	v_fma_f64 v[40:41], v[40:41], v[42:43], v[40:41]
	v_fma_f64 v[42:43], -v[36:37], v[40:41], 1.0
	v_fma_f64 v[40:41], v[40:41], v[42:43], v[40:41]
	v_mul_f64 v[42:43], v[44:45], v[40:41]
	v_fma_f64 v[36:37], -v[36:37], v[42:43], v[44:45]
	v_div_fmas_f64 v[36:37], v[36:37], v[40:41], v[42:43]
	v_div_fixup_f64 v[44:45], v[36:37], v[18:19], v[12:13]
.LBB48_675:                             ;   in Loop: Header=BB48_434 Depth=1
	s_or_b64 exec, exec, s[72:73]
                                        ; implicit-def: $vgpr40_vgpr41
                                        ; implicit-def: $vgpr18_vgpr19
.LBB48_676:                             ;   in Loop: Header=BB48_434 Depth=1
	s_andn2_saveexec_b64 s[70:71], s[70:71]
; %bb.677:                              ;   in Loop: Header=BB48_434 Depth=1
	v_add_f64 v[44:45], v[40:41], -v[18:19]
; %bb.678:                              ;   in Loop: Header=BB48_434 Depth=1
	s_or_b64 exec, exec, s[70:71]
	v_mul_f64 v[12:13], v[44:45], 0.5
	v_add_f64 v[18:19], |v[10:11]|, v[38:39]
	s_mov_b32 s70, 0
	s_brev_b32 s71, 8
	v_fma_f64 v[12:13], v[50:51], 0.5, v[12:13]
	v_mul_f64 v[12:13], v[18:19], v[12:13]
	v_cmp_gt_f64_e32 vcc, s[70:71], v[12:13]
	v_cndmask_b32_e32 v18, 0, v57, vcc
	v_ldexp_f64 v[12:13], v[12:13], v18
	v_rsq_f64_e32 v[18:19], v[12:13]
	v_mul_f64 v[36:37], v[12:13], v[18:19]
	v_mul_f64 v[18:19], v[18:19], 0.5
	v_fma_f64 v[38:39], -v[18:19], v[36:37], 0.5
	v_fma_f64 v[36:37], v[36:37], v[38:39], v[36:37]
	v_fma_f64 v[18:19], v[18:19], v[38:39], v[18:19]
	v_fma_f64 v[38:39], -v[36:37], v[36:37], v[12:13]
	v_fma_f64 v[36:37], v[38:39], v[18:19], v[36:37]
	v_fma_f64 v[38:39], -v[36:37], v[36:37], v[12:13]
	v_fma_f64 v[18:19], v[38:39], v[18:19], v[36:37]
	v_cndmask_b32_e32 v36, 0, v58, vcc
	v_cmp_class_f64_e32 vcc, v[12:13], v54
	v_ldexp_f64 v[18:19], v[18:19], v36
                                        ; implicit-def: $vgpr36_vgpr37
	v_cndmask_b32_e32 v51, v19, v13, vcc
	v_cndmask_b32_e32 v50, v18, v12, vcc
                                        ; implicit-def: $vgpr18_vgpr19
.LBB48_679:                             ;   in Loop: Header=BB48_434 Depth=1
	s_andn2_saveexec_b64 s[68:69], s[68:69]
	s_cbranch_execz .LBB48_685
; %bb.680:                              ;   in Loop: Header=BB48_434 Depth=1
	v_cmp_ngt_f64_e64 s[70:71], |v[10:11]|, 1.0
                                        ; implicit-def: $vgpr50_vgpr51
	s_and_saveexec_b64 s[72:73], s[70:71]
	s_xor_b64 s[70:71], exec, s[72:73]
	s_cbranch_execz .LBB48_682
; %bb.681:                              ;   in Loop: Header=BB48_434 Depth=1
	v_add_f64 v[12:13], -|v[10:11]|, 1.0
	s_mov_b32 s72, 0
	s_brev_b32 s73, 8
	v_mul_f64 v[12:13], v[12:13], v[36:37]
	v_cmp_gt_f64_e32 vcc, s[72:73], v[12:13]
	v_cndmask_b32_e32 v18, 0, v57, vcc
	v_ldexp_f64 v[12:13], v[12:13], v18
	v_rsq_f64_e32 v[18:19], v[12:13]
	v_mul_f64 v[36:37], v[12:13], v[18:19]
	v_mul_f64 v[18:19], v[18:19], 0.5
	v_fma_f64 v[38:39], -v[18:19], v[36:37], 0.5
	v_fma_f64 v[36:37], v[36:37], v[38:39], v[36:37]
	v_fma_f64 v[18:19], v[18:19], v[38:39], v[18:19]
	v_fma_f64 v[38:39], -v[36:37], v[36:37], v[12:13]
	v_fma_f64 v[36:37], v[38:39], v[18:19], v[36:37]
	v_fma_f64 v[38:39], -v[36:37], v[36:37], v[12:13]
	v_fma_f64 v[18:19], v[38:39], v[18:19], v[36:37]
	v_cndmask_b32_e32 v36, 0, v58, vcc
	v_cmp_class_f64_e32 vcc, v[12:13], v54
	v_ldexp_f64 v[18:19], v[18:19], v36
                                        ; implicit-def: $vgpr36_vgpr37
	v_cndmask_b32_e32 v51, v19, v13, vcc
	v_cndmask_b32_e32 v50, v18, v12, vcc
                                        ; implicit-def: $vgpr18_vgpr19
.LBB48_682:                             ;   in Loop: Header=BB48_434 Depth=1
	s_andn2_saveexec_b64 s[70:71], s[70:71]
	s_cbranch_execz .LBB48_684
; %bb.683:                              ;   in Loop: Header=BB48_434 Depth=1
	v_mul_f64 v[18:19], v[36:37], v[18:19]
	s_mov_b32 s72, 0
	s_brev_b32 s73, 8
	s_movk_i32 s23, 0x6a
	v_ldexp_f64 v[12:13], |v[12:13]|, s23
	v_ldexp_f64 v[48:49], |v[10:11]|, s23
	v_cmp_gt_f64_e32 vcc, s[72:73], v[18:19]
	v_mul_f64 v[12:13], |v[10:11]|, v[12:13]
	v_cndmask_b32_e32 v36, 0, v57, vcc
	v_ldexp_f64 v[18:19], v[18:19], v36
	v_rsq_f64_e32 v[36:37], v[18:19]
	v_mul_f64 v[38:39], v[18:19], v[36:37]
	v_mul_f64 v[36:37], v[36:37], 0.5
	v_fma_f64 v[40:41], -v[36:37], v[38:39], 0.5
	v_fma_f64 v[38:39], v[38:39], v[40:41], v[38:39]
	v_fma_f64 v[36:37], v[36:37], v[40:41], v[36:37]
	v_fma_f64 v[40:41], -v[38:39], v[38:39], v[18:19]
	v_fma_f64 v[38:39], v[40:41], v[36:37], v[38:39]
	v_fma_f64 v[40:41], -v[38:39], v[38:39], v[18:19]
	v_fma_f64 v[36:37], v[40:41], v[36:37], v[38:39]
	v_cndmask_b32_e32 v38, 0, v58, vcc
	v_cmp_class_f64_e32 vcc, v[18:19], v54
	v_ldexp_f64 v[36:37], v[36:37], v38
	v_cndmask_b32_e32 v19, v37, v19, vcc
	v_cndmask_b32_e32 v18, v36, v18, vcc
	v_div_scale_f64 v[36:37], s[72:73], v[18:19], v[18:19], v[12:13]
	v_rcp_f64_e32 v[38:39], v[36:37]
	v_fma_f64 v[40:41], -v[36:37], v[38:39], 1.0
	v_fma_f64 v[38:39], v[38:39], v[40:41], v[38:39]
	v_div_scale_f64 v[40:41], vcc, v[12:13], v[18:19], v[12:13]
	v_fma_f64 v[42:43], -v[36:37], v[38:39], 1.0
	v_fma_f64 v[38:39], v[38:39], v[42:43], v[38:39]
	v_mul_f64 v[42:43], v[40:41], v[38:39]
	v_fma_f64 v[36:37], -v[36:37], v[42:43], v[40:41]
	v_div_fmas_f64 v[36:37], v[36:37], v[38:39], v[42:43]
	v_div_fixup_f64 v[50:51], v[36:37], v[18:19], v[12:13]
.LBB48_684:                             ;   in Loop: Header=BB48_434 Depth=1
	s_or_b64 exec, exec, s[70:71]
.LBB48_685:                             ;   in Loop: Header=BB48_434 Depth=1
	s_or_b64 exec, exec, s[68:69]
	s_mov_b32 s72, 0xb5e68a13
	s_mov_b32 s73, 0x3eeba404
                                        ; implicit-def: $vgpr38_vgpr39
.LBB48_686:                             ;   in Loop: Header=BB48_434 Depth=1
	s_andn2_saveexec_b64 s[68:69], s[6:7]
	s_cbranch_execz .LBB48_688
; %bb.687:                              ;   in Loop: Header=BB48_434 Depth=1
	v_add_f64 v[18:19], v[38:39], 1.0
	s_mov_b32 s6, 0
	s_brev_b32 s7, 8
	v_cmp_lt_f64_e64 vcc, |v[12:13]|, s[6:7]
	v_mul_f64 v[18:19], v[18:19], 0.5
	v_cndmask_b32_e32 v36, 0, v57, vcc
	v_ldexp_f64 v[12:13], |v[12:13]|, v36
	v_cmp_gt_f64_e64 s[6:7], s[6:7], v[18:19]
	v_cndmask_b32_e64 v36, 0, v57, s[6:7]
	v_ldexp_f64 v[18:19], v[18:19], v36
	v_rsq_f64_e32 v[36:37], v[12:13]
	v_rsq_f64_e32 v[38:39], v[18:19]
	v_mul_f64 v[40:41], v[12:13], v[36:37]
	v_mul_f64 v[36:37], v[36:37], 0.5
	v_mul_f64 v[42:43], v[18:19], v[38:39]
	v_mul_f64 v[38:39], v[38:39], 0.5
	v_fma_f64 v[44:45], -v[36:37], v[40:41], 0.5
	v_fma_f64 v[48:49], -v[38:39], v[42:43], 0.5
	v_fma_f64 v[40:41], v[40:41], v[44:45], v[40:41]
	v_fma_f64 v[36:37], v[36:37], v[44:45], v[36:37]
	;; [unrolled: 1-line block ×3, first 2 shown]
	v_fma_f64 v[44:45], -v[40:41], v[40:41], v[12:13]
	v_fma_f64 v[38:39], v[38:39], v[48:49], v[38:39]
	v_fma_f64 v[48:49], -v[42:43], v[42:43], v[18:19]
	v_fma_f64 v[40:41], v[44:45], v[36:37], v[40:41]
	v_fma_f64 v[42:43], v[48:49], v[38:39], v[42:43]
	v_fma_f64 v[44:45], -v[40:41], v[40:41], v[12:13]
	v_fma_f64 v[48:49], -v[42:43], v[42:43], v[18:19]
	v_fma_f64 v[36:37], v[44:45], v[36:37], v[40:41]
	v_cndmask_b32_e32 v40, 0, v58, vcc
	v_cndmask_b32_e64 v41, 0, v58, s[6:7]
	v_cmp_class_f64_e32 vcc, v[12:13], v54
	v_cmp_class_f64_e64 s[6:7], v[18:19], v54
	v_fma_f64 v[38:39], v[48:49], v[38:39], v[42:43]
	v_ldexp_f64 v[36:37], v[36:37], v40
	v_mov_b32_e32 v48, 0
	v_mov_b32_e32 v49, 0x3ff00000
	v_ldexp_f64 v[38:39], v[38:39], v41
	v_cndmask_b32_e32 v13, v37, v13, vcc
	v_cndmask_b32_e32 v12, v36, v12, vcc
	v_cndmask_b32_e64 v19, v39, v19, s[6:7]
	v_cndmask_b32_e64 v18, v38, v18, s[6:7]
	v_mul_f64 v[50:51], v[12:13], v[18:19]
.LBB48_688:                             ;   in Loop: Header=BB48_434 Depth=1
	s_or_b64 exec, exec, s[68:69]
	s_mov_b64 s[6:7], exec
.LBB48_689:                             ;   in Loop: Header=BB48_434 Depth=1
	s_or_b64 exec, exec, s[66:67]
                                        ; implicit-def: $vgpr38_vgpr39
.LBB48_690:                             ;   in Loop: Header=BB48_434 Depth=1
	s_andn2_saveexec_b64 s[8:9], s[8:9]
	s_cbranch_execz .LBB48_692
; %bb.691:                              ;   in Loop: Header=BB48_434 Depth=1
	v_ldexp_f64 v[50:51], v[38:39], 53
	v_ldexp_f64 v[48:49], |v[10:11]|, 53
	s_or_b64 s[6:7], s[6:7], exec
                                        ; implicit-def: $vgpr46_vgpr47
.LBB48_692:                             ;   in Loop: Header=BB48_434 Depth=1
	s_or_b64 exec, exec, s[8:9]
	v_cmp_lt_i64_e32 vcc, -1, v[10:11]
	s_xor_b64 s[6:7], s[6:7], -1
	s_and_saveexec_b64 s[8:9], s[6:7]
	s_xor_b64 s[8:9], exec, s[8:9]
	s_cbranch_execz .LBB48_702
; %bb.693:                              ;   in Loop: Header=BB48_434 Depth=1
	s_and_saveexec_b64 s[6:7], vcc
	s_xor_b64 s[66:67], exec, s[6:7]
	s_cbranch_execz .LBB48_697
; %bb.694:                              ;   in Loop: Header=BB48_434 Depth=1
	v_fma_f64 v[10:11], |v[46:47]|, -0.5, 0.5
	v_mul_f64 v[12:13], v[46:47], v[46:47]
	v_cmp_ge_f64_e64 s[6:7], |v[46:47]|, 0.5
	s_mov_b32 s68, 0x9fea6a70
	s_mov_b32 s69, 0x3fa05985
	v_cndmask_b32_e64 v13, v13, v11, s[6:7]
	v_cndmask_b32_e64 v12, v12, v10, s[6:7]
	v_fma_f64 v[18:19], v[12:13], s[68:69], v[28:29]
	s_mov_b32 s68, 0x37024d6a
	s_mov_b32 s69, 0x3f940521
	v_fma_f64 v[18:19], v[12:13], v[18:19], s[68:69]
	s_mov_b32 s68, 0x98a70509
	s_mov_b32 s69, 0x3f7ab3a0
	;; [unrolled: 3-line block ×11, first 2 shown]
	v_mul_f64 v[12:13], v[12:13], v[18:19]
	v_fma_f64 v[18:19], v[46:47], v[12:13], v[46:47]
	v_fma_f64 v[18:19], s[68:69], v[30:31], -v[18:19]
	s_and_saveexec_b64 s[68:69], s[6:7]
	s_cbranch_execz .LBB48_696
; %bb.695:                              ;   in Loop: Header=BB48_434 Depth=1
	v_rsq_f64_e32 v[18:19], v[10:11]
	v_cmp_eq_f64_e64 s[6:7], 0, v[10:11]
	v_mul_f64 v[36:37], v[10:11], v[18:19]
	v_mul_f64 v[18:19], v[18:19], 0.5
	v_fma_f64 v[38:39], -v[18:19], v[36:37], 0.5
	v_fma_f64 v[36:37], v[36:37], v[38:39], v[36:37]
	v_fma_f64 v[18:19], v[18:19], v[38:39], v[18:19]
	v_fma_f64 v[38:39], -v[36:37], v[36:37], v[10:11]
	v_fma_f64 v[18:19], v[38:39], v[18:19], v[36:37]
	v_cndmask_b32_e64 v19, v19, v11, s[6:7]
	v_cndmask_b32_e64 v18, v18, v10, s[6:7]
	v_add_f64 v[36:37], v[18:19], v[18:19]
	v_mul_f64 v[38:39], v[18:19], v[18:19]
	v_rcp_f64_e32 v[40:41], v[36:37]
	v_add_f64 v[42:43], v[10:11], -v[38:39]
	v_fma_f64 v[48:49], v[18:19], v[18:19], -v[38:39]
	v_add_f64 v[10:11], v[10:11], -v[42:43]
	v_fma_f64 v[44:45], -v[36:37], v[40:41], 1.0
	v_add_f64 v[10:11], v[10:11], -v[38:39]
	v_fma_f64 v[38:39], v[44:45], v[40:41], v[40:41]
	v_add_f64 v[10:11], v[10:11], -v[48:49]
	v_fma_f64 v[40:41], -v[36:37], v[38:39], 1.0
	v_add_f64 v[10:11], v[42:43], v[10:11]
	v_fma_f64 v[38:39], v[40:41], v[38:39], v[38:39]
	v_mul_f64 v[40:41], v[10:11], v[38:39]
	v_fma_f64 v[10:11], -v[36:37], v[40:41], v[10:11]
	v_fma_f64 v[10:11], v[10:11], v[38:39], v[40:41]
	v_cndmask_b32_e64 v11, v11, 0, s[6:7]
	v_cndmask_b32_e64 v10, v10, 0, s[6:7]
	v_add_f64 v[36:37], v[18:19], v[10:11]
	v_cmp_neq_f64_e64 s[6:7], 1.0, v[46:47]
	v_add_f64 v[18:19], v[36:37], -v[18:19]
	v_add_f64 v[10:11], v[10:11], -v[18:19]
	v_fma_f64 v[10:11], v[36:37], v[12:13], v[10:11]
	v_add_f64 v[10:11], v[36:37], v[10:11]
	v_add_f64 v[10:11], v[10:11], v[10:11]
	v_cndmask_b32_e64 v19, 0, v11, s[6:7]
	v_cndmask_b32_e64 v18, 0, v10, s[6:7]
.LBB48_696:                             ;   in Loop: Header=BB48_434 Depth=1
	s_or_b64 exec, exec, s[68:69]
                                        ; implicit-def: $vgpr46_vgpr47
.LBB48_697:                             ;   in Loop: Header=BB48_434 Depth=1
	s_andn2_saveexec_b64 s[66:67], s[66:67]
	s_cbranch_execz .LBB48_701
; %bb.698:                              ;   in Loop: Header=BB48_434 Depth=1
	v_fma_f64 v[10:11], |v[46:47]|, -0.5, 0.5
	v_mul_f64 v[12:13], v[46:47], v[46:47]
	v_cmp_ge_f64_e64 s[6:7], |v[46:47]|, 0.5
	s_mov_b32 s68, 0x9fea6a70
	s_mov_b32 s69, 0x3fa05985
	v_cndmask_b32_e64 v13, v13, v11, s[6:7]
	v_cndmask_b32_e64 v12, v12, v10, s[6:7]
	v_fma_f64 v[18:19], v[12:13], s[68:69], v[28:29]
	s_mov_b32 s68, 0x37024d6a
	s_mov_b32 s69, 0x3f940521
	v_fma_f64 v[18:19], v[12:13], v[18:19], s[68:69]
	s_mov_b32 s68, 0x98a70509
	s_mov_b32 s69, 0x3f7ab3a0
	;; [unrolled: 3-line block ×11, first 2 shown]
	v_mul_f64 v[12:13], v[12:13], v[18:19]
	v_fma_f64 v[18:19], -v[46:47], v[12:13], -v[46:47]
	v_fma_f64 v[18:19], s[68:69], v[30:31], -v[18:19]
	s_and_saveexec_b64 s[68:69], s[6:7]
	s_cbranch_execz .LBB48_700
; %bb.699:                              ;   in Loop: Header=BB48_434 Depth=1
	v_rsq_f64_e32 v[18:19], v[10:11]
	v_cmp_eq_f64_e64 s[6:7], 0, v[10:11]
	v_readlane_b32 s70, v87, 0
	v_readlane_b32 s71, v87, 1
	s_mov_b32 s23, s71
	v_writelane_b32 v87, s22, 0
	v_writelane_b32 v87, s23, 1
	v_mul_f64 v[36:37], v[10:11], v[18:19]
	v_mul_f64 v[18:19], v[18:19], 0.5
	v_fma_f64 v[38:39], -v[18:19], v[36:37], 0.5
	v_fma_f64 v[36:37], v[36:37], v[38:39], v[36:37]
	v_fma_f64 v[18:19], v[18:19], v[38:39], v[18:19]
	v_fma_f64 v[38:39], -v[36:37], v[36:37], v[10:11]
	v_fma_f64 v[18:19], v[38:39], v[18:19], v[36:37]
	v_cndmask_b32_e64 v19, v19, v11, s[6:7]
	v_cndmask_b32_e64 v18, v18, v10, s[6:7]
	v_add_f64 v[36:37], v[18:19], v[18:19]
	v_mul_f64 v[38:39], v[18:19], v[18:19]
	v_rcp_f64_e32 v[40:41], v[36:37]
	v_add_f64 v[42:43], v[10:11], -v[38:39]
	v_fma_f64 v[48:49], v[18:19], v[18:19], -v[38:39]
	v_add_f64 v[10:11], v[10:11], -v[42:43]
	v_fma_f64 v[44:45], -v[36:37], v[40:41], 1.0
	v_add_f64 v[10:11], v[10:11], -v[38:39]
	v_fma_f64 v[38:39], v[44:45], v[40:41], v[40:41]
	v_add_f64 v[10:11], v[10:11], -v[48:49]
	v_fma_f64 v[40:41], -v[36:37], v[38:39], 1.0
	v_add_f64 v[10:11], v[42:43], v[10:11]
	v_fma_f64 v[38:39], v[40:41], v[38:39], v[38:39]
	v_mul_f64 v[40:41], v[10:11], v[38:39]
	v_fma_f64 v[10:11], -v[36:37], v[40:41], v[10:11]
	v_fma_f64 v[10:11], v[10:11], v[38:39], v[40:41]
	v_cndmask_b32_e64 v11, v11, 0, s[6:7]
	v_cndmask_b32_e64 v10, v10, 0, s[6:7]
	v_add_f64 v[36:37], v[18:19], v[10:11]
	s_mov_b32 s6, 0x336a0500
	s_mov_b32 s7, 0x3fedd9ad
	;; [unrolled: 1-line block ×3, first 2 shown]
	v_add_f64 v[18:19], v[36:37], -v[18:19]
	v_add_f64 v[10:11], v[10:11], -v[18:19]
	v_fma_f64 v[18:19], v[36:37], v[12:13], v[36:37]
	v_fma_f64 v[10:11], v[36:37], v[12:13], v[10:11]
	v_mul_f64 v[12:13], v[18:19], -2.0
	v_add_f64 v[10:11], v[36:37], v[10:11]
	v_fma_f64 v[12:13], s[6:7], v[30:31], v[12:13]
	v_cmp_lt_f64_e64 s[6:7], 0, v[46:47]
	v_add_f64 v[10:11], v[10:11], v[10:11]
	v_cndmask_b32_e64 v10, v10, v12, s[6:7]
	v_cndmask_b32_e64 v11, v11, v13, s[6:7]
	v_cmp_neq_f64_e64 s[6:7], 1.0, v[46:47]
	v_cndmask_b32_e64 v19, v61, v11, s[6:7]
	v_cndmask_b32_e64 v18, v62, v10, s[6:7]
.LBB48_700:                             ;   in Loop: Header=BB48_434 Depth=1
	s_or_b64 exec, exec, s[68:69]
.LBB48_701:                             ;   in Loop: Header=BB48_434 Depth=1
	s_or_b64 exec, exec, s[66:67]
                                        ; implicit-def: $vgpr48_vgpr49
                                        ; implicit-def: $vgpr50_vgpr51
.LBB48_702:                             ;   in Loop: Header=BB48_434 Depth=1
	s_andn2_saveexec_b64 s[66:67], s[8:9]
	s_cbranch_execz .LBB48_708
; %bb.703:                              ;   in Loop: Header=BB48_434 Depth=1
	s_and_saveexec_b64 s[6:7], vcc
	s_xor_b64 s[68:69], exec, s[6:7]
	s_cbranch_execz .LBB48_705
; %bb.704:                              ;   in Loop: Header=BB48_434 Depth=1
	v_max_f64 v[10:11], |v[50:51]|, |v[50:51]|
	v_max_f64 v[12:13], v[48:49], v[48:49]
	s_mov_b32 s46, s60
	v_cmp_class_f64_e64 s[70:71], v[50:51], s83
	v_cmp_eq_f64_e64 s[8:9], s[56:57], v[48:49]
	v_max_f64 v[18:19], v[12:13], v[10:11]
	v_min_f64 v[10:11], v[12:13], v[10:11]
	v_div_scale_f64 v[12:13], s[6:7], v[18:19], v[18:19], v[10:11]
	s_mov_b32 s6, 0x69efb384
	s_mov_b32 s7, 0x3f4b2bb0
	v_rcp_f64_e32 v[36:37], v[12:13]
	v_fma_f64 v[38:39], -v[12:13], v[36:37], 1.0
	v_fma_f64 v[36:37], v[36:37], v[38:39], v[36:37]
	v_div_scale_f64 v[38:39], vcc, v[10:11], v[18:19], v[10:11]
	v_fma_f64 v[40:41], -v[12:13], v[36:37], 1.0
	v_fma_f64 v[36:37], v[36:37], v[40:41], v[36:37]
	v_mul_f64 v[40:41], v[38:39], v[36:37]
	v_fma_f64 v[12:13], -v[12:13], v[40:41], v[38:39]
	v_div_fmas_f64 v[12:13], v[12:13], v[36:37], v[40:41]
	v_cmp_lt_f64_e64 vcc, v[48:49], |v[50:51]|
	v_div_fixup_f64 v[10:11], v[12:13], v[18:19], v[10:11]
	v_mul_f64 v[12:13], v[10:11], v[10:11]
	v_fma_f64 v[18:19], v[12:13], s[72:73], v[32:33]
	v_fma_f64 v[18:19], v[12:13], v[18:19], s[6:7]
	s_mov_b32 s6, 0xaf56de9b
	s_mov_b32 s7, 0xbf67952d
	v_fma_f64 v[18:19], v[12:13], v[18:19], s[6:7]
	s_mov_b32 s6, 0xa595c56f
	s_mov_b32 s7, 0x3f7d6d43
	v_fma_f64 v[18:19], v[12:13], v[18:19], s[6:7]
	v_cmp_eq_f64_e64 s[6:7], 0, v[50:51]
	v_fma_f64 v[18:19], v[12:13], v[18:19], s[74:75]
	v_fma_f64 v[18:19], v[12:13], v[18:19], s[76:77]
	;; [unrolled: 1-line block ×15, first 2 shown]
	v_mul_f64 v[12:13], v[12:13], v[18:19]
	v_ashrrev_i32_e32 v18, 31, v49
	v_and_b32_e32 v36, 0x54442d18, v18
	v_and_b32_e32 v18, 0x400921fb, v18
	v_fma_f64 v[10:11], v[10:11], v[12:13], v[10:11]
	v_add_f64 v[12:13], -v[10:11], s[60:61]
	v_cndmask_b32_e32 v11, v11, v13, vcc
	v_cndmask_b32_e32 v10, v10, v12, vcc
	v_add_f64 v[12:13], -v[10:11], s[46:47]
	v_cmp_gt_i32_e32 vcc, 0, v49
	v_cndmask_b32_e32 v19, v62, v63, vcc
                                        ; implicit-def: $vgpr48_vgpr49
	v_cndmask_b32_e32 v10, v10, v12, vcc
	v_cndmask_b32_e32 v11, v11, v13, vcc
	;; [unrolled: 1-line block ×3, first 2 shown]
	v_cndmask_b32_e64 v10, v10, v36, s[6:7]
	v_cndmask_b32_e64 v11, v11, v18, s[6:7]
	s_and_b64 vcc, s[8:9], s[70:71]
	v_cndmask_b32_e32 v11, v11, v12, vcc
	v_cndmask_b32_e32 v10, v10, v19, vcc
	v_cmp_o_f64_e32 vcc, v[50:51], v[50:51]
	v_cndmask_b32_e32 v18, 0, v10, vcc
	v_cndmask_b32_e32 v10, v60, v11, vcc
	v_bfi_b32 v19, s33, v10, v51
                                        ; implicit-def: $vgpr50_vgpr51
.LBB48_705:                             ;   in Loop: Header=BB48_434 Depth=1
	s_andn2_saveexec_b64 s[68:69], s[68:69]
	s_cbranch_execz .LBB48_707
; %bb.706:                              ;   in Loop: Header=BB48_434 Depth=1
	v_max_f64 v[10:11], |v[50:51]|, |v[50:51]|
	v_max_f64 v[12:13], v[48:49], v[48:49]
	s_mov_b32 s46, s60
	v_cmp_class_f64_e64 s[70:71], v[50:51], s83
	v_cmp_eq_f64_e64 s[8:9], s[56:57], v[48:49]
	v_max_f64 v[18:19], v[12:13], v[10:11]
	v_min_f64 v[10:11], v[12:13], v[10:11]
	v_div_scale_f64 v[12:13], s[6:7], v[18:19], v[18:19], v[10:11]
	s_mov_b32 s6, 0x69efb384
	s_mov_b32 s7, 0x3f4b2bb0
	v_rcp_f64_e32 v[36:37], v[12:13]
	v_fma_f64 v[38:39], -v[12:13], v[36:37], 1.0
	v_fma_f64 v[36:37], v[36:37], v[38:39], v[36:37]
	v_div_scale_f64 v[38:39], vcc, v[10:11], v[18:19], v[10:11]
	v_fma_f64 v[40:41], -v[12:13], v[36:37], 1.0
	v_fma_f64 v[36:37], v[36:37], v[40:41], v[36:37]
	v_mul_f64 v[40:41], v[38:39], v[36:37]
	v_fma_f64 v[12:13], -v[12:13], v[40:41], v[38:39]
	v_div_fmas_f64 v[12:13], v[12:13], v[36:37], v[40:41]
	v_cmp_lt_f64_e64 vcc, v[48:49], |v[50:51]|
	v_div_fixup_f64 v[10:11], v[12:13], v[18:19], v[10:11]
	v_mul_f64 v[12:13], v[10:11], v[10:11]
	v_fma_f64 v[18:19], v[12:13], s[72:73], v[32:33]
	v_fma_f64 v[18:19], v[12:13], v[18:19], s[6:7]
	s_mov_b32 s6, 0xaf56de9b
	s_mov_b32 s7, 0xbf67952d
	v_fma_f64 v[18:19], v[12:13], v[18:19], s[6:7]
	s_mov_b32 s6, 0xa595c56f
	s_mov_b32 s7, 0x3f7d6d43
	v_fma_f64 v[18:19], v[12:13], v[18:19], s[6:7]
	v_cmp_eq_f64_e64 s[6:7], 0, v[50:51]
	v_fma_f64 v[18:19], v[12:13], v[18:19], s[74:75]
	v_fma_f64 v[18:19], v[12:13], v[18:19], s[76:77]
	v_fma_f64 v[18:19], v[12:13], v[18:19], s[78:79]
	v_fma_f64 v[18:19], v[12:13], v[18:19], s[80:81]
	v_fma_f64 v[18:19], v[12:13], v[18:19], s[84:85]
	v_fma_f64 v[18:19], v[12:13], v[18:19], s[86:87]
	v_fma_f64 v[18:19], v[12:13], v[18:19], s[88:89]
	v_fma_f64 v[18:19], v[12:13], v[18:19], s[90:91]
	v_fma_f64 v[18:19], v[12:13], v[18:19], s[92:93]
	v_fma_f64 v[18:19], v[12:13], v[18:19], s[94:95]
	v_fma_f64 v[18:19], v[12:13], v[18:19], s[96:97]
	v_fma_f64 v[18:19], v[12:13], v[18:19], s[98:99]
	v_fma_f64 v[18:19], v[12:13], v[18:19], s[40:41]
	v_fma_f64 v[18:19], v[12:13], v[18:19], s[42:43]
	v_fma_f64 v[18:19], v[12:13], v[18:19], s[44:45]
	v_mul_f64 v[12:13], v[12:13], v[18:19]
	v_xor_b32_e32 v18, 0x80000000, v49
	v_ashrrev_i32_e32 v19, 31, v18
	v_and_b32_e32 v36, 0x54442d18, v19
	v_and_b32_e32 v19, 0x400921fb, v19
	v_fma_f64 v[10:11], v[10:11], v[12:13], v[10:11]
	v_add_f64 v[12:13], -v[10:11], s[60:61]
	v_cndmask_b32_e32 v11, v11, v13, vcc
	v_cndmask_b32_e32 v10, v10, v12, vcc
	v_add_f64 v[12:13], -v[10:11], s[46:47]
	v_cmp_gt_i32_e32 vcc, 0, v18
	v_cndmask_b32_e32 v18, v62, v63, vcc
	v_cndmask_b32_e32 v10, v10, v12, vcc
	;; [unrolled: 1-line block ×4, first 2 shown]
	v_cndmask_b32_e64 v10, v10, v36, s[6:7]
	v_cndmask_b32_e64 v11, v11, v19, s[6:7]
	s_and_b64 vcc, s[8:9], s[70:71]
	v_cndmask_b32_e32 v11, v11, v12, vcc
	v_cndmask_b32_e32 v10, v10, v18, vcc
	v_cmp_o_f64_e32 vcc, v[50:51], v[50:51]
	v_cndmask_b32_e32 v18, 0, v10, vcc
	v_cndmask_b32_e32 v10, v60, v11, vcc
	v_bfi_b32 v19, s33, v10, v51
.LBB48_707:                             ;   in Loop: Header=BB48_434 Depth=1
	s_or_b64 exec, exec, s[68:69]
.LBB48_708:                             ;   in Loop: Header=BB48_434 Depth=1
	s_or_b64 exec, exec, s[66:67]
	v_xor_b32_e32 v10, 0x80000000, v21
	v_cndmask_b32_e64 v21, v10, v21, s[4:5]
                                        ; implicit-def: $vgpr10_vgpr11
.LBB48_709:                             ;   in Loop: Header=BB48_434 Depth=1
	s_andn2_saveexec_b64 s[6:7], s[48:49]
	s_cbranch_execz .LBB48_711
; %bb.710:                              ;   in Loop: Header=BB48_434 Depth=1
	v_mov_b32_e32 v12, s12
	v_mov_b32_e32 v13, s13
	flat_load_dwordx2 v[12:13], v[12:13] glc
	s_waitcnt vmcnt(0) lgkmcnt(0)
	v_add_f64 v[10:11], v[12:13], -v[10:11]
	v_add_f64 v[18:19], v[10:11], s[60:61]
.LBB48_711:                             ;   in Loop: Header=BB48_434 Depth=1
	s_or_b64 exec, exec, s[6:7]
.LBB48_712:                             ;   in Loop: Header=BB48_434 Depth=1
	s_andn2_saveexec_b64 s[6:7], s[20:21]
	s_cbranch_execz .LBB48_714
; %bb.713:                              ;   in Loop: Header=BB48_434 Depth=1
	s_waitcnt lgkmcnt(0)
	v_mov_b32_e32 v18, 0
	v_mov_b32_e32 v19, 0
.LBB48_714:                             ;   in Loop: Header=BB48_434 Depth=1
	s_or_b64 exec, exec, s[6:7]
                                        ; implicit-def: $vgpr10_vgpr11
                                        ; implicit-def: $vgpr40_vgpr41
                                        ; implicit-def: $vgpr38_vgpr39
                                        ; implicit-def: $vgpr36_vgpr37
.LBB48_715:                             ;   in Loop: Header=BB48_434 Depth=1
	s_andn2_saveexec_b64 s[20:21], s[64:65]
	s_cbranch_execz .LBB48_725
; %bb.716:                              ;   in Loop: Header=BB48_434 Depth=1
	v_cmp_lt_f64_e64 s[6:7], |v[10:11]|, |v[12:13]|
	v_and_b32_e32 v44, 0x7fffffff, v11
	v_and_b32_e32 v45, 0x7fffffff, v13
	s_mov_b32 s8, -1
	s_mov_b32 s9, 0x7fdfffff
                                        ; implicit-def: $sgpr48_sgpr49
                                        ; implicit-def: $vgpr42_vgpr43
                                        ; implicit-def: $vgpr20_vgpr21
	v_cndmask_b32_e64 v19, v44, v45, s[6:7]
	s_waitcnt lgkmcnt(0)
	v_cndmask_b32_e64 v18, v10, v12, s[6:7]
	v_cmp_nlt_f64_e32 vcc, s[8:9], v[18:19]
	s_and_saveexec_b64 s[8:9], vcc
	s_xor_b64 s[64:65], exec, s[8:9]
	s_cbranch_execz .LBB48_722
; %bb.717:                              ;   in Loop: Header=BB48_434 Depth=1
	s_mov_b32 s8, 0
	s_mov_b32 s9, 0x20200000
	v_cmp_nlt_f64_e32 vcc, s[8:9], v[18:19]
	s_mov_b32 s8, 0
	v_cndmask_b32_e64 v45, v45, v44, s[6:7]
	v_cndmask_b32_e64 v44, v12, v10, s[6:7]
	s_brev_b32 s9, 4
	v_cmp_ngt_f64_e64 s[8:9], s[8:9], v[44:45]
                                        ; implicit-def: $sgpr48_sgpr49
                                        ; implicit-def: $vgpr42_vgpr43
                                        ; implicit-def: $vgpr20_vgpr21
	s_and_b64 s[8:9], vcc, s[8:9]
	s_and_saveexec_b64 s[66:67], s[8:9]
	s_xor_b64 s[66:67], exec, s[66:67]
	s_cbranch_execz .LBB48_719
; %bb.718:                              ;   in Loop: Header=BB48_434 Depth=1
	v_mul_f64 v[20:21], v[44:45], v[44:45]
	v_min_f64 v[38:39], v[40:41], v[38:39]
	s_mov_b32 s23, s63
	v_fma_f64 v[18:19], v[18:19], v[18:19], v[20:21]
	v_frexp_mant_f64_e32 v[20:21], v[18:19]
	v_cmp_gt_f64_e64 s[8:9], s[62:63], v[20:21]
	v_cndmask_b32_e64 v42, 0, 1, s[8:9]
	v_ldexp_f64 v[20:21], v[20:21], v42
	v_add_f64 v[42:43], v[20:21], 1.0
	v_add_f64 v[48:49], v[20:21], -1.0
	v_rcp_f64_e32 v[44:45], v[42:43]
	v_add_f64 v[50:51], v[42:43], -1.0
	v_add_f64 v[20:21], v[20:21], -v[50:51]
	v_fma_f64 v[46:47], -v[42:43], v[44:45], 1.0
	v_fma_f64 v[44:45], v[46:47], v[44:45], v[44:45]
	v_fma_f64 v[46:47], -v[42:43], v[44:45], 1.0
	v_fma_f64 v[44:45], v[46:47], v[44:45], v[44:45]
	v_mul_f64 v[46:47], v[48:49], v[44:45]
	v_mul_f64 v[66:67], v[42:43], v[46:47]
	v_fma_f64 v[40:41], v[46:47], v[42:43], -v[66:67]
	v_div_scale_f64 v[42:43], s[48:49], v[36:37], v[36:37], v[38:39]
	s_mov_b32 s48, 0x69efb384
	s_mov_b32 s49, 0x3f4b2bb0
	v_fma_f64 v[20:21], v[46:47], v[20:21], v[40:41]
	v_add_f64 v[40:41], v[66:67], v[20:21]
	v_rcp_f64_e32 v[50:51], v[42:43]
	v_add_f64 v[68:69], v[48:49], -v[40:41]
	v_add_f64 v[66:67], v[40:41], -v[66:67]
	;; [unrolled: 1-line block ×3, first 2 shown]
	v_fma_f64 v[70:71], -v[42:43], v[50:51], 1.0
	v_add_f64 v[20:21], v[66:67], -v[20:21]
	v_frexp_exp_i32_f64_e32 v66, v[18:19]
	v_add_f64 v[40:41], v[48:49], -v[40:41]
	v_fma_f64 v[48:49], v[50:51], v[70:71], v[50:51]
	v_add_f64 v[20:21], v[20:21], v[40:41]
	v_div_scale_f64 v[40:41], vcc, v[38:39], v[36:37], v[38:39]
	v_fma_f64 v[50:51], -v[42:43], v[48:49], 1.0
	v_add_f64 v[20:21], v[68:69], v[20:21]
	v_fma_f64 v[48:49], v[48:49], v[50:51], v[48:49]
	v_mul_f64 v[20:21], v[44:45], v[20:21]
	v_mul_f64 v[44:45], v[40:41], v[48:49]
	v_add_f64 v[50:51], v[46:47], v[20:21]
	v_fma_f64 v[40:41], -v[42:43], v[44:45], v[40:41]
	v_mul_f64 v[42:43], v[50:51], v[50:51]
	v_add_f64 v[46:47], v[50:51], -v[46:47]
	v_div_fmas_f64 v[40:41], v[40:41], v[48:49], v[44:45]
	v_fma_f64 v[44:45], v[42:43], s[24:25], v[26:27]
	v_mul_f64 v[48:49], v[50:51], v[42:43]
	v_add_f64 v[20:21], v[20:21], -v[46:47]
	v_fma_f64 v[44:45], v[42:43], v[44:45], s[26:27]
	v_ldexp_f64 v[20:21], v[20:21], 1
	v_div_fixup_f64 v[36:37], v[40:41], v[36:37], v[38:39]
	v_fma_f64 v[38:39], v[42:43], v[44:45], s[28:29]
	v_mul_f64 v[40:41], v[36:37], v[36:37]
	v_fma_f64 v[38:39], v[42:43], v[38:39], s[30:31]
	v_fma_f64 v[44:45], v[40:41], s[72:73], v[32:33]
	;; [unrolled: 1-line block ×4, first 2 shown]
	s_mov_b32 s48, 0xaf56de9b
	s_mov_b32 s49, 0xbf67952d
	v_fma_f64 v[38:39], v[42:43], v[38:39], s[22:23]
	v_fma_f64 v[42:43], v[40:41], v[44:45], s[48:49]
	v_ldexp_f64 v[44:45], v[50:51], 1
	s_mov_b32 s48, 0xa595c56f
	s_mov_b32 s49, 0x3f7d6d43
	v_subbrev_co_u32_e64 v50, vcc, 0, v66, s[8:9]
	v_mul_f64 v[38:39], v[48:49], v[38:39]
	v_cvt_f64_i32_e32 v[50:51], v50
	v_fma_f64 v[42:43], v[40:41], v[42:43], s[48:49]
	v_cmp_class_f64_e64 vcc, v[18:19], s83
	v_cmp_class_f64_e64 s[8:9], v[12:13], s83
	v_mul_f64 v[66:67], v[50:51], s[36:37]
	v_cmp_class_f64_e64 s[48:49], v[10:11], s83
	v_add_f64 v[48:49], v[44:45], v[38:39]
	v_fma_f64 v[42:43], v[40:41], v[42:43], s[74:75]
	v_fma_f64 v[46:47], v[50:51], s[36:37], -v[66:67]
	s_and_b64 s[48:49], s[48:49], s[8:9]
	v_add_f64 v[44:45], v[48:49], -v[44:45]
	v_fma_f64 v[42:43], v[40:41], v[42:43], s[76:77]
	v_add_f64 v[38:39], v[38:39], -v[44:45]
	v_fma_f64 v[44:45], v[50:51], s[38:39], v[46:47]
	v_fma_f64 v[42:43], v[40:41], v[42:43], s[78:79]
	v_add_f64 v[20:21], v[20:21], v[38:39]
	v_fma_f64 v[38:39], v[40:41], v[42:43], s[80:81]
	v_add_f64 v[42:43], v[66:67], v[44:45]
	v_add_f64 v[46:47], v[48:49], v[20:21]
	v_fma_f64 v[38:39], v[40:41], v[38:39], s[84:85]
	v_add_f64 v[66:67], v[42:43], -v[66:67]
	v_add_f64 v[50:51], v[42:43], v[46:47]
	v_add_f64 v[48:49], v[46:47], -v[48:49]
	v_fma_f64 v[38:39], v[40:41], v[38:39], s[86:87]
	v_add_f64 v[44:45], v[44:45], -v[66:67]
	v_add_f64 v[68:69], v[50:51], -v[42:43]
	;; [unrolled: 1-line block ×3, first 2 shown]
	v_fma_f64 v[38:39], v[40:41], v[38:39], s[88:89]
	v_add_f64 v[70:71], v[50:51], -v[68:69]
	v_add_f64 v[46:47], v[46:47], -v[68:69]
	v_fma_f64 v[38:39], v[40:41], v[38:39], s[90:91]
	v_add_f64 v[48:49], v[44:45], v[20:21]
	v_add_f64 v[42:43], v[42:43], -v[70:71]
	v_fma_f64 v[38:39], v[40:41], v[38:39], s[92:93]
	v_add_f64 v[42:43], v[46:47], v[42:43]
	;; [unrolled: 3-line block ×3, first 2 shown]
	v_add_f64 v[48:49], v[48:49], -v[46:47]
	v_fma_f64 v[38:39], v[40:41], v[38:39], s[96:97]
	v_add_f64 v[20:21], v[20:21], -v[46:47]
	v_add_f64 v[66:67], v[50:51], v[42:43]
	v_add_f64 v[44:45], v[44:45], -v[48:49]
	v_fma_f64 v[38:39], v[40:41], v[38:39], s[98:99]
	v_add_f64 v[46:47], v[66:67], -v[50:51]
	v_add_f64 v[20:21], v[20:21], v[44:45]
	v_fma_f64 v[38:39], v[40:41], v[38:39], s[40:41]
	v_add_f64 v[42:43], v[42:43], -v[46:47]
	v_fma_f64 v[38:39], v[40:41], v[38:39], s[42:43]
	v_add_f64 v[20:21], v[20:21], v[42:43]
	v_fma_f64 v[38:39], v[40:41], v[38:39], s[44:45]
	v_add_f64 v[20:21], v[66:67], v[20:21]
	v_mul_f64 v[38:39], v[40:41], v[38:39]
	v_cndmask_b32_e32 v21, v21, v19, vcc
	v_cndmask_b32_e32 v20, v20, v18, vcc
	v_mul_f64 v[40:41], v[20:21], 0.5
	v_cmp_neq_f64_e32 vcc, 0, v[18:19]
	v_fma_f64 v[20:21], v[36:37], v[38:39], v[36:37]
                                        ; implicit-def: $vgpr36_vgpr37
                                        ; implicit-def: $vgpr38_vgpr39
	v_cndmask_b32_e32 v43, v59, v41, vcc
	v_cndmask_b32_e32 v42, 0, v40, vcc
                                        ; implicit-def: $vgpr40_vgpr41
.LBB48_719:                             ;   in Loop: Header=BB48_434 Depth=1
	s_andn2_saveexec_b64 s[66:67], s[66:67]
	s_cbranch_execz .LBB48_721
; %bb.720:                              ;   in Loop: Header=BB48_434 Depth=1
	v_frexp_exp_i32_f64_e32 v46, v[36:37]
	v_cmp_class_f64_e64 s[68:69], v[10:11], s83
	v_cmp_class_f64_e64 s[70:71], v[12:13], s83
	v_min_f64 v[38:39], v[40:41], v[38:39]
	s_mov_b32 s23, s63
	v_sub_u32_e32 v20, 0, v46
	v_ldexp_f64 v[18:19], |v[12:13]|, v20
	v_ldexp_f64 v[20:21], |v[10:11]|, v20
	v_div_scale_f64 v[66:67], s[72:73], v[36:37], v[36:37], v[38:39]
	s_mov_b32 s72, 0xb5e68a13
	s_mov_b32 s73, 0x3eeba404
	v_mul_f64 v[18:19], v[18:19], v[18:19]
	v_fma_f64 v[18:19], v[20:21], v[20:21], v[18:19]
	v_rsq_f64_e32 v[20:21], v[18:19]
	v_cmp_eq_f64_e32 vcc, 0, v[18:19]
	v_mul_f64 v[42:43], v[18:19], v[20:21]
	v_mul_f64 v[20:21], v[20:21], 0.5
	v_fma_f64 v[44:45], -v[20:21], v[42:43], 0.5
	v_fma_f64 v[42:43], v[42:43], v[44:45], v[42:43]
	v_fma_f64 v[20:21], v[20:21], v[44:45], v[20:21]
	v_fma_f64 v[44:45], -v[42:43], v[42:43], v[18:19]
	v_fma_f64 v[20:21], v[44:45], v[20:21], v[42:43]
	v_cndmask_b32_e32 v19, v21, v19, vcc
	v_cndmask_b32_e32 v18, v20, v18, vcc
	v_ldexp_f64 v[18:19], v[18:19], v46
	s_or_b64 vcc, s[68:69], s[70:71]
	v_cndmask_b32_e32 v19, v19, v55, vcc
	v_cndmask_b32_e64 v18, v18, 0, vcc
	v_frexp_mant_f64_e32 v[20:21], v[18:19]
	v_cmp_gt_f64_e64 s[8:9], s[62:63], v[20:21]
	v_cndmask_b32_e64 v42, 0, 1, s[8:9]
	v_ldexp_f64 v[20:21], v[20:21], v42
	v_add_f64 v[42:43], v[20:21], 1.0
	v_add_f64 v[48:49], v[20:21], -1.0
	v_rcp_f64_e32 v[44:45], v[42:43]
	v_add_f64 v[40:41], v[42:43], -1.0
	v_add_f64 v[20:21], v[20:21], -v[40:41]
	v_fma_f64 v[46:47], -v[42:43], v[44:45], 1.0
	v_fma_f64 v[44:45], v[46:47], v[44:45], v[44:45]
	v_fma_f64 v[46:47], -v[42:43], v[44:45], 1.0
	v_fma_f64 v[44:45], v[46:47], v[44:45], v[44:45]
	v_mul_f64 v[46:47], v[48:49], v[44:45]
	v_mul_f64 v[50:51], v[42:43], v[46:47]
	v_fma_f64 v[40:41], v[46:47], v[42:43], -v[50:51]
	v_fma_f64 v[20:21], v[46:47], v[20:21], v[40:41]
	v_rcp_f64_e32 v[40:41], v[66:67]
	v_add_f64 v[42:43], v[50:51], v[20:21]
	v_add_f64 v[68:69], v[48:49], -v[42:43]
	v_fma_f64 v[70:71], -v[66:67], v[40:41], 1.0
	v_add_f64 v[50:51], v[42:43], -v[50:51]
	v_add_f64 v[48:49], v[48:49], -v[68:69]
	v_fma_f64 v[40:41], v[40:41], v[70:71], v[40:41]
	v_add_f64 v[20:21], v[50:51], -v[20:21]
	v_add_f64 v[42:43], v[48:49], -v[42:43]
	v_div_scale_f64 v[48:49], vcc, v[38:39], v[36:37], v[38:39]
	v_fma_f64 v[50:51], -v[66:67], v[40:41], 1.0
	v_add_f64 v[20:21], v[20:21], v[42:43]
	v_fma_f64 v[40:41], v[40:41], v[50:51], v[40:41]
	v_add_f64 v[20:21], v[68:69], v[20:21]
	v_mul_f64 v[42:43], v[48:49], v[40:41]
	v_mul_f64 v[20:21], v[44:45], v[20:21]
	v_fma_f64 v[44:45], -v[66:67], v[42:43], v[48:49]
	v_add_f64 v[48:49], v[46:47], v[20:21]
	v_div_fmas_f64 v[40:41], v[44:45], v[40:41], v[42:43]
	s_mov_b32 vcc_lo, 0x69efb384
	s_mov_b32 vcc_hi, 0x3f4b2bb0
	v_mul_f64 v[42:43], v[48:49], v[48:49]
	v_add_f64 v[46:47], v[48:49], -v[46:47]
	v_fma_f64 v[44:45], v[42:43], s[24:25], v[26:27]
	v_mul_f64 v[50:51], v[48:49], v[42:43]
	v_add_f64 v[20:21], v[20:21], -v[46:47]
	v_div_fixup_f64 v[36:37], v[40:41], v[36:37], v[38:39]
	v_fma_f64 v[38:39], v[42:43], v[44:45], s[26:27]
	v_ldexp_f64 v[20:21], v[20:21], 1
	v_mul_f64 v[40:41], v[36:37], v[36:37]
	v_fma_f64 v[38:39], v[42:43], v[38:39], s[28:29]
	v_fma_f64 v[44:45], v[40:41], s[72:73], v[32:33]
	v_fma_f64 v[38:39], v[42:43], v[38:39], s[30:31]
	v_fma_f64 v[44:45], v[40:41], v[44:45], vcc
	s_mov_b32 vcc_lo, 0xaf56de9b
	s_mov_b32 vcc_hi, 0xbf67952d
	v_fma_f64 v[38:39], v[42:43], v[38:39], s[34:35]
	v_fma_f64 v[44:45], v[40:41], v[44:45], vcc
	s_mov_b32 vcc_lo, 0xa595c56f
	s_mov_b32 vcc_hi, 0x3f7d6d43
	v_fma_f64 v[38:39], v[42:43], v[38:39], s[22:23]
	v_fma_f64 v[42:43], v[40:41], v[44:45], vcc
	v_ldexp_f64 v[44:45], v[48:49], 1
	v_mul_f64 v[38:39], v[50:51], v[38:39]
	v_frexp_exp_i32_f64_e32 v50, v[18:19]
	v_fma_f64 v[42:43], v[40:41], v[42:43], s[74:75]
	v_add_f64 v[48:49], v[44:45], v[38:39]
	v_subbrev_co_u32_e64 v50, vcc, 0, v50, s[8:9]
	v_cvt_f64_i32_e32 v[50:51], v50
	v_fma_f64 v[42:43], v[40:41], v[42:43], s[76:77]
	v_cmp_class_f64_e64 vcc, v[18:19], s83
	s_andn2_b64 s[8:9], s[48:49], exec
	v_mul_f64 v[66:67], v[50:51], s[36:37]
	v_add_f64 v[44:45], v[48:49], -v[44:45]
	s_and_b64 s[48:49], s[68:69], s[70:71]
	s_and_b64 s[48:49], s[48:49], exec
	s_or_b64 s[48:49], s[8:9], s[48:49]
	v_fma_f64 v[42:43], v[40:41], v[42:43], s[78:79]
	v_fma_f64 v[46:47], v[50:51], s[36:37], -v[66:67]
	v_add_f64 v[38:39], v[38:39], -v[44:45]
	v_fma_f64 v[42:43], v[40:41], v[42:43], s[80:81]
	v_fma_f64 v[44:45], v[50:51], s[38:39], v[46:47]
	v_add_f64 v[20:21], v[20:21], v[38:39]
	v_fma_f64 v[38:39], v[40:41], v[42:43], s[84:85]
	v_add_f64 v[42:43], v[66:67], v[44:45]
	v_add_f64 v[46:47], v[48:49], v[20:21]
	v_fma_f64 v[38:39], v[40:41], v[38:39], s[86:87]
	v_add_f64 v[66:67], v[42:43], -v[66:67]
	v_add_f64 v[50:51], v[42:43], v[46:47]
	v_add_f64 v[48:49], v[46:47], -v[48:49]
	v_fma_f64 v[38:39], v[40:41], v[38:39], s[88:89]
	v_add_f64 v[44:45], v[44:45], -v[66:67]
	v_add_f64 v[68:69], v[50:51], -v[42:43]
	;; [unrolled: 1-line block ×3, first 2 shown]
	v_fma_f64 v[38:39], v[40:41], v[38:39], s[90:91]
	v_add_f64 v[70:71], v[50:51], -v[68:69]
	v_add_f64 v[46:47], v[46:47], -v[68:69]
	v_add_f64 v[48:49], v[44:45], v[20:21]
	v_fma_f64 v[38:39], v[40:41], v[38:39], s[92:93]
	v_add_f64 v[42:43], v[42:43], -v[70:71]
	v_fma_f64 v[38:39], v[40:41], v[38:39], s[94:95]
	v_add_f64 v[42:43], v[46:47], v[42:43]
	v_add_f64 v[46:47], v[48:49], -v[44:45]
	v_fma_f64 v[38:39], v[40:41], v[38:39], s[96:97]
	v_add_f64 v[42:43], v[48:49], v[42:43]
	v_add_f64 v[48:49], v[48:49], -v[46:47]
	v_add_f64 v[20:21], v[20:21], -v[46:47]
	v_fma_f64 v[38:39], v[40:41], v[38:39], s[98:99]
	v_add_f64 v[66:67], v[50:51], v[42:43]
	v_add_f64 v[44:45], v[44:45], -v[48:49]
	v_fma_f64 v[38:39], v[40:41], v[38:39], s[40:41]
	v_add_f64 v[46:47], v[66:67], -v[50:51]
	v_add_f64 v[20:21], v[20:21], v[44:45]
	v_fma_f64 v[38:39], v[40:41], v[38:39], s[42:43]
	v_add_f64 v[42:43], v[42:43], -v[46:47]
	v_fma_f64 v[38:39], v[40:41], v[38:39], s[44:45]
	v_add_f64 v[20:21], v[20:21], v[42:43]
	v_mul_f64 v[38:39], v[40:41], v[38:39]
	v_add_f64 v[40:41], v[66:67], v[20:21]
	v_fma_f64 v[20:21], v[36:37], v[38:39], v[36:37]
	v_cndmask_b32_e32 v36, v40, v18, vcc
	v_cndmask_b32_e32 v37, v41, v19, vcc
	v_cmp_ngt_f64_e32 vcc, 0, v[18:19]
	v_cndmask_b32_e32 v37, v60, v37, vcc
	v_cmp_nge_f64_e32 vcc, 0, v[18:19]
	v_cndmask_b32_e32 v42, 0, v36, vcc
	v_cmp_neq_f64_e32 vcc, 0, v[18:19]
	v_cndmask_b32_e32 v43, v59, v37, vcc
.LBB48_721:                             ;   in Loop: Header=BB48_434 Depth=1
	s_or_b64 exec, exec, s[66:67]
                                        ; implicit-def: $vgpr40_vgpr41
                                        ; implicit-def: $vgpr38_vgpr39
                                        ; implicit-def: $vgpr36_vgpr37
.LBB48_722:                             ;   in Loop: Header=BB48_434 Depth=1
	s_andn2_saveexec_b64 s[64:65], s[64:65]
	s_cbranch_execz .LBB48_724
; %bb.723:                              ;   in Loop: Header=BB48_434 Depth=1
	v_div_scale_f64 v[18:19], s[8:9], s[50:51], s[50:51], v[10:11]
	v_div_scale_f64 v[20:21], s[8:9], s[50:51], s[50:51], v[12:13]
	;; [unrolled: 1-line block ×3, first 2 shown]
	v_min_f64 v[38:39], v[40:41], v[38:39]
	s_mov_b32 s23, s63
	s_andn2_b64 s[48:49], s[48:49], exec
	v_rcp_f64_e32 v[42:43], v[18:19]
	v_rcp_f64_e32 v[44:45], v[20:21]
	v_fma_f64 v[46:47], -v[18:19], v[42:43], 1.0
	v_fma_f64 v[48:49], -v[20:21], v[44:45], 1.0
	v_fma_f64 v[42:43], v[42:43], v[46:47], v[42:43]
	v_div_scale_f64 v[46:47], vcc, v[10:11], s[50:51], v[10:11]
	v_fma_f64 v[44:45], v[44:45], v[48:49], v[44:45]
	v_fma_f64 v[48:49], -v[18:19], v[42:43], 1.0
	v_fma_f64 v[66:67], -v[20:21], v[44:45], 1.0
	v_fma_f64 v[42:43], v[42:43], v[48:49], v[42:43]
	v_fma_f64 v[44:45], v[44:45], v[66:67], v[44:45]
	v_mul_f64 v[48:49], v[46:47], v[42:43]
	v_mul_f64 v[66:67], v[50:51], v[44:45]
	v_fma_f64 v[18:19], -v[18:19], v[48:49], v[46:47]
	v_fma_f64 v[20:21], -v[20:21], v[66:67], v[50:51]
	v_div_fmas_f64 v[18:19], v[18:19], v[42:43], v[48:49]
	s_mov_b64 vcc, s[8:9]
	v_div_fmas_f64 v[20:21], v[20:21], v[44:45], v[66:67]
	v_div_fixup_f64 v[18:19], v[18:19], s[50:51], v[10:11]
	v_div_fixup_f64 v[20:21], v[20:21], s[50:51], v[12:13]
	v_cmp_class_f64_e64 s[8:9], v[18:19], s83
	v_max_f64 v[42:43], |v[18:19]|, |v[20:21]|
	v_cmp_class_f64_e64 s[66:67], v[20:21], s83
	v_frexp_exp_i32_f64_e32 v50, v[42:43]
	v_sub_u32_e32 v44, 0, v50
	v_ldexp_f64 v[42:43], |v[20:21]|, v44
	v_ldexp_f64 v[44:45], |v[18:19]|, v44
	v_mul_f64 v[42:43], v[42:43], v[42:43]
	v_fma_f64 v[42:43], v[44:45], v[44:45], v[42:43]
	v_rsq_f64_e32 v[44:45], v[42:43]
	v_cmp_eq_f64_e32 vcc, 0, v[42:43]
	v_mul_f64 v[46:47], v[42:43], v[44:45]
	v_mul_f64 v[44:45], v[44:45], 0.5
	v_fma_f64 v[48:49], -v[44:45], v[46:47], 0.5
	v_fma_f64 v[46:47], v[46:47], v[48:49], v[46:47]
	v_fma_f64 v[44:45], v[44:45], v[48:49], v[44:45]
	v_fma_f64 v[48:49], -v[46:47], v[46:47], v[42:43]
	v_fma_f64 v[44:45], v[48:49], v[44:45], v[46:47]
	v_cndmask_b32_e32 v19, v45, v43, vcc
	v_cndmask_b32_e32 v18, v44, v42, vcc
	v_ldexp_f64 v[18:19], v[18:19], v50
	s_or_b64 vcc, s[8:9], s[66:67]
	v_cndmask_b32_e32 v19, v19, v55, vcc
	v_cndmask_b32_e64 v18, v18, 0, vcc
	v_frexp_mant_f64_e32 v[20:21], v[18:19]
	v_cmp_gt_f64_e64 s[8:9], s[62:63], v[20:21]
	v_cndmask_b32_e64 v42, 0, 1, s[8:9]
	v_ldexp_f64 v[20:21], v[20:21], v42
	v_add_f64 v[42:43], v[20:21], 1.0
	v_add_f64 v[48:49], v[20:21], -1.0
	v_rcp_f64_e32 v[44:45], v[42:43]
	v_add_f64 v[50:51], v[42:43], -1.0
	v_add_f64 v[20:21], v[20:21], -v[50:51]
	v_fma_f64 v[46:47], -v[42:43], v[44:45], 1.0
	v_fma_f64 v[44:45], v[46:47], v[44:45], v[44:45]
	v_fma_f64 v[46:47], -v[42:43], v[44:45], 1.0
	v_fma_f64 v[44:45], v[46:47], v[44:45], v[44:45]
	v_mul_f64 v[46:47], v[48:49], v[44:45]
	v_mul_f64 v[66:67], v[42:43], v[46:47]
	v_fma_f64 v[40:41], v[46:47], v[42:43], -v[66:67]
	v_div_scale_f64 v[42:43], s[66:67], v[36:37], v[36:37], v[38:39]
	s_mov_b32 s66, 0x69efb384
	s_mov_b32 s67, 0x3f4b2bb0
	v_fma_f64 v[20:21], v[46:47], v[20:21], v[40:41]
	v_add_f64 v[40:41], v[66:67], v[20:21]
	v_rcp_f64_e32 v[50:51], v[42:43]
	v_add_f64 v[68:69], v[48:49], -v[40:41]
	v_add_f64 v[66:67], v[40:41], -v[66:67]
	;; [unrolled: 1-line block ×3, first 2 shown]
	v_fma_f64 v[70:71], -v[42:43], v[50:51], 1.0
	v_add_f64 v[20:21], v[66:67], -v[20:21]
	v_frexp_exp_i32_f64_e32 v66, v[18:19]
	v_add_f64 v[40:41], v[48:49], -v[40:41]
	v_fma_f64 v[48:49], v[50:51], v[70:71], v[50:51]
	v_add_f64 v[20:21], v[20:21], v[40:41]
	v_div_scale_f64 v[40:41], vcc, v[38:39], v[36:37], v[38:39]
	v_fma_f64 v[50:51], -v[42:43], v[48:49], 1.0
	v_add_f64 v[20:21], v[68:69], v[20:21]
	v_fma_f64 v[48:49], v[48:49], v[50:51], v[48:49]
	v_mul_f64 v[20:21], v[44:45], v[20:21]
	v_mul_f64 v[44:45], v[40:41], v[48:49]
	v_add_f64 v[50:51], v[46:47], v[20:21]
	v_fma_f64 v[40:41], -v[42:43], v[44:45], v[40:41]
	v_mul_f64 v[42:43], v[50:51], v[50:51]
	v_add_f64 v[46:47], v[50:51], -v[46:47]
	v_div_fmas_f64 v[40:41], v[40:41], v[48:49], v[44:45]
	v_fma_f64 v[44:45], v[42:43], s[24:25], v[26:27]
	v_mul_f64 v[48:49], v[50:51], v[42:43]
	v_add_f64 v[20:21], v[20:21], -v[46:47]
	v_fma_f64 v[44:45], v[42:43], v[44:45], s[26:27]
	v_ldexp_f64 v[20:21], v[20:21], 1
	v_div_fixup_f64 v[36:37], v[40:41], v[36:37], v[38:39]
	v_fma_f64 v[38:39], v[42:43], v[44:45], s[28:29]
	v_mul_f64 v[40:41], v[36:37], v[36:37]
	v_fma_f64 v[38:39], v[42:43], v[38:39], s[30:31]
	v_fma_f64 v[44:45], v[40:41], s[72:73], v[32:33]
	;; [unrolled: 1-line block ×4, first 2 shown]
	s_mov_b32 s66, 0xaf56de9b
	s_mov_b32 s67, 0xbf67952d
	v_fma_f64 v[38:39], v[42:43], v[38:39], s[22:23]
	v_fma_f64 v[42:43], v[40:41], v[44:45], s[66:67]
	v_ldexp_f64 v[44:45], v[50:51], 1
	s_mov_b32 s66, 0xa595c56f
	s_mov_b32 s67, 0x3f7d6d43
	v_subbrev_co_u32_e64 v50, vcc, 0, v66, s[8:9]
	v_mul_f64 v[38:39], v[48:49], v[38:39]
	v_cvt_f64_i32_e32 v[50:51], v50
	v_fma_f64 v[42:43], v[40:41], v[42:43], s[66:67]
	v_cmp_class_f64_e64 vcc, v[18:19], s83
	v_cmp_class_f64_e64 s[66:67], v[10:11], s83
	v_mul_f64 v[66:67], v[50:51], s[36:37]
	v_cmp_class_f64_e64 s[8:9], v[12:13], s83
	v_add_f64 v[48:49], v[44:45], v[38:39]
	v_fma_f64 v[42:43], v[40:41], v[42:43], s[74:75]
	v_fma_f64 v[46:47], v[50:51], s[36:37], -v[66:67]
	s_and_b64 s[8:9], s[66:67], s[8:9]
	s_and_b64 s[8:9], s[8:9], exec
	v_add_f64 v[44:45], v[48:49], -v[44:45]
	s_or_b64 s[48:49], s[48:49], s[8:9]
	v_fma_f64 v[42:43], v[40:41], v[42:43], s[76:77]
	v_add_f64 v[38:39], v[38:39], -v[44:45]
	v_fma_f64 v[44:45], v[50:51], s[38:39], v[46:47]
	v_fma_f64 v[42:43], v[40:41], v[42:43], s[78:79]
	v_add_f64 v[20:21], v[20:21], v[38:39]
	v_fma_f64 v[38:39], v[40:41], v[42:43], s[80:81]
	v_add_f64 v[42:43], v[66:67], v[44:45]
	v_add_f64 v[46:47], v[48:49], v[20:21]
	v_fma_f64 v[38:39], v[40:41], v[38:39], s[84:85]
	v_add_f64 v[66:67], v[42:43], -v[66:67]
	v_add_f64 v[50:51], v[42:43], v[46:47]
	v_add_f64 v[48:49], v[46:47], -v[48:49]
	v_fma_f64 v[38:39], v[40:41], v[38:39], s[86:87]
	v_add_f64 v[44:45], v[44:45], -v[66:67]
	v_add_f64 v[68:69], v[50:51], -v[42:43]
	;; [unrolled: 1-line block ×3, first 2 shown]
	v_fma_f64 v[38:39], v[40:41], v[38:39], s[88:89]
	v_add_f64 v[70:71], v[50:51], -v[68:69]
	v_add_f64 v[46:47], v[46:47], -v[68:69]
	v_fma_f64 v[38:39], v[40:41], v[38:39], s[90:91]
	v_add_f64 v[48:49], v[44:45], v[20:21]
	v_add_f64 v[42:43], v[42:43], -v[70:71]
	v_fma_f64 v[38:39], v[40:41], v[38:39], s[92:93]
	v_add_f64 v[42:43], v[46:47], v[42:43]
	;; [unrolled: 3-line block ×3, first 2 shown]
	v_add_f64 v[48:49], v[48:49], -v[46:47]
	v_fma_f64 v[38:39], v[40:41], v[38:39], s[96:97]
	v_add_f64 v[20:21], v[20:21], -v[46:47]
	v_add_f64 v[66:67], v[50:51], v[42:43]
	v_add_f64 v[44:45], v[44:45], -v[48:49]
	v_fma_f64 v[38:39], v[40:41], v[38:39], s[98:99]
	v_add_f64 v[46:47], v[66:67], -v[50:51]
	v_add_f64 v[20:21], v[20:21], v[44:45]
	v_fma_f64 v[38:39], v[40:41], v[38:39], s[40:41]
	v_add_f64 v[42:43], v[42:43], -v[46:47]
	v_fma_f64 v[38:39], v[40:41], v[38:39], s[42:43]
	v_add_f64 v[20:21], v[20:21], v[42:43]
	v_fma_f64 v[38:39], v[40:41], v[38:39], s[44:45]
	v_add_f64 v[20:21], v[66:67], v[20:21]
	v_mul_f64 v[38:39], v[40:41], v[38:39]
	v_cndmask_b32_e32 v21, v21, v19, vcc
	v_cndmask_b32_e32 v20, v20, v18, vcc
	v_add_f64 v[40:41], v[20:21], 1.0
	v_cmp_ngt_f64_e32 vcc, 0, v[18:19]
	v_fma_f64 v[20:21], v[36:37], v[38:39], v[36:37]
	v_cndmask_b32_e32 v10, v60, v41, vcc
	v_cmp_nge_f64_e32 vcc, 0, v[18:19]
	v_cndmask_b32_e32 v42, 0, v40, vcc
	v_cmp_neq_f64_e32 vcc, 0, v[18:19]
	v_cndmask_b32_e32 v43, v59, v10, vcc
.LBB48_724:                             ;   in Loop: Header=BB48_434 Depth=1
	s_or_b64 exec, exec, s[64:65]
	v_add_f64 v[18:19], -v[20:21], s[60:61]
	s_mov_b32 s46, s60
	v_ashrrev_i32_e32 v10, 31, v11
	v_cmp_gt_i32_e32 vcc, 0, v11
	v_and_b32_e32 v38, 0x54442d18, v10
	v_and_b32_e32 v10, 0x400921fb, v10
	v_cndmask_b32_e32 v11, v62, v63, vcc
	v_cndmask_b32_e64 v19, v21, v19, s[6:7]
	v_cndmask_b32_e64 v18, v20, v18, s[6:7]
	v_add_f64 v[36:37], -v[18:19], s[46:47]
	v_cmp_eq_f64_e64 s[6:7], 0, v[12:13]
	v_add_f64 v[20:21], v[42:43], s[36:37]
	v_cndmask_b32_e32 v12, v64, v65, vcc
	v_bfi_b32 v12, s33, v12, v13
	v_cndmask_b32_e32 v19, v19, v37, vcc
	v_cndmask_b32_e32 v18, v18, v36, vcc
	v_cndmask_b32_e64 v10, v19, v10, s[6:7]
	v_xor_b32_e32 v13, 0x80000000, v21
	v_cndmask_b32_e64 v18, v18, v38, s[6:7]
	v_cndmask_b32_e64 v10, v10, v12, s[48:49]
	;; [unrolled: 1-line block ×3, first 2 shown]
	v_and_b32_e32 v19, 0x7fffffff, v10
	v_cndmask_b32_e64 v21, v13, v21, s[4:5]
.LBB48_725:                             ;   in Loop: Header=BB48_434 Depth=1
	s_or_b64 exec, exec, s[20:21]
                                        ; implicit-def: $vgpr12_vgpr13
.LBB48_726:                             ;   in Loop: Header=BB48_434 Depth=1
	s_andn2_saveexec_b64 s[4:5], s[58:59]
	s_cbranch_execz .LBB48_740
; %bb.727:                              ;   in Loop: Header=BB48_434 Depth=1
	v_cmp_neq_f64_e64 s[6:7], |v[10:11]|, s[56:57]
                                        ; implicit-def: $vgpr20_vgpr21
	s_and_saveexec_b64 s[8:9], s[6:7]
	s_xor_b64 s[6:7], exec, s[8:9]
	s_cbranch_execz .LBB48_737
; %bb.728:                              ;   in Loop: Header=BB48_434 Depth=1
	v_cmp_neq_f64_e64 s[8:9], |v[12:13]|, s[56:57]
	s_waitcnt lgkmcnt(0)
	v_xor_b32_e32 v21, 0x80000000, v13
	v_mov_b32_e32 v20, v12
	s_and_saveexec_b64 s[20:21], s[8:9]
	s_xor_b64 s[8:9], exec, s[20:21]
	s_cbranch_execz .LBB48_734
; %bb.729:                              ;   in Loop: Header=BB48_434 Depth=1
	v_cmp_neq_f64_e32 vcc, 0, v[10:11]
                                        ; implicit-def: $vgpr20_vgpr21
	s_and_saveexec_b64 s[20:21], vcc
	s_xor_b64 s[20:21], exec, s[20:21]
	s_cbranch_execz .LBB48_731
; %bb.730:                              ;   in Loop: Header=BB48_434 Depth=1
	v_add_f64 v[12:13], v[12:13], 0
	v_add_f64 v[20:21], v[10:11], v[12:13]
                                        ; implicit-def: $vgpr12_vgpr13
.LBB48_731:                             ;   in Loop: Header=BB48_434 Depth=1
	s_or_saveexec_b64 s[20:21], s[20:21]
	v_mov_b32_e32 v18, v20
	v_mov_b32_e32 v19, v21
	s_xor_b64 exec, exec, s[20:21]
	s_cbranch_execz .LBB48_733
; %bb.732:                              ;   in Loop: Header=BB48_434 Depth=1
	v_mov_b32_e32 v10, s12
	v_mov_b32_e32 v11, s13
	flat_load_dwordx2 v[10:11], v[10:11] glc
	s_waitcnt vmcnt(0)
	v_add_f64 v[20:21], v[12:13], v[12:13]
	s_waitcnt lgkmcnt(0)
	v_add_f64 v[18:19], v[10:11], s[60:61]
.LBB48_733:                             ;   in Loop: Header=BB48_434 Depth=1
	s_or_b64 exec, exec, s[20:21]
                                        ; implicit-def: $vgpr10_vgpr11
.LBB48_734:                             ;   in Loop: Header=BB48_434 Depth=1
	s_andn2_saveexec_b64 s[8:9], s[8:9]
; %bb.735:                              ;   in Loop: Header=BB48_434 Depth=1
	v_add_f64 v[18:19], v[10:11], v[10:11]
; %bb.736:                              ;   in Loop: Header=BB48_434 Depth=1
	s_or_b64 exec, exec, s[8:9]
                                        ; implicit-def: $vgpr12_vgpr13
.LBB48_737:                             ;   in Loop: Header=BB48_434 Depth=1
	s_andn2_saveexec_b64 s[6:7], s[6:7]
	s_cbranch_execz .LBB48_739
; %bb.738:                              ;   in Loop: Header=BB48_434 Depth=1
	s_waitcnt lgkmcnt(0)
	v_add_f64 v[18:19], v[12:13], v[12:13]
	v_mov_b32_e32 v20, 0
	v_mov_b32_e32 v21, 0xfff00000
.LBB48_739:                             ;   in Loop: Header=BB48_434 Depth=1
	s_or_b64 exec, exec, s[6:7]
.LBB48_740:                             ;   in Loop: Header=BB48_434 Depth=1
	s_or_b64 exec, exec, s[4:5]
	v_cmp_o_f64_e32 vcc, v[2:3], v[4:5]
	v_mov_b32_e32 v10, s12
	v_mov_b32_e32 v11, s13
	flat_store_dwordx2 v[10:11], v[22:23]
	s_waitcnt vmcnt(0)
                                        ; implicit-def: $vgpr12_vgpr13
	s_and_saveexec_b64 s[4:5], vcc
	s_xor_b64 s[58:59], exec, s[4:5]
	s_cbranch_execz .LBB48_828
; %bb.741:                              ;   in Loop: Header=BB48_434 Depth=1
	v_max_f64 v[38:39], |v[4:5]|, |v[4:5]|
	v_max_f64 v[40:41], |v[2:3]|, |v[2:3]|
	v_cmp_gt_i64_e64 s[4:5], 0, v[4:5]
                                        ; implicit-def: $vgpr12_vgpr13
	v_max_f64 v[36:37], v[40:41], v[38:39]
	v_cmp_nlt_f64_e32 vcc, s[54:55], v[36:37]
	s_and_saveexec_b64 s[6:7], vcc
	s_xor_b64 s[64:65], exec, s[6:7]
	s_cbranch_execz .LBB48_817
; %bb.742:                              ;   in Loop: Header=BB48_434 Depth=1
	v_cmp_neq_f64_e32 vcc, 1.0, v[2:3]
	v_cmp_neq_f64_e64 s[6:7], 0, v[4:5]
	v_xor_b32_e32 v13, 0x80000000, v5
	v_mov_b32_e32 v12, v4
	s_or_b64 s[6:7], vcc, s[6:7]
	s_and_saveexec_b64 s[8:9], s[6:7]
	s_xor_b64 s[20:21], exec, s[8:9]
	s_cbranch_execz .LBB48_814
; %bb.743:                              ;   in Loop: Header=BB48_434 Depth=1
	v_mov_b32_e32 v10, s16
	v_mov_b32_e32 v11, s17
	flat_store_dword v[10:11], v53
	s_waitcnt vmcnt(0)
	flat_load_dword v10, v[10:11] glc
	s_waitcnt vmcnt(0)
	s_mov_b32 s8, 0x1409212f
	s_mov_b32 s9, 0x3e43988e
	v_cmp_nlt_f64_e64 s[6:7], |v[2:3]|, s[8:9]
	v_cmp_nlt_f64_e64 s[8:9], |v[4:5]|, s[8:9]
	s_or_b64 s[6:7], s[6:7], s[8:9]
	s_waitcnt lgkmcnt(0)
	v_add_f32_e32 v12, 1.0, v10
	v_mov_b32_e32 v10, s18
	v_mov_b32_e32 v11, s19
	flat_store_dword v[10:11], v12
	s_waitcnt vmcnt(0)
	flat_load_dword v10, v[10:11] glc
	s_waitcnt vmcnt(0)
	v_mov_b32_e32 v12, v4
	s_and_saveexec_b64 s[8:9], s[6:7]
	s_xor_b64 s[48:49], exec, s[8:9]
	s_cbranch_execz .LBB48_811
; %bb.744:                              ;   in Loop: Header=BB48_434 Depth=1
	v_add_f64 v[36:37], |v[2:3]|, 1.0
	s_waitcnt lgkmcnt(0)
	v_add_f64 v[10:11], |v[2:3]|, -1.0
	v_max_f64 v[12:13], v[38:39], v[36:37]
	v_max_f64 v[38:39], v[38:39], |v[10:11]|
	v_frexp_exp_i32_f64_e32 v66, v[12:13]
	v_frexp_exp_i32_f64_e32 v67, v[38:39]
	v_sub_u32_e32 v40, 0, v66
	v_sub_u32_e32 v42, 0, v67
	v_ldexp_f64 v[12:13], v[36:37], v40
	v_ldexp_f64 v[38:39], |v[10:11]|, v42
	v_ldexp_f64 v[40:41], |v[4:5]|, v40
	;; [unrolled: 1-line block ×3, first 2 shown]
	v_mul_f64 v[12:13], v[12:13], v[12:13]
	v_mul_f64 v[38:39], v[38:39], v[38:39]
	v_fma_f64 v[12:13], v[40:41], v[40:41], v[12:13]
	v_fma_f64 v[38:39], v[42:43], v[42:43], v[38:39]
	v_rsq_f64_e32 v[40:41], v[12:13]
	v_rsq_f64_e32 v[42:43], v[38:39]
	v_cmp_eq_f64_e32 vcc, 0, v[12:13]
	v_cmp_eq_f64_e64 s[6:7], 0, v[38:39]
	v_mul_f64 v[44:45], v[12:13], v[40:41]
	v_mul_f64 v[40:41], v[40:41], 0.5
	v_mul_f64 v[46:47], v[38:39], v[42:43]
	v_mul_f64 v[42:43], v[42:43], 0.5
	v_fma_f64 v[48:49], -v[40:41], v[44:45], 0.5
	v_fma_f64 v[50:51], -v[42:43], v[46:47], 0.5
	v_fma_f64 v[44:45], v[44:45], v[48:49], v[44:45]
	v_fma_f64 v[40:41], v[40:41], v[48:49], v[40:41]
	;; [unrolled: 1-line block ×4, first 2 shown]
	v_fma_f64 v[48:49], -v[44:45], v[44:45], v[12:13]
	v_fma_f64 v[50:51], -v[46:47], v[46:47], v[38:39]
	v_fma_f64 v[40:41], v[48:49], v[40:41], v[44:45]
	v_fma_f64 v[42:43], v[50:51], v[42:43], v[46:47]
	v_cndmask_b32_e32 v13, v41, v13, vcc
	v_cndmask_b32_e32 v12, v40, v12, vcc
	v_cndmask_b32_e64 v39, v43, v39, s[6:7]
	v_cndmask_b32_e64 v38, v42, v38, s[6:7]
	v_ldexp_f64 v[12:13], v[12:13], v66
	v_cmp_neq_f64_e32 vcc, s[56:57], v[36:37]
	v_ldexp_f64 v[38:39], v[38:39], v67
	v_cmp_neq_f64_e64 s[6:7], |v[10:11]|, s[56:57]
	v_cndmask_b32_e32 v43, v55, v13, vcc
	v_cndmask_b32_e32 v42, 0, v12, vcc
	v_cndmask_b32_e64 v41, v55, v39, s[6:7]
	v_cndmask_b32_e64 v40, 0, v38, s[6:7]
	v_add_f64 v[12:13], v[42:43], v[40:41]
	s_mov_b32 s6, 0
	s_mov_b32 s7, 0x40240000
	v_mul_f64 v[12:13], v[12:13], 0.5
	v_cmp_ngt_f64_e32 vcc, 1.0, v[12:13]
	v_cndmask_b32_e32 v39, v56, v13, vcc
	v_cndmask_b32_e32 v38, 0, v12, vcc
	v_cmp_ngt_f64_e32 vcc, s[6:7], v[38:39]
                                        ; implicit-def: $vgpr12_vgpr13
	s_and_saveexec_b64 s[6:7], vcc
	s_xor_b64 s[6:7], exec, s[6:7]
	s_cbranch_execz .LBB48_746
; %bb.745:                              ;   in Loop: Header=BB48_434 Depth=1
	v_fma_f64 v[12:13], v[38:39], v[38:39], -1.0
	s_mov_b32 s8, 0
	s_brev_b32 s9, 8
	s_mov_b32 s23, s63
	v_cmp_gt_f64_e32 vcc, s[8:9], v[12:13]
	v_cndmask_b32_e32 v44, 0, v57, vcc
	v_ldexp_f64 v[12:13], v[12:13], v44
	v_rsq_f64_e32 v[44:45], v[12:13]
	v_mul_f64 v[46:47], v[12:13], v[44:45]
	v_mul_f64 v[44:45], v[44:45], 0.5
	v_fma_f64 v[48:49], -v[44:45], v[46:47], 0.5
	v_fma_f64 v[46:47], v[46:47], v[48:49], v[46:47]
	v_fma_f64 v[44:45], v[44:45], v[48:49], v[44:45]
	v_fma_f64 v[48:49], -v[46:47], v[46:47], v[12:13]
	v_fma_f64 v[46:47], v[48:49], v[44:45], v[46:47]
	v_fma_f64 v[48:49], -v[46:47], v[46:47], v[12:13]
	v_fma_f64 v[44:45], v[48:49], v[44:45], v[46:47]
	v_cndmask_b32_e32 v46, 0, v58, vcc
	v_cmp_class_f64_e32 vcc, v[12:13], v54
	v_ldexp_f64 v[44:45], v[44:45], v46
	v_cndmask_b32_e32 v13, v45, v13, vcc
	v_cndmask_b32_e32 v12, v44, v12, vcc
	v_add_f64 v[12:13], v[38:39], v[12:13]
	v_frexp_mant_f64_e32 v[44:45], v[12:13]
	v_cmp_gt_f64_e32 vcc, s[62:63], v[44:45]
	v_cndmask_b32_e64 v46, 0, 1, vcc
	v_ldexp_f64 v[44:45], v[44:45], v46
	v_add_f64 v[46:47], v[44:45], 1.0
	v_add_f64 v[66:67], v[44:45], -1.0
	v_rcp_f64_e32 v[48:49], v[46:47]
	v_add_f64 v[68:69], v[46:47], -1.0
	v_add_f64 v[44:45], v[44:45], -v[68:69]
	v_fma_f64 v[50:51], -v[46:47], v[48:49], 1.0
	v_fma_f64 v[48:49], v[50:51], v[48:49], v[48:49]
	v_fma_f64 v[50:51], -v[46:47], v[48:49], 1.0
	v_fma_f64 v[48:49], v[50:51], v[48:49], v[48:49]
	v_mul_f64 v[50:51], v[66:67], v[48:49]
	v_mul_f64 v[70:71], v[46:47], v[50:51]
	v_fma_f64 v[46:47], v[50:51], v[46:47], -v[70:71]
	v_fma_f64 v[44:45], v[50:51], v[44:45], v[46:47]
	v_add_f64 v[46:47], v[70:71], v[44:45]
	v_add_f64 v[68:69], v[66:67], -v[46:47]
	v_add_f64 v[70:71], v[46:47], -v[70:71]
	;; [unrolled: 1-line block ×5, first 2 shown]
	v_add_f64 v[44:45], v[44:45], v[46:47]
	v_add_f64 v[44:45], v[68:69], v[44:45]
	v_mul_f64 v[44:45], v[48:49], v[44:45]
	v_add_f64 v[46:47], v[50:51], v[44:45]
	v_mul_f64 v[48:49], v[46:47], v[46:47]
	v_fma_f64 v[66:67], v[48:49], s[24:25], v[26:27]
	v_mul_f64 v[68:69], v[46:47], v[48:49]
	v_fma_f64 v[66:67], v[48:49], v[66:67], s[26:27]
	v_fma_f64 v[66:67], v[48:49], v[66:67], s[28:29]
	;; [unrolled: 1-line block ×5, first 2 shown]
	v_ldexp_f64 v[66:67], v[46:47], 1
	v_add_f64 v[46:47], v[46:47], -v[50:51]
	v_mul_f64 v[48:49], v[68:69], v[48:49]
	v_frexp_exp_i32_f64_e32 v68, v[12:13]
	v_add_f64 v[44:45], v[44:45], -v[46:47]
	v_add_f64 v[50:51], v[66:67], v[48:49]
	v_subbrev_co_u32_e32 v68, vcc, 0, v68, vcc
	v_cvt_f64_i32_e32 v[68:69], v68
	v_ldexp_f64 v[44:45], v[44:45], 1
	v_cmp_class_f64_e64 vcc, v[12:13], s83
	v_mul_f64 v[70:71], v[68:69], s[36:37]
	v_add_f64 v[46:47], v[50:51], -v[66:67]
	v_fma_f64 v[66:67], v[68:69], s[36:37], -v[70:71]
	v_add_f64 v[46:47], v[48:49], -v[46:47]
	v_fma_f64 v[48:49], v[68:69], s[38:39], v[66:67]
	v_add_f64 v[44:45], v[44:45], v[46:47]
	v_add_f64 v[46:47], v[70:71], v[48:49]
	;; [unrolled: 1-line block ×3, first 2 shown]
	v_add_f64 v[70:71], v[46:47], -v[70:71]
	v_add_f64 v[68:69], v[46:47], v[66:67]
	v_add_f64 v[50:51], v[66:67], -v[50:51]
	v_add_f64 v[48:49], v[48:49], -v[70:71]
	;; [unrolled: 1-line block ×6, first 2 shown]
	v_add_f64 v[66:67], v[48:49], v[44:45]
	v_add_f64 v[46:47], v[46:47], -v[74:75]
	v_add_f64 v[46:47], v[50:51], v[46:47]
	v_add_f64 v[50:51], v[66:67], -v[48:49]
	;; [unrolled: 2-line block ×3, first 2 shown]
	v_add_f64 v[44:45], v[44:45], -v[50:51]
	v_add_f64 v[70:71], v[68:69], v[46:47]
	v_add_f64 v[48:49], v[48:49], -v[66:67]
	v_add_f64 v[50:51], v[70:71], -v[68:69]
	v_add_f64 v[44:45], v[44:45], v[48:49]
	v_add_f64 v[46:47], v[46:47], -v[50:51]
	v_add_f64 v[44:45], v[44:45], v[46:47]
	v_add_f64 v[44:45], v[70:71], v[44:45]
	v_cndmask_b32_e32 v44, v44, v12, vcc
	v_cndmask_b32_e32 v45, v45, v13, vcc
	v_cmp_neq_f64_e32 vcc, 0, v[12:13]
	v_cndmask_b32_e32 v13, v59, v45, vcc
	v_cndmask_b32_e32 v12, 0, v44, vcc
.LBB48_746:                             ;   in Loop: Header=BB48_434 Depth=1
	s_or_saveexec_b64 s[8:9], s[6:7]
	v_and_b32_e32 v45, 0x7fffffff, v5
	v_mov_b32_e32 v44, v4
	s_xor_b64 exec, exec, s[8:9]
	s_cbranch_execz .LBB48_768
; %bb.747:                              ;   in Loop: Header=BB48_434 Depth=1
	s_mov_b32 s66, 0
	s_mov_b32 s67, 0x39000000
	v_cmp_neq_f64_e64 s[6:7], |v[2:3]|, 1.0
	v_cmp_nlt_f64_e64 s[66:67], |v[4:5]|, s[66:67]
                                        ; implicit-def: $vgpr12_vgpr13
	s_or_b64 s[6:7], s[6:7], s[66:67]
	s_and_saveexec_b64 s[66:67], s[6:7]
	s_xor_b64 s[66:67], exec, s[66:67]
	s_cbranch_execz .LBB48_765
; %bb.748:                              ;   in Loop: Header=BB48_434 Depth=1
	s_movk_i32 s6, 0xffcc
	v_ldexp_f64 v[12:13], |v[10:11]|, s6
	v_cmp_ge_f64_e64 s[6:7], |v[4:5]|, v[12:13]
                                        ; implicit-def: $vgpr12_vgpr13
	s_and_saveexec_b64 s[68:69], s[6:7]
	s_xor_b64 s[68:69], exec, s[68:69]
	s_cbranch_execz .LBB48_758
; %bb.749:                              ;   in Loop: Header=BB48_434 Depth=1
	v_cmp_neq_f64_e32 vcc, 0, v[36:37]
	v_mov_b32_e32 v12, v44
	v_mov_b32_e32 v13, v45
	s_and_saveexec_b64 s[6:7], vcc
	s_cbranch_execz .LBB48_751
; %bb.750:                              ;   in Loop: Header=BB48_434 Depth=1
	v_mul_f64 v[12:13], v[4:5], v[4:5]
	v_add_f64 v[46:47], v[36:37], v[42:43]
	v_div_scale_f64 v[48:49], s[70:71], v[46:47], v[46:47], v[12:13]
	v_div_scale_f64 v[68:69], vcc, v[12:13], v[46:47], v[12:13]
	v_rcp_f64_e32 v[50:51], v[48:49]
	v_fma_f64 v[66:67], -v[48:49], v[50:51], 1.0
	v_fma_f64 v[50:51], v[50:51], v[66:67], v[50:51]
	v_fma_f64 v[66:67], -v[48:49], v[50:51], 1.0
	v_fma_f64 v[50:51], v[50:51], v[66:67], v[50:51]
	v_mul_f64 v[66:67], v[68:69], v[50:51]
	v_fma_f64 v[48:49], -v[48:49], v[66:67], v[68:69]
	v_div_fmas_f64 v[48:49], v[48:49], v[50:51], v[66:67]
	v_div_fixup_f64 v[12:13], v[48:49], v[46:47], v[12:13]
.LBB48_751:                             ;   in Loop: Header=BB48_434 Depth=1
	s_or_b64 exec, exec, s[6:7]
	v_add_f64 v[48:49], -|v[2:3]|, 1.0
                                        ; implicit-def: $vgpr46_vgpr47
	v_cmp_ngt_f64_e32 vcc, 0, v[48:49]
	s_and_saveexec_b64 s[6:7], vcc
	s_xor_b64 s[6:7], exec, s[6:7]
	s_cbranch_execz .LBB48_755
; %bb.752:                              ;   in Loop: Header=BB48_434 Depth=1
	v_cmp_neq_f64_e32 vcc, 0, v[48:49]
	v_mov_b32_e32 v47, v45
	v_mov_b32_e32 v46, v44
	s_and_saveexec_b64 s[70:71], vcc
	s_cbranch_execz .LBB48_754
; %bb.753:                              ;   in Loop: Header=BB48_434 Depth=1
	v_mul_f64 v[46:47], v[4:5], v[4:5]
	v_add_f64 v[48:49], v[48:49], v[40:41]
	v_div_scale_f64 v[50:51], s[72:73], v[48:49], v[48:49], v[46:47]
	v_div_scale_f64 v[70:71], vcc, v[46:47], v[48:49], v[46:47]
	v_rcp_f64_e32 v[66:67], v[50:51]
	v_fma_f64 v[68:69], -v[50:51], v[66:67], 1.0
	v_fma_f64 v[66:67], v[66:67], v[68:69], v[66:67]
	v_fma_f64 v[68:69], -v[50:51], v[66:67], 1.0
	v_fma_f64 v[66:67], v[66:67], v[68:69], v[66:67]
	v_mul_f64 v[68:69], v[70:71], v[66:67]
	v_fma_f64 v[50:51], -v[50:51], v[68:69], v[70:71]
	v_div_fmas_f64 v[50:51], v[50:51], v[66:67], v[68:69]
	v_div_fixup_f64 v[46:47], v[50:51], v[48:49], v[46:47]
.LBB48_754:                             ;   in Loop: Header=BB48_434 Depth=1
	s_or_b64 exec, exec, s[70:71]
	s_mov_b32 s72, 0xb5e68a13
	s_mov_b32 s73, 0x3eeba404
                                        ; implicit-def: $vgpr48_vgpr49
.LBB48_755:                             ;   in Loop: Header=BB48_434 Depth=1
	s_andn2_saveexec_b64 s[6:7], s[6:7]
; %bb.756:                              ;   in Loop: Header=BB48_434 Depth=1
	v_add_f64 v[46:47], v[40:41], -v[48:49]
; %bb.757:                              ;   in Loop: Header=BB48_434 Depth=1
	s_or_b64 exec, exec, s[6:7]
	v_mul_f64 v[46:47], v[46:47], 0.5
	s_mov_b32 s6, 0
	s_brev_b32 s7, 8
	s_mov_b32 s23, s63
	v_fma_f64 v[12:13], v[12:13], 0.5, v[46:47]
	v_add_f64 v[46:47], v[38:39], 1.0
	v_mul_f64 v[46:47], v[46:47], v[12:13]
	v_cmp_gt_f64_e32 vcc, s[6:7], v[46:47]
	v_cndmask_b32_e32 v48, 0, v57, vcc
	v_ldexp_f64 v[46:47], v[46:47], v48
	v_rsq_f64_e32 v[48:49], v[46:47]
	v_mul_f64 v[50:51], v[46:47], v[48:49]
	v_mul_f64 v[48:49], v[48:49], 0.5
	v_fma_f64 v[66:67], -v[48:49], v[50:51], 0.5
	v_fma_f64 v[50:51], v[50:51], v[66:67], v[50:51]
	v_fma_f64 v[48:49], v[48:49], v[66:67], v[48:49]
	v_fma_f64 v[68:69], -v[50:51], v[50:51], v[46:47]
	v_fma_f64 v[50:51], v[68:69], v[48:49], v[50:51]
	v_fma_f64 v[66:67], -v[50:51], v[50:51], v[46:47]
	v_fma_f64 v[48:49], v[66:67], v[48:49], v[50:51]
	v_cndmask_b32_e32 v50, 0, v58, vcc
	v_cmp_class_f64_e32 vcc, v[46:47], v54
	v_ldexp_f64 v[48:49], v[48:49], v50
	v_cndmask_b32_e32 v47, v49, v47, vcc
	v_cndmask_b32_e32 v46, v48, v46, vcc
	v_add_f64 v[46:47], v[12:13], v[46:47]
	v_add_f64 v[12:13], v[46:47], 1.0
	v_cmp_ngt_f64_e64 s[6:7], -1.0, v[46:47]
	v_add_f64 v[48:49], v[12:13], -1.0
	v_frexp_exp_i32_f64_e32 v66, v[12:13]
	v_add_f64 v[50:51], v[48:49], -v[12:13]
	v_add_f64 v[48:49], v[46:47], -v[48:49]
	v_add_f64 v[50:51], v[50:51], 1.0
	v_add_f64 v[48:49], v[48:49], v[50:51]
	v_frexp_mant_f64_e32 v[50:51], v[12:13]
	v_cmp_gt_f64_e32 vcc, s[62:63], v[50:51]
	v_subbrev_co_u32_e32 v80, vcc, 0, v66, vcc
	v_sub_u32_e32 v50, 0, v80
	v_ldexp_f64 v[12:13], v[12:13], v50
	v_ldexp_f64 v[48:49], v[48:49], v50
	v_cmp_neq_f64_e32 vcc, s[56:57], v[46:47]
	v_add_f64 v[50:51], v[12:13], -1.0
	v_add_f64 v[66:67], v[50:51], 1.0
	v_add_f64 v[66:67], v[12:13], -v[66:67]
	v_add_f64 v[66:67], v[48:49], v[66:67]
	v_add_f64 v[68:69], v[50:51], v[66:67]
	v_add_f64 v[50:51], v[68:69], -v[50:51]
	v_add_f64 v[50:51], v[66:67], -v[50:51]
	v_add_f64 v[66:67], v[12:13], 1.0
	v_add_f64 v[70:71], v[66:67], -1.0
	v_add_f64 v[12:13], v[12:13], -v[70:71]
	v_add_f64 v[12:13], v[48:49], v[12:13]
	v_add_f64 v[48:49], v[66:67], v[12:13]
	v_add_f64 v[66:67], v[48:49], -v[66:67]
	v_add_f64 v[12:13], v[12:13], -v[66:67]
	v_rcp_f64_e32 v[66:67], v[48:49]
	v_fma_f64 v[70:71], -v[48:49], v[66:67], 1.0
	v_fma_f64 v[66:67], v[70:71], v[66:67], v[66:67]
	v_fma_f64 v[70:71], -v[48:49], v[66:67], 1.0
	v_fma_f64 v[66:67], v[70:71], v[66:67], v[66:67]
	v_mul_f64 v[70:71], v[68:69], v[66:67]
	v_mul_f64 v[72:73], v[48:49], v[70:71]
	v_fma_f64 v[74:75], v[70:71], v[48:49], -v[72:73]
	v_fma_f64 v[74:75], v[70:71], v[12:13], v[74:75]
	v_add_f64 v[76:77], v[72:73], v[74:75]
	v_add_f64 v[78:79], v[68:69], -v[76:77]
	v_add_f64 v[72:73], v[76:77], -v[72:73]
	;; [unrolled: 1-line block ×4, first 2 shown]
	v_add_f64 v[50:51], v[50:51], v[68:69]
	v_add_f64 v[68:69], v[72:73], -v[74:75]
	v_add_f64 v[50:51], v[68:69], v[50:51]
	v_add_f64 v[68:69], v[78:79], v[50:51]
	v_add_f64 v[72:73], v[78:79], -v[68:69]
	v_add_f64 v[50:51], v[50:51], v[72:73]
	v_mul_f64 v[72:73], v[66:67], v[68:69]
	v_mul_f64 v[74:75], v[48:49], v[72:73]
	v_fma_f64 v[48:49], v[72:73], v[48:49], -v[74:75]
	v_fma_f64 v[12:13], v[72:73], v[12:13], v[48:49]
	v_add_f64 v[48:49], v[74:75], v[12:13]
	v_add_f64 v[76:77], v[68:69], -v[48:49]
	v_add_f64 v[74:75], v[48:49], -v[74:75]
	;; [unrolled: 1-line block ×5, first 2 shown]
	v_cvt_f64_i32_e32 v[68:69], v80
	v_add_f64 v[48:49], v[50:51], v[48:49]
	v_add_f64 v[12:13], v[12:13], v[48:49]
	;; [unrolled: 1-line block ×4, first 2 shown]
	v_add_f64 v[50:51], v[48:49], -v[70:71]
	v_mul_f64 v[70:71], v[68:69], s[36:37]
	v_mul_f64 v[12:13], v[66:67], v[12:13]
	v_add_f64 v[50:51], v[72:73], -v[50:51]
	v_fma_f64 v[72:73], v[68:69], s[36:37], -v[70:71]
	v_add_f64 v[12:13], v[50:51], v[12:13]
	v_fma_f64 v[68:69], v[68:69], s[38:39], v[72:73]
	v_add_f64 v[50:51], v[48:49], v[12:13]
	v_add_f64 v[72:73], v[70:71], v[68:69]
	v_add_f64 v[48:49], v[50:51], -v[48:49]
	v_add_f64 v[70:71], v[72:73], -v[70:71]
	;; [unrolled: 1-line block ×3, first 2 shown]
	v_mul_f64 v[48:49], v[50:51], v[50:51]
	v_add_f64 v[68:69], v[68:69], -v[70:71]
	v_ldexp_f64 v[70:71], v[50:51], 1
	v_ldexp_f64 v[12:13], v[12:13], 1
	v_fma_f64 v[66:67], v[48:49], s[24:25], v[26:27]
	v_fma_f64 v[66:67], v[48:49], v[66:67], s[26:27]
	;; [unrolled: 1-line block ×6, first 2 shown]
	v_mul_f64 v[48:49], v[50:51], v[48:49]
	v_mul_f64 v[48:49], v[48:49], v[66:67]
	v_add_f64 v[50:51], v[70:71], v[48:49]
	v_add_f64 v[66:67], v[50:51], -v[70:71]
	v_add_f64 v[48:49], v[48:49], -v[66:67]
	v_add_f64 v[12:13], v[12:13], v[48:49]
	v_add_f64 v[48:49], v[50:51], v[12:13]
	v_add_f64 v[50:51], v[48:49], -v[50:51]
	v_add_f64 v[12:13], v[12:13], -v[50:51]
	v_add_f64 v[50:51], v[72:73], v[48:49]
	v_add_f64 v[66:67], v[50:51], -v[72:73]
	v_add_f64 v[70:71], v[50:51], -v[66:67]
	;; [unrolled: 1-line block ×3, first 2 shown]
	v_add_f64 v[66:67], v[68:69], v[12:13]
	v_add_f64 v[70:71], v[72:73], -v[70:71]
	v_add_f64 v[48:49], v[48:49], v[70:71]
	v_add_f64 v[70:71], v[66:67], -v[68:69]
	;; [unrolled: 2-line block ×3, first 2 shown]
	v_add_f64 v[12:13], v[12:13], -v[70:71]
	v_add_f64 v[66:67], v[50:51], v[48:49]
	v_add_f64 v[68:69], v[68:69], -v[72:73]
	v_add_f64 v[50:51], v[66:67], -v[50:51]
	v_add_f64 v[12:13], v[12:13], v[68:69]
	v_add_f64 v[48:49], v[48:49], -v[50:51]
	v_add_f64 v[12:13], v[12:13], v[48:49]
	v_add_f64 v[12:13], v[66:67], v[12:13]
	v_cndmask_b32_e32 v13, v55, v13, vcc
	v_cndmask_b32_e64 v13, v60, v13, s[6:7]
	v_cmp_nge_f64_e64 s[6:7], -1.0, v[46:47]
	s_and_b64 vcc, s[6:7], vcc
	v_cndmask_b32_e32 v12, 0, v12, vcc
	v_cmp_neq_f64_e32 vcc, -1.0, v[46:47]
	v_cndmask_b32_e32 v13, v59, v13, vcc
.LBB48_758:                             ;   in Loop: Header=BB48_434 Depth=1
	s_andn2_saveexec_b64 s[68:69], s[68:69]
	s_cbranch_execz .LBB48_764
; %bb.759:                              ;   in Loop: Header=BB48_434 Depth=1
	v_cmp_nlt_f64_e64 s[6:7], |v[2:3]|, 1.0
                                        ; implicit-def: $vgpr12_vgpr13
	s_and_saveexec_b64 s[70:71], s[6:7]
	s_xor_b64 s[70:71], exec, s[70:71]
	s_cbranch_execz .LBB48_761
; %bb.760:                              ;   in Loop: Header=BB48_434 Depth=1
	v_mul_f64 v[12:13], v[10:11], v[36:37]
	s_mov_b32 s6, 0
	s_brev_b32 s7, 8
	s_mov_b32 s23, s63
	v_cmp_gt_f64_e32 vcc, s[6:7], v[12:13]
	v_cndmask_b32_e32 v46, 0, v57, vcc
	v_ldexp_f64 v[12:13], v[12:13], v46
	v_rsq_f64_e32 v[46:47], v[12:13]
	v_mul_f64 v[48:49], v[12:13], v[46:47]
	v_mul_f64 v[46:47], v[46:47], 0.5
	v_fma_f64 v[50:51], -v[46:47], v[48:49], 0.5
	v_fma_f64 v[48:49], v[48:49], v[50:51], v[48:49]
	v_fma_f64 v[46:47], v[46:47], v[50:51], v[46:47]
	v_fma_f64 v[66:67], -v[48:49], v[48:49], v[12:13]
	v_fma_f64 v[48:49], v[66:67], v[46:47], v[48:49]
	v_fma_f64 v[50:51], -v[48:49], v[48:49], v[12:13]
	v_fma_f64 v[46:47], v[50:51], v[46:47], v[48:49]
	v_cndmask_b32_e32 v48, 0, v58, vcc
	v_cmp_class_f64_e32 vcc, v[12:13], v54
	v_ldexp_f64 v[46:47], v[46:47], v48
	v_cndmask_b32_e32 v13, v47, v13, vcc
	v_cndmask_b32_e32 v12, v46, v12, vcc
	v_add_f64 v[46:47], v[10:11], v[12:13]
	v_add_f64 v[12:13], v[46:47], 1.0
	v_cmp_ngt_f64_e64 s[6:7], -1.0, v[46:47]
	v_add_f64 v[48:49], v[12:13], -1.0
	v_frexp_exp_i32_f64_e32 v66, v[12:13]
	v_add_f64 v[50:51], v[48:49], -v[12:13]
	v_add_f64 v[48:49], v[46:47], -v[48:49]
	v_add_f64 v[50:51], v[50:51], 1.0
	v_add_f64 v[48:49], v[48:49], v[50:51]
	v_frexp_mant_f64_e32 v[50:51], v[12:13]
	v_cmp_gt_f64_e32 vcc, s[62:63], v[50:51]
	v_subbrev_co_u32_e32 v80, vcc, 0, v66, vcc
	v_sub_u32_e32 v50, 0, v80
	v_ldexp_f64 v[12:13], v[12:13], v50
	v_ldexp_f64 v[48:49], v[48:49], v50
	v_cmp_neq_f64_e32 vcc, s[56:57], v[46:47]
	v_add_f64 v[50:51], v[12:13], -1.0
	v_add_f64 v[66:67], v[50:51], 1.0
	v_add_f64 v[66:67], v[12:13], -v[66:67]
	v_add_f64 v[66:67], v[48:49], v[66:67]
	v_add_f64 v[68:69], v[50:51], v[66:67]
	v_add_f64 v[50:51], v[68:69], -v[50:51]
	v_add_f64 v[50:51], v[66:67], -v[50:51]
	v_add_f64 v[66:67], v[12:13], 1.0
	v_add_f64 v[70:71], v[66:67], -1.0
	v_add_f64 v[12:13], v[12:13], -v[70:71]
	v_add_f64 v[12:13], v[48:49], v[12:13]
	v_add_f64 v[48:49], v[66:67], v[12:13]
	v_add_f64 v[66:67], v[48:49], -v[66:67]
	v_add_f64 v[12:13], v[12:13], -v[66:67]
	v_rcp_f64_e32 v[66:67], v[48:49]
	v_fma_f64 v[70:71], -v[48:49], v[66:67], 1.0
	v_fma_f64 v[66:67], v[70:71], v[66:67], v[66:67]
	v_fma_f64 v[70:71], -v[48:49], v[66:67], 1.0
	v_fma_f64 v[66:67], v[70:71], v[66:67], v[66:67]
	v_mul_f64 v[70:71], v[68:69], v[66:67]
	v_mul_f64 v[72:73], v[48:49], v[70:71]
	v_fma_f64 v[74:75], v[70:71], v[48:49], -v[72:73]
	v_fma_f64 v[74:75], v[70:71], v[12:13], v[74:75]
	v_add_f64 v[76:77], v[72:73], v[74:75]
	v_add_f64 v[78:79], v[68:69], -v[76:77]
	v_add_f64 v[72:73], v[76:77], -v[72:73]
	;; [unrolled: 1-line block ×4, first 2 shown]
	v_add_f64 v[50:51], v[50:51], v[68:69]
	v_add_f64 v[68:69], v[72:73], -v[74:75]
	v_add_f64 v[50:51], v[68:69], v[50:51]
	v_add_f64 v[68:69], v[78:79], v[50:51]
	v_add_f64 v[72:73], v[78:79], -v[68:69]
	v_add_f64 v[50:51], v[50:51], v[72:73]
	v_mul_f64 v[72:73], v[66:67], v[68:69]
	v_mul_f64 v[74:75], v[48:49], v[72:73]
	v_fma_f64 v[48:49], v[72:73], v[48:49], -v[74:75]
	v_fma_f64 v[12:13], v[72:73], v[12:13], v[48:49]
	v_add_f64 v[48:49], v[74:75], v[12:13]
	v_add_f64 v[76:77], v[68:69], -v[48:49]
	v_add_f64 v[74:75], v[48:49], -v[74:75]
	;; [unrolled: 1-line block ×5, first 2 shown]
	v_cvt_f64_i32_e32 v[68:69], v80
	v_add_f64 v[48:49], v[50:51], v[48:49]
	v_add_f64 v[12:13], v[12:13], v[48:49]
	;; [unrolled: 1-line block ×4, first 2 shown]
	v_add_f64 v[50:51], v[48:49], -v[70:71]
	v_mul_f64 v[70:71], v[68:69], s[36:37]
	v_mul_f64 v[12:13], v[66:67], v[12:13]
	v_add_f64 v[50:51], v[72:73], -v[50:51]
	v_fma_f64 v[72:73], v[68:69], s[36:37], -v[70:71]
	v_add_f64 v[12:13], v[50:51], v[12:13]
	v_fma_f64 v[68:69], v[68:69], s[38:39], v[72:73]
	v_add_f64 v[50:51], v[48:49], v[12:13]
	v_add_f64 v[72:73], v[70:71], v[68:69]
	v_add_f64 v[48:49], v[50:51], -v[48:49]
	v_add_f64 v[70:71], v[72:73], -v[70:71]
	;; [unrolled: 1-line block ×3, first 2 shown]
	v_mul_f64 v[48:49], v[50:51], v[50:51]
	v_add_f64 v[68:69], v[68:69], -v[70:71]
	v_ldexp_f64 v[70:71], v[50:51], 1
	v_ldexp_f64 v[12:13], v[12:13], 1
	v_fma_f64 v[66:67], v[48:49], s[24:25], v[26:27]
	v_fma_f64 v[66:67], v[48:49], v[66:67], s[26:27]
	;; [unrolled: 1-line block ×6, first 2 shown]
	v_mul_f64 v[48:49], v[50:51], v[48:49]
	v_mul_f64 v[48:49], v[48:49], v[66:67]
	v_add_f64 v[50:51], v[70:71], v[48:49]
	v_add_f64 v[66:67], v[50:51], -v[70:71]
	v_add_f64 v[48:49], v[48:49], -v[66:67]
	v_add_f64 v[12:13], v[12:13], v[48:49]
	v_add_f64 v[48:49], v[50:51], v[12:13]
	v_add_f64 v[50:51], v[48:49], -v[50:51]
	v_add_f64 v[12:13], v[12:13], -v[50:51]
	v_add_f64 v[50:51], v[72:73], v[48:49]
	v_add_f64 v[66:67], v[50:51], -v[72:73]
	v_add_f64 v[70:71], v[50:51], -v[66:67]
	;; [unrolled: 1-line block ×3, first 2 shown]
	v_add_f64 v[66:67], v[68:69], v[12:13]
	v_add_f64 v[70:71], v[72:73], -v[70:71]
	v_add_f64 v[48:49], v[48:49], v[70:71]
	v_add_f64 v[70:71], v[66:67], -v[68:69]
	;; [unrolled: 2-line block ×3, first 2 shown]
	v_add_f64 v[12:13], v[12:13], -v[70:71]
	v_add_f64 v[66:67], v[50:51], v[48:49]
	v_add_f64 v[68:69], v[68:69], -v[72:73]
	v_add_f64 v[50:51], v[66:67], -v[50:51]
	v_add_f64 v[12:13], v[12:13], v[68:69]
	v_add_f64 v[48:49], v[48:49], -v[50:51]
	v_add_f64 v[12:13], v[12:13], v[48:49]
	v_add_f64 v[12:13], v[66:67], v[12:13]
	v_cndmask_b32_e32 v13, v55, v13, vcc
	v_cndmask_b32_e64 v13, v60, v13, s[6:7]
	v_cmp_nge_f64_e64 s[6:7], -1.0, v[46:47]
	s_and_b64 vcc, s[6:7], vcc
	v_cndmask_b32_e32 v12, 0, v12, vcc
	v_cmp_neq_f64_e32 vcc, -1.0, v[46:47]
	v_cndmask_b32_e32 v13, v59, v13, vcc
.LBB48_761:                             ;   in Loop: Header=BB48_434 Depth=1
	s_andn2_saveexec_b64 s[6:7], s[70:71]
	s_cbranch_execz .LBB48_763
; %bb.762:                              ;   in Loop: Header=BB48_434 Depth=1
	v_add_f64 v[12:13], -|v[2:3]|, 1.0
	s_mov_b32 s70, 0
	s_brev_b32 s71, 8
	v_mul_f64 v[12:13], v[12:13], v[36:37]
	v_cmp_gt_f64_e32 vcc, s[70:71], v[12:13]
	v_cndmask_b32_e32 v46, 0, v57, vcc
	v_ldexp_f64 v[12:13], v[12:13], v46
	v_rsq_f64_e32 v[46:47], v[12:13]
	v_mul_f64 v[48:49], v[12:13], v[46:47]
	v_mul_f64 v[46:47], v[46:47], 0.5
	v_fma_f64 v[50:51], -v[46:47], v[48:49], 0.5
	v_fma_f64 v[48:49], v[48:49], v[50:51], v[48:49]
	v_fma_f64 v[46:47], v[46:47], v[50:51], v[46:47]
	v_fma_f64 v[50:51], -v[48:49], v[48:49], v[12:13]
	v_fma_f64 v[48:49], v[50:51], v[46:47], v[48:49]
	v_fma_f64 v[50:51], -v[48:49], v[48:49], v[12:13]
	v_fma_f64 v[46:47], v[50:51], v[46:47], v[48:49]
	v_cndmask_b32_e32 v48, 0, v58, vcc
	v_cmp_class_f64_e32 vcc, v[12:13], v54
	v_mov_b32_e32 v49, v45
	v_ldexp_f64 v[46:47], v[46:47], v48
	v_mov_b32_e32 v48, v4
	v_cndmask_b32_e32 v13, v47, v13, vcc
	v_cndmask_b32_e32 v12, v46, v12, vcc
	v_div_scale_f64 v[46:47], s[70:71], v[12:13], v[12:13], v[48:49]
	v_div_scale_f64 v[48:49], vcc, v[48:49], v[12:13], v[48:49]
	v_rcp_f64_e32 v[50:51], v[46:47]
	v_fma_f64 v[66:67], -v[46:47], v[50:51], 1.0
	v_fma_f64 v[50:51], v[50:51], v[66:67], v[50:51]
	v_fma_f64 v[66:67], -v[46:47], v[50:51], 1.0
	v_fma_f64 v[50:51], v[50:51], v[66:67], v[50:51]
	v_mul_f64 v[66:67], v[48:49], v[50:51]
	v_fma_f64 v[46:47], -v[46:47], v[66:67], v[48:49]
	v_div_fmas_f64 v[46:47], v[46:47], v[50:51], v[66:67]
	v_div_fixup_f64 v[12:13], v[46:47], v[12:13], |v[4:5]|
.LBB48_763:                             ;   in Loop: Header=BB48_434 Depth=1
	s_or_b64 exec, exec, s[6:7]
.LBB48_764:                             ;   in Loop: Header=BB48_434 Depth=1
	s_or_b64 exec, exec, s[68:69]
.LBB48_765:                             ;   in Loop: Header=BB48_434 Depth=1
	s_andn2_saveexec_b64 s[6:7], s[66:67]
	s_cbranch_execz .LBB48_767
; %bb.766:                              ;   in Loop: Header=BB48_434 Depth=1
	s_mov_b32 s66, 0
	s_brev_b32 s67, 8
	v_cmp_lt_f64_e64 vcc, |v[4:5]|, s[66:67]
	v_cndmask_b32_e32 v12, 0, v57, vcc
	v_ldexp_f64 v[12:13], |v[4:5]|, v12
	v_rsq_f64_e32 v[46:47], v[12:13]
	v_mul_f64 v[48:49], v[12:13], v[46:47]
	v_mul_f64 v[46:47], v[46:47], 0.5
	v_fma_f64 v[50:51], -v[46:47], v[48:49], 0.5
	v_fma_f64 v[48:49], v[48:49], v[50:51], v[48:49]
	v_fma_f64 v[46:47], v[46:47], v[50:51], v[46:47]
	v_fma_f64 v[50:51], -v[48:49], v[48:49], v[12:13]
	v_fma_f64 v[48:49], v[50:51], v[46:47], v[48:49]
	v_fma_f64 v[50:51], -v[48:49], v[48:49], v[12:13]
	v_fma_f64 v[46:47], v[50:51], v[46:47], v[48:49]
	v_cndmask_b32_e32 v48, 0, v58, vcc
	v_cmp_class_f64_e32 vcc, v[12:13], v54
	v_ldexp_f64 v[46:47], v[46:47], v48
	v_cndmask_b32_e32 v13, v47, v13, vcc
	v_cndmask_b32_e32 v12, v46, v12, vcc
.LBB48_767:                             ;   in Loop: Header=BB48_434 Depth=1
	s_or_b64 exec, exec, s[6:7]
.LBB48_768:                             ;   in Loop: Header=BB48_434 Depth=1
	s_or_b64 exec, exec, s[8:9]
	s_mov_b32 s6, 0
	s_mov_b32 s7, 0x20200000
	v_cmp_nlt_f64_e64 s[8:9], |v[2:3]|, s[6:7]
                                        ; implicit-def: $sgpr6_sgpr7
                                        ; implicit-def: $vgpr46_vgpr47
                                        ; implicit-def: $vgpr50_vgpr51
                                        ; implicit-def: $vgpr48_vgpr49
	s_and_saveexec_b64 s[66:67], s[8:9]
	s_xor_b64 s[8:9], exec, s[66:67]
	s_cbranch_execz .LBB48_792
; %bb.769:                              ;   in Loop: Header=BB48_434 Depth=1
	v_and_b32_e32 v49, 0x7fffffff, v3
	v_mov_b32_e32 v48, v2
	v_div_scale_f64 v[46:47], s[6:7], v[38:39], v[38:39], v[48:49]
	v_div_scale_f64 v[68:69], vcc, v[48:49], v[38:39], v[48:49]
	s_mov_b32 s6, 0x703afb7f
	s_mov_b32 s7, 0x3fe488ce
	v_rcp_f64_e32 v[50:51], v[46:47]
	v_fma_f64 v[66:67], -v[46:47], v[50:51], 1.0
	v_fma_f64 v[50:51], v[50:51], v[66:67], v[50:51]
	v_fma_f64 v[66:67], -v[46:47], v[50:51], 1.0
	v_fma_f64 v[50:51], v[50:51], v[66:67], v[50:51]
	v_mul_f64 v[66:67], v[68:69], v[50:51]
	v_fma_f64 v[46:47], -v[46:47], v[66:67], v[68:69]
	v_div_fmas_f64 v[46:47], v[46:47], v[50:51], v[66:67]
                                        ; implicit-def: $vgpr50_vgpr51
	v_div_fixup_f64 v[46:47], v[46:47], v[38:39], |v[2:3]|
	v_cmp_lt_f64_e32 vcc, s[6:7], v[46:47]
	s_mov_b64 s[6:7], 0
	s_and_saveexec_b64 s[66:67], vcc
	s_cbranch_execz .LBB48_791
; %bb.770:                              ;   in Loop: Header=BB48_434 Depth=1
	s_mov_b32 s68, 0
	s_mov_b32 s69, 0x3c400000
	v_cmp_neq_f64_e64 s[6:7], |v[2:3]|, 1.0
	v_cmp_nlt_f64_e64 s[68:69], |v[4:5]|, s[68:69]
                                        ; implicit-def: $vgpr50_vgpr51
	s_or_b64 s[6:7], s[6:7], s[68:69]
	s_and_saveexec_b64 s[68:69], s[6:7]
	s_xor_b64 s[6:7], exec, s[68:69]
	s_cbranch_execz .LBB48_788
; %bb.771:                              ;   in Loop: Header=BB48_434 Depth=1
	s_movk_i32 s23, 0xffcc
	v_ldexp_f64 v[50:51], |v[10:11]|, s23
	v_cmp_ge_f64_e64 s[68:69], |v[4:5]|, v[50:51]
                                        ; implicit-def: $vgpr50_vgpr51
	s_and_saveexec_b64 s[70:71], s[68:69]
	s_xor_b64 s[68:69], exec, s[70:71]
	s_cbranch_execz .LBB48_781
; %bb.772:                              ;   in Loop: Header=BB48_434 Depth=1
	v_cmp_neq_f64_e32 vcc, 0, v[36:37]
	v_mov_b32_e32 v51, v45
	v_mov_b32_e32 v50, v44
	s_and_saveexec_b64 s[70:71], vcc
	s_cbranch_execz .LBB48_774
; %bb.773:                              ;   in Loop: Header=BB48_434 Depth=1
	v_mul_f64 v[50:51], v[4:5], v[4:5]
	v_add_f64 v[36:37], v[36:37], v[42:43]
	v_div_scale_f64 v[42:43], s[72:73], v[36:37], v[36:37], v[50:51]
	v_div_scale_f64 v[70:71], vcc, v[50:51], v[36:37], v[50:51]
	v_rcp_f64_e32 v[66:67], v[42:43]
	v_fma_f64 v[68:69], -v[42:43], v[66:67], 1.0
	v_fma_f64 v[66:67], v[66:67], v[68:69], v[66:67]
	v_fma_f64 v[68:69], -v[42:43], v[66:67], 1.0
	v_fma_f64 v[66:67], v[66:67], v[68:69], v[66:67]
	v_mul_f64 v[68:69], v[70:71], v[66:67]
	v_fma_f64 v[42:43], -v[42:43], v[68:69], v[70:71]
	v_div_fmas_f64 v[42:43], v[42:43], v[66:67], v[68:69]
	v_div_fixup_f64 v[50:51], v[42:43], v[36:37], v[50:51]
.LBB48_774:                             ;   in Loop: Header=BB48_434 Depth=1
	s_or_b64 exec, exec, s[70:71]
	v_cmp_ngt_f64_e32 vcc, 0, v[10:11]
	s_and_saveexec_b64 s[70:71], vcc
	s_xor_b64 s[70:71], exec, s[70:71]
	s_cbranch_execz .LBB48_778
; %bb.775:                              ;   in Loop: Header=BB48_434 Depth=1
	v_cmp_neq_f64_e32 vcc, 0, v[10:11]
	s_and_saveexec_b64 s[72:73], vcc
	s_cbranch_execz .LBB48_777
; %bb.776:                              ;   in Loop: Header=BB48_434 Depth=1
	v_mul_f64 v[4:5], v[4:5], v[4:5]
	v_add_f64 v[10:11], v[10:11], v[40:41]
	v_div_scale_f64 v[36:37], vcc, v[10:11], v[10:11], v[4:5]
	v_div_scale_f64 v[44:45], vcc, v[4:5], v[10:11], v[4:5]
	v_rcp_f64_e32 v[40:41], v[36:37]
	v_fma_f64 v[42:43], -v[36:37], v[40:41], 1.0
	v_fma_f64 v[40:41], v[40:41], v[42:43], v[40:41]
	v_fma_f64 v[42:43], -v[36:37], v[40:41], 1.0
	v_fma_f64 v[40:41], v[40:41], v[42:43], v[40:41]
	v_mul_f64 v[42:43], v[44:45], v[40:41]
	v_fma_f64 v[36:37], -v[36:37], v[42:43], v[44:45]
	v_div_fmas_f64 v[36:37], v[36:37], v[40:41], v[42:43]
	v_div_fixup_f64 v[44:45], v[36:37], v[10:11], v[4:5]
.LBB48_777:                             ;   in Loop: Header=BB48_434 Depth=1
	s_or_b64 exec, exec, s[72:73]
                                        ; implicit-def: $vgpr40_vgpr41
                                        ; implicit-def: $vgpr10_vgpr11
.LBB48_778:                             ;   in Loop: Header=BB48_434 Depth=1
	s_andn2_saveexec_b64 s[70:71], s[70:71]
; %bb.779:                              ;   in Loop: Header=BB48_434 Depth=1
	v_add_f64 v[44:45], v[40:41], -v[10:11]
; %bb.780:                              ;   in Loop: Header=BB48_434 Depth=1
	s_or_b64 exec, exec, s[70:71]
	v_mul_f64 v[4:5], v[44:45], 0.5
	v_add_f64 v[10:11], |v[2:3]|, v[38:39]
	s_mov_b32 s70, 0
	s_brev_b32 s71, 8
	v_fma_f64 v[4:5], v[50:51], 0.5, v[4:5]
	v_mul_f64 v[4:5], v[10:11], v[4:5]
	v_cmp_gt_f64_e32 vcc, s[70:71], v[4:5]
	v_cndmask_b32_e32 v10, 0, v57, vcc
	v_ldexp_f64 v[4:5], v[4:5], v10
	v_rsq_f64_e32 v[10:11], v[4:5]
	v_mul_f64 v[36:37], v[4:5], v[10:11]
	v_mul_f64 v[10:11], v[10:11], 0.5
	v_fma_f64 v[38:39], -v[10:11], v[36:37], 0.5
	v_fma_f64 v[36:37], v[36:37], v[38:39], v[36:37]
	v_fma_f64 v[10:11], v[10:11], v[38:39], v[10:11]
	v_fma_f64 v[38:39], -v[36:37], v[36:37], v[4:5]
	v_fma_f64 v[36:37], v[38:39], v[10:11], v[36:37]
	v_fma_f64 v[38:39], -v[36:37], v[36:37], v[4:5]
	v_fma_f64 v[10:11], v[38:39], v[10:11], v[36:37]
	v_cndmask_b32_e32 v36, 0, v58, vcc
	v_cmp_class_f64_e32 vcc, v[4:5], v54
	v_ldexp_f64 v[10:11], v[10:11], v36
                                        ; implicit-def: $vgpr36_vgpr37
	v_cndmask_b32_e32 v51, v11, v5, vcc
	v_cndmask_b32_e32 v50, v10, v4, vcc
                                        ; implicit-def: $vgpr10_vgpr11
.LBB48_781:                             ;   in Loop: Header=BB48_434 Depth=1
	s_andn2_saveexec_b64 s[68:69], s[68:69]
	s_cbranch_execz .LBB48_787
; %bb.782:                              ;   in Loop: Header=BB48_434 Depth=1
	v_cmp_ngt_f64_e64 s[70:71], |v[2:3]|, 1.0
                                        ; implicit-def: $vgpr50_vgpr51
	s_and_saveexec_b64 s[72:73], s[70:71]
	s_xor_b64 s[70:71], exec, s[72:73]
	s_cbranch_execz .LBB48_784
; %bb.783:                              ;   in Loop: Header=BB48_434 Depth=1
	v_add_f64 v[4:5], -|v[2:3]|, 1.0
	s_mov_b32 s72, 0
	s_brev_b32 s73, 8
	v_mul_f64 v[4:5], v[4:5], v[36:37]
	v_cmp_gt_f64_e32 vcc, s[72:73], v[4:5]
	v_cndmask_b32_e32 v10, 0, v57, vcc
	v_ldexp_f64 v[4:5], v[4:5], v10
	v_rsq_f64_e32 v[10:11], v[4:5]
	v_mul_f64 v[36:37], v[4:5], v[10:11]
	v_mul_f64 v[10:11], v[10:11], 0.5
	v_fma_f64 v[38:39], -v[10:11], v[36:37], 0.5
	v_fma_f64 v[36:37], v[36:37], v[38:39], v[36:37]
	v_fma_f64 v[10:11], v[10:11], v[38:39], v[10:11]
	v_fma_f64 v[38:39], -v[36:37], v[36:37], v[4:5]
	v_fma_f64 v[36:37], v[38:39], v[10:11], v[36:37]
	v_fma_f64 v[38:39], -v[36:37], v[36:37], v[4:5]
	v_fma_f64 v[10:11], v[38:39], v[10:11], v[36:37]
	v_cndmask_b32_e32 v36, 0, v58, vcc
	v_cmp_class_f64_e32 vcc, v[4:5], v54
	v_ldexp_f64 v[10:11], v[10:11], v36
                                        ; implicit-def: $vgpr36_vgpr37
	v_cndmask_b32_e32 v51, v11, v5, vcc
	v_cndmask_b32_e32 v50, v10, v4, vcc
                                        ; implicit-def: $vgpr10_vgpr11
.LBB48_784:                             ;   in Loop: Header=BB48_434 Depth=1
	s_andn2_saveexec_b64 s[70:71], s[70:71]
	s_cbranch_execz .LBB48_786
; %bb.785:                              ;   in Loop: Header=BB48_434 Depth=1
	v_mul_f64 v[10:11], v[36:37], v[10:11]
	s_mov_b32 s72, 0
	s_brev_b32 s73, 8
	s_movk_i32 s23, 0x6a
	v_ldexp_f64 v[4:5], |v[4:5]|, s23
	v_ldexp_f64 v[48:49], |v[2:3]|, s23
	v_cmp_gt_f64_e32 vcc, s[72:73], v[10:11]
	v_mul_f64 v[4:5], |v[2:3]|, v[4:5]
	v_cndmask_b32_e32 v36, 0, v57, vcc
	v_ldexp_f64 v[10:11], v[10:11], v36
	v_rsq_f64_e32 v[36:37], v[10:11]
	v_mul_f64 v[38:39], v[10:11], v[36:37]
	v_mul_f64 v[36:37], v[36:37], 0.5
	v_fma_f64 v[40:41], -v[36:37], v[38:39], 0.5
	v_fma_f64 v[38:39], v[38:39], v[40:41], v[38:39]
	v_fma_f64 v[36:37], v[36:37], v[40:41], v[36:37]
	v_fma_f64 v[40:41], -v[38:39], v[38:39], v[10:11]
	v_fma_f64 v[38:39], v[40:41], v[36:37], v[38:39]
	v_fma_f64 v[40:41], -v[38:39], v[38:39], v[10:11]
	v_fma_f64 v[36:37], v[40:41], v[36:37], v[38:39]
	v_cndmask_b32_e32 v38, 0, v58, vcc
	v_cmp_class_f64_e32 vcc, v[10:11], v54
	v_ldexp_f64 v[36:37], v[36:37], v38
	v_cndmask_b32_e32 v11, v37, v11, vcc
	v_cndmask_b32_e32 v10, v36, v10, vcc
	v_div_scale_f64 v[36:37], s[72:73], v[10:11], v[10:11], v[4:5]
	v_rcp_f64_e32 v[38:39], v[36:37]
	v_fma_f64 v[40:41], -v[36:37], v[38:39], 1.0
	v_fma_f64 v[38:39], v[38:39], v[40:41], v[38:39]
	v_div_scale_f64 v[40:41], vcc, v[4:5], v[10:11], v[4:5]
	v_fma_f64 v[42:43], -v[36:37], v[38:39], 1.0
	v_fma_f64 v[38:39], v[38:39], v[42:43], v[38:39]
	v_mul_f64 v[42:43], v[40:41], v[38:39]
	v_fma_f64 v[36:37], -v[36:37], v[42:43], v[40:41]
	v_div_fmas_f64 v[36:37], v[36:37], v[38:39], v[42:43]
	v_div_fixup_f64 v[50:51], v[36:37], v[10:11], v[4:5]
.LBB48_786:                             ;   in Loop: Header=BB48_434 Depth=1
	s_or_b64 exec, exec, s[70:71]
.LBB48_787:                             ;   in Loop: Header=BB48_434 Depth=1
	s_or_b64 exec, exec, s[68:69]
	s_mov_b32 s72, 0xb5e68a13
	s_mov_b32 s73, 0x3eeba404
                                        ; implicit-def: $vgpr38_vgpr39
.LBB48_788:                             ;   in Loop: Header=BB48_434 Depth=1
	s_andn2_saveexec_b64 s[68:69], s[6:7]
	s_cbranch_execz .LBB48_790
; %bb.789:                              ;   in Loop: Header=BB48_434 Depth=1
	v_add_f64 v[10:11], v[38:39], 1.0
	s_mov_b32 s6, 0
	s_brev_b32 s7, 8
	v_cmp_lt_f64_e64 vcc, |v[4:5]|, s[6:7]
	v_mul_f64 v[10:11], v[10:11], 0.5
	v_cndmask_b32_e32 v36, 0, v57, vcc
	v_ldexp_f64 v[4:5], |v[4:5]|, v36
	v_cmp_gt_f64_e64 s[6:7], s[6:7], v[10:11]
	v_cndmask_b32_e64 v36, 0, v57, s[6:7]
	v_ldexp_f64 v[10:11], v[10:11], v36
	v_rsq_f64_e32 v[36:37], v[4:5]
	v_rsq_f64_e32 v[38:39], v[10:11]
	v_mul_f64 v[40:41], v[4:5], v[36:37]
	v_mul_f64 v[36:37], v[36:37], 0.5
	v_mul_f64 v[42:43], v[10:11], v[38:39]
	v_mul_f64 v[38:39], v[38:39], 0.5
	v_fma_f64 v[44:45], -v[36:37], v[40:41], 0.5
	v_fma_f64 v[48:49], -v[38:39], v[42:43], 0.5
	v_fma_f64 v[40:41], v[40:41], v[44:45], v[40:41]
	v_fma_f64 v[36:37], v[36:37], v[44:45], v[36:37]
	;; [unrolled: 1-line block ×3, first 2 shown]
	v_fma_f64 v[44:45], -v[40:41], v[40:41], v[4:5]
	v_fma_f64 v[38:39], v[38:39], v[48:49], v[38:39]
	v_fma_f64 v[48:49], -v[42:43], v[42:43], v[10:11]
	v_fma_f64 v[40:41], v[44:45], v[36:37], v[40:41]
	v_fma_f64 v[42:43], v[48:49], v[38:39], v[42:43]
	v_fma_f64 v[44:45], -v[40:41], v[40:41], v[4:5]
	v_fma_f64 v[48:49], -v[42:43], v[42:43], v[10:11]
	v_fma_f64 v[36:37], v[44:45], v[36:37], v[40:41]
	v_cndmask_b32_e32 v40, 0, v58, vcc
	v_cndmask_b32_e64 v41, 0, v58, s[6:7]
	v_cmp_class_f64_e32 vcc, v[4:5], v54
	v_cmp_class_f64_e64 s[6:7], v[10:11], v54
	v_fma_f64 v[38:39], v[48:49], v[38:39], v[42:43]
	v_ldexp_f64 v[36:37], v[36:37], v40
	v_mov_b32_e32 v48, 0
	v_mov_b32_e32 v49, 0x3ff00000
	v_ldexp_f64 v[38:39], v[38:39], v41
	v_cndmask_b32_e32 v5, v37, v5, vcc
	v_cndmask_b32_e32 v4, v36, v4, vcc
	v_cndmask_b32_e64 v11, v39, v11, s[6:7]
	v_cndmask_b32_e64 v10, v38, v10, s[6:7]
	v_mul_f64 v[50:51], v[4:5], v[10:11]
.LBB48_790:                             ;   in Loop: Header=BB48_434 Depth=1
	s_or_b64 exec, exec, s[68:69]
	s_mov_b64 s[6:7], exec
.LBB48_791:                             ;   in Loop: Header=BB48_434 Depth=1
	s_or_b64 exec, exec, s[66:67]
                                        ; implicit-def: $vgpr38_vgpr39
.LBB48_792:                             ;   in Loop: Header=BB48_434 Depth=1
	s_andn2_saveexec_b64 s[8:9], s[8:9]
	s_cbranch_execz .LBB48_794
; %bb.793:                              ;   in Loop: Header=BB48_434 Depth=1
	v_ldexp_f64 v[50:51], v[38:39], 53
	v_ldexp_f64 v[48:49], |v[2:3]|, 53
	s_or_b64 s[6:7], s[6:7], exec
                                        ; implicit-def: $vgpr46_vgpr47
.LBB48_794:                             ;   in Loop: Header=BB48_434 Depth=1
	s_or_b64 exec, exec, s[8:9]
	v_cmp_lt_i64_e32 vcc, -1, v[2:3]
	s_xor_b64 s[6:7], s[6:7], -1
	s_and_saveexec_b64 s[8:9], s[6:7]
	s_xor_b64 s[8:9], exec, s[8:9]
	s_cbranch_execz .LBB48_804
; %bb.795:                              ;   in Loop: Header=BB48_434 Depth=1
	s_and_saveexec_b64 s[6:7], vcc
	s_xor_b64 s[66:67], exec, s[6:7]
	s_cbranch_execz .LBB48_799
; %bb.796:                              ;   in Loop: Header=BB48_434 Depth=1
	v_fma_f64 v[2:3], |v[46:47]|, -0.5, 0.5
	v_mul_f64 v[4:5], v[46:47], v[46:47]
	v_cmp_ge_f64_e64 s[6:7], |v[46:47]|, 0.5
	s_mov_b32 s68, 0x9fea6a70
	s_mov_b32 s69, 0x3fa05985
	v_cndmask_b32_e64 v5, v5, v3, s[6:7]
	v_cndmask_b32_e64 v4, v4, v2, s[6:7]
	v_fma_f64 v[10:11], v[4:5], s[68:69], v[28:29]
	s_mov_b32 s68, 0x37024d6a
	s_mov_b32 s69, 0x3f940521
	v_fma_f64 v[10:11], v[4:5], v[10:11], s[68:69]
	s_mov_b32 s68, 0x98a70509
	s_mov_b32 s69, 0x3f7ab3a0
	;; [unrolled: 3-line block ×11, first 2 shown]
	v_mul_f64 v[4:5], v[4:5], v[10:11]
	v_fma_f64 v[10:11], v[46:47], v[4:5], v[46:47]
	v_fma_f64 v[10:11], s[68:69], v[30:31], -v[10:11]
	s_and_saveexec_b64 s[68:69], s[6:7]
	s_cbranch_execz .LBB48_798
; %bb.797:                              ;   in Loop: Header=BB48_434 Depth=1
	v_rsq_f64_e32 v[10:11], v[2:3]
	v_cmp_eq_f64_e64 s[6:7], 0, v[2:3]
	v_mul_f64 v[36:37], v[2:3], v[10:11]
	v_mul_f64 v[10:11], v[10:11], 0.5
	v_fma_f64 v[38:39], -v[10:11], v[36:37], 0.5
	v_fma_f64 v[36:37], v[36:37], v[38:39], v[36:37]
	v_fma_f64 v[10:11], v[10:11], v[38:39], v[10:11]
	v_fma_f64 v[38:39], -v[36:37], v[36:37], v[2:3]
	v_fma_f64 v[10:11], v[38:39], v[10:11], v[36:37]
	v_cndmask_b32_e64 v11, v11, v3, s[6:7]
	v_cndmask_b32_e64 v10, v10, v2, s[6:7]
	v_add_f64 v[36:37], v[10:11], v[10:11]
	v_mul_f64 v[38:39], v[10:11], v[10:11]
	v_rcp_f64_e32 v[40:41], v[36:37]
	v_add_f64 v[42:43], v[2:3], -v[38:39]
	v_fma_f64 v[48:49], v[10:11], v[10:11], -v[38:39]
	v_add_f64 v[2:3], v[2:3], -v[42:43]
	v_fma_f64 v[44:45], -v[36:37], v[40:41], 1.0
	v_add_f64 v[2:3], v[2:3], -v[38:39]
	v_fma_f64 v[38:39], v[44:45], v[40:41], v[40:41]
	v_add_f64 v[2:3], v[2:3], -v[48:49]
	v_fma_f64 v[40:41], -v[36:37], v[38:39], 1.0
	v_add_f64 v[2:3], v[42:43], v[2:3]
	v_fma_f64 v[38:39], v[40:41], v[38:39], v[38:39]
	v_mul_f64 v[40:41], v[2:3], v[38:39]
	v_fma_f64 v[2:3], -v[36:37], v[40:41], v[2:3]
	v_fma_f64 v[2:3], v[2:3], v[38:39], v[40:41]
	v_cndmask_b32_e64 v3, v3, 0, s[6:7]
	v_cndmask_b32_e64 v2, v2, 0, s[6:7]
	v_add_f64 v[36:37], v[10:11], v[2:3]
	v_cmp_neq_f64_e64 s[6:7], 1.0, v[46:47]
	v_add_f64 v[10:11], v[36:37], -v[10:11]
	v_add_f64 v[2:3], v[2:3], -v[10:11]
	v_fma_f64 v[2:3], v[36:37], v[4:5], v[2:3]
	v_add_f64 v[2:3], v[36:37], v[2:3]
	v_add_f64 v[2:3], v[2:3], v[2:3]
	v_cndmask_b32_e64 v11, 0, v3, s[6:7]
	v_cndmask_b32_e64 v10, 0, v2, s[6:7]
.LBB48_798:                             ;   in Loop: Header=BB48_434 Depth=1
	s_or_b64 exec, exec, s[68:69]
                                        ; implicit-def: $vgpr46_vgpr47
.LBB48_799:                             ;   in Loop: Header=BB48_434 Depth=1
	s_andn2_saveexec_b64 s[66:67], s[66:67]
	s_cbranch_execz .LBB48_803
; %bb.800:                              ;   in Loop: Header=BB48_434 Depth=1
	v_fma_f64 v[2:3], |v[46:47]|, -0.5, 0.5
	v_mul_f64 v[4:5], v[46:47], v[46:47]
	v_cmp_ge_f64_e64 s[6:7], |v[46:47]|, 0.5
	s_mov_b32 s68, 0x9fea6a70
	s_mov_b32 s69, 0x3fa05985
	v_cndmask_b32_e64 v5, v5, v3, s[6:7]
	v_cndmask_b32_e64 v4, v4, v2, s[6:7]
	v_fma_f64 v[10:11], v[4:5], s[68:69], v[28:29]
	s_mov_b32 s68, 0x37024d6a
	s_mov_b32 s69, 0x3f940521
	v_fma_f64 v[10:11], v[4:5], v[10:11], s[68:69]
	s_mov_b32 s68, 0x98a70509
	s_mov_b32 s69, 0x3f7ab3a0
	v_fma_f64 v[10:11], v[4:5], v[10:11], s[68:69]
	s_mov_b32 s68, 0xa300c8d2
	s_mov_b32 s69, 0x3f88ed60
	v_fma_f64 v[10:11], v[4:5], v[10:11], s[68:69]
	s_mov_b32 s68, 0x4b77012b
	s_mov_b32 s69, 0x3f8c6fa8
	v_fma_f64 v[10:11], v[4:5], v[10:11], s[68:69]
	s_mov_b32 s68, 0x11dccb70
	s_mov_b32 s69, 0x3f91c6c1
	v_fma_f64 v[10:11], v[4:5], v[10:11], s[68:69]
	s_mov_b32 s68, 0xa0adacf
	s_mov_b32 s69, 0x3f96e89f
	v_fma_f64 v[10:11], v[4:5], v[10:11], s[68:69]
	s_mov_b32 s68, 0xc668963f
	s_mov_b32 s69, 0x3f9f1c72
	v_fma_f64 v[10:11], v[4:5], v[10:11], s[68:69]
	s_mov_b32 s68, 0xb41ce4bd
	s_mov_b32 s69, 0x3fa6db6d
	v_fma_f64 v[10:11], v[4:5], v[10:11], s[68:69]
	s_mov_b32 s68, 0x3336fd5b
	s_mov_b32 s69, 0x3fb33333
	v_fma_f64 v[10:11], v[4:5], v[10:11], s[68:69]
	s_mov_b32 s68, 0x55555380
	s_mov_b32 s69, 0x3fc55555
	v_fma_f64 v[10:11], v[4:5], v[10:11], s[68:69]
	s_mov_b32 s68, 0x336a0500
	s_mov_b32 s69, 0x3fedd9ad
	v_mul_f64 v[4:5], v[4:5], v[10:11]
	v_fma_f64 v[10:11], -v[46:47], v[4:5], -v[46:47]
	v_fma_f64 v[10:11], s[68:69], v[30:31], -v[10:11]
	s_and_saveexec_b64 s[68:69], s[6:7]
	s_cbranch_execz .LBB48_802
; %bb.801:                              ;   in Loop: Header=BB48_434 Depth=1
	v_rsq_f64_e32 v[10:11], v[2:3]
	v_cmp_eq_f64_e64 s[6:7], 0, v[2:3]
	v_readlane_b32 s70, v87, 0
	v_readlane_b32 s71, v87, 1
	s_mov_b32 s23, s71
	v_writelane_b32 v87, s22, 0
	v_writelane_b32 v87, s23, 1
	v_mul_f64 v[36:37], v[2:3], v[10:11]
	v_mul_f64 v[10:11], v[10:11], 0.5
	v_fma_f64 v[38:39], -v[10:11], v[36:37], 0.5
	v_fma_f64 v[36:37], v[36:37], v[38:39], v[36:37]
	v_fma_f64 v[10:11], v[10:11], v[38:39], v[10:11]
	v_fma_f64 v[38:39], -v[36:37], v[36:37], v[2:3]
	v_fma_f64 v[10:11], v[38:39], v[10:11], v[36:37]
	v_cndmask_b32_e64 v11, v11, v3, s[6:7]
	v_cndmask_b32_e64 v10, v10, v2, s[6:7]
	v_add_f64 v[36:37], v[10:11], v[10:11]
	v_mul_f64 v[38:39], v[10:11], v[10:11]
	v_rcp_f64_e32 v[40:41], v[36:37]
	v_add_f64 v[42:43], v[2:3], -v[38:39]
	v_fma_f64 v[48:49], v[10:11], v[10:11], -v[38:39]
	v_add_f64 v[2:3], v[2:3], -v[42:43]
	v_fma_f64 v[44:45], -v[36:37], v[40:41], 1.0
	v_add_f64 v[2:3], v[2:3], -v[38:39]
	v_fma_f64 v[38:39], v[44:45], v[40:41], v[40:41]
	v_add_f64 v[2:3], v[2:3], -v[48:49]
	v_fma_f64 v[40:41], -v[36:37], v[38:39], 1.0
	v_add_f64 v[2:3], v[42:43], v[2:3]
	v_fma_f64 v[38:39], v[40:41], v[38:39], v[38:39]
	v_mul_f64 v[40:41], v[2:3], v[38:39]
	v_fma_f64 v[2:3], -v[36:37], v[40:41], v[2:3]
	v_fma_f64 v[2:3], v[2:3], v[38:39], v[40:41]
	v_cndmask_b32_e64 v3, v3, 0, s[6:7]
	v_cndmask_b32_e64 v2, v2, 0, s[6:7]
	v_add_f64 v[36:37], v[10:11], v[2:3]
	s_mov_b32 s6, 0x336a0500
	s_mov_b32 s7, 0x3fedd9ad
	;; [unrolled: 1-line block ×3, first 2 shown]
	v_add_f64 v[10:11], v[36:37], -v[10:11]
	v_add_f64 v[2:3], v[2:3], -v[10:11]
	v_fma_f64 v[10:11], v[36:37], v[4:5], v[36:37]
	v_fma_f64 v[2:3], v[36:37], v[4:5], v[2:3]
	v_mul_f64 v[4:5], v[10:11], -2.0
	v_add_f64 v[2:3], v[36:37], v[2:3]
	v_fma_f64 v[4:5], s[6:7], v[30:31], v[4:5]
	v_cmp_lt_f64_e64 s[6:7], 0, v[46:47]
	v_add_f64 v[2:3], v[2:3], v[2:3]
	v_cndmask_b32_e64 v2, v2, v4, s[6:7]
	v_cndmask_b32_e64 v3, v3, v5, s[6:7]
	v_cmp_neq_f64_e64 s[6:7], 1.0, v[46:47]
	v_cndmask_b32_e64 v11, v61, v3, s[6:7]
	v_cndmask_b32_e64 v10, v62, v2, s[6:7]
.LBB48_802:                             ;   in Loop: Header=BB48_434 Depth=1
	s_or_b64 exec, exec, s[68:69]
.LBB48_803:                             ;   in Loop: Header=BB48_434 Depth=1
	s_or_b64 exec, exec, s[66:67]
                                        ; implicit-def: $vgpr48_vgpr49
                                        ; implicit-def: $vgpr50_vgpr51
.LBB48_804:                             ;   in Loop: Header=BB48_434 Depth=1
	s_andn2_saveexec_b64 s[66:67], s[8:9]
	s_cbranch_execz .LBB48_810
; %bb.805:                              ;   in Loop: Header=BB48_434 Depth=1
	s_and_saveexec_b64 s[6:7], vcc
	s_xor_b64 s[68:69], exec, s[6:7]
	s_cbranch_execz .LBB48_807
; %bb.806:                              ;   in Loop: Header=BB48_434 Depth=1
	v_max_f64 v[2:3], |v[50:51]|, |v[50:51]|
	v_max_f64 v[4:5], v[48:49], v[48:49]
	s_mov_b32 s46, s60
	v_cmp_class_f64_e64 s[70:71], v[50:51], s83
	v_cmp_eq_f64_e64 s[8:9], s[56:57], v[48:49]
	v_max_f64 v[10:11], v[4:5], v[2:3]
	v_min_f64 v[2:3], v[4:5], v[2:3]
	v_div_scale_f64 v[4:5], s[6:7], v[10:11], v[10:11], v[2:3]
	s_mov_b32 s6, 0x69efb384
	s_mov_b32 s7, 0x3f4b2bb0
	v_rcp_f64_e32 v[36:37], v[4:5]
	v_fma_f64 v[38:39], -v[4:5], v[36:37], 1.0
	v_fma_f64 v[36:37], v[36:37], v[38:39], v[36:37]
	v_div_scale_f64 v[38:39], vcc, v[2:3], v[10:11], v[2:3]
	v_fma_f64 v[40:41], -v[4:5], v[36:37], 1.0
	v_fma_f64 v[36:37], v[36:37], v[40:41], v[36:37]
	v_mul_f64 v[40:41], v[38:39], v[36:37]
	v_fma_f64 v[4:5], -v[4:5], v[40:41], v[38:39]
	v_div_fmas_f64 v[4:5], v[4:5], v[36:37], v[40:41]
	v_cmp_lt_f64_e64 vcc, v[48:49], |v[50:51]|
	v_div_fixup_f64 v[2:3], v[4:5], v[10:11], v[2:3]
	v_mul_f64 v[4:5], v[2:3], v[2:3]
	v_fma_f64 v[10:11], v[4:5], s[72:73], v[32:33]
	v_fma_f64 v[10:11], v[4:5], v[10:11], s[6:7]
	s_mov_b32 s6, 0xaf56de9b
	s_mov_b32 s7, 0xbf67952d
	v_fma_f64 v[10:11], v[4:5], v[10:11], s[6:7]
	s_mov_b32 s6, 0xa595c56f
	s_mov_b32 s7, 0x3f7d6d43
	v_fma_f64 v[10:11], v[4:5], v[10:11], s[6:7]
	v_cmp_eq_f64_e64 s[6:7], 0, v[50:51]
	v_fma_f64 v[10:11], v[4:5], v[10:11], s[74:75]
	v_fma_f64 v[10:11], v[4:5], v[10:11], s[76:77]
	;; [unrolled: 1-line block ×15, first 2 shown]
	v_mul_f64 v[4:5], v[4:5], v[10:11]
	v_ashrrev_i32_e32 v10, 31, v49
	v_and_b32_e32 v36, 0x54442d18, v10
	v_and_b32_e32 v10, 0x400921fb, v10
	v_fma_f64 v[2:3], v[2:3], v[4:5], v[2:3]
	v_add_f64 v[4:5], -v[2:3], s[60:61]
	v_cndmask_b32_e32 v3, v3, v5, vcc
	v_cndmask_b32_e32 v2, v2, v4, vcc
	v_add_f64 v[4:5], -v[2:3], s[46:47]
	v_cmp_gt_i32_e32 vcc, 0, v49
	v_cndmask_b32_e32 v11, v62, v63, vcc
                                        ; implicit-def: $vgpr48_vgpr49
	v_cndmask_b32_e32 v2, v2, v4, vcc
	v_cndmask_b32_e32 v3, v3, v5, vcc
	;; [unrolled: 1-line block ×3, first 2 shown]
	v_cndmask_b32_e64 v2, v2, v36, s[6:7]
	v_cndmask_b32_e64 v3, v3, v10, s[6:7]
	s_and_b64 vcc, s[8:9], s[70:71]
	v_cndmask_b32_e32 v3, v3, v4, vcc
	v_cndmask_b32_e32 v2, v2, v11, vcc
	v_cmp_o_f64_e32 vcc, v[50:51], v[50:51]
	v_cndmask_b32_e32 v10, 0, v2, vcc
	v_cndmask_b32_e32 v2, v60, v3, vcc
	v_bfi_b32 v11, s33, v2, v51
                                        ; implicit-def: $vgpr50_vgpr51
.LBB48_807:                             ;   in Loop: Header=BB48_434 Depth=1
	s_andn2_saveexec_b64 s[68:69], s[68:69]
	s_cbranch_execz .LBB48_809
; %bb.808:                              ;   in Loop: Header=BB48_434 Depth=1
	v_max_f64 v[2:3], |v[50:51]|, |v[50:51]|
	v_max_f64 v[4:5], v[48:49], v[48:49]
	s_mov_b32 s46, s60
	v_cmp_class_f64_e64 s[70:71], v[50:51], s83
	v_cmp_eq_f64_e64 s[8:9], s[56:57], v[48:49]
	v_max_f64 v[10:11], v[4:5], v[2:3]
	v_min_f64 v[2:3], v[4:5], v[2:3]
	v_div_scale_f64 v[4:5], s[6:7], v[10:11], v[10:11], v[2:3]
	s_mov_b32 s6, 0x69efb384
	s_mov_b32 s7, 0x3f4b2bb0
	v_rcp_f64_e32 v[36:37], v[4:5]
	v_fma_f64 v[38:39], -v[4:5], v[36:37], 1.0
	v_fma_f64 v[36:37], v[36:37], v[38:39], v[36:37]
	v_div_scale_f64 v[38:39], vcc, v[2:3], v[10:11], v[2:3]
	v_fma_f64 v[40:41], -v[4:5], v[36:37], 1.0
	v_fma_f64 v[36:37], v[36:37], v[40:41], v[36:37]
	v_mul_f64 v[40:41], v[38:39], v[36:37]
	v_fma_f64 v[4:5], -v[4:5], v[40:41], v[38:39]
	v_div_fmas_f64 v[4:5], v[4:5], v[36:37], v[40:41]
	v_cmp_lt_f64_e64 vcc, v[48:49], |v[50:51]|
	v_div_fixup_f64 v[2:3], v[4:5], v[10:11], v[2:3]
	v_mul_f64 v[4:5], v[2:3], v[2:3]
	v_fma_f64 v[10:11], v[4:5], s[72:73], v[32:33]
	v_fma_f64 v[10:11], v[4:5], v[10:11], s[6:7]
	s_mov_b32 s6, 0xaf56de9b
	s_mov_b32 s7, 0xbf67952d
	v_fma_f64 v[10:11], v[4:5], v[10:11], s[6:7]
	s_mov_b32 s6, 0xa595c56f
	s_mov_b32 s7, 0x3f7d6d43
	v_fma_f64 v[10:11], v[4:5], v[10:11], s[6:7]
	v_cmp_eq_f64_e64 s[6:7], 0, v[50:51]
	v_fma_f64 v[10:11], v[4:5], v[10:11], s[74:75]
	v_fma_f64 v[10:11], v[4:5], v[10:11], s[76:77]
	;; [unrolled: 1-line block ×15, first 2 shown]
	v_mul_f64 v[4:5], v[4:5], v[10:11]
	v_xor_b32_e32 v10, 0x80000000, v49
	v_ashrrev_i32_e32 v11, 31, v10
	v_and_b32_e32 v36, 0x54442d18, v11
	v_and_b32_e32 v11, 0x400921fb, v11
	v_fma_f64 v[2:3], v[2:3], v[4:5], v[2:3]
	v_add_f64 v[4:5], -v[2:3], s[60:61]
	v_cndmask_b32_e32 v3, v3, v5, vcc
	v_cndmask_b32_e32 v2, v2, v4, vcc
	v_add_f64 v[4:5], -v[2:3], s[46:47]
	v_cmp_gt_i32_e32 vcc, 0, v10
	v_cndmask_b32_e32 v10, v62, v63, vcc
	v_cndmask_b32_e32 v2, v2, v4, vcc
	;; [unrolled: 1-line block ×4, first 2 shown]
	v_cndmask_b32_e64 v2, v2, v36, s[6:7]
	v_cndmask_b32_e64 v3, v3, v11, s[6:7]
	s_and_b64 vcc, s[8:9], s[70:71]
	v_cndmask_b32_e32 v3, v3, v4, vcc
	v_cndmask_b32_e32 v2, v2, v10, vcc
	v_cmp_o_f64_e32 vcc, v[50:51], v[50:51]
	v_cndmask_b32_e32 v10, 0, v2, vcc
	v_cndmask_b32_e32 v2, v60, v3, vcc
	v_bfi_b32 v11, s33, v2, v51
.LBB48_809:                             ;   in Loop: Header=BB48_434 Depth=1
	s_or_b64 exec, exec, s[68:69]
.LBB48_810:                             ;   in Loop: Header=BB48_434 Depth=1
	s_or_b64 exec, exec, s[66:67]
	v_xor_b32_e32 v2, 0x80000000, v13
	v_cndmask_b32_e64 v13, v2, v13, s[4:5]
                                        ; implicit-def: $vgpr2_vgpr3
.LBB48_811:                             ;   in Loop: Header=BB48_434 Depth=1
	s_andn2_saveexec_b64 s[6:7], s[48:49]
	s_cbranch_execz .LBB48_813
; %bb.812:                              ;   in Loop: Header=BB48_434 Depth=1
	v_mov_b32_e32 v4, s12
	v_mov_b32_e32 v5, s13
	flat_load_dwordx2 v[4:5], v[4:5] glc
	s_waitcnt vmcnt(0) lgkmcnt(0)
	v_add_f64 v[2:3], v[4:5], -v[2:3]
	v_add_f64 v[10:11], v[2:3], s[60:61]
.LBB48_813:                             ;   in Loop: Header=BB48_434 Depth=1
	s_or_b64 exec, exec, s[6:7]
.LBB48_814:                             ;   in Loop: Header=BB48_434 Depth=1
	s_andn2_saveexec_b64 s[6:7], s[20:21]
	s_cbranch_execz .LBB48_816
; %bb.815:                              ;   in Loop: Header=BB48_434 Depth=1
	s_waitcnt lgkmcnt(0)
	v_mov_b32_e32 v10, 0
	v_mov_b32_e32 v11, 0
.LBB48_816:                             ;   in Loop: Header=BB48_434 Depth=1
	s_or_b64 exec, exec, s[6:7]
                                        ; implicit-def: $vgpr2_vgpr3
                                        ; implicit-def: $vgpr40_vgpr41
                                        ; implicit-def: $vgpr38_vgpr39
                                        ; implicit-def: $vgpr36_vgpr37
.LBB48_817:                             ;   in Loop: Header=BB48_434 Depth=1
	s_andn2_saveexec_b64 s[20:21], s[64:65]
	s_cbranch_execz .LBB48_827
; %bb.818:                              ;   in Loop: Header=BB48_434 Depth=1
	v_cmp_lt_f64_e64 s[6:7], |v[2:3]|, |v[4:5]|
	v_and_b32_e32 v44, 0x7fffffff, v3
	v_and_b32_e32 v45, 0x7fffffff, v5
	s_mov_b32 s8, -1
	s_mov_b32 s9, 0x7fdfffff
                                        ; implicit-def: $sgpr48_sgpr49
                                        ; implicit-def: $vgpr42_vgpr43
                                        ; implicit-def: $vgpr12_vgpr13
	v_cndmask_b32_e64 v11, v44, v45, s[6:7]
	s_waitcnt lgkmcnt(0)
	v_cndmask_b32_e64 v10, v2, v4, s[6:7]
	v_cmp_nlt_f64_e32 vcc, s[8:9], v[10:11]
	s_and_saveexec_b64 s[8:9], vcc
	s_xor_b64 s[64:65], exec, s[8:9]
	s_cbranch_execz .LBB48_824
; %bb.819:                              ;   in Loop: Header=BB48_434 Depth=1
	s_mov_b32 s8, 0
	s_mov_b32 s9, 0x20200000
	v_cmp_nlt_f64_e32 vcc, s[8:9], v[10:11]
	s_mov_b32 s8, 0
	v_cndmask_b32_e64 v45, v45, v44, s[6:7]
	v_cndmask_b32_e64 v44, v4, v2, s[6:7]
	s_brev_b32 s9, 4
	v_cmp_ngt_f64_e64 s[8:9], s[8:9], v[44:45]
                                        ; implicit-def: $sgpr48_sgpr49
                                        ; implicit-def: $vgpr42_vgpr43
                                        ; implicit-def: $vgpr12_vgpr13
	s_and_b64 s[8:9], vcc, s[8:9]
	s_and_saveexec_b64 s[66:67], s[8:9]
	s_xor_b64 s[66:67], exec, s[66:67]
	s_cbranch_execz .LBB48_821
; %bb.820:                              ;   in Loop: Header=BB48_434 Depth=1
	v_mul_f64 v[12:13], v[44:45], v[44:45]
	v_min_f64 v[38:39], v[40:41], v[38:39]
	s_mov_b32 s23, s63
	v_fma_f64 v[10:11], v[10:11], v[10:11], v[12:13]
	v_frexp_mant_f64_e32 v[12:13], v[10:11]
	v_cmp_gt_f64_e64 s[8:9], s[62:63], v[12:13]
	v_cndmask_b32_e64 v42, 0, 1, s[8:9]
	v_ldexp_f64 v[12:13], v[12:13], v42
	v_add_f64 v[42:43], v[12:13], 1.0
	v_add_f64 v[48:49], v[12:13], -1.0
	v_rcp_f64_e32 v[44:45], v[42:43]
	v_add_f64 v[50:51], v[42:43], -1.0
	v_add_f64 v[12:13], v[12:13], -v[50:51]
	v_fma_f64 v[46:47], -v[42:43], v[44:45], 1.0
	v_fma_f64 v[44:45], v[46:47], v[44:45], v[44:45]
	v_fma_f64 v[46:47], -v[42:43], v[44:45], 1.0
	v_fma_f64 v[44:45], v[46:47], v[44:45], v[44:45]
	v_mul_f64 v[46:47], v[48:49], v[44:45]
	v_mul_f64 v[66:67], v[42:43], v[46:47]
	v_fma_f64 v[40:41], v[46:47], v[42:43], -v[66:67]
	v_div_scale_f64 v[42:43], s[48:49], v[36:37], v[36:37], v[38:39]
	s_mov_b32 s48, 0x69efb384
	s_mov_b32 s49, 0x3f4b2bb0
	v_fma_f64 v[12:13], v[46:47], v[12:13], v[40:41]
	v_add_f64 v[40:41], v[66:67], v[12:13]
	v_rcp_f64_e32 v[50:51], v[42:43]
	v_add_f64 v[68:69], v[48:49], -v[40:41]
	v_add_f64 v[66:67], v[40:41], -v[66:67]
	;; [unrolled: 1-line block ×3, first 2 shown]
	v_fma_f64 v[70:71], -v[42:43], v[50:51], 1.0
	v_add_f64 v[12:13], v[66:67], -v[12:13]
	v_frexp_exp_i32_f64_e32 v66, v[10:11]
	v_add_f64 v[40:41], v[48:49], -v[40:41]
	v_fma_f64 v[48:49], v[50:51], v[70:71], v[50:51]
	v_add_f64 v[12:13], v[12:13], v[40:41]
	v_div_scale_f64 v[40:41], vcc, v[38:39], v[36:37], v[38:39]
	v_fma_f64 v[50:51], -v[42:43], v[48:49], 1.0
	v_add_f64 v[12:13], v[68:69], v[12:13]
	v_fma_f64 v[48:49], v[48:49], v[50:51], v[48:49]
	v_mul_f64 v[12:13], v[44:45], v[12:13]
	v_mul_f64 v[44:45], v[40:41], v[48:49]
	v_add_f64 v[50:51], v[46:47], v[12:13]
	v_fma_f64 v[40:41], -v[42:43], v[44:45], v[40:41]
	v_mul_f64 v[42:43], v[50:51], v[50:51]
	v_add_f64 v[46:47], v[50:51], -v[46:47]
	v_div_fmas_f64 v[40:41], v[40:41], v[48:49], v[44:45]
	v_fma_f64 v[44:45], v[42:43], s[24:25], v[26:27]
	v_mul_f64 v[48:49], v[50:51], v[42:43]
	v_add_f64 v[12:13], v[12:13], -v[46:47]
	v_fma_f64 v[44:45], v[42:43], v[44:45], s[26:27]
	v_ldexp_f64 v[12:13], v[12:13], 1
	v_div_fixup_f64 v[36:37], v[40:41], v[36:37], v[38:39]
	v_fma_f64 v[38:39], v[42:43], v[44:45], s[28:29]
	v_mul_f64 v[40:41], v[36:37], v[36:37]
	v_fma_f64 v[38:39], v[42:43], v[38:39], s[30:31]
	v_fma_f64 v[44:45], v[40:41], s[72:73], v[32:33]
	v_fma_f64 v[38:39], v[42:43], v[38:39], s[34:35]
	v_fma_f64 v[44:45], v[40:41], v[44:45], s[48:49]
	s_mov_b32 s48, 0xaf56de9b
	s_mov_b32 s49, 0xbf67952d
	v_fma_f64 v[38:39], v[42:43], v[38:39], s[22:23]
	v_fma_f64 v[42:43], v[40:41], v[44:45], s[48:49]
	v_ldexp_f64 v[44:45], v[50:51], 1
	s_mov_b32 s48, 0xa595c56f
	s_mov_b32 s49, 0x3f7d6d43
	v_subbrev_co_u32_e64 v50, vcc, 0, v66, s[8:9]
	v_mul_f64 v[38:39], v[48:49], v[38:39]
	v_cvt_f64_i32_e32 v[50:51], v50
	v_fma_f64 v[42:43], v[40:41], v[42:43], s[48:49]
	v_cmp_class_f64_e64 vcc, v[10:11], s83
	v_cmp_class_f64_e64 s[8:9], v[4:5], s83
	v_mul_f64 v[66:67], v[50:51], s[36:37]
	v_cmp_class_f64_e64 s[48:49], v[2:3], s83
	v_add_f64 v[48:49], v[44:45], v[38:39]
	v_fma_f64 v[42:43], v[40:41], v[42:43], s[74:75]
	v_fma_f64 v[46:47], v[50:51], s[36:37], -v[66:67]
	s_and_b64 s[48:49], s[48:49], s[8:9]
	v_add_f64 v[44:45], v[48:49], -v[44:45]
	v_fma_f64 v[42:43], v[40:41], v[42:43], s[76:77]
	v_add_f64 v[38:39], v[38:39], -v[44:45]
	v_fma_f64 v[44:45], v[50:51], s[38:39], v[46:47]
	v_fma_f64 v[42:43], v[40:41], v[42:43], s[78:79]
	v_add_f64 v[12:13], v[12:13], v[38:39]
	v_fma_f64 v[38:39], v[40:41], v[42:43], s[80:81]
	v_add_f64 v[42:43], v[66:67], v[44:45]
	v_add_f64 v[46:47], v[48:49], v[12:13]
	v_fma_f64 v[38:39], v[40:41], v[38:39], s[84:85]
	v_add_f64 v[66:67], v[42:43], -v[66:67]
	v_add_f64 v[50:51], v[42:43], v[46:47]
	v_add_f64 v[48:49], v[46:47], -v[48:49]
	v_fma_f64 v[38:39], v[40:41], v[38:39], s[86:87]
	v_add_f64 v[44:45], v[44:45], -v[66:67]
	v_add_f64 v[68:69], v[50:51], -v[42:43]
	;; [unrolled: 1-line block ×3, first 2 shown]
	v_fma_f64 v[38:39], v[40:41], v[38:39], s[88:89]
	v_add_f64 v[70:71], v[50:51], -v[68:69]
	v_add_f64 v[46:47], v[46:47], -v[68:69]
	v_fma_f64 v[38:39], v[40:41], v[38:39], s[90:91]
	v_add_f64 v[48:49], v[44:45], v[12:13]
	v_add_f64 v[42:43], v[42:43], -v[70:71]
	v_fma_f64 v[38:39], v[40:41], v[38:39], s[92:93]
	v_add_f64 v[42:43], v[46:47], v[42:43]
	;; [unrolled: 3-line block ×3, first 2 shown]
	v_add_f64 v[48:49], v[48:49], -v[46:47]
	v_fma_f64 v[38:39], v[40:41], v[38:39], s[96:97]
	v_add_f64 v[12:13], v[12:13], -v[46:47]
	v_add_f64 v[66:67], v[50:51], v[42:43]
	v_add_f64 v[44:45], v[44:45], -v[48:49]
	v_fma_f64 v[38:39], v[40:41], v[38:39], s[98:99]
	v_add_f64 v[46:47], v[66:67], -v[50:51]
	v_add_f64 v[12:13], v[12:13], v[44:45]
	v_fma_f64 v[38:39], v[40:41], v[38:39], s[40:41]
	v_add_f64 v[42:43], v[42:43], -v[46:47]
	v_fma_f64 v[38:39], v[40:41], v[38:39], s[42:43]
	v_add_f64 v[12:13], v[12:13], v[42:43]
	v_fma_f64 v[38:39], v[40:41], v[38:39], s[44:45]
	v_add_f64 v[12:13], v[66:67], v[12:13]
	v_mul_f64 v[38:39], v[40:41], v[38:39]
	v_cndmask_b32_e32 v13, v13, v11, vcc
	v_cndmask_b32_e32 v12, v12, v10, vcc
	v_mul_f64 v[40:41], v[12:13], 0.5
	v_cmp_neq_f64_e32 vcc, 0, v[10:11]
	v_fma_f64 v[12:13], v[36:37], v[38:39], v[36:37]
                                        ; implicit-def: $vgpr36_vgpr37
                                        ; implicit-def: $vgpr38_vgpr39
	v_cndmask_b32_e32 v43, v59, v41, vcc
	v_cndmask_b32_e32 v42, 0, v40, vcc
                                        ; implicit-def: $vgpr40_vgpr41
.LBB48_821:                             ;   in Loop: Header=BB48_434 Depth=1
	s_andn2_saveexec_b64 s[66:67], s[66:67]
	s_cbranch_execz .LBB48_823
; %bb.822:                              ;   in Loop: Header=BB48_434 Depth=1
	v_frexp_exp_i32_f64_e32 v46, v[36:37]
	v_cmp_class_f64_e64 s[68:69], v[2:3], s83
	v_cmp_class_f64_e64 s[70:71], v[4:5], s83
	v_min_f64 v[38:39], v[40:41], v[38:39]
	s_mov_b32 s23, s63
	v_sub_u32_e32 v12, 0, v46
	v_ldexp_f64 v[10:11], |v[4:5]|, v12
	v_ldexp_f64 v[12:13], |v[2:3]|, v12
	v_div_scale_f64 v[66:67], s[72:73], v[36:37], v[36:37], v[38:39]
	s_mov_b32 s72, 0xb5e68a13
	s_mov_b32 s73, 0x3eeba404
	v_mul_f64 v[10:11], v[10:11], v[10:11]
	v_fma_f64 v[10:11], v[12:13], v[12:13], v[10:11]
	v_rsq_f64_e32 v[12:13], v[10:11]
	v_cmp_eq_f64_e32 vcc, 0, v[10:11]
	v_mul_f64 v[42:43], v[10:11], v[12:13]
	v_mul_f64 v[12:13], v[12:13], 0.5
	v_fma_f64 v[44:45], -v[12:13], v[42:43], 0.5
	v_fma_f64 v[42:43], v[42:43], v[44:45], v[42:43]
	v_fma_f64 v[12:13], v[12:13], v[44:45], v[12:13]
	v_fma_f64 v[44:45], -v[42:43], v[42:43], v[10:11]
	v_fma_f64 v[12:13], v[44:45], v[12:13], v[42:43]
	v_cndmask_b32_e32 v11, v13, v11, vcc
	v_cndmask_b32_e32 v10, v12, v10, vcc
	v_ldexp_f64 v[10:11], v[10:11], v46
	s_or_b64 vcc, s[68:69], s[70:71]
	v_cndmask_b32_e32 v11, v11, v55, vcc
	v_cndmask_b32_e64 v10, v10, 0, vcc
	v_frexp_mant_f64_e32 v[12:13], v[10:11]
	v_cmp_gt_f64_e64 s[8:9], s[62:63], v[12:13]
	v_cndmask_b32_e64 v42, 0, 1, s[8:9]
	v_ldexp_f64 v[12:13], v[12:13], v42
	v_add_f64 v[42:43], v[12:13], 1.0
	v_add_f64 v[48:49], v[12:13], -1.0
	v_rcp_f64_e32 v[44:45], v[42:43]
	v_add_f64 v[40:41], v[42:43], -1.0
	v_add_f64 v[12:13], v[12:13], -v[40:41]
	v_fma_f64 v[46:47], -v[42:43], v[44:45], 1.0
	v_fma_f64 v[44:45], v[46:47], v[44:45], v[44:45]
	v_fma_f64 v[46:47], -v[42:43], v[44:45], 1.0
	v_fma_f64 v[44:45], v[46:47], v[44:45], v[44:45]
	v_mul_f64 v[46:47], v[48:49], v[44:45]
	v_mul_f64 v[50:51], v[42:43], v[46:47]
	v_fma_f64 v[40:41], v[46:47], v[42:43], -v[50:51]
	v_fma_f64 v[12:13], v[46:47], v[12:13], v[40:41]
	v_rcp_f64_e32 v[40:41], v[66:67]
	v_add_f64 v[42:43], v[50:51], v[12:13]
	v_add_f64 v[68:69], v[48:49], -v[42:43]
	v_fma_f64 v[70:71], -v[66:67], v[40:41], 1.0
	v_add_f64 v[50:51], v[42:43], -v[50:51]
	v_add_f64 v[48:49], v[48:49], -v[68:69]
	v_fma_f64 v[40:41], v[40:41], v[70:71], v[40:41]
	v_add_f64 v[12:13], v[50:51], -v[12:13]
	v_add_f64 v[42:43], v[48:49], -v[42:43]
	v_div_scale_f64 v[48:49], vcc, v[38:39], v[36:37], v[38:39]
	v_fma_f64 v[50:51], -v[66:67], v[40:41], 1.0
	v_add_f64 v[12:13], v[12:13], v[42:43]
	v_fma_f64 v[40:41], v[40:41], v[50:51], v[40:41]
	v_add_f64 v[12:13], v[68:69], v[12:13]
	v_mul_f64 v[42:43], v[48:49], v[40:41]
	v_mul_f64 v[12:13], v[44:45], v[12:13]
	v_fma_f64 v[44:45], -v[66:67], v[42:43], v[48:49]
	v_add_f64 v[48:49], v[46:47], v[12:13]
	v_div_fmas_f64 v[40:41], v[44:45], v[40:41], v[42:43]
	s_mov_b32 vcc_lo, 0x69efb384
	s_mov_b32 vcc_hi, 0x3f4b2bb0
	v_mul_f64 v[42:43], v[48:49], v[48:49]
	v_add_f64 v[46:47], v[48:49], -v[46:47]
	v_fma_f64 v[44:45], v[42:43], s[24:25], v[26:27]
	v_mul_f64 v[50:51], v[48:49], v[42:43]
	v_add_f64 v[12:13], v[12:13], -v[46:47]
	v_div_fixup_f64 v[36:37], v[40:41], v[36:37], v[38:39]
	v_fma_f64 v[38:39], v[42:43], v[44:45], s[26:27]
	v_ldexp_f64 v[12:13], v[12:13], 1
	v_mul_f64 v[40:41], v[36:37], v[36:37]
	v_fma_f64 v[38:39], v[42:43], v[38:39], s[28:29]
	v_fma_f64 v[44:45], v[40:41], s[72:73], v[32:33]
	;; [unrolled: 1-line block ×3, first 2 shown]
	v_fma_f64 v[44:45], v[40:41], v[44:45], vcc
	s_mov_b32 vcc_lo, 0xaf56de9b
	s_mov_b32 vcc_hi, 0xbf67952d
	v_fma_f64 v[38:39], v[42:43], v[38:39], s[34:35]
	v_fma_f64 v[44:45], v[40:41], v[44:45], vcc
	s_mov_b32 vcc_lo, 0xa595c56f
	s_mov_b32 vcc_hi, 0x3f7d6d43
	v_fma_f64 v[38:39], v[42:43], v[38:39], s[22:23]
	v_fma_f64 v[42:43], v[40:41], v[44:45], vcc
	v_ldexp_f64 v[44:45], v[48:49], 1
	v_mul_f64 v[38:39], v[50:51], v[38:39]
	v_frexp_exp_i32_f64_e32 v50, v[10:11]
	v_fma_f64 v[42:43], v[40:41], v[42:43], s[74:75]
	v_add_f64 v[48:49], v[44:45], v[38:39]
	v_subbrev_co_u32_e64 v50, vcc, 0, v50, s[8:9]
	v_cvt_f64_i32_e32 v[50:51], v50
	v_fma_f64 v[42:43], v[40:41], v[42:43], s[76:77]
	v_cmp_class_f64_e64 vcc, v[10:11], s83
	s_andn2_b64 s[8:9], s[48:49], exec
	v_mul_f64 v[66:67], v[50:51], s[36:37]
	v_add_f64 v[44:45], v[48:49], -v[44:45]
	s_and_b64 s[48:49], s[68:69], s[70:71]
	s_and_b64 s[48:49], s[48:49], exec
	s_or_b64 s[48:49], s[8:9], s[48:49]
	v_fma_f64 v[42:43], v[40:41], v[42:43], s[78:79]
	v_fma_f64 v[46:47], v[50:51], s[36:37], -v[66:67]
	v_add_f64 v[38:39], v[38:39], -v[44:45]
	v_fma_f64 v[42:43], v[40:41], v[42:43], s[80:81]
	v_fma_f64 v[44:45], v[50:51], s[38:39], v[46:47]
	v_add_f64 v[12:13], v[12:13], v[38:39]
	v_fma_f64 v[38:39], v[40:41], v[42:43], s[84:85]
	v_add_f64 v[42:43], v[66:67], v[44:45]
	v_add_f64 v[46:47], v[48:49], v[12:13]
	v_fma_f64 v[38:39], v[40:41], v[38:39], s[86:87]
	v_add_f64 v[66:67], v[42:43], -v[66:67]
	v_add_f64 v[50:51], v[42:43], v[46:47]
	v_add_f64 v[48:49], v[46:47], -v[48:49]
	v_fma_f64 v[38:39], v[40:41], v[38:39], s[88:89]
	v_add_f64 v[44:45], v[44:45], -v[66:67]
	v_add_f64 v[68:69], v[50:51], -v[42:43]
	v_add_f64 v[12:13], v[12:13], -v[48:49]
	v_fma_f64 v[38:39], v[40:41], v[38:39], s[90:91]
	v_add_f64 v[70:71], v[50:51], -v[68:69]
	v_add_f64 v[46:47], v[46:47], -v[68:69]
	v_add_f64 v[48:49], v[44:45], v[12:13]
	v_fma_f64 v[38:39], v[40:41], v[38:39], s[92:93]
	v_add_f64 v[42:43], v[42:43], -v[70:71]
	v_fma_f64 v[38:39], v[40:41], v[38:39], s[94:95]
	v_add_f64 v[42:43], v[46:47], v[42:43]
	v_add_f64 v[46:47], v[48:49], -v[44:45]
	v_fma_f64 v[38:39], v[40:41], v[38:39], s[96:97]
	v_add_f64 v[42:43], v[48:49], v[42:43]
	v_add_f64 v[48:49], v[48:49], -v[46:47]
	v_add_f64 v[12:13], v[12:13], -v[46:47]
	v_fma_f64 v[38:39], v[40:41], v[38:39], s[98:99]
	v_add_f64 v[66:67], v[50:51], v[42:43]
	v_add_f64 v[44:45], v[44:45], -v[48:49]
	v_fma_f64 v[38:39], v[40:41], v[38:39], s[40:41]
	v_add_f64 v[46:47], v[66:67], -v[50:51]
	v_add_f64 v[12:13], v[12:13], v[44:45]
	v_fma_f64 v[38:39], v[40:41], v[38:39], s[42:43]
	v_add_f64 v[42:43], v[42:43], -v[46:47]
	v_fma_f64 v[38:39], v[40:41], v[38:39], s[44:45]
	v_add_f64 v[12:13], v[12:13], v[42:43]
	v_mul_f64 v[38:39], v[40:41], v[38:39]
	v_add_f64 v[40:41], v[66:67], v[12:13]
	v_fma_f64 v[12:13], v[36:37], v[38:39], v[36:37]
	v_cndmask_b32_e32 v36, v40, v10, vcc
	v_cndmask_b32_e32 v37, v41, v11, vcc
	v_cmp_ngt_f64_e32 vcc, 0, v[10:11]
	v_cndmask_b32_e32 v37, v60, v37, vcc
	v_cmp_nge_f64_e32 vcc, 0, v[10:11]
	v_cndmask_b32_e32 v42, 0, v36, vcc
	v_cmp_neq_f64_e32 vcc, 0, v[10:11]
	v_cndmask_b32_e32 v43, v59, v37, vcc
.LBB48_823:                             ;   in Loop: Header=BB48_434 Depth=1
	s_or_b64 exec, exec, s[66:67]
                                        ; implicit-def: $vgpr40_vgpr41
                                        ; implicit-def: $vgpr38_vgpr39
                                        ; implicit-def: $vgpr36_vgpr37
.LBB48_824:                             ;   in Loop: Header=BB48_434 Depth=1
	s_andn2_saveexec_b64 s[64:65], s[64:65]
	s_cbranch_execz .LBB48_826
; %bb.825:                              ;   in Loop: Header=BB48_434 Depth=1
	v_div_scale_f64 v[10:11], s[8:9], s[50:51], s[50:51], v[2:3]
	v_div_scale_f64 v[12:13], s[8:9], s[50:51], s[50:51], v[4:5]
	v_div_scale_f64 v[50:51], s[8:9], v[4:5], s[50:51], v[4:5]
	v_min_f64 v[38:39], v[40:41], v[38:39]
	s_mov_b32 s23, s63
	s_andn2_b64 s[48:49], s[48:49], exec
	v_rcp_f64_e32 v[42:43], v[10:11]
	v_rcp_f64_e32 v[44:45], v[12:13]
	v_fma_f64 v[46:47], -v[10:11], v[42:43], 1.0
	v_fma_f64 v[48:49], -v[12:13], v[44:45], 1.0
	v_fma_f64 v[42:43], v[42:43], v[46:47], v[42:43]
	v_div_scale_f64 v[46:47], vcc, v[2:3], s[50:51], v[2:3]
	v_fma_f64 v[44:45], v[44:45], v[48:49], v[44:45]
	v_fma_f64 v[48:49], -v[10:11], v[42:43], 1.0
	v_fma_f64 v[66:67], -v[12:13], v[44:45], 1.0
	v_fma_f64 v[42:43], v[42:43], v[48:49], v[42:43]
	v_fma_f64 v[44:45], v[44:45], v[66:67], v[44:45]
	v_mul_f64 v[48:49], v[46:47], v[42:43]
	v_mul_f64 v[66:67], v[50:51], v[44:45]
	v_fma_f64 v[10:11], -v[10:11], v[48:49], v[46:47]
	v_fma_f64 v[12:13], -v[12:13], v[66:67], v[50:51]
	v_div_fmas_f64 v[10:11], v[10:11], v[42:43], v[48:49]
	s_mov_b64 vcc, s[8:9]
	v_div_fmas_f64 v[12:13], v[12:13], v[44:45], v[66:67]
	v_div_fixup_f64 v[10:11], v[10:11], s[50:51], v[2:3]
	v_div_fixup_f64 v[12:13], v[12:13], s[50:51], v[4:5]
	v_cmp_class_f64_e64 s[8:9], v[10:11], s83
	v_max_f64 v[42:43], |v[10:11]|, |v[12:13]|
	v_cmp_class_f64_e64 s[66:67], v[12:13], s83
	v_frexp_exp_i32_f64_e32 v50, v[42:43]
	v_sub_u32_e32 v44, 0, v50
	v_ldexp_f64 v[42:43], |v[12:13]|, v44
	v_ldexp_f64 v[44:45], |v[10:11]|, v44
	v_mul_f64 v[42:43], v[42:43], v[42:43]
	v_fma_f64 v[42:43], v[44:45], v[44:45], v[42:43]
	v_rsq_f64_e32 v[44:45], v[42:43]
	v_cmp_eq_f64_e32 vcc, 0, v[42:43]
	v_mul_f64 v[46:47], v[42:43], v[44:45]
	v_mul_f64 v[44:45], v[44:45], 0.5
	v_fma_f64 v[48:49], -v[44:45], v[46:47], 0.5
	v_fma_f64 v[46:47], v[46:47], v[48:49], v[46:47]
	v_fma_f64 v[44:45], v[44:45], v[48:49], v[44:45]
	v_fma_f64 v[48:49], -v[46:47], v[46:47], v[42:43]
	v_fma_f64 v[44:45], v[48:49], v[44:45], v[46:47]
	v_cndmask_b32_e32 v11, v45, v43, vcc
	v_cndmask_b32_e32 v10, v44, v42, vcc
	v_ldexp_f64 v[10:11], v[10:11], v50
	s_or_b64 vcc, s[8:9], s[66:67]
	v_cndmask_b32_e32 v11, v11, v55, vcc
	v_cndmask_b32_e64 v10, v10, 0, vcc
	v_frexp_mant_f64_e32 v[12:13], v[10:11]
	v_cmp_gt_f64_e64 s[8:9], s[62:63], v[12:13]
	v_cndmask_b32_e64 v42, 0, 1, s[8:9]
	v_ldexp_f64 v[12:13], v[12:13], v42
	v_add_f64 v[42:43], v[12:13], 1.0
	v_add_f64 v[48:49], v[12:13], -1.0
	v_rcp_f64_e32 v[44:45], v[42:43]
	v_add_f64 v[50:51], v[42:43], -1.0
	v_add_f64 v[12:13], v[12:13], -v[50:51]
	v_fma_f64 v[46:47], -v[42:43], v[44:45], 1.0
	v_fma_f64 v[44:45], v[46:47], v[44:45], v[44:45]
	v_fma_f64 v[46:47], -v[42:43], v[44:45], 1.0
	v_fma_f64 v[44:45], v[46:47], v[44:45], v[44:45]
	v_mul_f64 v[46:47], v[48:49], v[44:45]
	v_mul_f64 v[66:67], v[42:43], v[46:47]
	v_fma_f64 v[40:41], v[46:47], v[42:43], -v[66:67]
	v_div_scale_f64 v[42:43], s[66:67], v[36:37], v[36:37], v[38:39]
	s_mov_b32 s66, 0x69efb384
	s_mov_b32 s67, 0x3f4b2bb0
	v_fma_f64 v[12:13], v[46:47], v[12:13], v[40:41]
	v_add_f64 v[40:41], v[66:67], v[12:13]
	v_rcp_f64_e32 v[50:51], v[42:43]
	v_add_f64 v[68:69], v[48:49], -v[40:41]
	v_add_f64 v[66:67], v[40:41], -v[66:67]
	;; [unrolled: 1-line block ×3, first 2 shown]
	v_fma_f64 v[70:71], -v[42:43], v[50:51], 1.0
	v_add_f64 v[12:13], v[66:67], -v[12:13]
	v_frexp_exp_i32_f64_e32 v66, v[10:11]
	v_add_f64 v[40:41], v[48:49], -v[40:41]
	v_fma_f64 v[48:49], v[50:51], v[70:71], v[50:51]
	v_add_f64 v[12:13], v[12:13], v[40:41]
	v_div_scale_f64 v[40:41], vcc, v[38:39], v[36:37], v[38:39]
	v_fma_f64 v[50:51], -v[42:43], v[48:49], 1.0
	v_add_f64 v[12:13], v[68:69], v[12:13]
	v_fma_f64 v[48:49], v[48:49], v[50:51], v[48:49]
	v_mul_f64 v[12:13], v[44:45], v[12:13]
	v_mul_f64 v[44:45], v[40:41], v[48:49]
	v_add_f64 v[50:51], v[46:47], v[12:13]
	v_fma_f64 v[40:41], -v[42:43], v[44:45], v[40:41]
	v_mul_f64 v[42:43], v[50:51], v[50:51]
	v_add_f64 v[46:47], v[50:51], -v[46:47]
	v_div_fmas_f64 v[40:41], v[40:41], v[48:49], v[44:45]
	v_fma_f64 v[44:45], v[42:43], s[24:25], v[26:27]
	v_mul_f64 v[48:49], v[50:51], v[42:43]
	v_add_f64 v[12:13], v[12:13], -v[46:47]
	v_fma_f64 v[44:45], v[42:43], v[44:45], s[26:27]
	v_ldexp_f64 v[12:13], v[12:13], 1
	v_div_fixup_f64 v[36:37], v[40:41], v[36:37], v[38:39]
	v_fma_f64 v[38:39], v[42:43], v[44:45], s[28:29]
	v_mul_f64 v[40:41], v[36:37], v[36:37]
	v_fma_f64 v[38:39], v[42:43], v[38:39], s[30:31]
	v_fma_f64 v[44:45], v[40:41], s[72:73], v[32:33]
	;; [unrolled: 1-line block ×4, first 2 shown]
	s_mov_b32 s66, 0xaf56de9b
	s_mov_b32 s67, 0xbf67952d
	v_fma_f64 v[38:39], v[42:43], v[38:39], s[22:23]
	v_fma_f64 v[42:43], v[40:41], v[44:45], s[66:67]
	v_ldexp_f64 v[44:45], v[50:51], 1
	s_mov_b32 s66, 0xa595c56f
	s_mov_b32 s67, 0x3f7d6d43
	v_subbrev_co_u32_e64 v50, vcc, 0, v66, s[8:9]
	v_mul_f64 v[38:39], v[48:49], v[38:39]
	v_cvt_f64_i32_e32 v[50:51], v50
	v_fma_f64 v[42:43], v[40:41], v[42:43], s[66:67]
	v_cmp_class_f64_e64 vcc, v[10:11], s83
	v_cmp_class_f64_e64 s[66:67], v[2:3], s83
	v_mul_f64 v[66:67], v[50:51], s[36:37]
	v_cmp_class_f64_e64 s[8:9], v[4:5], s83
	v_add_f64 v[48:49], v[44:45], v[38:39]
	v_fma_f64 v[42:43], v[40:41], v[42:43], s[74:75]
	v_fma_f64 v[46:47], v[50:51], s[36:37], -v[66:67]
	s_and_b64 s[8:9], s[66:67], s[8:9]
	s_and_b64 s[8:9], s[8:9], exec
	v_add_f64 v[44:45], v[48:49], -v[44:45]
	s_or_b64 s[48:49], s[48:49], s[8:9]
	v_fma_f64 v[42:43], v[40:41], v[42:43], s[76:77]
	v_add_f64 v[38:39], v[38:39], -v[44:45]
	v_fma_f64 v[44:45], v[50:51], s[38:39], v[46:47]
	v_fma_f64 v[42:43], v[40:41], v[42:43], s[78:79]
	v_add_f64 v[12:13], v[12:13], v[38:39]
	v_fma_f64 v[38:39], v[40:41], v[42:43], s[80:81]
	v_add_f64 v[42:43], v[66:67], v[44:45]
	v_add_f64 v[46:47], v[48:49], v[12:13]
	v_fma_f64 v[38:39], v[40:41], v[38:39], s[84:85]
	v_add_f64 v[66:67], v[42:43], -v[66:67]
	v_add_f64 v[50:51], v[42:43], v[46:47]
	v_add_f64 v[48:49], v[46:47], -v[48:49]
	v_fma_f64 v[38:39], v[40:41], v[38:39], s[86:87]
	v_add_f64 v[44:45], v[44:45], -v[66:67]
	v_add_f64 v[68:69], v[50:51], -v[42:43]
	;; [unrolled: 1-line block ×3, first 2 shown]
	v_fma_f64 v[38:39], v[40:41], v[38:39], s[88:89]
	v_add_f64 v[70:71], v[50:51], -v[68:69]
	v_add_f64 v[46:47], v[46:47], -v[68:69]
	v_fma_f64 v[38:39], v[40:41], v[38:39], s[90:91]
	v_add_f64 v[48:49], v[44:45], v[12:13]
	v_add_f64 v[42:43], v[42:43], -v[70:71]
	v_fma_f64 v[38:39], v[40:41], v[38:39], s[92:93]
	v_add_f64 v[42:43], v[46:47], v[42:43]
	;; [unrolled: 3-line block ×3, first 2 shown]
	v_add_f64 v[48:49], v[48:49], -v[46:47]
	v_fma_f64 v[38:39], v[40:41], v[38:39], s[96:97]
	v_add_f64 v[12:13], v[12:13], -v[46:47]
	v_add_f64 v[66:67], v[50:51], v[42:43]
	v_add_f64 v[44:45], v[44:45], -v[48:49]
	v_fma_f64 v[38:39], v[40:41], v[38:39], s[98:99]
	v_add_f64 v[46:47], v[66:67], -v[50:51]
	v_add_f64 v[12:13], v[12:13], v[44:45]
	v_fma_f64 v[38:39], v[40:41], v[38:39], s[40:41]
	v_add_f64 v[42:43], v[42:43], -v[46:47]
	v_fma_f64 v[38:39], v[40:41], v[38:39], s[42:43]
	v_add_f64 v[12:13], v[12:13], v[42:43]
	v_fma_f64 v[38:39], v[40:41], v[38:39], s[44:45]
	v_add_f64 v[12:13], v[66:67], v[12:13]
	v_mul_f64 v[38:39], v[40:41], v[38:39]
	v_cndmask_b32_e32 v13, v13, v11, vcc
	v_cndmask_b32_e32 v12, v12, v10, vcc
	v_add_f64 v[40:41], v[12:13], 1.0
	v_cmp_ngt_f64_e32 vcc, 0, v[10:11]
	v_fma_f64 v[12:13], v[36:37], v[38:39], v[36:37]
	v_cndmask_b32_e32 v2, v60, v41, vcc
	v_cmp_nge_f64_e32 vcc, 0, v[10:11]
	v_cndmask_b32_e32 v42, 0, v40, vcc
	v_cmp_neq_f64_e32 vcc, 0, v[10:11]
	v_cndmask_b32_e32 v43, v59, v2, vcc
.LBB48_826:                             ;   in Loop: Header=BB48_434 Depth=1
	s_or_b64 exec, exec, s[64:65]
	v_add_f64 v[10:11], -v[12:13], s[60:61]
	s_mov_b32 s46, s60
	v_ashrrev_i32_e32 v2, 31, v3
	v_cmp_gt_i32_e32 vcc, 0, v3
	v_and_b32_e32 v38, 0x54442d18, v2
	v_and_b32_e32 v2, 0x400921fb, v2
	v_cndmask_b32_e32 v3, v62, v63, vcc
	v_cndmask_b32_e64 v11, v13, v11, s[6:7]
	v_cndmask_b32_e64 v10, v12, v10, s[6:7]
	v_add_f64 v[36:37], -v[10:11], s[46:47]
	v_cmp_eq_f64_e64 s[6:7], 0, v[4:5]
	v_add_f64 v[12:13], v[42:43], s[36:37]
	v_cndmask_b32_e32 v4, v64, v65, vcc
	v_bfi_b32 v4, s33, v4, v5
	v_cndmask_b32_e32 v11, v11, v37, vcc
	v_cndmask_b32_e32 v10, v10, v36, vcc
	v_cndmask_b32_e64 v2, v11, v2, s[6:7]
	v_xor_b32_e32 v5, 0x80000000, v13
	v_cndmask_b32_e64 v10, v10, v38, s[6:7]
	v_cndmask_b32_e64 v2, v2, v4, s[48:49]
	;; [unrolled: 1-line block ×3, first 2 shown]
	v_and_b32_e32 v11, 0x7fffffff, v2
	v_cndmask_b32_e64 v13, v5, v13, s[4:5]
.LBB48_827:                             ;   in Loop: Header=BB48_434 Depth=1
	s_or_b64 exec, exec, s[20:21]
                                        ; implicit-def: $vgpr4_vgpr5
.LBB48_828:                             ;   in Loop: Header=BB48_434 Depth=1
	s_andn2_saveexec_b64 s[4:5], s[58:59]
	s_cbranch_execz .LBB48_433
; %bb.829:                              ;   in Loop: Header=BB48_434 Depth=1
	v_cmp_neq_f64_e64 s[6:7], |v[2:3]|, s[56:57]
                                        ; implicit-def: $vgpr12_vgpr13
	s_and_saveexec_b64 s[8:9], s[6:7]
	s_xor_b64 s[6:7], exec, s[8:9]
	s_cbranch_execz .LBB48_839
; %bb.830:                              ;   in Loop: Header=BB48_434 Depth=1
	v_cmp_neq_f64_e64 s[8:9], |v[4:5]|, s[56:57]
	s_waitcnt lgkmcnt(0)
	v_xor_b32_e32 v13, 0x80000000, v5
	v_mov_b32_e32 v12, v4
	s_and_saveexec_b64 s[20:21], s[8:9]
	s_xor_b64 s[8:9], exec, s[20:21]
	s_cbranch_execz .LBB48_836
; %bb.831:                              ;   in Loop: Header=BB48_434 Depth=1
	v_cmp_neq_f64_e32 vcc, 0, v[2:3]
                                        ; implicit-def: $vgpr12_vgpr13
	s_and_saveexec_b64 s[20:21], vcc
	s_xor_b64 s[20:21], exec, s[20:21]
	s_cbranch_execz .LBB48_833
; %bb.832:                              ;   in Loop: Header=BB48_434 Depth=1
	v_add_f64 v[4:5], v[4:5], 0
	v_add_f64 v[12:13], v[2:3], v[4:5]
                                        ; implicit-def: $vgpr4_vgpr5
.LBB48_833:                             ;   in Loop: Header=BB48_434 Depth=1
	s_or_saveexec_b64 s[20:21], s[20:21]
	v_mov_b32_e32 v10, v12
	v_mov_b32_e32 v11, v13
	s_xor_b64 exec, exec, s[20:21]
	s_cbranch_execz .LBB48_835
; %bb.834:                              ;   in Loop: Header=BB48_434 Depth=1
	v_mov_b32_e32 v2, s12
	v_mov_b32_e32 v3, s13
	flat_load_dwordx2 v[2:3], v[2:3] glc
	s_waitcnt vmcnt(0)
	v_add_f64 v[12:13], v[4:5], v[4:5]
	s_waitcnt lgkmcnt(0)
	v_add_f64 v[10:11], v[2:3], s[60:61]
.LBB48_835:                             ;   in Loop: Header=BB48_434 Depth=1
	s_or_b64 exec, exec, s[20:21]
                                        ; implicit-def: $vgpr2_vgpr3
.LBB48_836:                             ;   in Loop: Header=BB48_434 Depth=1
	s_andn2_saveexec_b64 s[8:9], s[8:9]
; %bb.837:                              ;   in Loop: Header=BB48_434 Depth=1
	v_add_f64 v[10:11], v[2:3], v[2:3]
; %bb.838:                              ;   in Loop: Header=BB48_434 Depth=1
	s_or_b64 exec, exec, s[8:9]
                                        ; implicit-def: $vgpr4_vgpr5
.LBB48_839:                             ;   in Loop: Header=BB48_434 Depth=1
	s_andn2_saveexec_b64 s[6:7], s[6:7]
	s_cbranch_execz .LBB48_432
; %bb.840:                              ;   in Loop: Header=BB48_434 Depth=1
	s_waitcnt lgkmcnt(0)
	v_add_f64 v[10:11], v[4:5], v[4:5]
	v_mov_b32_e32 v12, 0
	v_mov_b32_e32 v13, 0xfff00000
	s_branch .LBB48_432
.LBB48_841:
	s_endpgm
	.section	.rodata,"a",@progbits
	.p2align	6, 0x0
	.amdhsa_kernel _ZN2at6native12_GLOBAL__N_125multi_tensor_apply_kernelINS1_18TensorListMetadataILi1EEENS1_14UnaryOpFunctorIN3c107complexIdEELi1ELi1ELi0EEEJNS0_4AcosIS8_EEEEEvT_T0_DpT1_
		.amdhsa_group_segment_fixed_size 0
		.amdhsa_private_segment_fixed_size 24
		.amdhsa_kernarg_size 3632
		.amdhsa_user_sgpr_count 8
		.amdhsa_user_sgpr_private_segment_buffer 1
		.amdhsa_user_sgpr_dispatch_ptr 0
		.amdhsa_user_sgpr_queue_ptr 0
		.amdhsa_user_sgpr_kernarg_segment_ptr 1
		.amdhsa_user_sgpr_dispatch_id 0
		.amdhsa_user_sgpr_flat_scratch_init 1
		.amdhsa_user_sgpr_private_segment_size 0
		.amdhsa_uses_dynamic_stack 0
		.amdhsa_system_sgpr_private_segment_wavefront_offset 1
		.amdhsa_system_sgpr_workgroup_id_x 1
		.amdhsa_system_sgpr_workgroup_id_y 0
		.amdhsa_system_sgpr_workgroup_id_z 0
		.amdhsa_system_sgpr_workgroup_info 0
		.amdhsa_system_vgpr_workitem_id 0
		.amdhsa_next_free_vgpr 88
		.amdhsa_next_free_sgpr 100
		.amdhsa_reserve_vcc 1
		.amdhsa_reserve_flat_scratch 1
		.amdhsa_float_round_mode_32 0
		.amdhsa_float_round_mode_16_64 0
		.amdhsa_float_denorm_mode_32 3
		.amdhsa_float_denorm_mode_16_64 3
		.amdhsa_dx10_clamp 1
		.amdhsa_ieee_mode 1
		.amdhsa_fp16_overflow 0
		.amdhsa_exception_fp_ieee_invalid_op 0
		.amdhsa_exception_fp_denorm_src 0
		.amdhsa_exception_fp_ieee_div_zero 0
		.amdhsa_exception_fp_ieee_overflow 0
		.amdhsa_exception_fp_ieee_underflow 0
		.amdhsa_exception_fp_ieee_inexact 0
		.amdhsa_exception_int_div_zero 0
	.end_amdhsa_kernel
	.section	.text._ZN2at6native12_GLOBAL__N_125multi_tensor_apply_kernelINS1_18TensorListMetadataILi1EEENS1_14UnaryOpFunctorIN3c107complexIdEELi1ELi1ELi0EEEJNS0_4AcosIS8_EEEEEvT_T0_DpT1_,"axG",@progbits,_ZN2at6native12_GLOBAL__N_125multi_tensor_apply_kernelINS1_18TensorListMetadataILi1EEENS1_14UnaryOpFunctorIN3c107complexIdEELi1ELi1ELi0EEEJNS0_4AcosIS8_EEEEEvT_T0_DpT1_,comdat
.Lfunc_end48:
	.size	_ZN2at6native12_GLOBAL__N_125multi_tensor_apply_kernelINS1_18TensorListMetadataILi1EEENS1_14UnaryOpFunctorIN3c107complexIdEELi1ELi1ELi0EEEJNS0_4AcosIS8_EEEEEvT_T0_DpT1_, .Lfunc_end48-_ZN2at6native12_GLOBAL__N_125multi_tensor_apply_kernelINS1_18TensorListMetadataILi1EEENS1_14UnaryOpFunctorIN3c107complexIdEELi1ELi1ELi0EEEJNS0_4AcosIS8_EEEEEvT_T0_DpT1_
                                        ; -- End function
	.set _ZN2at6native12_GLOBAL__N_125multi_tensor_apply_kernelINS1_18TensorListMetadataILi1EEENS1_14UnaryOpFunctorIN3c107complexIdEELi1ELi1ELi0EEEJNS0_4AcosIS8_EEEEEvT_T0_DpT1_.num_vgpr, 88
	.set _ZN2at6native12_GLOBAL__N_125multi_tensor_apply_kernelINS1_18TensorListMetadataILi1EEENS1_14UnaryOpFunctorIN3c107complexIdEELi1ELi1ELi0EEEJNS0_4AcosIS8_EEEEEvT_T0_DpT1_.num_agpr, 0
	.set _ZN2at6native12_GLOBAL__N_125multi_tensor_apply_kernelINS1_18TensorListMetadataILi1EEENS1_14UnaryOpFunctorIN3c107complexIdEELi1ELi1ELi0EEEJNS0_4AcosIS8_EEEEEvT_T0_DpT1_.numbered_sgpr, 100
	.set _ZN2at6native12_GLOBAL__N_125multi_tensor_apply_kernelINS1_18TensorListMetadataILi1EEENS1_14UnaryOpFunctorIN3c107complexIdEELi1ELi1ELi0EEEJNS0_4AcosIS8_EEEEEvT_T0_DpT1_.num_named_barrier, 0
	.set _ZN2at6native12_GLOBAL__N_125multi_tensor_apply_kernelINS1_18TensorListMetadataILi1EEENS1_14UnaryOpFunctorIN3c107complexIdEELi1ELi1ELi0EEEJNS0_4AcosIS8_EEEEEvT_T0_DpT1_.private_seg_size, 24
	.set _ZN2at6native12_GLOBAL__N_125multi_tensor_apply_kernelINS1_18TensorListMetadataILi1EEENS1_14UnaryOpFunctorIN3c107complexIdEELi1ELi1ELi0EEEJNS0_4AcosIS8_EEEEEvT_T0_DpT1_.uses_vcc, 1
	.set _ZN2at6native12_GLOBAL__N_125multi_tensor_apply_kernelINS1_18TensorListMetadataILi1EEENS1_14UnaryOpFunctorIN3c107complexIdEELi1ELi1ELi0EEEJNS0_4AcosIS8_EEEEEvT_T0_DpT1_.uses_flat_scratch, 1
	.set _ZN2at6native12_GLOBAL__N_125multi_tensor_apply_kernelINS1_18TensorListMetadataILi1EEENS1_14UnaryOpFunctorIN3c107complexIdEELi1ELi1ELi0EEEJNS0_4AcosIS8_EEEEEvT_T0_DpT1_.has_dyn_sized_stack, 0
	.set _ZN2at6native12_GLOBAL__N_125multi_tensor_apply_kernelINS1_18TensorListMetadataILi1EEENS1_14UnaryOpFunctorIN3c107complexIdEELi1ELi1ELi0EEEJNS0_4AcosIS8_EEEEEvT_T0_DpT1_.has_recursion, 0
	.set _ZN2at6native12_GLOBAL__N_125multi_tensor_apply_kernelINS1_18TensorListMetadataILi1EEENS1_14UnaryOpFunctorIN3c107complexIdEELi1ELi1ELi0EEEJNS0_4AcosIS8_EEEEEvT_T0_DpT1_.has_indirect_call, 0
	.section	.AMDGPU.csdata,"",@progbits
; Kernel info:
; codeLenInByte = 103088
; TotalNumSgprs: 106
; NumVgprs: 88
; ScratchSize: 24
; MemoryBound: 1
; FloatMode: 240
; IeeeMode: 1
; LDSByteSize: 0 bytes/workgroup (compile time only)
; SGPRBlocks: 13
; VGPRBlocks: 21
; NumSGPRsForWavesPerEU: 106
; NumVGPRsForWavesPerEU: 88
; Occupancy: 2
; WaveLimiterHint : 0
; COMPUTE_PGM_RSRC2:SCRATCH_EN: 1
; COMPUTE_PGM_RSRC2:USER_SGPR: 8
; COMPUTE_PGM_RSRC2:TRAP_HANDLER: 0
; COMPUTE_PGM_RSRC2:TGID_X_EN: 1
; COMPUTE_PGM_RSRC2:TGID_Y_EN: 0
; COMPUTE_PGM_RSRC2:TGID_Z_EN: 0
; COMPUTE_PGM_RSRC2:TIDIG_COMP_CNT: 0
	.section	.text._ZN2at6native12_GLOBAL__N_125multi_tensor_apply_kernelINS1_18TensorListMetadataILi1EEENS1_14UnaryOpFunctorIN3c107complexIfEELi1ELi1ELi0EEEJNS0_4AcosIS8_EEEEEvT_T0_DpT1_,"axG",@progbits,_ZN2at6native12_GLOBAL__N_125multi_tensor_apply_kernelINS1_18TensorListMetadataILi1EEENS1_14UnaryOpFunctorIN3c107complexIfEELi1ELi1ELi0EEEJNS0_4AcosIS8_EEEEEvT_T0_DpT1_,comdat
	.globl	_ZN2at6native12_GLOBAL__N_125multi_tensor_apply_kernelINS1_18TensorListMetadataILi1EEENS1_14UnaryOpFunctorIN3c107complexIfEELi1ELi1ELi0EEEJNS0_4AcosIS8_EEEEEvT_T0_DpT1_ ; -- Begin function _ZN2at6native12_GLOBAL__N_125multi_tensor_apply_kernelINS1_18TensorListMetadataILi1EEENS1_14UnaryOpFunctorIN3c107complexIfEELi1ELi1ELi0EEEJNS0_4AcosIS8_EEEEEvT_T0_DpT1_
	.p2align	8
	.type	_ZN2at6native12_GLOBAL__N_125multi_tensor_apply_kernelINS1_18TensorListMetadataILi1EEENS1_14UnaryOpFunctorIN3c107complexIfEELi1ELi1ELi0EEEJNS0_4AcosIS8_EEEEEvT_T0_DpT1_,@function
_ZN2at6native12_GLOBAL__N_125multi_tensor_apply_kernelINS1_18TensorListMetadataILi1EEENS1_14UnaryOpFunctorIN3c107complexIfEELi1ELi1ELi0EEEJNS0_4AcosIS8_EEEEEvT_T0_DpT1_: ; @_ZN2at6native12_GLOBAL__N_125multi_tensor_apply_kernelINS1_18TensorListMetadataILi1EEENS1_14UnaryOpFunctorIN3c107complexIfEELi1ELi1ELi0EEEJNS0_4AcosIS8_EEEEEvT_T0_DpT1_
; %bb.0:
	v_mov_b32_e32 v1, s8
	global_load_ubyte v1, v1, s[4:5] offset:1760
	s_add_u32 flat_scratch_lo, s6, s9
	s_addc_u32 flat_scratch_hi, s7, 0
	s_add_u32 s0, s0, s9
	s_addc_u32 s1, s1, 0
	s_add_u32 s6, s4, s8
	s_mul_hi_u32 s7, s8, 3
	s_mul_i32 s8, s8, 3
	s_addc_u32 s9, s5, 0
	s_add_u32 s6, s6, s8
	s_addc_u32 s7, s9, s7
	s_load_dword s6, s[6:7], 0x820
	s_mov_b32 s13, 0
	s_waitcnt vmcnt(0)
	v_readfirstlane_b32 s7, v1
	s_lshl_b32 s7, s7, 3
	s_load_dwordx2 s[8:9], s[4:5], s7 offset:0x0
	s_load_dwordx2 s[10:11], s[4:5], s7 offset:0x370
	s_waitcnt lgkmcnt(0)
	s_ashr_i32 s7, s6, 31
	s_lshl_b64 s[14:15], s[6:7], 19
	s_add_u32 s22, s8, s14
	s_addc_u32 s23, s9, s15
	s_lshl_b64 s[6:7], s[6:7], 16
	s_and_b32 s12, s22, 31
	s_sub_u32 s24, s10, s6
	s_subb_u32 s25, s11, s7
	s_and_b32 s6, s10, 3
	s_mov_b32 s7, s13
	s_or_b64 s[6:7], s[12:13], s[6:7]
	s_cmp_eq_u64 s[6:7], 0
	s_cbranch_scc1 .LBB49_413
; %bb.1:
	v_cmp_lt_i64_e64 s[6:7], s[24:25], 1
	s_and_b64 vcc, exec, s[6:7]
	s_cbranch_vccnz .LBB49_412
; %bb.2:
	v_mov_b32_e32 v3, 0x10000
	s_load_dword s8, s[4:5], 0xd3c
	v_mov_b32_e32 v4, 0
	v_cmp_lt_i64_e32 vcc, s[24:25], v[3:4]
	v_mov_b32_e32 v2, 0
	s_and_b64 s[6:7], vcc, exec
	v_cmp_lt_u64_e32 vcc, s[24:25], v[3:4]
	s_cselect_b32 s29, s25, 0
	s_cselect_b32 s28, s24, 0x10000
	s_waitcnt lgkmcnt(0)
	s_and_b32 s8, s8, 0xffff
	s_and_b64 s[6:7], vcc, exec
	s_mul_i32 s10, s8, 3
	v_add_co_u32_e32 v14, vcc, s8, v0
	v_lshlrev_b32_e32 v1, 3, v0
	v_addc_co_u32_e64 v15, s[6:7], 0, 0, vcc
	v_add_co_u32_e32 v16, vcc, s10, v0
	v_mad_u64_u32 v[2:3], s[6:7], s8, 24, v[1:2]
	v_addc_co_u32_e64 v17, s[6:7], 0, 0, vcc
	s_cselect_b32 s31, s25, 0
	s_cselect_b32 s30, s24, 0x10000
	s_lshl_b32 s6, s8, 4
	s_lshl_b32 s9, s8, 1
	v_add_co_u32_e32 v4, vcc, s6, v1
	s_mov_b64 s[26:27], src_private_base
	v_addc_co_u32_e64 v19, s[6:7], 0, 0, vcc
	v_add_co_u32_e32 v21, vcc, s9, v0
	s_lshl_b32 s33, s8, 2
	s_mov_b32 s26, 8
	s_mov_b32 s34, 0
	;; [unrolled: 1-line block ×5, first 2 shown]
	s_lshl_b32 s60, s8, 5
	v_or_b32_e32 v2, 4, v2
	v_lshlrev_b32_e32 v18, 3, v14
	v_or_b32_e32 v20, 4, v4
	v_addc_co_u32_e64 v22, s[6:7], 0, 0, vcc
	s_mov_b64 s[38:39], 0
	v_mov_b32_e32 v23, 0x248d3132
	s_mov_b32 s61, 0x4b000000
	v_mov_b32_e32 v24, 0xd800000
	s_mov_b32 s62, 0x395db3d7
	s_brev_b32 s63, -2
	s_mov_b32 s64, 0x7f800000
	s_mov_b32 s65, 0x41200000
	;; [unrolled: 1-line block ×4, first 2 shown]
	v_mov_b32_e32 v25, 0x260
	s_mov_b32 s68, 0x800000
	s_mov_b32 s69, 0x3f317217
	;; [unrolled: 1-line block ×3, first 2 shown]
	s_brev_b32 s71, 44
	s_mov_b32 s72, 0x3f2aaaab
	v_mov_b32_e32 v26, 0x3f2aaada
	s_mov_b32 s73, 0x3f317218
	s_mov_b32 s74, 0x33800000
	;; [unrolled: 1-line block ×7, first 2 shown]
	v_mov_b32_e32 v27, 0x3d034c3c
	s_movk_i32 s80, 0x204
	s_mov_b32 s81, 0x7effffff
	s_mov_b32 s82, 0x5e000000
	s_brev_b32 s83, 4
	s_mov_b32 s84, 0x402df854
	s_mov_b64 s[40:41], s[22:23]
	v_mov_b32_e32 v28, 0x3d3641b1
	v_mov_b32_e32 v29, 0x3d999bc8
	;; [unrolled: 1-line block ×16, first 2 shown]
	s_branch .LBB49_4
.LBB49_3:                               ;   in Loop: Header=BB49_4 Depth=1
	s_or_b64 exec, exec, s[6:7]
	s_add_u32 s38, s38, s33
	v_mov_b32_e32 v4, s28
	s_addc_u32 s39, s39, 0
	v_mov_b32_e32 v5, s29
	v_cmp_ge_i64_e32 vcc, s[38:39], v[4:5]
	s_add_u32 s40, s40, s60
	s_addc_u32 s41, s41, 0
	s_cbranch_vccnz .LBB49_412
.LBB49_4:                               ; =>This Inner Loop Header: Depth=1
	v_mov_b32_e32 v5, s39
	v_add_co_u32_e32 v4, vcc, s38, v0
	v_addc_co_u32_e32 v5, vcc, 0, v5, vcc
	v_cmp_gt_u64_e64 s[6:7], s[30:31], v[4:5]
	v_mov_b32_e32 v11, 0
	v_mov_b32_e32 v10, 0
	s_and_saveexec_b64 s[8:9], s[6:7]
	s_cbranch_execz .LBB49_6
; %bb.5:                                ;   in Loop: Header=BB49_4 Depth=1
	v_mov_b32_e32 v5, s41
	v_add_co_u32_e32 v4, vcc, s40, v1
	v_addc_co_u32_e32 v5, vcc, 0, v5, vcc
	global_load_dwordx2 v[10:11], v[4:5], off
.LBB49_6:                               ;   in Loop: Header=BB49_4 Depth=1
	s_or_b64 exec, exec, s[8:9]
	v_mov_b32_e32 v5, s39
	v_add_co_u32_e32 v4, vcc, s38, v14
	v_addc_co_u32_e32 v5, vcc, v15, v5, vcc
	v_cmp_gt_u64_e64 s[8:9], s[30:31], v[4:5]
	v_mov_b32_e32 v9, 0
	v_mov_b32_e32 v13, 0
	;; [unrolled: 1-line block ×3, first 2 shown]
	s_and_saveexec_b64 s[10:11], s[8:9]
	s_cbranch_execz .LBB49_8
; %bb.7:                                ;   in Loop: Header=BB49_4 Depth=1
	v_mov_b32_e32 v5, s41
	v_add_co_u32_e32 v4, vcc, s40, v18
	v_addc_co_u32_e32 v5, vcc, 0, v5, vcc
	global_load_dwordx2 v[12:13], v[4:5], off
.LBB49_8:                               ;   in Loop: Header=BB49_4 Depth=1
	s_or_b64 exec, exec, s[10:11]
	v_mov_b32_e32 v5, s39
	v_add_co_u32_e32 v4, vcc, s38, v21
	v_addc_co_u32_e32 v5, vcc, v22, v5, vcc
	v_cmp_gt_u64_e64 s[10:11], s[30:31], v[4:5]
	v_mov_b32_e32 v8, 0
	s_and_saveexec_b64 s[12:13], s[10:11]
	s_cbranch_execz .LBB49_10
; %bb.9:                                ;   in Loop: Header=BB49_4 Depth=1
	v_mov_b32_e32 v5, s41
	v_add_co_u32_e32 v4, vcc, s40, v20
	v_addc_co_u32_e32 v5, vcc, v5, v19, vcc
	global_load_dwordx2 v[8:9], v[4:5], off offset:-4
.LBB49_10:                              ;   in Loop: Header=BB49_4 Depth=1
	s_or_b64 exec, exec, s[12:13]
	v_mov_b32_e32 v5, s39
	v_add_co_u32_e32 v4, vcc, s38, v16
	v_addc_co_u32_e32 v5, vcc, v17, v5, vcc
	v_cmp_gt_u64_e64 s[12:13], s[30:31], v[4:5]
	v_mov_b32_e32 v5, 0
	v_mov_b32_e32 v4, 0
	s_and_saveexec_b64 s[14:15], s[12:13]
	s_cbranch_execz .LBB49_12
; %bb.11:                               ;   in Loop: Header=BB49_4 Depth=1
	v_mov_b32_e32 v5, s41
	v_add_co_u32_e32 v4, vcc, s40, v2
	v_addc_co_u32_e32 v5, vcc, v5, v3, vcc
	global_load_dwordx2 v[4:5], v[4:5], off offset:-4
.LBB49_12:                              ;   in Loop: Header=BB49_4 Depth=1
	s_or_b64 exec, exec, s[14:15]
	v_mov_b32_e32 v6, s26
	v_mov_b32_e32 v7, s27
	s_waitcnt vmcnt(0)
	v_cmp_o_f32_e32 vcc, v10, v11
	flat_store_dword v[6:7], v23
	s_waitcnt vmcnt(0)
                                        ; implicit-def: $vgpr7
	s_and_saveexec_b64 s[14:15], vcc
	s_xor_b64 s[42:43], exec, s[14:15]
	s_cbranch_execz .LBB49_96
; %bb.13:                               ;   in Loop: Header=BB49_4 Depth=1
	v_max_f32_e64 v46, |v10|, |v10|
	v_max_f32_e64 v45, |v11|, |v11|
	v_max_f32_e32 v44, v45, v46
	v_cmp_gt_i32_e64 s[16:17], 0, v10
	v_cmp_lt_i32_e64 s[18:19], -1, v10
	v_cmp_gt_i32_e64 s[14:15], 0, v11
	v_cmp_nlt_f32_e32 vcc, s61, v44
                                        ; implicit-def: $vgpr7
	s_and_saveexec_b64 s[20:21], vcc
	s_xor_b64 s[44:45], exec, s[20:21]
	s_cbranch_execz .LBB49_85
; %bb.14:                               ;   in Loop: Header=BB49_4 Depth=1
	v_cmp_neq_f32_e32 vcc, 1.0, v10
	v_cmp_neq_f32_e64 s[20:21], 0, v11
	s_or_b64 s[20:21], s[20:21], vcc
	v_xor_b32_e32 v7, 0x80000000, v11
	s_and_saveexec_b64 s[46:47], s[20:21]
	s_xor_b64 s[46:47], exec, s[46:47]
	s_cbranch_execz .LBB49_82
; %bb.15:                               ;   in Loop: Header=BB49_4 Depth=1
	v_mov_b32_e32 v6, s34
	v_mov_b32_e32 v7, s35
	flat_store_dword v[6:7], v24
	s_waitcnt vmcnt(0)
	flat_load_dword v6, v[6:7] glc
	s_waitcnt vmcnt(0)
	v_cmp_nlt_f32_e64 s[20:21], |v10|, s62
	v_cmp_nlt_f32_e64 s[48:49], |v11|, s62
	s_or_b64 s[20:21], s[48:49], s[20:21]
	s_waitcnt lgkmcnt(0)
	v_add_f32_e32 v44, 1.0, v6
	v_mov_b32_e32 v6, s36
	v_mov_b32_e32 v7, s37
	flat_store_dword v[6:7], v44
	s_waitcnt vmcnt(0)
	flat_load_dword v6, v[6:7] glc
	s_waitcnt vmcnt(0) lgkmcnt(0)
	v_xor_b32_e32 v7, 0x80000000, v11
	s_and_saveexec_b64 s[48:49], s[20:21]
	s_xor_b64 s[48:49], exec, s[48:49]
	s_cbranch_execz .LBB49_79
; %bb.16:                               ;   in Loop: Header=BB49_4 Depth=1
	v_add_f32_e64 v44, |v10|, 1.0
	v_max_f32_e32 v6, v45, v44
	v_add_f32_e64 v7, |v10|, -1.0
	v_cvt_f64_f32_e32 v[46:47], v6
	v_max_f32_e64 v45, v45, |v7|
	v_cvt_f64_f32_e32 v[48:49], v45
	v_cmp_neq_f32_e32 vcc, s64, v6
	v_frexp_exp_i32_f64_e32 v46, v[46:47]
	v_frexp_exp_i32_f64_e32 v47, v[48:49]
	v_sub_u32_e32 v48, 0, v46
	v_ldexp_f32 v50, |v11|, v48
	v_sub_u32_e32 v49, 0, v47
	v_ldexp_f32 v48, v44, v48
	v_ldexp_f32 v51, |v11|, v49
	v_ldexp_f32 v49, |v7|, v49
	v_mul_f32_e32 v48, v48, v48
	v_mul_f32_e32 v49, v49, v49
	v_fmac_f32_e32 v48, v50, v50
	v_fmac_f32_e32 v49, v51, v51
	v_sqrt_f32_e32 v48, v48
	v_sqrt_f32_e32 v49, v49
	v_ldexp_f32 v46, v48, v46
	v_ldexp_f32 v47, v49, v47
	v_cndmask_b32_e32 v48, v37, v46, vcc
	v_cmp_neq_f32_e32 vcc, s64, v45
	v_cndmask_b32_e32 v45, v37, v47, vcc
	v_add_f32_e32 v6, v48, v45
	v_mul_f32_e32 v6, 0.5, v6
	v_cmp_ngt_f32_e32 vcc, 1.0, v6
	v_cndmask_b32_e32 v6, 1.0, v6, vcc
	v_cmp_ngt_f32_e32 vcc, s65, v6
                                        ; implicit-def: $vgpr46
	s_and_saveexec_b64 s[20:21], vcc
	s_xor_b64 s[50:51], exec, s[20:21]
	s_cbranch_execz .LBB49_18
; %bb.17:                               ;   in Loop: Header=BB49_4 Depth=1
	v_fma_f32 v46, v6, v6, -1.0
	v_mul_f32_e32 v47, 0x4f800000, v46
	v_cmp_gt_f32_e32 vcc, s66, v46
	v_cndmask_b32_e32 v46, v46, v47, vcc
	v_sqrt_f32_e32 v47, v46
	v_add_u32_e32 v49, -1, v47
	v_fma_f32 v51, -v49, v47, v46
	v_add_u32_e32 v50, 1, v47
	v_cmp_ge_f32_e64 s[20:21], 0, v51
	v_cndmask_b32_e64 v49, v47, v49, s[20:21]
	v_fma_f32 v47, -v50, v47, v46
	v_cmp_lt_f32_e64 s[20:21], 0, v47
	v_cndmask_b32_e64 v47, v49, v50, s[20:21]
	v_mul_f32_e32 v49, 0x37800000, v47
	v_cndmask_b32_e32 v47, v47, v49, vcc
	v_cmp_class_f32_e32 vcc, v46, v25
	v_cndmask_b32_e32 v46, v47, v46, vcc
	v_add_f32_e32 v46, v6, v46
	v_cmp_gt_f32_e32 vcc, s68, v46
	v_cndmask_b32_e64 v47, 0, 32, vcc
	v_ldexp_f32 v46, v46, v47
	v_log_f32_e32 v46, v46
	v_mul_f32_e32 v47, 0x3f317217, v46
	v_fma_f32 v47, v46, s69, -v47
	v_fmac_f32_e32 v47, 0x3377d1cf, v46
	v_fmac_f32_e32 v47, 0x3f317217, v46
	v_cmp_lt_f32_e64 s[20:21], |v46|, s64
	v_cndmask_b32_e64 v46, v46, v47, s[20:21]
	v_cndmask_b32_e32 v47, 0, v38, vcc
	v_sub_f32_e32 v46, v46, v47
.LBB49_18:                              ;   in Loop: Header=BB49_4 Depth=1
	s_or_saveexec_b64 s[50:51], s[50:51]
	v_and_b32_e32 v47, 0x7fffffff, v11
	s_xor_b64 exec, exec, s[50:51]
	s_cbranch_execz .LBB49_40
; %bb.19:                               ;   in Loop: Header=BB49_4 Depth=1
	v_cmp_neq_f32_e64 s[20:21], |v10|, 1.0
	v_cmp_nlt_f32_e64 s[52:53], |v11|, s70
	s_or_b64 s[20:21], s[52:53], s[20:21]
                                        ; implicit-def: $vgpr46
	s_and_saveexec_b64 s[52:53], s[20:21]
	s_xor_b64 s[52:53], exec, s[52:53]
	s_cbranch_execz .LBB49_37
; %bb.20:                               ;   in Loop: Header=BB49_4 Depth=1
	v_mul_f32_e64 v46, |v7|, s71
	v_cmp_ge_f32_e64 s[20:21], |v11|, v46
                                        ; implicit-def: $vgpr46
	s_and_saveexec_b64 s[54:55], s[20:21]
	s_xor_b64 s[54:55], exec, s[54:55]
	s_cbranch_execz .LBB49_30
; %bb.21:                               ;   in Loop: Header=BB49_4 Depth=1
	v_cmp_neq_f32_e32 vcc, 0, v44
	v_mov_b32_e32 v46, v47
	s_and_saveexec_b64 s[20:21], vcc
	s_cbranch_execz .LBB49_23
; %bb.22:                               ;   in Loop: Header=BB49_4 Depth=1
	v_mul_f32_e32 v46, v11, v11
	v_add_f32_e32 v49, v44, v48
	v_div_scale_f32 v50, s[56:57], v49, v49, v46
	v_div_scale_f32 v51, vcc, v46, v49, v46
	v_rcp_f32_e32 v52, v50
	v_fma_f32 v53, -v50, v52, 1.0
	v_fmac_f32_e32 v52, v53, v52
	v_mul_f32_e32 v53, v51, v52
	v_fma_f32 v54, -v50, v53, v51
	v_fmac_f32_e32 v53, v54, v52
	v_fma_f32 v50, -v50, v53, v51
	v_div_fmas_f32 v50, v50, v52, v53
	v_div_fixup_f32 v46, v50, v49, v46
.LBB49_23:                              ;   in Loop: Header=BB49_4 Depth=1
	s_or_b64 exec, exec, s[20:21]
	v_sub_f32_e64 v50, 1.0, |v10|
	v_cmp_ngt_f32_e32 vcc, 0, v50
                                        ; implicit-def: $vgpr49
	s_and_saveexec_b64 s[20:21], vcc
	s_xor_b64 s[20:21], exec, s[20:21]
	s_cbranch_execz .LBB49_27
; %bb.24:                               ;   in Loop: Header=BB49_4 Depth=1
	v_cmp_neq_f32_e32 vcc, 0, v50
	v_mov_b32_e32 v49, v47
	s_and_saveexec_b64 s[56:57], vcc
	s_cbranch_execz .LBB49_26
; %bb.25:                               ;   in Loop: Header=BB49_4 Depth=1
	v_mul_f32_e32 v49, v11, v11
	v_add_f32_e32 v50, v50, v45
	v_div_scale_f32 v51, s[58:59], v50, v50, v49
	v_div_scale_f32 v52, vcc, v49, v50, v49
	v_rcp_f32_e32 v53, v51
	v_fma_f32 v54, -v51, v53, 1.0
	v_fmac_f32_e32 v53, v54, v53
	v_mul_f32_e32 v54, v52, v53
	v_fma_f32 v55, -v51, v54, v52
	v_fmac_f32_e32 v54, v55, v53
	v_fma_f32 v51, -v51, v54, v52
	v_div_fmas_f32 v51, v51, v53, v54
	v_div_fixup_f32 v49, v51, v50, v49
.LBB49_26:                              ;   in Loop: Header=BB49_4 Depth=1
	s_or_b64 exec, exec, s[56:57]
                                        ; implicit-def: $vgpr50
.LBB49_27:                              ;   in Loop: Header=BB49_4 Depth=1
	s_andn2_saveexec_b64 s[20:21], s[20:21]
; %bb.28:                               ;   in Loop: Header=BB49_4 Depth=1
	v_sub_f32_e32 v49, v45, v50
; %bb.29:                               ;   in Loop: Header=BB49_4 Depth=1
	s_or_b64 exec, exec, s[20:21]
	v_mul_f32_e32 v49, 0.5, v49
	v_fmac_f32_e32 v49, 0.5, v46
	v_add_f32_e32 v46, 1.0, v6
	v_mul_f32_e32 v46, v46, v49
	v_mul_f32_e32 v50, 0x4f800000, v46
	v_cmp_gt_f32_e32 vcc, s66, v46
	v_cndmask_b32_e32 v46, v46, v50, vcc
	v_sqrt_f32_e32 v50, v46
	v_add_u32_e32 v51, -1, v50
	v_fma_f32 v52, -v51, v50, v46
	v_cmp_ge_f32_e64 s[20:21], 0, v52
	v_add_u32_e32 v52, 1, v50
	v_cndmask_b32_e64 v51, v50, v51, s[20:21]
	v_fma_f32 v50, -v52, v50, v46
	v_cmp_lt_f32_e64 s[20:21], 0, v50
	v_cndmask_b32_e64 v50, v51, v52, s[20:21]
	v_mul_f32_e32 v51, 0x37800000, v50
	v_cndmask_b32_e32 v50, v50, v51, vcc
	v_cmp_class_f32_e32 vcc, v46, v25
	v_cndmask_b32_e32 v46, v50, v46, vcc
	v_add_f32_e32 v46, v49, v46
	v_add_f32_e32 v51, 1.0, v46
	v_cvt_f64_f32_e32 v[49:50], v51
	v_add_f32_e32 v52, -1.0, v51
	v_frexp_exp_i32_f64_e32 v49, v[49:50]
	v_sub_f32_e32 v50, v52, v51
	v_add_f32_e32 v50, 1.0, v50
	v_sub_f32_e32 v52, v46, v52
	v_add_f32_e32 v50, v52, v50
	v_frexp_mant_f32_e32 v52, v51
	v_cmp_gt_f32_e32 vcc, s72, v52
	v_subbrev_co_u32_e32 v49, vcc, 0, v49, vcc
	v_sub_u32_e32 v52, 0, v49
	v_ldexp_f32 v51, v51, v52
	v_ldexp_f32 v50, v50, v52
	v_add_f32_e32 v52, -1.0, v51
	v_add_f32_e32 v55, 1.0, v51
	v_add_f32_e32 v53, 1.0, v52
	v_add_f32_e32 v56, -1.0, v55
	v_sub_f32_e32 v53, v51, v53
	v_sub_f32_e32 v51, v51, v56
	v_add_f32_e32 v53, v50, v53
	v_add_f32_e32 v50, v50, v51
	;; [unrolled: 1-line block ×3, first 2 shown]
	v_rcp_f32_e32 v56, v51
	v_add_f32_e32 v54, v52, v53
	v_sub_f32_e32 v52, v54, v52
	v_sub_f32_e32 v52, v53, v52
	;; [unrolled: 1-line block ×4, first 2 shown]
	v_mul_f32_e32 v53, v54, v56
	v_mul_f32_e32 v55, v51, v53
	v_fma_f32 v57, v53, v51, -v55
	v_fmac_f32_e32 v57, v53, v50
	v_add_f32_e32 v58, v55, v57
	v_sub_f32_e32 v59, v54, v58
	v_sub_f32_e32 v54, v54, v59
	;; [unrolled: 1-line block ×4, first 2 shown]
	v_add_f32_e32 v52, v52, v54
	v_sub_f32_e32 v54, v55, v57
	v_add_f32_e32 v52, v54, v52
	v_add_f32_e32 v54, v59, v52
	v_mul_f32_e32 v55, v56, v54
	v_mul_f32_e32 v57, v51, v55
	v_fma_f32 v51, v55, v51, -v57
	v_fmac_f32_e32 v51, v55, v50
	v_sub_f32_e32 v50, v59, v54
	v_add_f32_e32 v50, v52, v50
	v_add_f32_e32 v52, v57, v51
	v_sub_f32_e32 v58, v54, v52
	v_sub_f32_e32 v54, v54, v58
	;; [unrolled: 1-line block ×4, first 2 shown]
	v_add_f32_e32 v50, v50, v52
	v_sub_f32_e32 v51, v57, v51
	v_cvt_f32_i32_e32 v49, v49
	v_add_f32_e32 v50, v51, v50
	v_add_f32_e32 v51, v53, v55
	;; [unrolled: 1-line block ×3, first 2 shown]
	v_sub_f32_e32 v52, v51, v53
	v_mul_f32_e32 v50, v56, v50
	v_sub_f32_e32 v52, v55, v52
	v_add_f32_e32 v50, v52, v50
	v_mul_f32_e32 v55, 0x3f317218, v49
	v_add_f32_e32 v52, v51, v50
	v_fma_f32 v56, v49, s73, -v55
	v_mul_f32_e32 v53, v52, v52
	v_mov_b32_e32 v54, 0x3ecc95a3
	v_fmac_f32_e32 v56, 0xb102e308, v49
	v_sub_f32_e32 v49, v52, v51
	v_fmac_f32_e32 v54, 0x3e9b6dac, v53
	v_sub_f32_e32 v49, v50, v49
	v_add_f32_e32 v50, v55, v56
	v_fma_f32 v54, v53, v54, v26
	v_sub_f32_e32 v51, v50, v55
	v_ldexp_f32 v55, v52, 1
	v_mul_f32_e32 v52, v52, v53
	v_mul_f32_e32 v52, v52, v54
	v_add_f32_e32 v53, v55, v52
	v_sub_f32_e32 v54, v53, v55
	v_ldexp_f32 v49, v49, 1
	v_sub_f32_e32 v52, v52, v54
	v_add_f32_e32 v49, v49, v52
	v_add_f32_e32 v52, v53, v49
	v_sub_f32_e32 v53, v52, v53
	v_sub_f32_e32 v49, v49, v53
	v_add_f32_e32 v53, v50, v52
	v_sub_f32_e32 v54, v53, v50
	v_sub_f32_e32 v55, v53, v54
	;; [unrolled: 1-line block ×5, first 2 shown]
	v_add_f32_e32 v50, v52, v50
	v_add_f32_e32 v52, v51, v49
	v_sub_f32_e32 v54, v52, v51
	v_sub_f32_e32 v55, v52, v54
	;; [unrolled: 1-line block ×4, first 2 shown]
	v_add_f32_e32 v50, v52, v50
	v_add_f32_e32 v49, v49, v51
	;; [unrolled: 1-line block ×3, first 2 shown]
	v_sub_f32_e32 v52, v51, v53
	v_sub_f32_e32 v50, v50, v52
	v_add_f32_e32 v49, v49, v50
	v_add_f32_e32 v49, v51, v49
	v_cmp_neq_f32_e32 vcc, s64, v46
	v_cndmask_b32_e32 v49, v37, v49, vcc
	v_cmp_ngt_f32_e32 vcc, -1.0, v46
	v_cndmask_b32_e32 v49, v39, v49, vcc
	v_cmp_neq_f32_e32 vcc, -1.0, v46
	v_cndmask_b32_e32 v49, v40, v49, vcc
	v_cmp_lt_f32_e64 vcc, |v46|, s74
	v_cndmask_b32_e32 v46, v49, v46, vcc
.LBB49_30:                              ;   in Loop: Header=BB49_4 Depth=1
	s_andn2_saveexec_b64 s[54:55], s[54:55]
	s_cbranch_execz .LBB49_36
; %bb.31:                               ;   in Loop: Header=BB49_4 Depth=1
	v_cmp_nlt_f32_e64 s[20:21], |v10|, 1.0
                                        ; implicit-def: $vgpr46
	s_and_saveexec_b64 s[56:57], s[20:21]
	s_xor_b64 s[56:57], exec, s[56:57]
	s_cbranch_execz .LBB49_33
; %bb.32:                               ;   in Loop: Header=BB49_4 Depth=1
	v_mul_f32_e32 v46, v7, v44
	v_mul_f32_e32 v49, 0x4f800000, v46
	v_cmp_gt_f32_e32 vcc, s66, v46
	v_cndmask_b32_e32 v46, v46, v49, vcc
	v_sqrt_f32_e32 v49, v46
	v_add_u32_e32 v50, -1, v49
	v_fma_f32 v52, -v50, v49, v46
	v_add_u32_e32 v51, 1, v49
	v_cmp_ge_f32_e64 s[20:21], 0, v52
	v_cndmask_b32_e64 v50, v49, v50, s[20:21]
	v_fma_f32 v49, -v51, v49, v46
	v_cmp_lt_f32_e64 s[20:21], 0, v49
	v_cndmask_b32_e64 v49, v50, v51, s[20:21]
	v_mul_f32_e32 v50, 0x37800000, v49
	v_cndmask_b32_e32 v49, v49, v50, vcc
	v_cmp_class_f32_e32 vcc, v46, v25
	v_cndmask_b32_e32 v46, v49, v46, vcc
	v_add_f32_e32 v46, v7, v46
	v_add_f32_e32 v51, 1.0, v46
	v_cvt_f64_f32_e32 v[49:50], v51
	v_add_f32_e32 v52, -1.0, v51
	v_frexp_exp_i32_f64_e32 v49, v[49:50]
	v_sub_f32_e32 v50, v52, v51
	v_add_f32_e32 v50, 1.0, v50
	v_sub_f32_e32 v52, v46, v52
	v_add_f32_e32 v50, v52, v50
	v_frexp_mant_f32_e32 v52, v51
	v_cmp_gt_f32_e32 vcc, s72, v52
	v_subbrev_co_u32_e32 v49, vcc, 0, v49, vcc
	v_sub_u32_e32 v52, 0, v49
	v_ldexp_f32 v51, v51, v52
	v_ldexp_f32 v50, v50, v52
	v_add_f32_e32 v52, -1.0, v51
	v_add_f32_e32 v55, 1.0, v51
	v_add_f32_e32 v53, 1.0, v52
	v_add_f32_e32 v56, -1.0, v55
	v_sub_f32_e32 v53, v51, v53
	v_sub_f32_e32 v51, v51, v56
	v_add_f32_e32 v53, v50, v53
	v_add_f32_e32 v50, v50, v51
	;; [unrolled: 1-line block ×3, first 2 shown]
	v_rcp_f32_e32 v56, v51
	v_add_f32_e32 v54, v52, v53
	v_sub_f32_e32 v52, v54, v52
	v_sub_f32_e32 v52, v53, v52
	;; [unrolled: 1-line block ×4, first 2 shown]
	v_mul_f32_e32 v53, v54, v56
	v_mul_f32_e32 v55, v51, v53
	v_fma_f32 v57, v53, v51, -v55
	v_fmac_f32_e32 v57, v53, v50
	v_add_f32_e32 v58, v55, v57
	v_sub_f32_e32 v59, v54, v58
	v_sub_f32_e32 v54, v54, v59
	;; [unrolled: 1-line block ×4, first 2 shown]
	v_add_f32_e32 v52, v52, v54
	v_sub_f32_e32 v54, v55, v57
	v_add_f32_e32 v52, v54, v52
	v_add_f32_e32 v54, v59, v52
	v_mul_f32_e32 v55, v56, v54
	v_mul_f32_e32 v57, v51, v55
	v_fma_f32 v51, v55, v51, -v57
	v_fmac_f32_e32 v51, v55, v50
	v_sub_f32_e32 v50, v59, v54
	v_add_f32_e32 v50, v52, v50
	v_add_f32_e32 v52, v57, v51
	v_sub_f32_e32 v58, v54, v52
	v_sub_f32_e32 v54, v54, v58
	;; [unrolled: 1-line block ×4, first 2 shown]
	v_add_f32_e32 v50, v50, v52
	v_sub_f32_e32 v51, v57, v51
	v_cvt_f32_i32_e32 v49, v49
	v_add_f32_e32 v50, v51, v50
	v_add_f32_e32 v51, v53, v55
	;; [unrolled: 1-line block ×3, first 2 shown]
	v_sub_f32_e32 v52, v51, v53
	v_mul_f32_e32 v50, v56, v50
	v_sub_f32_e32 v52, v55, v52
	v_add_f32_e32 v50, v52, v50
	v_mul_f32_e32 v55, 0x3f317218, v49
	v_add_f32_e32 v52, v51, v50
	v_fma_f32 v56, v49, s73, -v55
	v_mul_f32_e32 v53, v52, v52
	v_mov_b32_e32 v54, 0x3ecc95a3
	v_fmac_f32_e32 v56, 0xb102e308, v49
	v_sub_f32_e32 v49, v52, v51
	v_fmac_f32_e32 v54, 0x3e9b6dac, v53
	v_sub_f32_e32 v49, v50, v49
	v_add_f32_e32 v50, v55, v56
	v_fma_f32 v54, v53, v54, v26
	v_sub_f32_e32 v51, v50, v55
	v_ldexp_f32 v55, v52, 1
	v_mul_f32_e32 v52, v52, v53
	v_mul_f32_e32 v52, v52, v54
	v_add_f32_e32 v53, v55, v52
	v_sub_f32_e32 v54, v53, v55
	v_ldexp_f32 v49, v49, 1
	v_sub_f32_e32 v52, v52, v54
	v_add_f32_e32 v49, v49, v52
	v_add_f32_e32 v52, v53, v49
	v_sub_f32_e32 v53, v52, v53
	v_sub_f32_e32 v49, v49, v53
	v_add_f32_e32 v53, v50, v52
	v_sub_f32_e32 v54, v53, v50
	v_sub_f32_e32 v55, v53, v54
	;; [unrolled: 1-line block ×5, first 2 shown]
	v_add_f32_e32 v50, v52, v50
	v_add_f32_e32 v52, v51, v49
	v_sub_f32_e32 v54, v52, v51
	v_sub_f32_e32 v55, v52, v54
	;; [unrolled: 1-line block ×4, first 2 shown]
	v_add_f32_e32 v50, v52, v50
	v_add_f32_e32 v49, v49, v51
	;; [unrolled: 1-line block ×3, first 2 shown]
	v_sub_f32_e32 v52, v51, v53
	v_sub_f32_e32 v50, v50, v52
	v_add_f32_e32 v49, v49, v50
	v_add_f32_e32 v49, v51, v49
	v_cmp_neq_f32_e32 vcc, s64, v46
	v_cndmask_b32_e32 v49, v37, v49, vcc
	v_cmp_ngt_f32_e32 vcc, -1.0, v46
	v_cndmask_b32_e32 v49, v39, v49, vcc
	v_cmp_neq_f32_e32 vcc, -1.0, v46
	v_cndmask_b32_e32 v49, v40, v49, vcc
	v_cmp_lt_f32_e64 vcc, |v46|, s74
	v_cndmask_b32_e32 v46, v49, v46, vcc
.LBB49_33:                              ;   in Loop: Header=BB49_4 Depth=1
	s_andn2_saveexec_b64 s[56:57], s[56:57]
	s_cbranch_execz .LBB49_35
; %bb.34:                               ;   in Loop: Header=BB49_4 Depth=1
	v_sub_f32_e64 v46, 1.0, |v10|
	v_mul_f32_e32 v46, v46, v44
	v_mul_f32_e32 v49, 0x4f800000, v46
	v_cmp_gt_f32_e32 vcc, s66, v46
	v_cndmask_b32_e32 v46, v46, v49, vcc
	v_sqrt_f32_e32 v49, v46
	v_add_u32_e32 v50, -1, v49
	v_fma_f32 v52, -v50, v49, v46
	v_add_u32_e32 v51, 1, v49
	v_cmp_ge_f32_e64 s[20:21], 0, v52
	v_cndmask_b32_e64 v50, v49, v50, s[20:21]
	v_fma_f32 v49, -v51, v49, v46
	v_cmp_lt_f32_e64 s[20:21], 0, v49
	v_cndmask_b32_e64 v49, v50, v51, s[20:21]
	v_mul_f32_e32 v50, 0x37800000, v49
	v_cndmask_b32_e32 v49, v49, v50, vcc
	v_cmp_class_f32_e32 vcc, v46, v25
	v_cndmask_b32_e32 v46, v49, v46, vcc
	v_and_b32_e32 v49, 0x7fffffff, v11
	v_div_scale_f32 v50, s[20:21], v46, v46, v49
	v_div_scale_f32 v49, vcc, v49, v46, v49
	v_rcp_f32_e32 v51, v50
	v_fma_f32 v52, -v50, v51, 1.0
	v_fmac_f32_e32 v51, v52, v51
	v_mul_f32_e32 v52, v49, v51
	v_fma_f32 v53, -v50, v52, v49
	v_fmac_f32_e32 v52, v53, v51
	v_fma_f32 v49, -v50, v52, v49
	v_div_fmas_f32 v49, v49, v51, v52
	v_div_fixup_f32 v46, v49, v46, |v11|
.LBB49_35:                              ;   in Loop: Header=BB49_4 Depth=1
	s_or_b64 exec, exec, s[56:57]
.LBB49_36:                              ;   in Loop: Header=BB49_4 Depth=1
	s_or_b64 exec, exec, s[54:55]
.LBB49_37:                              ;   in Loop: Header=BB49_4 Depth=1
	s_andn2_saveexec_b64 s[52:53], s[52:53]
	s_cbranch_execz .LBB49_39
; %bb.38:                               ;   in Loop: Header=BB49_4 Depth=1
	v_mul_f32_e64 v46, |v11|, s67
	v_cmp_lt_f32_e64 vcc, |v11|, s66
	v_cndmask_b32_e64 v46, |v11|, v46, vcc
	v_sqrt_f32_e32 v49, v46
	v_add_u32_e32 v50, -1, v49
	v_fma_f32 v52, -v50, v49, v46
	v_add_u32_e32 v51, 1, v49
	v_cmp_ge_f32_e64 s[20:21], 0, v52
	v_cndmask_b32_e64 v50, v49, v50, s[20:21]
	v_fma_f32 v49, -v51, v49, v46
	v_cmp_lt_f32_e64 s[20:21], 0, v49
	v_cndmask_b32_e64 v49, v50, v51, s[20:21]
	v_mul_f32_e32 v50, 0x37800000, v49
	v_cndmask_b32_e32 v49, v49, v50, vcc
	v_cmp_class_f32_e32 vcc, v46, v25
	v_cndmask_b32_e32 v46, v49, v46, vcc
.LBB49_39:                              ;   in Loop: Header=BB49_4 Depth=1
	s_or_b64 exec, exec, s[52:53]
.LBB49_40:                              ;   in Loop: Header=BB49_4 Depth=1
	s_or_b64 exec, exec, s[50:51]
	v_cmp_nlt_f32_e64 s[50:51], |v10|, s75
                                        ; implicit-def: $sgpr20_sgpr21
                                        ; implicit-def: $vgpr49
                                        ; implicit-def: $vgpr51
                                        ; implicit-def: $vgpr50
	s_and_saveexec_b64 s[52:53], s[50:51]
	s_xor_b64 s[50:51], exec, s[52:53]
	s_cbranch_execz .LBB49_64
; %bb.41:                               ;   in Loop: Header=BB49_4 Depth=1
	v_and_b32_e32 v50, 0x7fffffff, v10
	v_div_scale_f32 v49, s[20:21], v6, v6, v50
	v_div_scale_f32 v51, vcc, v50, v6, v50
	s_mov_b64 s[20:21], 0
	v_rcp_f32_e32 v52, v49
	v_fma_f32 v53, -v49, v52, 1.0
	v_fmac_f32_e32 v52, v53, v52
	v_mul_f32_e32 v53, v51, v52
	v_fma_f32 v54, -v49, v53, v51
	v_fmac_f32_e32 v53, v54, v52
	v_fma_f32 v49, -v49, v53, v51
	v_div_fmas_f32 v49, v49, v52, v53
                                        ; implicit-def: $vgpr51
	v_div_fixup_f32 v49, v49, v6, |v10|
	v_cmp_lt_f32_e32 vcc, s76, v49
	s_and_saveexec_b64 s[52:53], vcc
	s_cbranch_execz .LBB49_63
; %bb.42:                               ;   in Loop: Header=BB49_4 Depth=1
	v_cmp_neq_f32_e64 s[20:21], |v10|, 1.0
	v_cmp_nlt_f32_e64 s[54:55], |v11|, s77
	s_or_b64 s[20:21], s[54:55], s[20:21]
                                        ; implicit-def: $vgpr51
	s_and_saveexec_b64 s[54:55], s[20:21]
	s_xor_b64 s[54:55], exec, s[54:55]
	s_cbranch_execz .LBB49_60
; %bb.43:                               ;   in Loop: Header=BB49_4 Depth=1
	v_mul_f32_e64 v51, |v7|, s71
	v_cmp_ge_f32_e64 s[20:21], |v11|, v51
                                        ; implicit-def: $vgpr51
	s_and_saveexec_b64 s[56:57], s[20:21]
	s_xor_b64 s[56:57], exec, s[56:57]
	s_cbranch_execz .LBB49_53
; %bb.44:                               ;   in Loop: Header=BB49_4 Depth=1
	v_cmp_neq_f32_e32 vcc, 0, v44
	v_mov_b32_e32 v51, v47
	s_and_saveexec_b64 s[20:21], vcc
	s_cbranch_execz .LBB49_46
; %bb.45:                               ;   in Loop: Header=BB49_4 Depth=1
	v_mul_f32_e32 v51, v11, v11
	v_add_f32_e32 v44, v44, v48
	v_div_scale_f32 v48, s[58:59], v44, v44, v51
	v_div_scale_f32 v52, vcc, v51, v44, v51
	v_rcp_f32_e32 v53, v48
	v_fma_f32 v54, -v48, v53, 1.0
	v_fmac_f32_e32 v53, v54, v53
	v_mul_f32_e32 v54, v52, v53
	v_fma_f32 v55, -v48, v54, v52
	v_fmac_f32_e32 v54, v55, v53
	v_fma_f32 v48, -v48, v54, v52
	v_div_fmas_f32 v48, v48, v53, v54
	v_div_fixup_f32 v51, v48, v44, v51
.LBB49_46:                              ;   in Loop: Header=BB49_4 Depth=1
	s_or_b64 exec, exec, s[20:21]
	v_cmp_ngt_f32_e32 vcc, 0, v7
	s_and_saveexec_b64 s[20:21], vcc
	s_xor_b64 s[20:21], exec, s[20:21]
	s_cbranch_execz .LBB49_50
; %bb.47:                               ;   in Loop: Header=BB49_4 Depth=1
	v_cmp_neq_f32_e32 vcc, 0, v7
	s_and_saveexec_b64 s[58:59], vcc
	s_cbranch_execz .LBB49_49
; %bb.48:                               ;   in Loop: Header=BB49_4 Depth=1
	v_mul_f32_e32 v11, v11, v11
	v_add_f32_e32 v7, v7, v45
	v_div_scale_f32 v44, s[86:87], v7, v7, v11
	v_div_scale_f32 v45, vcc, v11, v7, v11
	v_rcp_f32_e32 v47, v44
	v_fma_f32 v48, -v44, v47, 1.0
	v_fmac_f32_e32 v47, v48, v47
	v_mul_f32_e32 v48, v45, v47
	v_fma_f32 v52, -v44, v48, v45
	v_fmac_f32_e32 v48, v52, v47
	v_fma_f32 v44, -v44, v48, v45
	v_div_fmas_f32 v44, v44, v47, v48
	v_div_fixup_f32 v47, v44, v7, v11
.LBB49_49:                              ;   in Loop: Header=BB49_4 Depth=1
	s_or_b64 exec, exec, s[58:59]
                                        ; implicit-def: $vgpr45
                                        ; implicit-def: $vgpr7
.LBB49_50:                              ;   in Loop: Header=BB49_4 Depth=1
	s_andn2_saveexec_b64 s[20:21], s[20:21]
; %bb.51:                               ;   in Loop: Header=BB49_4 Depth=1
	v_sub_f32_e32 v47, v45, v7
; %bb.52:                               ;   in Loop: Header=BB49_4 Depth=1
	s_or_b64 exec, exec, s[20:21]
	v_mul_f32_e32 v7, 0.5, v47
	v_fmac_f32_e32 v7, 0.5, v51
	v_add_f32_e64 v6, |v10|, v6
	v_mul_f32_e32 v6, v6, v7
	v_mul_f32_e32 v7, 0x4f800000, v6
	v_cmp_gt_f32_e32 vcc, s66, v6
	v_cndmask_b32_e32 v6, v6, v7, vcc
	v_sqrt_f32_e32 v7, v6
                                        ; implicit-def: $vgpr44
	v_add_u32_e32 v10, -1, v7
	v_fma_f32 v11, -v10, v7, v6
	v_cmp_ge_f32_e64 s[20:21], 0, v11
	v_add_u32_e32 v11, 1, v7
	v_cndmask_b32_e64 v10, v7, v10, s[20:21]
	v_fma_f32 v7, -v11, v7, v6
	v_cmp_lt_f32_e64 s[20:21], 0, v7
	v_cndmask_b32_e64 v7, v10, v11, s[20:21]
	v_mul_f32_e32 v10, 0x37800000, v7
	v_cndmask_b32_e32 v7, v7, v10, vcc
	v_cmp_class_f32_e32 vcc, v6, v25
	v_cndmask_b32_e32 v51, v7, v6, vcc
                                        ; implicit-def: $vgpr11
                                        ; implicit-def: $vgpr7
.LBB49_53:                              ;   in Loop: Header=BB49_4 Depth=1
	s_andn2_saveexec_b64 s[56:57], s[56:57]
	s_cbranch_execz .LBB49_59
; %bb.54:                               ;   in Loop: Header=BB49_4 Depth=1
	v_cmp_ngt_f32_e64 s[20:21], |v10|, 1.0
                                        ; implicit-def: $vgpr51
	s_and_saveexec_b64 s[58:59], s[20:21]
	s_xor_b64 s[58:59], exec, s[58:59]
	s_cbranch_execz .LBB49_56
; %bb.55:                               ;   in Loop: Header=BB49_4 Depth=1
	v_sub_f32_e64 v6, 1.0, |v10|
	v_mul_f32_e32 v6, v6, v44
	v_mul_f32_e32 v7, 0x4f800000, v6
	v_cmp_gt_f32_e32 vcc, s66, v6
	v_cndmask_b32_e32 v6, v6, v7, vcc
	v_sqrt_f32_e32 v7, v6
	v_add_u32_e32 v10, -1, v7
	v_fma_f32 v44, -v10, v7, v6
	v_add_u32_e32 v11, 1, v7
	v_cmp_ge_f32_e64 s[20:21], 0, v44
	v_cndmask_b32_e64 v10, v7, v10, s[20:21]
	v_fma_f32 v7, -v11, v7, v6
	v_cmp_lt_f32_e64 s[20:21], 0, v7
	v_cndmask_b32_e64 v7, v10, v11, s[20:21]
	v_mul_f32_e32 v10, 0x37800000, v7
	v_cndmask_b32_e32 v7, v7, v10, vcc
	v_cmp_class_f32_e32 vcc, v6, v25
	v_cndmask_b32_e32 v51, v7, v6, vcc
                                        ; implicit-def: $vgpr11
                                        ; implicit-def: $vgpr44
                                        ; implicit-def: $vgpr7
.LBB49_56:                              ;   in Loop: Header=BB49_4 Depth=1
	s_andn2_saveexec_b64 s[58:59], s[58:59]
	s_cbranch_execz .LBB49_58
; %bb.57:                               ;   in Loop: Header=BB49_4 Depth=1
	v_mul_f32_e32 v6, v44, v7
	v_mul_f32_e32 v7, 0x4f800000, v6
	v_cmp_gt_f32_e32 vcc, s66, v6
	v_cndmask_b32_e32 v6, v6, v7, vcc
	v_sqrt_f32_e32 v7, v6
	v_mul_f32_e64 v11, |v11|, s78
	v_mul_f32_e64 v11, |v10|, v11
	v_mul_f32_e64 v50, |v10|, s78
	v_add_u32_e32 v44, -1, v7
	v_fma_f32 v45, -v44, v7, v6
	v_cmp_ge_f32_e64 s[20:21], 0, v45
	v_add_u32_e32 v45, 1, v7
	v_cndmask_b32_e64 v44, v7, v44, s[20:21]
	v_fma_f32 v7, -v45, v7, v6
	v_cmp_lt_f32_e64 s[20:21], 0, v7
	v_cndmask_b32_e64 v7, v44, v45, s[20:21]
	v_mul_f32_e32 v44, 0x37800000, v7
	v_cndmask_b32_e32 v7, v7, v44, vcc
	v_cmp_class_f32_e32 vcc, v6, v25
	v_cndmask_b32_e32 v6, v7, v6, vcc
	v_div_scale_f32 v7, s[20:21], v6, v6, v11
	v_div_scale_f32 v44, vcc, v11, v6, v11
	v_rcp_f32_e32 v45, v7
	v_fma_f32 v47, -v7, v45, 1.0
	v_fmac_f32_e32 v45, v47, v45
	v_mul_f32_e32 v47, v44, v45
	v_fma_f32 v48, -v7, v47, v44
	v_fmac_f32_e32 v47, v48, v45
	v_fma_f32 v7, -v7, v47, v44
	v_div_fmas_f32 v7, v7, v45, v47
	v_div_fixup_f32 v51, v7, v6, v11
.LBB49_58:                              ;   in Loop: Header=BB49_4 Depth=1
	s_or_b64 exec, exec, s[58:59]
.LBB49_59:                              ;   in Loop: Header=BB49_4 Depth=1
	s_or_b64 exec, exec, s[56:57]
                                        ; implicit-def: $vgpr11
                                        ; implicit-def: $vgpr6
.LBB49_60:                              ;   in Loop: Header=BB49_4 Depth=1
	s_andn2_saveexec_b64 s[54:55], s[54:55]
	s_cbranch_execz .LBB49_62
; %bb.61:                               ;   in Loop: Header=BB49_4 Depth=1
	v_mul_f32_e64 v7, |v11|, s67
	v_cmp_lt_f32_e64 vcc, |v11|, s66
	v_cndmask_b32_e64 v7, |v11|, v7, vcc
	v_sqrt_f32_e32 v10, v7
	v_add_f32_e32 v6, 1.0, v6
	v_mul_f32_e32 v6, 0.5, v6
	v_mov_b32_e32 v50, 1.0
	v_add_u32_e32 v11, -1, v10
	v_fma_f32 v45, -v11, v10, v7
	v_add_u32_e32 v44, 1, v10
	v_cmp_ge_f32_e64 s[20:21], 0, v45
	v_cndmask_b32_e64 v11, v10, v11, s[20:21]
	v_fma_f32 v10, -v44, v10, v7
	v_cmp_lt_f32_e64 s[20:21], 0, v10
	v_cndmask_b32_e64 v10, v11, v44, s[20:21]
	v_mul_f32_e32 v11, 0x37800000, v10
	v_cndmask_b32_e32 v10, v10, v11, vcc
	v_mul_f32_e32 v11, 0x4f800000, v6
	v_cmp_gt_f32_e32 vcc, s66, v6
	v_cndmask_b32_e32 v6, v6, v11, vcc
	v_sqrt_f32_e32 v11, v6
	v_cmp_class_f32_e64 s[20:21], v7, v25
	v_cndmask_b32_e64 v7, v10, v7, s[20:21]
	v_add_u32_e32 v10, -1, v11
	v_fma_f32 v44, -v10, v11, v6
	v_cmp_ge_f32_e64 s[20:21], 0, v44
	v_add_u32_e32 v44, 1, v11
	v_cndmask_b32_e64 v10, v11, v10, s[20:21]
	v_fma_f32 v11, -v44, v11, v6
	v_cmp_lt_f32_e64 s[20:21], 0, v11
	v_cndmask_b32_e64 v10, v10, v44, s[20:21]
	v_mul_f32_e32 v11, 0x37800000, v10
	v_cndmask_b32_e32 v10, v10, v11, vcc
	v_cmp_class_f32_e32 vcc, v6, v25
	v_cndmask_b32_e32 v6, v10, v6, vcc
	v_mul_f32_e32 v51, v7, v6
.LBB49_62:                              ;   in Loop: Header=BB49_4 Depth=1
	s_or_b64 exec, exec, s[54:55]
	s_mov_b64 s[20:21], exec
.LBB49_63:                              ;   in Loop: Header=BB49_4 Depth=1
	s_or_b64 exec, exec, s[52:53]
                                        ; implicit-def: $vgpr6
                                        ; implicit-def: $vgpr10
.LBB49_64:                              ;   in Loop: Header=BB49_4 Depth=1
	s_andn2_saveexec_b64 s[50:51], s[50:51]
; %bb.65:                               ;   in Loop: Header=BB49_4 Depth=1
	v_mul_f32_e32 v51, 0x4b800000, v6
	v_mul_f32_e64 v50, |v10|, s79
	s_or_b64 s[20:21], s[20:21], exec
                                        ; implicit-def: $vgpr49
; %bb.66:                               ;   in Loop: Header=BB49_4 Depth=1
	s_or_b64 exec, exec, s[50:51]
	s_xor_b64 s[20:21], s[20:21], -1
                                        ; implicit-def: $vgpr6
	s_and_saveexec_b64 s[50:51], s[20:21]
	s_xor_b64 s[50:51], exec, s[50:51]
	s_cbranch_execz .LBB49_72
; %bb.67:                               ;   in Loop: Header=BB49_4 Depth=1
	v_mul_f32_e32 v7, v49, v49
	v_fma_f32 v10, |v49|, -0.5, 0.5
                                        ; implicit-def: $vgpr6
	s_and_saveexec_b64 s[20:21], s[18:19]
	s_xor_b64 s[20:21], exec, s[20:21]
	s_cbranch_execz .LBB49_69
; %bb.68:                               ;   in Loop: Header=BB49_4 Depth=1
	v_cmp_gt_f32_e64 vcc, |v49|, 0.5
	v_cndmask_b32_e32 v6, v7, v10, vcc
	v_mov_b32_e32 v7, 0x3c5fc5da
	v_fmac_f32_e32 v7, 0x3d1c21a7, v6
	v_fma_f32 v7, v6, v7, v27
	v_fma_f32 v7, v6, v7, v28
	v_sqrt_f32_e32 v10, v6
	v_fma_f32 v7, v6, v7, v29
	v_fma_f32 v7, v6, v7, v30
	v_mul_f32_e32 v6, v6, v7
	v_fmac_f32_e32 v10, v10, v6
	v_fmac_f32_e32 v49, v49, v6
	v_add_f32_e32 v7, v10, v10
	v_sub_f32_e32 v6, 0x3fc90fdb, v49
	v_cndmask_b32_e32 v6, v6, v7, vcc
                                        ; implicit-def: $vgpr49
                                        ; implicit-def: $vgpr7
                                        ; implicit-def: $vgpr10
.LBB49_69:                              ;   in Loop: Header=BB49_4 Depth=1
	s_andn2_saveexec_b64 s[52:53], s[20:21]
	s_cbranch_execz .LBB49_71
; %bb.70:                               ;   in Loop: Header=BB49_4 Depth=1
	v_cmp_gt_f32_e64 vcc, |v49|, 0.5
	v_cndmask_b32_e32 v6, v7, v10, vcc
	v_mov_b32_e32 v7, 0x3c5fc5da
	v_fmac_f32_e32 v7, 0x3d1c21a7, v6
	v_fma_f32 v7, v6, v7, v27
	v_fma_f32 v7, v6, v7, v28
	v_sqrt_f32_e32 v10, v6
	v_fma_f32 v7, v6, v7, v29
	v_fma_f32 v7, v6, v7, v30
	v_mul_f32_e32 v6, v6, v7
	v_fmac_f32_e32 v10, v10, v6
	v_add_f32_e32 v7, v10, v10
	v_sub_f32_e32 v10, 0x40490fdb, v7
	v_cmp_lt_f32_e64 s[20:21], 0, v49
	v_fma_f32 v6, -v49, v6, -v49
	v_cndmask_b32_e64 v7, v7, v10, s[20:21]
	v_sub_f32_e32 v6, 0x3fc90fdb, v6
	v_cndmask_b32_e32 v6, v6, v7, vcc
.LBB49_71:                              ;   in Loop: Header=BB49_4 Depth=1
	s_or_b64 exec, exec, s[52:53]
                                        ; implicit-def: $vgpr50
                                        ; implicit-def: $vgpr51
.LBB49_72:                              ;   in Loop: Header=BB49_4 Depth=1
	s_andn2_saveexec_b64 s[20:21], s[50:51]
	s_cbranch_execz .LBB49_78
; %bb.73:                               ;   in Loop: Header=BB49_4 Depth=1
	v_max_f32_e64 v6, |v51|, |v51|
	v_max_f32_e32 v7, v50, v50
	v_min_f32_e32 v10, v7, v6
	v_max_f32_e32 v6, v7, v6
	v_frexp_mant_f32_e32 v7, v6
	v_rcp_f32_e32 v7, v7
	v_frexp_exp_i32_f32_e32 v6, v6
	v_frexp_exp_i32_f32_e32 v11, v10
	v_frexp_mant_f32_e32 v10, v10
	v_mul_f32_e32 v7, v10, v7
	v_sub_u32_e32 v6, v11, v6
	v_ldexp_f32 v6, v7, v6
	v_mul_f32_e32 v7, v6, v6
	v_mov_b32_e32 v10, 0xbc7a590c
	v_fmac_f32_e32 v10, 0x3b2d2a58, v7
	v_fma_f32 v10, v7, v10, v31
	v_fma_f32 v10, v7, v10, v32
	;; [unrolled: 1-line block ×6, first 2 shown]
	v_mul_f32_e32 v7, v7, v10
	v_fmac_f32_e32 v6, v6, v7
	v_sub_f32_e32 v7, 0x3fc90fdb, v6
	v_cmp_gt_f32_e64 vcc, |v51|, v50
	v_cndmask_b32_e32 v7, v6, v7, vcc
	v_cmp_class_f32_e64 s[50:51], v51, s80
                                        ; implicit-def: $vgpr6
	s_and_saveexec_b64 s[52:53], s[18:19]
	s_xor_b64 s[18:19], exec, s[52:53]
; %bb.74:                               ;   in Loop: Header=BB49_4 Depth=1
	v_cmp_neq_f32_e32 vcc, 0, v51
	v_cndmask_b32_e32 v6, 0, v7, vcc
	v_cmp_eq_f32_e32 vcc, s64, v50
	s_and_b64 vcc, vcc, s[50:51]
	v_cndmask_b32_e32 v6, v6, v41, vcc
	v_cmp_o_f32_e32 vcc, v51, v51
	v_cndmask_b32_e32 v6, v39, v6, vcc
	v_bfi_b32 v6, s63, v6, v51
                                        ; implicit-def: $vgpr7
                                        ; implicit-def: $vgpr50
                                        ; implicit-def: $vgpr51
; %bb.75:                               ;   in Loop: Header=BB49_4 Depth=1
	s_andn2_saveexec_b64 s[18:19], s[18:19]
	s_cbranch_execz .LBB49_77
; %bb.76:                               ;   in Loop: Header=BB49_4 Depth=1
	v_sub_f32_e32 v6, 0x40490fdb, v7
	v_cmp_lt_f32_e32 vcc, 0, v50
	v_cndmask_b32_e32 v6, v7, v6, vcc
	v_cmp_neq_f32_e32 vcc, 0, v51
	v_cndmask_b32_e32 v6, v42, v6, vcc
	v_cmp_eq_f32_e32 vcc, s64, v50
	s_and_b64 vcc, vcc, s[50:51]
	v_cndmask_b32_e32 v6, v6, v43, vcc
	v_cmp_o_f32_e32 vcc, v51, v51
	v_cndmask_b32_e32 v6, v39, v6, vcc
	v_bfi_b32 v6, s63, v6, v51
.LBB49_77:                              ;   in Loop: Header=BB49_4 Depth=1
	s_or_b64 exec, exec, s[18:19]
.LBB49_78:                              ;   in Loop: Header=BB49_4 Depth=1
	s_or_b64 exec, exec, s[20:21]
	v_cndmask_b32_e64 v7, -v46, v46, s[14:15]
                                        ; implicit-def: $vgpr10
.LBB49_79:                              ;   in Loop: Header=BB49_4 Depth=1
	s_andn2_saveexec_b64 s[18:19], s[48:49]
	s_cbranch_execz .LBB49_81
; %bb.80:                               ;   in Loop: Header=BB49_4 Depth=1
	v_mov_b32_e32 v45, s27
	v_mov_b32_e32 v44, s26
	flat_load_dword v6, v[44:45] glc
	s_waitcnt vmcnt(0) lgkmcnt(0)
	v_sub_f32_e32 v6, v6, v10
	v_add_f32_e32 v6, 0x3fc90fdb, v6
.LBB49_81:                              ;   in Loop: Header=BB49_4 Depth=1
	s_or_b64 exec, exec, s[18:19]
.LBB49_82:                              ;   in Loop: Header=BB49_4 Depth=1
	s_andn2_saveexec_b64 s[18:19], s[46:47]
; %bb.83:                               ;   in Loop: Header=BB49_4 Depth=1
	v_mov_b32_e32 v6, 0
; %bb.84:                               ;   in Loop: Header=BB49_4 Depth=1
	s_or_b64 exec, exec, s[18:19]
                                        ; implicit-def: $vgpr10
                                        ; implicit-def: $vgpr46
                                        ; implicit-def: $vgpr45
                                        ; implicit-def: $vgpr44
.LBB49_85:                              ;   in Loop: Header=BB49_4 Depth=1
	s_andn2_saveexec_b64 s[44:45], s[44:45]
	s_cbranch_execz .LBB49_95
; %bb.86:                               ;   in Loop: Header=BB49_4 Depth=1
	v_cmp_lt_f32_e64 s[18:19], |v10|, |v11|
	v_cndmask_b32_e64 v47, |v10|, |v11|, s[18:19]
	v_cmp_nlt_f32_e32 vcc, s81, v47
                                        ; implicit-def: $vgpr7
                                        ; implicit-def: $vgpr6
	s_and_saveexec_b64 s[20:21], vcc
	s_xor_b64 s[46:47], exec, s[20:21]
	s_cbranch_execz .LBB49_92
; %bb.87:                               ;   in Loop: Header=BB49_4 Depth=1
	v_cndmask_b32_e64 v48, |v11|, |v10|, s[18:19]
	v_cmp_nlt_f32_e32 vcc, s82, v47
	v_cmp_ngt_f32_e64 s[20:21], s83, v48
	s_and_b64 s[20:21], vcc, s[20:21]
                                        ; implicit-def: $vgpr7
                                        ; implicit-def: $vgpr6
	s_and_saveexec_b64 s[48:49], s[20:21]
	s_xor_b64 s[20:21], exec, s[48:49]
	s_cbranch_execz .LBB49_89
; %bb.88:                               ;   in Loop: Header=BB49_4 Depth=1
	v_mul_f32_e32 v6, v48, v48
	v_fmac_f32_e32 v6, v47, v47
	v_cmp_gt_f32_e32 vcc, s68, v6
	v_cndmask_b32_e64 v7, 0, 32, vcc
	v_ldexp_f32 v6, v6, v7
	v_log_f32_e32 v6, v6
	v_cndmask_b32_e32 v7, 0, v38, vcc
	v_mul_f32_e32 v47, 0x3f317217, v6
	v_fma_f32 v47, v6, s69, -v47
	v_fmac_f32_e32 v47, 0x3377d1cf, v6
	v_fmac_f32_e32 v47, 0x3f317217, v6
	v_cmp_lt_f32_e64 vcc, |v6|, s64
	v_cndmask_b32_e32 v6, v6, v47, vcc
	v_sub_f32_e32 v6, v6, v7
	v_mul_f32_e32 v7, 0.5, v6
	v_min_f32_e32 v6, v46, v45
	v_frexp_mant_f32_e32 v45, v44
	v_rcp_f32_e32 v45, v45
	v_frexp_exp_i32_f32_e32 v44, v44
	v_frexp_exp_i32_f32_e32 v46, v6
	v_frexp_mant_f32_e32 v6, v6
	v_mul_f32_e32 v6, v6, v45
	v_sub_u32_e32 v44, v46, v44
	v_ldexp_f32 v6, v6, v44
	v_mul_f32_e32 v44, v6, v6
	v_mov_b32_e32 v45, 0xbc7a590c
	v_fmac_f32_e32 v45, 0x3b2d2a58, v44
	v_fma_f32 v45, v44, v45, v31
	v_fma_f32 v45, v44, v45, v32
	;; [unrolled: 1-line block ×6, first 2 shown]
	v_mul_f32_e32 v44, v44, v45
	v_fmac_f32_e32 v6, v6, v44
                                        ; implicit-def: $vgpr44
                                        ; implicit-def: $vgpr46
                                        ; implicit-def: $vgpr45
.LBB49_89:                              ;   in Loop: Header=BB49_4 Depth=1
	s_andn2_saveexec_b64 s[20:21], s[20:21]
	s_cbranch_execz .LBB49_91
; %bb.90:                               ;   in Loop: Header=BB49_4 Depth=1
	v_cvt_f64_f32_e32 v[6:7], v44
	v_cmp_neq_f32_e32 vcc, s64, v44
	v_mov_b32_e32 v47, 0xbc7a590c
	v_frexp_exp_i32_f64_e32 v6, v[6:7]
	v_min_f32_e32 v7, v46, v45
	v_frexp_exp_i32_f32_e32 v45, v44
	v_frexp_mant_f32_e32 v46, v44
	v_rcp_f32_e32 v46, v46
	v_frexp_exp_i32_f32_e32 v48, v7
	v_frexp_mant_f32_e32 v7, v7
	v_sub_u32_e32 v45, v48, v45
	v_sub_u32_e32 v49, 0, v6
	v_ldexp_f32 v50, |v10|, v49
	v_ldexp_f32 v49, |v11|, v49
	v_mul_f32_e32 v49, v49, v49
	v_fmac_f32_e32 v49, v50, v50
	v_sqrt_f32_e32 v49, v49
	v_mul_f32_e32 v7, v7, v46
	v_ldexp_f32 v6, v49, v6
	v_cndmask_b32_e32 v6, v37, v6, vcc
	v_cmp_gt_f32_e32 vcc, s68, v6
	v_cndmask_b32_e64 v44, 0, 32, vcc
	v_ldexp_f32 v6, v6, v44
	v_log_f32_e32 v44, v6
	v_ldexp_f32 v6, v7, v45
	v_mul_f32_e32 v45, v6, v6
	v_cndmask_b32_e32 v7, 0, v38, vcc
	v_mul_f32_e32 v46, 0x3f317217, v44
	v_fma_f32 v46, v44, s69, -v46
	v_fmac_f32_e32 v46, 0x3377d1cf, v44
	v_fmac_f32_e32 v46, 0x3f317217, v44
	v_cmp_lt_f32_e64 vcc, |v44|, s64
	v_cndmask_b32_e32 v44, v44, v46, vcc
	v_fmac_f32_e32 v47, 0x3b2d2a58, v45
	v_sub_f32_e32 v7, v44, v7
	v_fma_f32 v44, v45, v47, v31
	v_fma_f32 v44, v45, v44, v32
	;; [unrolled: 1-line block ×6, first 2 shown]
	v_mul_f32_e32 v44, v45, v44
	v_fmac_f32_e32 v6, v6, v44
.LBB49_91:                              ;   in Loop: Header=BB49_4 Depth=1
	s_or_b64 exec, exec, s[20:21]
                                        ; implicit-def: $vgpr46
                                        ; implicit-def: $vgpr45
                                        ; implicit-def: $vgpr44
.LBB49_92:                              ;   in Loop: Header=BB49_4 Depth=1
	s_andn2_saveexec_b64 s[46:47], s[46:47]
	s_cbranch_execz .LBB49_94
; %bb.93:                               ;   in Loop: Header=BB49_4 Depth=1
	v_div_scale_f32 v6, s[20:21], s84, s84, v10
	v_div_scale_f32 v7, s[20:21], s84, s84, v11
	v_div_scale_f32 v47, vcc, v10, s84, v10
	v_div_scale_f32 v48, s[20:21], v11, s84, v11
	v_min_f32_e32 v45, v46, v45
	v_frexp_exp_i32_f32_e32 v46, v44
	v_frexp_mant_f32_e32 v44, v44
	v_rcp_f32_e32 v44, v44
	v_rcp_f32_e32 v49, v6
	;; [unrolled: 1-line block ×3, first 2 shown]
	v_fma_f32 v51, -v6, v49, 1.0
	v_fmac_f32_e32 v49, v51, v49
	v_fma_f32 v52, -v7, v50, 1.0
	v_fmac_f32_e32 v50, v52, v50
	v_mul_f32_e32 v51, v47, v49
	v_mul_f32_e32 v52, v48, v50
	v_fma_f32 v53, -v6, v51, v47
	v_fma_f32 v54, -v7, v52, v48
	v_fmac_f32_e32 v51, v53, v49
	v_fmac_f32_e32 v52, v54, v50
	v_fma_f32 v6, -v6, v51, v47
	v_fma_f32 v7, -v7, v52, v48
	v_div_fmas_f32 v6, v6, v49, v51
	s_mov_b64 vcc, s[20:21]
	v_div_fmas_f32 v7, v7, v50, v52
	v_frexp_exp_i32_f32_e32 v51, v45
	v_frexp_mant_f32_e32 v45, v45
	v_mul_f32_e32 v44, v45, v44
	v_mov_b32_e32 v47, 0xbc7a590c
	v_div_fixup_f32 v48, v6, s84, v10
	v_div_fixup_f32 v49, v7, s84, v11
	v_max_f32_e64 v50, |v48|, |v49|
	v_cvt_f64_f32_e32 v[6:7], v50
	v_cmp_neq_f32_e32 vcc, s64, v50
	v_frexp_exp_i32_f64_e32 v7, v[6:7]
	v_sub_u32_e32 v6, v51, v46
	v_ldexp_f32 v6, v44, v6
	v_mul_f32_e32 v44, v6, v6
	v_fmac_f32_e32 v47, 0x3b2d2a58, v44
	v_fma_f32 v45, v44, v47, v31
	v_fma_f32 v45, v44, v45, v32
	;; [unrolled: 1-line block ×3, first 2 shown]
	v_sub_u32_e32 v46, 0, v7
	v_ldexp_f32 v47, |v48|, v46
	v_ldexp_f32 v46, |v49|, v46
	v_mul_f32_e32 v46, v46, v46
	v_fmac_f32_e32 v46, v47, v47
	v_sqrt_f32_e32 v46, v46
	v_fma_f32 v45, v44, v45, v34
	v_fma_f32 v45, v44, v45, v35
	;; [unrolled: 1-line block ×3, first 2 shown]
	v_ldexp_f32 v7, v46, v7
	v_cndmask_b32_e32 v7, v37, v7, vcc
	v_cmp_gt_f32_e32 vcc, s68, v7
	v_cndmask_b32_e64 v46, 0, 32, vcc
	v_ldexp_f32 v7, v7, v46
	v_log_f32_e32 v7, v7
	v_mul_f32_e32 v44, v44, v45
	v_cndmask_b32_e32 v45, 0, v38, vcc
	v_fmac_f32_e32 v6, v6, v44
	v_mul_f32_e32 v46, 0x3f317217, v7
	v_fma_f32 v46, v7, s69, -v46
	v_fmac_f32_e32 v46, 0x3377d1cf, v7
	v_fmac_f32_e32 v46, 0x3f317217, v7
	v_cmp_lt_f32_e64 vcc, |v7|, s64
	v_cndmask_b32_e32 v7, v7, v46, vcc
	v_sub_f32_e32 v7, v7, v45
	v_add_f32_e32 v7, 1.0, v7
.LBB49_94:                              ;   in Loop: Header=BB49_4 Depth=1
	s_or_b64 exec, exec, s[46:47]
	v_sub_f32_e32 v44, 0x3fc90fdb, v6
	v_cndmask_b32_e64 v6, v6, v44, s[18:19]
	v_sub_f32_e32 v44, 0x40490fdb, v6
	v_cmp_gt_f32_e32 vcc, 0, v10
	v_cndmask_b32_e32 v6, v6, v44, vcc
	v_cndmask_b32_e64 v44, 0, v42, s[16:17]
	v_cndmask_b32_e32 v45, v41, v43, vcc
	v_cmp_class_f32_e64 s[16:17], v10, s80
	v_cmp_class_f32_e64 s[18:19], v11, s80
	v_cmp_eq_f32_e32 vcc, 0, v11
	v_cndmask_b32_e64 v6, |v6|, v44, vcc
	s_and_b64 vcc, s[18:19], s[16:17]
	v_add_f32_e32 v7, 0x3f317218, v7
	v_cndmask_b32_e32 v6, v6, v45, vcc
	v_cndmask_b32_e64 v7, -v7, v7, s[14:15]
.LBB49_95:                              ;   in Loop: Header=BB49_4 Depth=1
	s_or_b64 exec, exec, s[44:45]
                                        ; implicit-def: $vgpr11
.LBB49_96:                              ;   in Loop: Header=BB49_4 Depth=1
	s_andn2_saveexec_b64 s[14:15], s[42:43]
	s_cbranch_execz .LBB49_110
; %bb.97:                               ;   in Loop: Header=BB49_4 Depth=1
	v_cmp_neq_f32_e64 s[16:17], |v10|, s64
                                        ; implicit-def: $vgpr7
	s_and_saveexec_b64 s[18:19], s[16:17]
	s_xor_b64 s[16:17], exec, s[18:19]
	s_cbranch_execz .LBB49_107
; %bb.98:                               ;   in Loop: Header=BB49_4 Depth=1
	v_cmp_neq_f32_e64 s[18:19], |v11|, s64
	v_xor_b32_e32 v7, 0x80000000, v11
	s_and_saveexec_b64 s[20:21], s[18:19]
	s_xor_b64 s[18:19], exec, s[20:21]
	s_cbranch_execz .LBB49_104
; %bb.99:                               ;   in Loop: Header=BB49_4 Depth=1
	v_cmp_neq_f32_e32 vcc, 0, v10
                                        ; implicit-def: $vgpr7
	s_and_saveexec_b64 s[20:21], vcc
	s_xor_b64 s[20:21], exec, s[20:21]
; %bb.100:                              ;   in Loop: Header=BB49_4 Depth=1
	v_add_f32_e32 v6, 0, v11
	v_add_f32_e32 v7, v6, v10
                                        ; implicit-def: $vgpr11
; %bb.101:                              ;   in Loop: Header=BB49_4 Depth=1
	s_or_saveexec_b64 s[20:21], s[20:21]
	v_mov_b32_e32 v6, v7
	s_xor_b64 exec, exec, s[20:21]
	s_cbranch_execz .LBB49_103
; %bb.102:                              ;   in Loop: Header=BB49_4 Depth=1
	v_mov_b32_e32 v6, s26
	v_mov_b32_e32 v7, s27
	flat_load_dword v6, v[6:7] glc
	s_waitcnt vmcnt(0)
	v_add_f32_e32 v7, v11, v11
	s_waitcnt lgkmcnt(0)
	v_add_f32_e32 v6, 0x3fc90fdb, v6
.LBB49_103:                             ;   in Loop: Header=BB49_4 Depth=1
	s_or_b64 exec, exec, s[20:21]
                                        ; implicit-def: $vgpr10
.LBB49_104:                             ;   in Loop: Header=BB49_4 Depth=1
	s_andn2_saveexec_b64 s[18:19], s[18:19]
; %bb.105:                              ;   in Loop: Header=BB49_4 Depth=1
	v_add_f32_e32 v6, v10, v10
; %bb.106:                              ;   in Loop: Header=BB49_4 Depth=1
	s_or_b64 exec, exec, s[18:19]
                                        ; implicit-def: $vgpr11
.LBB49_107:                             ;   in Loop: Header=BB49_4 Depth=1
	s_andn2_saveexec_b64 s[16:17], s[16:17]
; %bb.108:                              ;   in Loop: Header=BB49_4 Depth=1
	v_add_f32_e32 v6, v11, v11
	v_mov_b32_e32 v7, 0xff800000
; %bb.109:                              ;   in Loop: Header=BB49_4 Depth=1
	s_or_b64 exec, exec, s[16:17]
.LBB49_110:                             ;   in Loop: Header=BB49_4 Depth=1
	s_or_b64 exec, exec, s[14:15]
	v_mov_b32_e32 v10, s26
	v_mov_b32_e32 v11, s27
	v_cmp_o_f32_e32 vcc, v12, v13
	flat_store_dword v[10:11], v23
	s_waitcnt vmcnt(0)
                                        ; implicit-def: $vgpr11
	s_and_saveexec_b64 s[14:15], vcc
	s_xor_b64 s[42:43], exec, s[14:15]
	s_cbranch_execz .LBB49_194
; %bb.111:                              ;   in Loop: Header=BB49_4 Depth=1
	v_max_f32_e64 v46, |v12|, |v12|
	v_max_f32_e64 v45, |v13|, |v13|
	v_max_f32_e32 v44, v45, v46
	v_cmp_gt_i32_e64 s[16:17], 0, v12
	v_cmp_lt_i32_e64 s[18:19], -1, v12
	v_cmp_gt_i32_e64 s[14:15], 0, v13
	v_cmp_nlt_f32_e32 vcc, s61, v44
                                        ; implicit-def: $vgpr11
	s_and_saveexec_b64 s[20:21], vcc
	s_xor_b64 s[44:45], exec, s[20:21]
	s_cbranch_execz .LBB49_183
; %bb.112:                              ;   in Loop: Header=BB49_4 Depth=1
	v_cmp_neq_f32_e32 vcc, 1.0, v12
	v_cmp_neq_f32_e64 s[20:21], 0, v13
	s_or_b64 s[20:21], s[20:21], vcc
	v_xor_b32_e32 v11, 0x80000000, v13
	s_and_saveexec_b64 s[46:47], s[20:21]
	s_xor_b64 s[46:47], exec, s[46:47]
	s_cbranch_execz .LBB49_180
; %bb.113:                              ;   in Loop: Header=BB49_4 Depth=1
	v_mov_b32_e32 v10, s34
	v_mov_b32_e32 v11, s35
	flat_store_dword v[10:11], v24
	s_waitcnt vmcnt(0)
	flat_load_dword v10, v[10:11] glc
	s_waitcnt vmcnt(0)
	v_cmp_nlt_f32_e64 s[20:21], |v12|, s62
	v_cmp_nlt_f32_e64 s[48:49], |v13|, s62
	s_or_b64 s[20:21], s[48:49], s[20:21]
	s_waitcnt lgkmcnt(0)
	v_add_f32_e32 v44, 1.0, v10
	v_mov_b32_e32 v10, s36
	v_mov_b32_e32 v11, s37
	flat_store_dword v[10:11], v44
	s_waitcnt vmcnt(0)
	flat_load_dword v10, v[10:11] glc
	s_waitcnt vmcnt(0) lgkmcnt(0)
	v_xor_b32_e32 v11, 0x80000000, v13
	s_and_saveexec_b64 s[48:49], s[20:21]
	s_xor_b64 s[48:49], exec, s[48:49]
	s_cbranch_execz .LBB49_177
; %bb.114:                              ;   in Loop: Header=BB49_4 Depth=1
	v_add_f32_e64 v44, |v12|, 1.0
	v_max_f32_e32 v10, v45, v44
	v_add_f32_e64 v11, |v12|, -1.0
	v_cvt_f64_f32_e32 v[46:47], v10
	v_max_f32_e64 v45, v45, |v11|
	v_cvt_f64_f32_e32 v[48:49], v45
	v_cmp_neq_f32_e32 vcc, s64, v10
	v_frexp_exp_i32_f64_e32 v46, v[46:47]
	v_frexp_exp_i32_f64_e32 v47, v[48:49]
	v_sub_u32_e32 v48, 0, v46
	v_ldexp_f32 v50, |v13|, v48
	v_sub_u32_e32 v49, 0, v47
	v_ldexp_f32 v48, v44, v48
	v_ldexp_f32 v51, |v13|, v49
	v_ldexp_f32 v49, |v11|, v49
	v_mul_f32_e32 v48, v48, v48
	v_mul_f32_e32 v49, v49, v49
	v_fmac_f32_e32 v48, v50, v50
	v_fmac_f32_e32 v49, v51, v51
	v_sqrt_f32_e32 v48, v48
	v_sqrt_f32_e32 v49, v49
	v_ldexp_f32 v46, v48, v46
	v_ldexp_f32 v47, v49, v47
	v_cndmask_b32_e32 v48, v37, v46, vcc
	v_cmp_neq_f32_e32 vcc, s64, v45
	v_cndmask_b32_e32 v45, v37, v47, vcc
	v_add_f32_e32 v10, v48, v45
	v_mul_f32_e32 v10, 0.5, v10
	v_cmp_ngt_f32_e32 vcc, 1.0, v10
	v_cndmask_b32_e32 v10, 1.0, v10, vcc
	v_cmp_ngt_f32_e32 vcc, s65, v10
                                        ; implicit-def: $vgpr46
	s_and_saveexec_b64 s[20:21], vcc
	s_xor_b64 s[50:51], exec, s[20:21]
	s_cbranch_execz .LBB49_116
; %bb.115:                              ;   in Loop: Header=BB49_4 Depth=1
	v_fma_f32 v46, v10, v10, -1.0
	v_mul_f32_e32 v47, 0x4f800000, v46
	v_cmp_gt_f32_e32 vcc, s66, v46
	v_cndmask_b32_e32 v46, v46, v47, vcc
	v_sqrt_f32_e32 v47, v46
	v_add_u32_e32 v49, -1, v47
	v_fma_f32 v51, -v49, v47, v46
	v_add_u32_e32 v50, 1, v47
	v_cmp_ge_f32_e64 s[20:21], 0, v51
	v_cndmask_b32_e64 v49, v47, v49, s[20:21]
	v_fma_f32 v47, -v50, v47, v46
	v_cmp_lt_f32_e64 s[20:21], 0, v47
	v_cndmask_b32_e64 v47, v49, v50, s[20:21]
	v_mul_f32_e32 v49, 0x37800000, v47
	v_cndmask_b32_e32 v47, v47, v49, vcc
	v_cmp_class_f32_e32 vcc, v46, v25
	v_cndmask_b32_e32 v46, v47, v46, vcc
	v_add_f32_e32 v46, v10, v46
	v_cmp_gt_f32_e32 vcc, s68, v46
	v_cndmask_b32_e64 v47, 0, 32, vcc
	v_ldexp_f32 v46, v46, v47
	v_log_f32_e32 v46, v46
	v_mul_f32_e32 v47, 0x3f317217, v46
	v_fma_f32 v47, v46, s69, -v47
	v_fmac_f32_e32 v47, 0x3377d1cf, v46
	v_fmac_f32_e32 v47, 0x3f317217, v46
	v_cmp_lt_f32_e64 s[20:21], |v46|, s64
	v_cndmask_b32_e64 v46, v46, v47, s[20:21]
	v_cndmask_b32_e32 v47, 0, v38, vcc
	v_sub_f32_e32 v46, v46, v47
.LBB49_116:                             ;   in Loop: Header=BB49_4 Depth=1
	s_or_saveexec_b64 s[50:51], s[50:51]
	v_and_b32_e32 v47, 0x7fffffff, v13
	s_xor_b64 exec, exec, s[50:51]
	s_cbranch_execz .LBB49_138
; %bb.117:                              ;   in Loop: Header=BB49_4 Depth=1
	v_cmp_neq_f32_e64 s[20:21], |v12|, 1.0
	v_cmp_nlt_f32_e64 s[52:53], |v13|, s70
	s_or_b64 s[20:21], s[52:53], s[20:21]
                                        ; implicit-def: $vgpr46
	s_and_saveexec_b64 s[52:53], s[20:21]
	s_xor_b64 s[52:53], exec, s[52:53]
	s_cbranch_execz .LBB49_135
; %bb.118:                              ;   in Loop: Header=BB49_4 Depth=1
	v_mul_f32_e64 v46, |v11|, s71
	v_cmp_ge_f32_e64 s[20:21], |v13|, v46
                                        ; implicit-def: $vgpr46
	s_and_saveexec_b64 s[54:55], s[20:21]
	s_xor_b64 s[54:55], exec, s[54:55]
	s_cbranch_execz .LBB49_128
; %bb.119:                              ;   in Loop: Header=BB49_4 Depth=1
	v_cmp_neq_f32_e32 vcc, 0, v44
	v_mov_b32_e32 v46, v47
	s_and_saveexec_b64 s[20:21], vcc
	s_cbranch_execz .LBB49_121
; %bb.120:                              ;   in Loop: Header=BB49_4 Depth=1
	v_mul_f32_e32 v46, v13, v13
	v_add_f32_e32 v49, v44, v48
	v_div_scale_f32 v50, s[56:57], v49, v49, v46
	v_div_scale_f32 v51, vcc, v46, v49, v46
	v_rcp_f32_e32 v52, v50
	v_fma_f32 v53, -v50, v52, 1.0
	v_fmac_f32_e32 v52, v53, v52
	v_mul_f32_e32 v53, v51, v52
	v_fma_f32 v54, -v50, v53, v51
	v_fmac_f32_e32 v53, v54, v52
	v_fma_f32 v50, -v50, v53, v51
	v_div_fmas_f32 v50, v50, v52, v53
	v_div_fixup_f32 v46, v50, v49, v46
.LBB49_121:                             ;   in Loop: Header=BB49_4 Depth=1
	s_or_b64 exec, exec, s[20:21]
	v_sub_f32_e64 v50, 1.0, |v12|
	v_cmp_ngt_f32_e32 vcc, 0, v50
                                        ; implicit-def: $vgpr49
	s_and_saveexec_b64 s[20:21], vcc
	s_xor_b64 s[20:21], exec, s[20:21]
	s_cbranch_execz .LBB49_125
; %bb.122:                              ;   in Loop: Header=BB49_4 Depth=1
	v_cmp_neq_f32_e32 vcc, 0, v50
	v_mov_b32_e32 v49, v47
	s_and_saveexec_b64 s[56:57], vcc
	s_cbranch_execz .LBB49_124
; %bb.123:                              ;   in Loop: Header=BB49_4 Depth=1
	v_mul_f32_e32 v49, v13, v13
	v_add_f32_e32 v50, v50, v45
	v_div_scale_f32 v51, s[58:59], v50, v50, v49
	v_div_scale_f32 v52, vcc, v49, v50, v49
	v_rcp_f32_e32 v53, v51
	v_fma_f32 v54, -v51, v53, 1.0
	v_fmac_f32_e32 v53, v54, v53
	v_mul_f32_e32 v54, v52, v53
	v_fma_f32 v55, -v51, v54, v52
	v_fmac_f32_e32 v54, v55, v53
	v_fma_f32 v51, -v51, v54, v52
	v_div_fmas_f32 v51, v51, v53, v54
	v_div_fixup_f32 v49, v51, v50, v49
.LBB49_124:                             ;   in Loop: Header=BB49_4 Depth=1
	s_or_b64 exec, exec, s[56:57]
                                        ; implicit-def: $vgpr50
.LBB49_125:                             ;   in Loop: Header=BB49_4 Depth=1
	s_andn2_saveexec_b64 s[20:21], s[20:21]
; %bb.126:                              ;   in Loop: Header=BB49_4 Depth=1
	v_sub_f32_e32 v49, v45, v50
; %bb.127:                              ;   in Loop: Header=BB49_4 Depth=1
	s_or_b64 exec, exec, s[20:21]
	v_mul_f32_e32 v49, 0.5, v49
	v_fmac_f32_e32 v49, 0.5, v46
	v_add_f32_e32 v46, 1.0, v10
	v_mul_f32_e32 v46, v46, v49
	v_mul_f32_e32 v50, 0x4f800000, v46
	v_cmp_gt_f32_e32 vcc, s66, v46
	v_cndmask_b32_e32 v46, v46, v50, vcc
	v_sqrt_f32_e32 v50, v46
	v_add_u32_e32 v51, -1, v50
	v_fma_f32 v52, -v51, v50, v46
	v_cmp_ge_f32_e64 s[20:21], 0, v52
	v_add_u32_e32 v52, 1, v50
	v_cndmask_b32_e64 v51, v50, v51, s[20:21]
	v_fma_f32 v50, -v52, v50, v46
	v_cmp_lt_f32_e64 s[20:21], 0, v50
	v_cndmask_b32_e64 v50, v51, v52, s[20:21]
	v_mul_f32_e32 v51, 0x37800000, v50
	v_cndmask_b32_e32 v50, v50, v51, vcc
	v_cmp_class_f32_e32 vcc, v46, v25
	v_cndmask_b32_e32 v46, v50, v46, vcc
	v_add_f32_e32 v46, v49, v46
	v_add_f32_e32 v51, 1.0, v46
	v_cvt_f64_f32_e32 v[49:50], v51
	v_add_f32_e32 v52, -1.0, v51
	v_frexp_exp_i32_f64_e32 v49, v[49:50]
	v_sub_f32_e32 v50, v52, v51
	v_add_f32_e32 v50, 1.0, v50
	v_sub_f32_e32 v52, v46, v52
	v_add_f32_e32 v50, v52, v50
	v_frexp_mant_f32_e32 v52, v51
	v_cmp_gt_f32_e32 vcc, s72, v52
	v_subbrev_co_u32_e32 v49, vcc, 0, v49, vcc
	v_sub_u32_e32 v52, 0, v49
	v_ldexp_f32 v51, v51, v52
	v_ldexp_f32 v50, v50, v52
	v_add_f32_e32 v52, -1.0, v51
	v_add_f32_e32 v55, 1.0, v51
	v_add_f32_e32 v53, 1.0, v52
	v_add_f32_e32 v56, -1.0, v55
	v_sub_f32_e32 v53, v51, v53
	v_sub_f32_e32 v51, v51, v56
	v_add_f32_e32 v53, v50, v53
	v_add_f32_e32 v50, v50, v51
	;; [unrolled: 1-line block ×3, first 2 shown]
	v_rcp_f32_e32 v56, v51
	v_add_f32_e32 v54, v52, v53
	v_sub_f32_e32 v52, v54, v52
	v_sub_f32_e32 v52, v53, v52
	;; [unrolled: 1-line block ×4, first 2 shown]
	v_mul_f32_e32 v53, v54, v56
	v_mul_f32_e32 v55, v51, v53
	v_fma_f32 v57, v53, v51, -v55
	v_fmac_f32_e32 v57, v53, v50
	v_add_f32_e32 v58, v55, v57
	v_sub_f32_e32 v59, v54, v58
	v_sub_f32_e32 v54, v54, v59
	;; [unrolled: 1-line block ×4, first 2 shown]
	v_add_f32_e32 v52, v52, v54
	v_sub_f32_e32 v54, v55, v57
	v_add_f32_e32 v52, v54, v52
	v_add_f32_e32 v54, v59, v52
	v_mul_f32_e32 v55, v56, v54
	v_mul_f32_e32 v57, v51, v55
	v_fma_f32 v51, v55, v51, -v57
	v_fmac_f32_e32 v51, v55, v50
	v_sub_f32_e32 v50, v59, v54
	v_add_f32_e32 v50, v52, v50
	v_add_f32_e32 v52, v57, v51
	v_sub_f32_e32 v58, v54, v52
	v_sub_f32_e32 v54, v54, v58
	v_sub_f32_e32 v57, v52, v57
	v_sub_f32_e32 v52, v54, v52
	v_add_f32_e32 v50, v50, v52
	v_sub_f32_e32 v51, v57, v51
	v_cvt_f32_i32_e32 v49, v49
	v_add_f32_e32 v50, v51, v50
	v_add_f32_e32 v51, v53, v55
	;; [unrolled: 1-line block ×3, first 2 shown]
	v_sub_f32_e32 v52, v51, v53
	v_mul_f32_e32 v50, v56, v50
	v_sub_f32_e32 v52, v55, v52
	v_add_f32_e32 v50, v52, v50
	v_mul_f32_e32 v55, 0x3f317218, v49
	v_add_f32_e32 v52, v51, v50
	v_fma_f32 v56, v49, s73, -v55
	v_mul_f32_e32 v53, v52, v52
	v_mov_b32_e32 v54, 0x3ecc95a3
	v_fmac_f32_e32 v56, 0xb102e308, v49
	v_sub_f32_e32 v49, v52, v51
	v_fmac_f32_e32 v54, 0x3e9b6dac, v53
	v_sub_f32_e32 v49, v50, v49
	v_add_f32_e32 v50, v55, v56
	v_fma_f32 v54, v53, v54, v26
	v_sub_f32_e32 v51, v50, v55
	v_ldexp_f32 v55, v52, 1
	v_mul_f32_e32 v52, v52, v53
	v_mul_f32_e32 v52, v52, v54
	v_add_f32_e32 v53, v55, v52
	v_sub_f32_e32 v54, v53, v55
	v_ldexp_f32 v49, v49, 1
	v_sub_f32_e32 v52, v52, v54
	v_add_f32_e32 v49, v49, v52
	v_add_f32_e32 v52, v53, v49
	v_sub_f32_e32 v53, v52, v53
	v_sub_f32_e32 v49, v49, v53
	v_add_f32_e32 v53, v50, v52
	v_sub_f32_e32 v54, v53, v50
	v_sub_f32_e32 v55, v53, v54
	;; [unrolled: 1-line block ×5, first 2 shown]
	v_add_f32_e32 v50, v52, v50
	v_add_f32_e32 v52, v51, v49
	v_sub_f32_e32 v54, v52, v51
	v_sub_f32_e32 v55, v52, v54
	;; [unrolled: 1-line block ×4, first 2 shown]
	v_add_f32_e32 v50, v52, v50
	v_add_f32_e32 v49, v49, v51
	;; [unrolled: 1-line block ×3, first 2 shown]
	v_sub_f32_e32 v52, v51, v53
	v_sub_f32_e32 v50, v50, v52
	v_add_f32_e32 v49, v49, v50
	v_add_f32_e32 v49, v51, v49
	v_cmp_neq_f32_e32 vcc, s64, v46
	v_cndmask_b32_e32 v49, v37, v49, vcc
	v_cmp_ngt_f32_e32 vcc, -1.0, v46
	v_cndmask_b32_e32 v49, v39, v49, vcc
	v_cmp_neq_f32_e32 vcc, -1.0, v46
	v_cndmask_b32_e32 v49, v40, v49, vcc
	v_cmp_lt_f32_e64 vcc, |v46|, s74
	v_cndmask_b32_e32 v46, v49, v46, vcc
.LBB49_128:                             ;   in Loop: Header=BB49_4 Depth=1
	s_andn2_saveexec_b64 s[54:55], s[54:55]
	s_cbranch_execz .LBB49_134
; %bb.129:                              ;   in Loop: Header=BB49_4 Depth=1
	v_cmp_nlt_f32_e64 s[20:21], |v12|, 1.0
                                        ; implicit-def: $vgpr46
	s_and_saveexec_b64 s[56:57], s[20:21]
	s_xor_b64 s[56:57], exec, s[56:57]
	s_cbranch_execz .LBB49_131
; %bb.130:                              ;   in Loop: Header=BB49_4 Depth=1
	v_mul_f32_e32 v46, v11, v44
	v_mul_f32_e32 v49, 0x4f800000, v46
	v_cmp_gt_f32_e32 vcc, s66, v46
	v_cndmask_b32_e32 v46, v46, v49, vcc
	v_sqrt_f32_e32 v49, v46
	v_add_u32_e32 v50, -1, v49
	v_fma_f32 v52, -v50, v49, v46
	v_add_u32_e32 v51, 1, v49
	v_cmp_ge_f32_e64 s[20:21], 0, v52
	v_cndmask_b32_e64 v50, v49, v50, s[20:21]
	v_fma_f32 v49, -v51, v49, v46
	v_cmp_lt_f32_e64 s[20:21], 0, v49
	v_cndmask_b32_e64 v49, v50, v51, s[20:21]
	v_mul_f32_e32 v50, 0x37800000, v49
	v_cndmask_b32_e32 v49, v49, v50, vcc
	v_cmp_class_f32_e32 vcc, v46, v25
	v_cndmask_b32_e32 v46, v49, v46, vcc
	v_add_f32_e32 v46, v11, v46
	v_add_f32_e32 v51, 1.0, v46
	v_cvt_f64_f32_e32 v[49:50], v51
	v_add_f32_e32 v52, -1.0, v51
	v_frexp_exp_i32_f64_e32 v49, v[49:50]
	v_sub_f32_e32 v50, v52, v51
	v_add_f32_e32 v50, 1.0, v50
	v_sub_f32_e32 v52, v46, v52
	v_add_f32_e32 v50, v52, v50
	v_frexp_mant_f32_e32 v52, v51
	v_cmp_gt_f32_e32 vcc, s72, v52
	v_subbrev_co_u32_e32 v49, vcc, 0, v49, vcc
	v_sub_u32_e32 v52, 0, v49
	v_ldexp_f32 v51, v51, v52
	v_ldexp_f32 v50, v50, v52
	v_add_f32_e32 v52, -1.0, v51
	v_add_f32_e32 v55, 1.0, v51
	v_add_f32_e32 v53, 1.0, v52
	v_add_f32_e32 v56, -1.0, v55
	v_sub_f32_e32 v53, v51, v53
	v_sub_f32_e32 v51, v51, v56
	v_add_f32_e32 v53, v50, v53
	v_add_f32_e32 v50, v50, v51
	;; [unrolled: 1-line block ×3, first 2 shown]
	v_rcp_f32_e32 v56, v51
	v_add_f32_e32 v54, v52, v53
	v_sub_f32_e32 v52, v54, v52
	v_sub_f32_e32 v52, v53, v52
	;; [unrolled: 1-line block ×4, first 2 shown]
	v_mul_f32_e32 v53, v54, v56
	v_mul_f32_e32 v55, v51, v53
	v_fma_f32 v57, v53, v51, -v55
	v_fmac_f32_e32 v57, v53, v50
	v_add_f32_e32 v58, v55, v57
	v_sub_f32_e32 v59, v54, v58
	v_sub_f32_e32 v54, v54, v59
	;; [unrolled: 1-line block ×4, first 2 shown]
	v_add_f32_e32 v52, v52, v54
	v_sub_f32_e32 v54, v55, v57
	v_add_f32_e32 v52, v54, v52
	v_add_f32_e32 v54, v59, v52
	v_mul_f32_e32 v55, v56, v54
	v_mul_f32_e32 v57, v51, v55
	v_fma_f32 v51, v55, v51, -v57
	v_fmac_f32_e32 v51, v55, v50
	v_sub_f32_e32 v50, v59, v54
	v_add_f32_e32 v50, v52, v50
	v_add_f32_e32 v52, v57, v51
	v_sub_f32_e32 v58, v54, v52
	v_sub_f32_e32 v54, v54, v58
	v_sub_f32_e32 v57, v52, v57
	v_sub_f32_e32 v52, v54, v52
	v_add_f32_e32 v50, v50, v52
	v_sub_f32_e32 v51, v57, v51
	v_cvt_f32_i32_e32 v49, v49
	v_add_f32_e32 v50, v51, v50
	v_add_f32_e32 v51, v53, v55
	v_add_f32_e32 v50, v58, v50
	v_sub_f32_e32 v52, v51, v53
	v_mul_f32_e32 v50, v56, v50
	v_sub_f32_e32 v52, v55, v52
	v_add_f32_e32 v50, v52, v50
	v_mul_f32_e32 v55, 0x3f317218, v49
	v_add_f32_e32 v52, v51, v50
	v_fma_f32 v56, v49, s73, -v55
	v_mul_f32_e32 v53, v52, v52
	v_mov_b32_e32 v54, 0x3ecc95a3
	v_fmac_f32_e32 v56, 0xb102e308, v49
	v_sub_f32_e32 v49, v52, v51
	v_fmac_f32_e32 v54, 0x3e9b6dac, v53
	v_sub_f32_e32 v49, v50, v49
	v_add_f32_e32 v50, v55, v56
	v_fma_f32 v54, v53, v54, v26
	v_sub_f32_e32 v51, v50, v55
	v_ldexp_f32 v55, v52, 1
	v_mul_f32_e32 v52, v52, v53
	v_mul_f32_e32 v52, v52, v54
	v_add_f32_e32 v53, v55, v52
	v_sub_f32_e32 v54, v53, v55
	v_ldexp_f32 v49, v49, 1
	v_sub_f32_e32 v52, v52, v54
	v_add_f32_e32 v49, v49, v52
	v_add_f32_e32 v52, v53, v49
	v_sub_f32_e32 v53, v52, v53
	v_sub_f32_e32 v49, v49, v53
	v_add_f32_e32 v53, v50, v52
	v_sub_f32_e32 v54, v53, v50
	v_sub_f32_e32 v55, v53, v54
	;; [unrolled: 1-line block ×5, first 2 shown]
	v_add_f32_e32 v50, v52, v50
	v_add_f32_e32 v52, v51, v49
	v_sub_f32_e32 v54, v52, v51
	v_sub_f32_e32 v55, v52, v54
	;; [unrolled: 1-line block ×4, first 2 shown]
	v_add_f32_e32 v50, v52, v50
	v_add_f32_e32 v49, v49, v51
	;; [unrolled: 1-line block ×3, first 2 shown]
	v_sub_f32_e32 v52, v51, v53
	v_sub_f32_e32 v50, v50, v52
	v_add_f32_e32 v49, v49, v50
	v_add_f32_e32 v49, v51, v49
	v_cmp_neq_f32_e32 vcc, s64, v46
	v_cndmask_b32_e32 v49, v37, v49, vcc
	v_cmp_ngt_f32_e32 vcc, -1.0, v46
	v_cndmask_b32_e32 v49, v39, v49, vcc
	v_cmp_neq_f32_e32 vcc, -1.0, v46
	v_cndmask_b32_e32 v49, v40, v49, vcc
	v_cmp_lt_f32_e64 vcc, |v46|, s74
	v_cndmask_b32_e32 v46, v49, v46, vcc
.LBB49_131:                             ;   in Loop: Header=BB49_4 Depth=1
	s_andn2_saveexec_b64 s[56:57], s[56:57]
	s_cbranch_execz .LBB49_133
; %bb.132:                              ;   in Loop: Header=BB49_4 Depth=1
	v_sub_f32_e64 v46, 1.0, |v12|
	v_mul_f32_e32 v46, v46, v44
	v_mul_f32_e32 v49, 0x4f800000, v46
	v_cmp_gt_f32_e32 vcc, s66, v46
	v_cndmask_b32_e32 v46, v46, v49, vcc
	v_sqrt_f32_e32 v49, v46
	v_add_u32_e32 v50, -1, v49
	v_fma_f32 v52, -v50, v49, v46
	v_add_u32_e32 v51, 1, v49
	v_cmp_ge_f32_e64 s[20:21], 0, v52
	v_cndmask_b32_e64 v50, v49, v50, s[20:21]
	v_fma_f32 v49, -v51, v49, v46
	v_cmp_lt_f32_e64 s[20:21], 0, v49
	v_cndmask_b32_e64 v49, v50, v51, s[20:21]
	v_mul_f32_e32 v50, 0x37800000, v49
	v_cndmask_b32_e32 v49, v49, v50, vcc
	v_cmp_class_f32_e32 vcc, v46, v25
	v_cndmask_b32_e32 v46, v49, v46, vcc
	v_and_b32_e32 v49, 0x7fffffff, v13
	v_div_scale_f32 v50, s[20:21], v46, v46, v49
	v_div_scale_f32 v49, vcc, v49, v46, v49
	v_rcp_f32_e32 v51, v50
	v_fma_f32 v52, -v50, v51, 1.0
	v_fmac_f32_e32 v51, v52, v51
	v_mul_f32_e32 v52, v49, v51
	v_fma_f32 v53, -v50, v52, v49
	v_fmac_f32_e32 v52, v53, v51
	v_fma_f32 v49, -v50, v52, v49
	v_div_fmas_f32 v49, v49, v51, v52
	v_div_fixup_f32 v46, v49, v46, |v13|
.LBB49_133:                             ;   in Loop: Header=BB49_4 Depth=1
	s_or_b64 exec, exec, s[56:57]
.LBB49_134:                             ;   in Loop: Header=BB49_4 Depth=1
	s_or_b64 exec, exec, s[54:55]
.LBB49_135:                             ;   in Loop: Header=BB49_4 Depth=1
	s_andn2_saveexec_b64 s[52:53], s[52:53]
	s_cbranch_execz .LBB49_137
; %bb.136:                              ;   in Loop: Header=BB49_4 Depth=1
	v_mul_f32_e64 v46, |v13|, s67
	v_cmp_lt_f32_e64 vcc, |v13|, s66
	v_cndmask_b32_e64 v46, |v13|, v46, vcc
	v_sqrt_f32_e32 v49, v46
	v_add_u32_e32 v50, -1, v49
	v_fma_f32 v52, -v50, v49, v46
	v_add_u32_e32 v51, 1, v49
	v_cmp_ge_f32_e64 s[20:21], 0, v52
	v_cndmask_b32_e64 v50, v49, v50, s[20:21]
	v_fma_f32 v49, -v51, v49, v46
	v_cmp_lt_f32_e64 s[20:21], 0, v49
	v_cndmask_b32_e64 v49, v50, v51, s[20:21]
	v_mul_f32_e32 v50, 0x37800000, v49
	v_cndmask_b32_e32 v49, v49, v50, vcc
	v_cmp_class_f32_e32 vcc, v46, v25
	v_cndmask_b32_e32 v46, v49, v46, vcc
.LBB49_137:                             ;   in Loop: Header=BB49_4 Depth=1
	s_or_b64 exec, exec, s[52:53]
.LBB49_138:                             ;   in Loop: Header=BB49_4 Depth=1
	s_or_b64 exec, exec, s[50:51]
	v_cmp_nlt_f32_e64 s[50:51], |v12|, s75
                                        ; implicit-def: $sgpr20_sgpr21
                                        ; implicit-def: $vgpr49
                                        ; implicit-def: $vgpr51
                                        ; implicit-def: $vgpr50
	s_and_saveexec_b64 s[52:53], s[50:51]
	s_xor_b64 s[50:51], exec, s[52:53]
	s_cbranch_execz .LBB49_162
; %bb.139:                              ;   in Loop: Header=BB49_4 Depth=1
	v_and_b32_e32 v50, 0x7fffffff, v12
	v_div_scale_f32 v49, s[20:21], v10, v10, v50
	v_div_scale_f32 v51, vcc, v50, v10, v50
	s_mov_b64 s[20:21], 0
	v_rcp_f32_e32 v52, v49
	v_fma_f32 v53, -v49, v52, 1.0
	v_fmac_f32_e32 v52, v53, v52
	v_mul_f32_e32 v53, v51, v52
	v_fma_f32 v54, -v49, v53, v51
	v_fmac_f32_e32 v53, v54, v52
	v_fma_f32 v49, -v49, v53, v51
	v_div_fmas_f32 v49, v49, v52, v53
                                        ; implicit-def: $vgpr51
	v_div_fixup_f32 v49, v49, v10, |v12|
	v_cmp_lt_f32_e32 vcc, s76, v49
	s_and_saveexec_b64 s[52:53], vcc
	s_cbranch_execz .LBB49_161
; %bb.140:                              ;   in Loop: Header=BB49_4 Depth=1
	v_cmp_neq_f32_e64 s[20:21], |v12|, 1.0
	v_cmp_nlt_f32_e64 s[54:55], |v13|, s77
	s_or_b64 s[20:21], s[54:55], s[20:21]
                                        ; implicit-def: $vgpr51
	s_and_saveexec_b64 s[54:55], s[20:21]
	s_xor_b64 s[54:55], exec, s[54:55]
	s_cbranch_execz .LBB49_158
; %bb.141:                              ;   in Loop: Header=BB49_4 Depth=1
	v_mul_f32_e64 v51, |v11|, s71
	v_cmp_ge_f32_e64 s[20:21], |v13|, v51
                                        ; implicit-def: $vgpr51
	s_and_saveexec_b64 s[56:57], s[20:21]
	s_xor_b64 s[56:57], exec, s[56:57]
	s_cbranch_execz .LBB49_151
; %bb.142:                              ;   in Loop: Header=BB49_4 Depth=1
	v_cmp_neq_f32_e32 vcc, 0, v44
	v_mov_b32_e32 v51, v47
	s_and_saveexec_b64 s[20:21], vcc
	s_cbranch_execz .LBB49_144
; %bb.143:                              ;   in Loop: Header=BB49_4 Depth=1
	v_mul_f32_e32 v51, v13, v13
	v_add_f32_e32 v44, v44, v48
	v_div_scale_f32 v48, s[58:59], v44, v44, v51
	v_div_scale_f32 v52, vcc, v51, v44, v51
	v_rcp_f32_e32 v53, v48
	v_fma_f32 v54, -v48, v53, 1.0
	v_fmac_f32_e32 v53, v54, v53
	v_mul_f32_e32 v54, v52, v53
	v_fma_f32 v55, -v48, v54, v52
	v_fmac_f32_e32 v54, v55, v53
	v_fma_f32 v48, -v48, v54, v52
	v_div_fmas_f32 v48, v48, v53, v54
	v_div_fixup_f32 v51, v48, v44, v51
.LBB49_144:                             ;   in Loop: Header=BB49_4 Depth=1
	s_or_b64 exec, exec, s[20:21]
	v_cmp_ngt_f32_e32 vcc, 0, v11
	s_and_saveexec_b64 s[20:21], vcc
	s_xor_b64 s[20:21], exec, s[20:21]
	s_cbranch_execz .LBB49_148
; %bb.145:                              ;   in Loop: Header=BB49_4 Depth=1
	v_cmp_neq_f32_e32 vcc, 0, v11
	s_and_saveexec_b64 s[58:59], vcc
	s_cbranch_execz .LBB49_147
; %bb.146:                              ;   in Loop: Header=BB49_4 Depth=1
	v_mul_f32_e32 v13, v13, v13
	v_add_f32_e32 v11, v11, v45
	v_div_scale_f32 v44, s[86:87], v11, v11, v13
	v_div_scale_f32 v45, vcc, v13, v11, v13
	v_rcp_f32_e32 v47, v44
	v_fma_f32 v48, -v44, v47, 1.0
	v_fmac_f32_e32 v47, v48, v47
	v_mul_f32_e32 v48, v45, v47
	v_fma_f32 v52, -v44, v48, v45
	v_fmac_f32_e32 v48, v52, v47
	v_fma_f32 v44, -v44, v48, v45
	v_div_fmas_f32 v44, v44, v47, v48
	v_div_fixup_f32 v47, v44, v11, v13
.LBB49_147:                             ;   in Loop: Header=BB49_4 Depth=1
	s_or_b64 exec, exec, s[58:59]
                                        ; implicit-def: $vgpr45
                                        ; implicit-def: $vgpr11
.LBB49_148:                             ;   in Loop: Header=BB49_4 Depth=1
	s_andn2_saveexec_b64 s[20:21], s[20:21]
; %bb.149:                              ;   in Loop: Header=BB49_4 Depth=1
	v_sub_f32_e32 v47, v45, v11
; %bb.150:                              ;   in Loop: Header=BB49_4 Depth=1
	s_or_b64 exec, exec, s[20:21]
	v_mul_f32_e32 v11, 0.5, v47
	v_fmac_f32_e32 v11, 0.5, v51
	v_add_f32_e64 v10, |v12|, v10
	v_mul_f32_e32 v10, v10, v11
	v_mul_f32_e32 v11, 0x4f800000, v10
	v_cmp_gt_f32_e32 vcc, s66, v10
	v_cndmask_b32_e32 v10, v10, v11, vcc
	v_sqrt_f32_e32 v11, v10
                                        ; implicit-def: $vgpr44
	v_add_u32_e32 v12, -1, v11
	v_fma_f32 v13, -v12, v11, v10
	v_cmp_ge_f32_e64 s[20:21], 0, v13
	v_add_u32_e32 v13, 1, v11
	v_cndmask_b32_e64 v12, v11, v12, s[20:21]
	v_fma_f32 v11, -v13, v11, v10
	v_cmp_lt_f32_e64 s[20:21], 0, v11
	v_cndmask_b32_e64 v11, v12, v13, s[20:21]
	v_mul_f32_e32 v12, 0x37800000, v11
	v_cndmask_b32_e32 v11, v11, v12, vcc
	v_cmp_class_f32_e32 vcc, v10, v25
	v_cndmask_b32_e32 v51, v11, v10, vcc
                                        ; implicit-def: $vgpr13
                                        ; implicit-def: $vgpr11
.LBB49_151:                             ;   in Loop: Header=BB49_4 Depth=1
	s_andn2_saveexec_b64 s[56:57], s[56:57]
	s_cbranch_execz .LBB49_157
; %bb.152:                              ;   in Loop: Header=BB49_4 Depth=1
	v_cmp_ngt_f32_e64 s[20:21], |v12|, 1.0
                                        ; implicit-def: $vgpr51
	s_and_saveexec_b64 s[58:59], s[20:21]
	s_xor_b64 s[58:59], exec, s[58:59]
	s_cbranch_execz .LBB49_154
; %bb.153:                              ;   in Loop: Header=BB49_4 Depth=1
	v_sub_f32_e64 v10, 1.0, |v12|
	v_mul_f32_e32 v10, v10, v44
	v_mul_f32_e32 v11, 0x4f800000, v10
	v_cmp_gt_f32_e32 vcc, s66, v10
	v_cndmask_b32_e32 v10, v10, v11, vcc
	v_sqrt_f32_e32 v11, v10
	v_add_u32_e32 v12, -1, v11
	v_fma_f32 v44, -v12, v11, v10
	v_add_u32_e32 v13, 1, v11
	v_cmp_ge_f32_e64 s[20:21], 0, v44
	v_cndmask_b32_e64 v12, v11, v12, s[20:21]
	v_fma_f32 v11, -v13, v11, v10
	v_cmp_lt_f32_e64 s[20:21], 0, v11
	v_cndmask_b32_e64 v11, v12, v13, s[20:21]
	v_mul_f32_e32 v12, 0x37800000, v11
	v_cndmask_b32_e32 v11, v11, v12, vcc
	v_cmp_class_f32_e32 vcc, v10, v25
	v_cndmask_b32_e32 v51, v11, v10, vcc
                                        ; implicit-def: $vgpr13
                                        ; implicit-def: $vgpr44
                                        ; implicit-def: $vgpr11
.LBB49_154:                             ;   in Loop: Header=BB49_4 Depth=1
	s_andn2_saveexec_b64 s[58:59], s[58:59]
	s_cbranch_execz .LBB49_156
; %bb.155:                              ;   in Loop: Header=BB49_4 Depth=1
	v_mul_f32_e32 v10, v44, v11
	v_mul_f32_e32 v11, 0x4f800000, v10
	v_cmp_gt_f32_e32 vcc, s66, v10
	v_cndmask_b32_e32 v10, v10, v11, vcc
	v_sqrt_f32_e32 v11, v10
	v_mul_f32_e64 v13, |v13|, s78
	v_mul_f32_e64 v13, |v12|, v13
	;; [unrolled: 1-line block ×3, first 2 shown]
	v_add_u32_e32 v44, -1, v11
	v_fma_f32 v45, -v44, v11, v10
	v_cmp_ge_f32_e64 s[20:21], 0, v45
	v_add_u32_e32 v45, 1, v11
	v_cndmask_b32_e64 v44, v11, v44, s[20:21]
	v_fma_f32 v11, -v45, v11, v10
	v_cmp_lt_f32_e64 s[20:21], 0, v11
	v_cndmask_b32_e64 v11, v44, v45, s[20:21]
	v_mul_f32_e32 v44, 0x37800000, v11
	v_cndmask_b32_e32 v11, v11, v44, vcc
	v_cmp_class_f32_e32 vcc, v10, v25
	v_cndmask_b32_e32 v10, v11, v10, vcc
	v_div_scale_f32 v11, s[20:21], v10, v10, v13
	v_div_scale_f32 v44, vcc, v13, v10, v13
	v_rcp_f32_e32 v45, v11
	v_fma_f32 v47, -v11, v45, 1.0
	v_fmac_f32_e32 v45, v47, v45
	v_mul_f32_e32 v47, v44, v45
	v_fma_f32 v48, -v11, v47, v44
	v_fmac_f32_e32 v47, v48, v45
	v_fma_f32 v11, -v11, v47, v44
	v_div_fmas_f32 v11, v11, v45, v47
	v_div_fixup_f32 v51, v11, v10, v13
.LBB49_156:                             ;   in Loop: Header=BB49_4 Depth=1
	s_or_b64 exec, exec, s[58:59]
.LBB49_157:                             ;   in Loop: Header=BB49_4 Depth=1
	s_or_b64 exec, exec, s[56:57]
                                        ; implicit-def: $vgpr13
                                        ; implicit-def: $vgpr10
.LBB49_158:                             ;   in Loop: Header=BB49_4 Depth=1
	s_andn2_saveexec_b64 s[54:55], s[54:55]
	s_cbranch_execz .LBB49_160
; %bb.159:                              ;   in Loop: Header=BB49_4 Depth=1
	v_mul_f32_e64 v11, |v13|, s67
	v_cmp_lt_f32_e64 vcc, |v13|, s66
	v_cndmask_b32_e64 v11, |v13|, v11, vcc
	v_sqrt_f32_e32 v12, v11
	v_add_f32_e32 v10, 1.0, v10
	v_mul_f32_e32 v10, 0.5, v10
	v_mov_b32_e32 v50, 1.0
	v_add_u32_e32 v13, -1, v12
	v_fma_f32 v45, -v13, v12, v11
	v_add_u32_e32 v44, 1, v12
	v_cmp_ge_f32_e64 s[20:21], 0, v45
	v_cndmask_b32_e64 v13, v12, v13, s[20:21]
	v_fma_f32 v12, -v44, v12, v11
	v_cmp_lt_f32_e64 s[20:21], 0, v12
	v_cndmask_b32_e64 v12, v13, v44, s[20:21]
	v_mul_f32_e32 v13, 0x37800000, v12
	v_cndmask_b32_e32 v12, v12, v13, vcc
	v_mul_f32_e32 v13, 0x4f800000, v10
	v_cmp_gt_f32_e32 vcc, s66, v10
	v_cndmask_b32_e32 v10, v10, v13, vcc
	v_sqrt_f32_e32 v13, v10
	v_cmp_class_f32_e64 s[20:21], v11, v25
	v_cndmask_b32_e64 v11, v12, v11, s[20:21]
	v_add_u32_e32 v12, -1, v13
	v_fma_f32 v44, -v12, v13, v10
	v_cmp_ge_f32_e64 s[20:21], 0, v44
	v_add_u32_e32 v44, 1, v13
	v_cndmask_b32_e64 v12, v13, v12, s[20:21]
	v_fma_f32 v13, -v44, v13, v10
	v_cmp_lt_f32_e64 s[20:21], 0, v13
	v_cndmask_b32_e64 v12, v12, v44, s[20:21]
	v_mul_f32_e32 v13, 0x37800000, v12
	v_cndmask_b32_e32 v12, v12, v13, vcc
	v_cmp_class_f32_e32 vcc, v10, v25
	v_cndmask_b32_e32 v10, v12, v10, vcc
	v_mul_f32_e32 v51, v11, v10
.LBB49_160:                             ;   in Loop: Header=BB49_4 Depth=1
	s_or_b64 exec, exec, s[54:55]
	s_mov_b64 s[20:21], exec
.LBB49_161:                             ;   in Loop: Header=BB49_4 Depth=1
	s_or_b64 exec, exec, s[52:53]
                                        ; implicit-def: $vgpr10
                                        ; implicit-def: $vgpr12
.LBB49_162:                             ;   in Loop: Header=BB49_4 Depth=1
	s_andn2_saveexec_b64 s[50:51], s[50:51]
; %bb.163:                              ;   in Loop: Header=BB49_4 Depth=1
	v_mul_f32_e32 v51, 0x4b800000, v10
	v_mul_f32_e64 v50, |v12|, s79
	s_or_b64 s[20:21], s[20:21], exec
                                        ; implicit-def: $vgpr49
; %bb.164:                              ;   in Loop: Header=BB49_4 Depth=1
	s_or_b64 exec, exec, s[50:51]
	s_xor_b64 s[20:21], s[20:21], -1
                                        ; implicit-def: $vgpr10
	s_and_saveexec_b64 s[50:51], s[20:21]
	s_xor_b64 s[50:51], exec, s[50:51]
	s_cbranch_execz .LBB49_170
; %bb.165:                              ;   in Loop: Header=BB49_4 Depth=1
	v_mul_f32_e32 v11, v49, v49
	v_fma_f32 v12, |v49|, -0.5, 0.5
                                        ; implicit-def: $vgpr10
	s_and_saveexec_b64 s[20:21], s[18:19]
	s_xor_b64 s[20:21], exec, s[20:21]
	s_cbranch_execz .LBB49_167
; %bb.166:                              ;   in Loop: Header=BB49_4 Depth=1
	v_cmp_gt_f32_e64 vcc, |v49|, 0.5
	v_cndmask_b32_e32 v10, v11, v12, vcc
	v_mov_b32_e32 v11, 0x3c5fc5da
	v_fmac_f32_e32 v11, 0x3d1c21a7, v10
	v_fma_f32 v11, v10, v11, v27
	v_fma_f32 v11, v10, v11, v28
	v_sqrt_f32_e32 v12, v10
	v_fma_f32 v11, v10, v11, v29
	v_fma_f32 v11, v10, v11, v30
	v_mul_f32_e32 v10, v10, v11
	v_fmac_f32_e32 v12, v12, v10
	v_fmac_f32_e32 v49, v49, v10
	v_add_f32_e32 v11, v12, v12
	v_sub_f32_e32 v10, 0x3fc90fdb, v49
	v_cndmask_b32_e32 v10, v10, v11, vcc
                                        ; implicit-def: $vgpr49
                                        ; implicit-def: $vgpr11
                                        ; implicit-def: $vgpr12
.LBB49_167:                             ;   in Loop: Header=BB49_4 Depth=1
	s_andn2_saveexec_b64 s[52:53], s[20:21]
	s_cbranch_execz .LBB49_169
; %bb.168:                              ;   in Loop: Header=BB49_4 Depth=1
	v_cmp_gt_f32_e64 vcc, |v49|, 0.5
	v_cndmask_b32_e32 v10, v11, v12, vcc
	v_mov_b32_e32 v11, 0x3c5fc5da
	v_fmac_f32_e32 v11, 0x3d1c21a7, v10
	v_fma_f32 v11, v10, v11, v27
	v_fma_f32 v11, v10, v11, v28
	v_sqrt_f32_e32 v12, v10
	v_fma_f32 v11, v10, v11, v29
	v_fma_f32 v11, v10, v11, v30
	v_mul_f32_e32 v10, v10, v11
	v_fmac_f32_e32 v12, v12, v10
	v_add_f32_e32 v11, v12, v12
	v_sub_f32_e32 v12, 0x40490fdb, v11
	v_cmp_lt_f32_e64 s[20:21], 0, v49
	v_fma_f32 v10, -v49, v10, -v49
	v_cndmask_b32_e64 v11, v11, v12, s[20:21]
	v_sub_f32_e32 v10, 0x3fc90fdb, v10
	v_cndmask_b32_e32 v10, v10, v11, vcc
.LBB49_169:                             ;   in Loop: Header=BB49_4 Depth=1
	s_or_b64 exec, exec, s[52:53]
                                        ; implicit-def: $vgpr50
                                        ; implicit-def: $vgpr51
.LBB49_170:                             ;   in Loop: Header=BB49_4 Depth=1
	s_andn2_saveexec_b64 s[20:21], s[50:51]
	s_cbranch_execz .LBB49_176
; %bb.171:                              ;   in Loop: Header=BB49_4 Depth=1
	v_max_f32_e64 v10, |v51|, |v51|
	v_max_f32_e32 v11, v50, v50
	v_min_f32_e32 v12, v11, v10
	v_max_f32_e32 v10, v11, v10
	v_frexp_mant_f32_e32 v11, v10
	v_rcp_f32_e32 v11, v11
	v_frexp_exp_i32_f32_e32 v10, v10
	v_frexp_exp_i32_f32_e32 v13, v12
	v_frexp_mant_f32_e32 v12, v12
	v_mul_f32_e32 v11, v12, v11
	v_sub_u32_e32 v10, v13, v10
	v_ldexp_f32 v10, v11, v10
	v_mul_f32_e32 v11, v10, v10
	v_mov_b32_e32 v12, 0xbc7a590c
	v_fmac_f32_e32 v12, 0x3b2d2a58, v11
	v_fma_f32 v12, v11, v12, v31
	v_fma_f32 v12, v11, v12, v32
	v_fma_f32 v12, v11, v12, v33
	v_fma_f32 v12, v11, v12, v34
	v_fma_f32 v12, v11, v12, v35
	v_fma_f32 v12, v11, v12, v36
	v_mul_f32_e32 v11, v11, v12
	v_fmac_f32_e32 v10, v10, v11
	v_sub_f32_e32 v11, 0x3fc90fdb, v10
	v_cmp_gt_f32_e64 vcc, |v51|, v50
	v_cndmask_b32_e32 v11, v10, v11, vcc
	v_cmp_class_f32_e64 s[50:51], v51, s80
                                        ; implicit-def: $vgpr10
	s_and_saveexec_b64 s[52:53], s[18:19]
	s_xor_b64 s[18:19], exec, s[52:53]
; %bb.172:                              ;   in Loop: Header=BB49_4 Depth=1
	v_cmp_neq_f32_e32 vcc, 0, v51
	v_cndmask_b32_e32 v10, 0, v11, vcc
	v_cmp_eq_f32_e32 vcc, s64, v50
	s_and_b64 vcc, vcc, s[50:51]
	v_cndmask_b32_e32 v10, v10, v41, vcc
	v_cmp_o_f32_e32 vcc, v51, v51
	v_cndmask_b32_e32 v10, v39, v10, vcc
	v_bfi_b32 v10, s63, v10, v51
                                        ; implicit-def: $vgpr11
                                        ; implicit-def: $vgpr50
                                        ; implicit-def: $vgpr51
; %bb.173:                              ;   in Loop: Header=BB49_4 Depth=1
	s_andn2_saveexec_b64 s[18:19], s[18:19]
	s_cbranch_execz .LBB49_175
; %bb.174:                              ;   in Loop: Header=BB49_4 Depth=1
	v_sub_f32_e32 v10, 0x40490fdb, v11
	v_cmp_lt_f32_e32 vcc, 0, v50
	v_cndmask_b32_e32 v10, v11, v10, vcc
	v_cmp_neq_f32_e32 vcc, 0, v51
	v_cndmask_b32_e32 v10, v42, v10, vcc
	v_cmp_eq_f32_e32 vcc, s64, v50
	s_and_b64 vcc, vcc, s[50:51]
	v_cndmask_b32_e32 v10, v10, v43, vcc
	v_cmp_o_f32_e32 vcc, v51, v51
	v_cndmask_b32_e32 v10, v39, v10, vcc
	v_bfi_b32 v10, s63, v10, v51
.LBB49_175:                             ;   in Loop: Header=BB49_4 Depth=1
	s_or_b64 exec, exec, s[18:19]
.LBB49_176:                             ;   in Loop: Header=BB49_4 Depth=1
	s_or_b64 exec, exec, s[20:21]
	v_cndmask_b32_e64 v11, -v46, v46, s[14:15]
                                        ; implicit-def: $vgpr12
.LBB49_177:                             ;   in Loop: Header=BB49_4 Depth=1
	s_andn2_saveexec_b64 s[18:19], s[48:49]
	s_cbranch_execz .LBB49_179
; %bb.178:                              ;   in Loop: Header=BB49_4 Depth=1
	v_mov_b32_e32 v45, s27
	v_mov_b32_e32 v44, s26
	flat_load_dword v10, v[44:45] glc
	s_waitcnt vmcnt(0) lgkmcnt(0)
	v_sub_f32_e32 v10, v10, v12
	v_add_f32_e32 v10, 0x3fc90fdb, v10
.LBB49_179:                             ;   in Loop: Header=BB49_4 Depth=1
	s_or_b64 exec, exec, s[18:19]
.LBB49_180:                             ;   in Loop: Header=BB49_4 Depth=1
	s_andn2_saveexec_b64 s[18:19], s[46:47]
; %bb.181:                              ;   in Loop: Header=BB49_4 Depth=1
	v_mov_b32_e32 v10, 0
; %bb.182:                              ;   in Loop: Header=BB49_4 Depth=1
	s_or_b64 exec, exec, s[18:19]
                                        ; implicit-def: $vgpr12
                                        ; implicit-def: $vgpr46
                                        ; implicit-def: $vgpr45
                                        ; implicit-def: $vgpr44
.LBB49_183:                             ;   in Loop: Header=BB49_4 Depth=1
	s_andn2_saveexec_b64 s[44:45], s[44:45]
	s_cbranch_execz .LBB49_193
; %bb.184:                              ;   in Loop: Header=BB49_4 Depth=1
	v_cmp_lt_f32_e64 s[18:19], |v12|, |v13|
	v_cndmask_b32_e64 v47, |v12|, |v13|, s[18:19]
	v_cmp_nlt_f32_e32 vcc, s81, v47
                                        ; implicit-def: $vgpr11
                                        ; implicit-def: $vgpr10
	s_and_saveexec_b64 s[20:21], vcc
	s_xor_b64 s[46:47], exec, s[20:21]
	s_cbranch_execz .LBB49_190
; %bb.185:                              ;   in Loop: Header=BB49_4 Depth=1
	v_cndmask_b32_e64 v48, |v13|, |v12|, s[18:19]
	v_cmp_nlt_f32_e32 vcc, s82, v47
	v_cmp_ngt_f32_e64 s[20:21], s83, v48
	s_and_b64 s[20:21], vcc, s[20:21]
                                        ; implicit-def: $vgpr11
                                        ; implicit-def: $vgpr10
	s_and_saveexec_b64 s[48:49], s[20:21]
	s_xor_b64 s[20:21], exec, s[48:49]
	s_cbranch_execz .LBB49_187
; %bb.186:                              ;   in Loop: Header=BB49_4 Depth=1
	v_mul_f32_e32 v10, v48, v48
	v_fmac_f32_e32 v10, v47, v47
	v_cmp_gt_f32_e32 vcc, s68, v10
	v_cndmask_b32_e64 v11, 0, 32, vcc
	v_ldexp_f32 v10, v10, v11
	v_log_f32_e32 v10, v10
	v_cndmask_b32_e32 v11, 0, v38, vcc
	v_mul_f32_e32 v47, 0x3f317217, v10
	v_fma_f32 v47, v10, s69, -v47
	v_fmac_f32_e32 v47, 0x3377d1cf, v10
	v_fmac_f32_e32 v47, 0x3f317217, v10
	v_cmp_lt_f32_e64 vcc, |v10|, s64
	v_cndmask_b32_e32 v10, v10, v47, vcc
	v_sub_f32_e32 v10, v10, v11
	v_mul_f32_e32 v11, 0.5, v10
	v_min_f32_e32 v10, v46, v45
	v_frexp_mant_f32_e32 v45, v44
	v_rcp_f32_e32 v45, v45
	v_frexp_exp_i32_f32_e32 v44, v44
	v_frexp_exp_i32_f32_e32 v46, v10
	v_frexp_mant_f32_e32 v10, v10
	v_mul_f32_e32 v10, v10, v45
	v_sub_u32_e32 v44, v46, v44
	v_ldexp_f32 v10, v10, v44
	v_mul_f32_e32 v44, v10, v10
	v_mov_b32_e32 v45, 0xbc7a590c
	v_fmac_f32_e32 v45, 0x3b2d2a58, v44
	v_fma_f32 v45, v44, v45, v31
	v_fma_f32 v45, v44, v45, v32
	;; [unrolled: 1-line block ×6, first 2 shown]
	v_mul_f32_e32 v44, v44, v45
	v_fmac_f32_e32 v10, v10, v44
                                        ; implicit-def: $vgpr44
                                        ; implicit-def: $vgpr46
                                        ; implicit-def: $vgpr45
.LBB49_187:                             ;   in Loop: Header=BB49_4 Depth=1
	s_andn2_saveexec_b64 s[20:21], s[20:21]
	s_cbranch_execz .LBB49_189
; %bb.188:                              ;   in Loop: Header=BB49_4 Depth=1
	v_cvt_f64_f32_e32 v[10:11], v44
	v_cmp_neq_f32_e32 vcc, s64, v44
	v_mov_b32_e32 v47, 0xbc7a590c
	v_frexp_exp_i32_f64_e32 v10, v[10:11]
	v_min_f32_e32 v11, v46, v45
	v_frexp_exp_i32_f32_e32 v45, v44
	v_frexp_mant_f32_e32 v46, v44
	v_rcp_f32_e32 v46, v46
	v_frexp_exp_i32_f32_e32 v48, v11
	v_frexp_mant_f32_e32 v11, v11
	v_sub_u32_e32 v45, v48, v45
	v_sub_u32_e32 v49, 0, v10
	v_ldexp_f32 v50, |v12|, v49
	v_ldexp_f32 v49, |v13|, v49
	v_mul_f32_e32 v49, v49, v49
	v_fmac_f32_e32 v49, v50, v50
	v_sqrt_f32_e32 v49, v49
	v_mul_f32_e32 v11, v11, v46
	v_ldexp_f32 v10, v49, v10
	v_cndmask_b32_e32 v10, v37, v10, vcc
	v_cmp_gt_f32_e32 vcc, s68, v10
	v_cndmask_b32_e64 v44, 0, 32, vcc
	v_ldexp_f32 v10, v10, v44
	v_log_f32_e32 v44, v10
	v_ldexp_f32 v10, v11, v45
	v_mul_f32_e32 v45, v10, v10
	v_cndmask_b32_e32 v11, 0, v38, vcc
	v_mul_f32_e32 v46, 0x3f317217, v44
	v_fma_f32 v46, v44, s69, -v46
	v_fmac_f32_e32 v46, 0x3377d1cf, v44
	v_fmac_f32_e32 v46, 0x3f317217, v44
	v_cmp_lt_f32_e64 vcc, |v44|, s64
	v_cndmask_b32_e32 v44, v44, v46, vcc
	v_fmac_f32_e32 v47, 0x3b2d2a58, v45
	v_sub_f32_e32 v11, v44, v11
	v_fma_f32 v44, v45, v47, v31
	v_fma_f32 v44, v45, v44, v32
	;; [unrolled: 1-line block ×6, first 2 shown]
	v_mul_f32_e32 v44, v45, v44
	v_fmac_f32_e32 v10, v10, v44
.LBB49_189:                             ;   in Loop: Header=BB49_4 Depth=1
	s_or_b64 exec, exec, s[20:21]
                                        ; implicit-def: $vgpr46
                                        ; implicit-def: $vgpr45
                                        ; implicit-def: $vgpr44
.LBB49_190:                             ;   in Loop: Header=BB49_4 Depth=1
	s_andn2_saveexec_b64 s[46:47], s[46:47]
	s_cbranch_execz .LBB49_192
; %bb.191:                              ;   in Loop: Header=BB49_4 Depth=1
	v_div_scale_f32 v10, s[20:21], s84, s84, v12
	v_div_scale_f32 v11, s[20:21], s84, s84, v13
	v_div_scale_f32 v47, vcc, v12, s84, v12
	v_div_scale_f32 v48, s[20:21], v13, s84, v13
	v_min_f32_e32 v45, v46, v45
	v_frexp_exp_i32_f32_e32 v46, v44
	v_frexp_mant_f32_e32 v44, v44
	v_rcp_f32_e32 v44, v44
	v_rcp_f32_e32 v49, v10
	;; [unrolled: 1-line block ×3, first 2 shown]
	v_fma_f32 v51, -v10, v49, 1.0
	v_fmac_f32_e32 v49, v51, v49
	v_fma_f32 v52, -v11, v50, 1.0
	v_fmac_f32_e32 v50, v52, v50
	v_mul_f32_e32 v51, v47, v49
	v_mul_f32_e32 v52, v48, v50
	v_fma_f32 v53, -v10, v51, v47
	v_fma_f32 v54, -v11, v52, v48
	v_fmac_f32_e32 v51, v53, v49
	v_fmac_f32_e32 v52, v54, v50
	v_fma_f32 v10, -v10, v51, v47
	v_fma_f32 v11, -v11, v52, v48
	v_div_fmas_f32 v10, v10, v49, v51
	s_mov_b64 vcc, s[20:21]
	v_div_fmas_f32 v11, v11, v50, v52
	v_frexp_exp_i32_f32_e32 v51, v45
	v_frexp_mant_f32_e32 v45, v45
	v_mul_f32_e32 v44, v45, v44
	v_mov_b32_e32 v47, 0xbc7a590c
	v_div_fixup_f32 v48, v10, s84, v12
	v_div_fixup_f32 v49, v11, s84, v13
	v_max_f32_e64 v50, |v48|, |v49|
	v_cvt_f64_f32_e32 v[10:11], v50
	v_cmp_neq_f32_e32 vcc, s64, v50
	v_frexp_exp_i32_f64_e32 v11, v[10:11]
	v_sub_u32_e32 v10, v51, v46
	v_ldexp_f32 v10, v44, v10
	v_mul_f32_e32 v44, v10, v10
	v_fmac_f32_e32 v47, 0x3b2d2a58, v44
	v_fma_f32 v45, v44, v47, v31
	v_fma_f32 v45, v44, v45, v32
	;; [unrolled: 1-line block ×3, first 2 shown]
	v_sub_u32_e32 v46, 0, v11
	v_ldexp_f32 v47, |v48|, v46
	v_ldexp_f32 v46, |v49|, v46
	v_mul_f32_e32 v46, v46, v46
	v_fmac_f32_e32 v46, v47, v47
	v_sqrt_f32_e32 v46, v46
	v_fma_f32 v45, v44, v45, v34
	v_fma_f32 v45, v44, v45, v35
	;; [unrolled: 1-line block ×3, first 2 shown]
	v_ldexp_f32 v11, v46, v11
	v_cndmask_b32_e32 v11, v37, v11, vcc
	v_cmp_gt_f32_e32 vcc, s68, v11
	v_cndmask_b32_e64 v46, 0, 32, vcc
	v_ldexp_f32 v11, v11, v46
	v_log_f32_e32 v11, v11
	v_mul_f32_e32 v44, v44, v45
	v_cndmask_b32_e32 v45, 0, v38, vcc
	v_fmac_f32_e32 v10, v10, v44
	v_mul_f32_e32 v46, 0x3f317217, v11
	v_fma_f32 v46, v11, s69, -v46
	v_fmac_f32_e32 v46, 0x3377d1cf, v11
	v_fmac_f32_e32 v46, 0x3f317217, v11
	v_cmp_lt_f32_e64 vcc, |v11|, s64
	v_cndmask_b32_e32 v11, v11, v46, vcc
	v_sub_f32_e32 v11, v11, v45
	v_add_f32_e32 v11, 1.0, v11
.LBB49_192:                             ;   in Loop: Header=BB49_4 Depth=1
	s_or_b64 exec, exec, s[46:47]
	v_sub_f32_e32 v44, 0x3fc90fdb, v10
	v_cndmask_b32_e64 v10, v10, v44, s[18:19]
	v_sub_f32_e32 v44, 0x40490fdb, v10
	v_cmp_gt_f32_e32 vcc, 0, v12
	v_cndmask_b32_e32 v10, v10, v44, vcc
	v_cndmask_b32_e64 v44, 0, v42, s[16:17]
	v_cndmask_b32_e32 v45, v41, v43, vcc
	v_cmp_class_f32_e64 s[16:17], v12, s80
	v_cmp_class_f32_e64 s[18:19], v13, s80
	v_cmp_eq_f32_e32 vcc, 0, v13
	v_cndmask_b32_e64 v10, |v10|, v44, vcc
	s_and_b64 vcc, s[18:19], s[16:17]
	v_add_f32_e32 v11, 0x3f317218, v11
	v_cndmask_b32_e32 v10, v10, v45, vcc
	v_cndmask_b32_e64 v11, -v11, v11, s[14:15]
.LBB49_193:                             ;   in Loop: Header=BB49_4 Depth=1
	s_or_b64 exec, exec, s[44:45]
                                        ; implicit-def: $vgpr13
.LBB49_194:                             ;   in Loop: Header=BB49_4 Depth=1
	s_andn2_saveexec_b64 s[14:15], s[42:43]
	s_cbranch_execz .LBB49_208
; %bb.195:                              ;   in Loop: Header=BB49_4 Depth=1
	v_cmp_neq_f32_e64 s[16:17], |v12|, s64
                                        ; implicit-def: $vgpr11
	s_and_saveexec_b64 s[18:19], s[16:17]
	s_xor_b64 s[16:17], exec, s[18:19]
	s_cbranch_execz .LBB49_205
; %bb.196:                              ;   in Loop: Header=BB49_4 Depth=1
	v_cmp_neq_f32_e64 s[18:19], |v13|, s64
	v_xor_b32_e32 v11, 0x80000000, v13
	s_and_saveexec_b64 s[20:21], s[18:19]
	s_xor_b64 s[18:19], exec, s[20:21]
	s_cbranch_execz .LBB49_202
; %bb.197:                              ;   in Loop: Header=BB49_4 Depth=1
	v_cmp_neq_f32_e32 vcc, 0, v12
                                        ; implicit-def: $vgpr11
	s_and_saveexec_b64 s[20:21], vcc
	s_xor_b64 s[20:21], exec, s[20:21]
; %bb.198:                              ;   in Loop: Header=BB49_4 Depth=1
	v_add_f32_e32 v10, 0, v13
	v_add_f32_e32 v11, v10, v12
                                        ; implicit-def: $vgpr13
; %bb.199:                              ;   in Loop: Header=BB49_4 Depth=1
	s_or_saveexec_b64 s[20:21], s[20:21]
	v_mov_b32_e32 v10, v11
	s_xor_b64 exec, exec, s[20:21]
	s_cbranch_execz .LBB49_201
; %bb.200:                              ;   in Loop: Header=BB49_4 Depth=1
	v_mov_b32_e32 v10, s26
	v_mov_b32_e32 v11, s27
	flat_load_dword v10, v[10:11] glc
	s_waitcnt vmcnt(0)
	v_add_f32_e32 v11, v13, v13
	s_waitcnt lgkmcnt(0)
	v_add_f32_e32 v10, 0x3fc90fdb, v10
.LBB49_201:                             ;   in Loop: Header=BB49_4 Depth=1
	s_or_b64 exec, exec, s[20:21]
                                        ; implicit-def: $vgpr12
.LBB49_202:                             ;   in Loop: Header=BB49_4 Depth=1
	s_andn2_saveexec_b64 s[18:19], s[18:19]
; %bb.203:                              ;   in Loop: Header=BB49_4 Depth=1
	v_add_f32_e32 v10, v12, v12
; %bb.204:                              ;   in Loop: Header=BB49_4 Depth=1
	s_or_b64 exec, exec, s[18:19]
                                        ; implicit-def: $vgpr13
.LBB49_205:                             ;   in Loop: Header=BB49_4 Depth=1
	s_andn2_saveexec_b64 s[16:17], s[16:17]
; %bb.206:                              ;   in Loop: Header=BB49_4 Depth=1
	v_add_f32_e32 v10, v13, v13
	v_mov_b32_e32 v11, 0xff800000
; %bb.207:                              ;   in Loop: Header=BB49_4 Depth=1
	s_or_b64 exec, exec, s[16:17]
.LBB49_208:                             ;   in Loop: Header=BB49_4 Depth=1
	s_or_b64 exec, exec, s[14:15]
	v_mov_b32_e32 v12, s26
	v_mov_b32_e32 v13, s27
	v_cmp_o_f32_e32 vcc, v8, v9
	flat_store_dword v[12:13], v23
	s_waitcnt vmcnt(0)
                                        ; implicit-def: $vgpr13
	s_and_saveexec_b64 s[14:15], vcc
	s_xor_b64 s[42:43], exec, s[14:15]
	s_cbranch_execz .LBB49_292
; %bb.209:                              ;   in Loop: Header=BB49_4 Depth=1
	v_max_f32_e64 v46, |v8|, |v8|
	v_max_f32_e64 v45, |v9|, |v9|
	v_max_f32_e32 v44, v45, v46
	v_cmp_gt_i32_e64 s[16:17], 0, v8
	v_cmp_lt_i32_e64 s[18:19], -1, v8
	v_cmp_gt_i32_e64 s[14:15], 0, v9
	v_cmp_nlt_f32_e32 vcc, s61, v44
                                        ; implicit-def: $vgpr13
	s_and_saveexec_b64 s[20:21], vcc
	s_xor_b64 s[44:45], exec, s[20:21]
	s_cbranch_execz .LBB49_281
; %bb.210:                              ;   in Loop: Header=BB49_4 Depth=1
	v_cmp_neq_f32_e32 vcc, 1.0, v8
	v_cmp_neq_f32_e64 s[20:21], 0, v9
	s_or_b64 s[20:21], s[20:21], vcc
	v_xor_b32_e32 v13, 0x80000000, v9
	s_and_saveexec_b64 s[46:47], s[20:21]
	s_xor_b64 s[46:47], exec, s[46:47]
	s_cbranch_execz .LBB49_278
; %bb.211:                              ;   in Loop: Header=BB49_4 Depth=1
	v_mov_b32_e32 v12, s34
	v_mov_b32_e32 v13, s35
	flat_store_dword v[12:13], v24
	s_waitcnt vmcnt(0)
	flat_load_dword v12, v[12:13] glc
	s_waitcnt vmcnt(0)
	v_cmp_nlt_f32_e64 s[20:21], |v8|, s62
	v_cmp_nlt_f32_e64 s[48:49], |v9|, s62
	s_or_b64 s[20:21], s[48:49], s[20:21]
	s_waitcnt lgkmcnt(0)
	v_add_f32_e32 v44, 1.0, v12
	v_mov_b32_e32 v12, s36
	v_mov_b32_e32 v13, s37
	flat_store_dword v[12:13], v44
	s_waitcnt vmcnt(0)
	flat_load_dword v12, v[12:13] glc
	s_waitcnt vmcnt(0) lgkmcnt(0)
	v_xor_b32_e32 v13, 0x80000000, v9
	s_and_saveexec_b64 s[48:49], s[20:21]
	s_xor_b64 s[48:49], exec, s[48:49]
	s_cbranch_execz .LBB49_275
; %bb.212:                              ;   in Loop: Header=BB49_4 Depth=1
	v_add_f32_e64 v44, |v8|, 1.0
	v_max_f32_e32 v12, v45, v44
	v_add_f32_e64 v13, |v8|, -1.0
	v_cvt_f64_f32_e32 v[46:47], v12
	v_max_f32_e64 v45, v45, |v13|
	v_cvt_f64_f32_e32 v[48:49], v45
	v_cmp_neq_f32_e32 vcc, s64, v12
	v_frexp_exp_i32_f64_e32 v46, v[46:47]
	v_frexp_exp_i32_f64_e32 v47, v[48:49]
	v_sub_u32_e32 v48, 0, v46
	v_ldexp_f32 v50, |v9|, v48
	v_sub_u32_e32 v49, 0, v47
	v_ldexp_f32 v48, v44, v48
	v_ldexp_f32 v51, |v9|, v49
	v_ldexp_f32 v49, |v13|, v49
	v_mul_f32_e32 v48, v48, v48
	v_mul_f32_e32 v49, v49, v49
	v_fmac_f32_e32 v48, v50, v50
	v_fmac_f32_e32 v49, v51, v51
	v_sqrt_f32_e32 v48, v48
	v_sqrt_f32_e32 v49, v49
	v_ldexp_f32 v46, v48, v46
	v_ldexp_f32 v47, v49, v47
	v_cndmask_b32_e32 v48, v37, v46, vcc
	v_cmp_neq_f32_e32 vcc, s64, v45
	v_cndmask_b32_e32 v45, v37, v47, vcc
	v_add_f32_e32 v12, v48, v45
	v_mul_f32_e32 v12, 0.5, v12
	v_cmp_ngt_f32_e32 vcc, 1.0, v12
	v_cndmask_b32_e32 v12, 1.0, v12, vcc
	v_cmp_ngt_f32_e32 vcc, s65, v12
                                        ; implicit-def: $vgpr46
	s_and_saveexec_b64 s[20:21], vcc
	s_xor_b64 s[50:51], exec, s[20:21]
	s_cbranch_execz .LBB49_214
; %bb.213:                              ;   in Loop: Header=BB49_4 Depth=1
	v_fma_f32 v46, v12, v12, -1.0
	v_mul_f32_e32 v47, 0x4f800000, v46
	v_cmp_gt_f32_e32 vcc, s66, v46
	v_cndmask_b32_e32 v46, v46, v47, vcc
	v_sqrt_f32_e32 v47, v46
	v_add_u32_e32 v49, -1, v47
	v_fma_f32 v51, -v49, v47, v46
	v_add_u32_e32 v50, 1, v47
	v_cmp_ge_f32_e64 s[20:21], 0, v51
	v_cndmask_b32_e64 v49, v47, v49, s[20:21]
	v_fma_f32 v47, -v50, v47, v46
	v_cmp_lt_f32_e64 s[20:21], 0, v47
	v_cndmask_b32_e64 v47, v49, v50, s[20:21]
	v_mul_f32_e32 v49, 0x37800000, v47
	v_cndmask_b32_e32 v47, v47, v49, vcc
	v_cmp_class_f32_e32 vcc, v46, v25
	v_cndmask_b32_e32 v46, v47, v46, vcc
	v_add_f32_e32 v46, v12, v46
	v_cmp_gt_f32_e32 vcc, s68, v46
	v_cndmask_b32_e64 v47, 0, 32, vcc
	v_ldexp_f32 v46, v46, v47
	v_log_f32_e32 v46, v46
	v_mul_f32_e32 v47, 0x3f317217, v46
	v_fma_f32 v47, v46, s69, -v47
	v_fmac_f32_e32 v47, 0x3377d1cf, v46
	v_fmac_f32_e32 v47, 0x3f317217, v46
	v_cmp_lt_f32_e64 s[20:21], |v46|, s64
	v_cndmask_b32_e64 v46, v46, v47, s[20:21]
	v_cndmask_b32_e32 v47, 0, v38, vcc
	v_sub_f32_e32 v46, v46, v47
.LBB49_214:                             ;   in Loop: Header=BB49_4 Depth=1
	s_or_saveexec_b64 s[50:51], s[50:51]
	v_and_b32_e32 v47, 0x7fffffff, v9
	s_xor_b64 exec, exec, s[50:51]
	s_cbranch_execz .LBB49_236
; %bb.215:                              ;   in Loop: Header=BB49_4 Depth=1
	v_cmp_neq_f32_e64 s[20:21], |v8|, 1.0
	v_cmp_nlt_f32_e64 s[52:53], |v9|, s70
	s_or_b64 s[20:21], s[52:53], s[20:21]
                                        ; implicit-def: $vgpr46
	s_and_saveexec_b64 s[52:53], s[20:21]
	s_xor_b64 s[52:53], exec, s[52:53]
	s_cbranch_execz .LBB49_233
; %bb.216:                              ;   in Loop: Header=BB49_4 Depth=1
	v_mul_f32_e64 v46, |v13|, s71
	v_cmp_ge_f32_e64 s[20:21], |v9|, v46
                                        ; implicit-def: $vgpr46
	s_and_saveexec_b64 s[54:55], s[20:21]
	s_xor_b64 s[54:55], exec, s[54:55]
	s_cbranch_execz .LBB49_226
; %bb.217:                              ;   in Loop: Header=BB49_4 Depth=1
	v_cmp_neq_f32_e32 vcc, 0, v44
	v_mov_b32_e32 v46, v47
	s_and_saveexec_b64 s[20:21], vcc
	s_cbranch_execz .LBB49_219
; %bb.218:                              ;   in Loop: Header=BB49_4 Depth=1
	v_mul_f32_e32 v46, v9, v9
	v_add_f32_e32 v49, v44, v48
	v_div_scale_f32 v50, s[56:57], v49, v49, v46
	v_div_scale_f32 v51, vcc, v46, v49, v46
	v_rcp_f32_e32 v52, v50
	v_fma_f32 v53, -v50, v52, 1.0
	v_fmac_f32_e32 v52, v53, v52
	v_mul_f32_e32 v53, v51, v52
	v_fma_f32 v54, -v50, v53, v51
	v_fmac_f32_e32 v53, v54, v52
	v_fma_f32 v50, -v50, v53, v51
	v_div_fmas_f32 v50, v50, v52, v53
	v_div_fixup_f32 v46, v50, v49, v46
.LBB49_219:                             ;   in Loop: Header=BB49_4 Depth=1
	s_or_b64 exec, exec, s[20:21]
	v_sub_f32_e64 v50, 1.0, |v8|
	v_cmp_ngt_f32_e32 vcc, 0, v50
                                        ; implicit-def: $vgpr49
	s_and_saveexec_b64 s[20:21], vcc
	s_xor_b64 s[20:21], exec, s[20:21]
	s_cbranch_execz .LBB49_223
; %bb.220:                              ;   in Loop: Header=BB49_4 Depth=1
	v_cmp_neq_f32_e32 vcc, 0, v50
	v_mov_b32_e32 v49, v47
	s_and_saveexec_b64 s[56:57], vcc
	s_cbranch_execz .LBB49_222
; %bb.221:                              ;   in Loop: Header=BB49_4 Depth=1
	v_mul_f32_e32 v49, v9, v9
	v_add_f32_e32 v50, v50, v45
	v_div_scale_f32 v51, s[58:59], v50, v50, v49
	v_div_scale_f32 v52, vcc, v49, v50, v49
	v_rcp_f32_e32 v53, v51
	v_fma_f32 v54, -v51, v53, 1.0
	v_fmac_f32_e32 v53, v54, v53
	v_mul_f32_e32 v54, v52, v53
	v_fma_f32 v55, -v51, v54, v52
	v_fmac_f32_e32 v54, v55, v53
	v_fma_f32 v51, -v51, v54, v52
	v_div_fmas_f32 v51, v51, v53, v54
	v_div_fixup_f32 v49, v51, v50, v49
.LBB49_222:                             ;   in Loop: Header=BB49_4 Depth=1
	s_or_b64 exec, exec, s[56:57]
                                        ; implicit-def: $vgpr50
.LBB49_223:                             ;   in Loop: Header=BB49_4 Depth=1
	s_andn2_saveexec_b64 s[20:21], s[20:21]
; %bb.224:                              ;   in Loop: Header=BB49_4 Depth=1
	v_sub_f32_e32 v49, v45, v50
; %bb.225:                              ;   in Loop: Header=BB49_4 Depth=1
	s_or_b64 exec, exec, s[20:21]
	v_mul_f32_e32 v49, 0.5, v49
	v_fmac_f32_e32 v49, 0.5, v46
	v_add_f32_e32 v46, 1.0, v12
	v_mul_f32_e32 v46, v46, v49
	v_mul_f32_e32 v50, 0x4f800000, v46
	v_cmp_gt_f32_e32 vcc, s66, v46
	v_cndmask_b32_e32 v46, v46, v50, vcc
	v_sqrt_f32_e32 v50, v46
	v_add_u32_e32 v51, -1, v50
	v_fma_f32 v52, -v51, v50, v46
	v_cmp_ge_f32_e64 s[20:21], 0, v52
	v_add_u32_e32 v52, 1, v50
	v_cndmask_b32_e64 v51, v50, v51, s[20:21]
	v_fma_f32 v50, -v52, v50, v46
	v_cmp_lt_f32_e64 s[20:21], 0, v50
	v_cndmask_b32_e64 v50, v51, v52, s[20:21]
	v_mul_f32_e32 v51, 0x37800000, v50
	v_cndmask_b32_e32 v50, v50, v51, vcc
	v_cmp_class_f32_e32 vcc, v46, v25
	v_cndmask_b32_e32 v46, v50, v46, vcc
	v_add_f32_e32 v46, v49, v46
	v_add_f32_e32 v51, 1.0, v46
	v_cvt_f64_f32_e32 v[49:50], v51
	v_add_f32_e32 v52, -1.0, v51
	v_frexp_exp_i32_f64_e32 v49, v[49:50]
	v_sub_f32_e32 v50, v52, v51
	v_add_f32_e32 v50, 1.0, v50
	v_sub_f32_e32 v52, v46, v52
	v_add_f32_e32 v50, v52, v50
	v_frexp_mant_f32_e32 v52, v51
	v_cmp_gt_f32_e32 vcc, s72, v52
	v_subbrev_co_u32_e32 v49, vcc, 0, v49, vcc
	v_sub_u32_e32 v52, 0, v49
	v_ldexp_f32 v51, v51, v52
	v_ldexp_f32 v50, v50, v52
	v_add_f32_e32 v52, -1.0, v51
	v_add_f32_e32 v55, 1.0, v51
	v_add_f32_e32 v53, 1.0, v52
	v_add_f32_e32 v56, -1.0, v55
	v_sub_f32_e32 v53, v51, v53
	v_sub_f32_e32 v51, v51, v56
	v_add_f32_e32 v53, v50, v53
	v_add_f32_e32 v50, v50, v51
	;; [unrolled: 1-line block ×3, first 2 shown]
	v_rcp_f32_e32 v56, v51
	v_add_f32_e32 v54, v52, v53
	v_sub_f32_e32 v52, v54, v52
	v_sub_f32_e32 v52, v53, v52
	;; [unrolled: 1-line block ×4, first 2 shown]
	v_mul_f32_e32 v53, v54, v56
	v_mul_f32_e32 v55, v51, v53
	v_fma_f32 v57, v53, v51, -v55
	v_fmac_f32_e32 v57, v53, v50
	v_add_f32_e32 v58, v55, v57
	v_sub_f32_e32 v59, v54, v58
	v_sub_f32_e32 v54, v54, v59
	;; [unrolled: 1-line block ×4, first 2 shown]
	v_add_f32_e32 v52, v52, v54
	v_sub_f32_e32 v54, v55, v57
	v_add_f32_e32 v52, v54, v52
	v_add_f32_e32 v54, v59, v52
	v_mul_f32_e32 v55, v56, v54
	v_mul_f32_e32 v57, v51, v55
	v_fma_f32 v51, v55, v51, -v57
	v_fmac_f32_e32 v51, v55, v50
	v_sub_f32_e32 v50, v59, v54
	v_add_f32_e32 v50, v52, v50
	v_add_f32_e32 v52, v57, v51
	v_sub_f32_e32 v58, v54, v52
	v_sub_f32_e32 v54, v54, v58
	;; [unrolled: 1-line block ×4, first 2 shown]
	v_add_f32_e32 v50, v50, v52
	v_sub_f32_e32 v51, v57, v51
	v_cvt_f32_i32_e32 v49, v49
	v_add_f32_e32 v50, v51, v50
	v_add_f32_e32 v51, v53, v55
	;; [unrolled: 1-line block ×3, first 2 shown]
	v_sub_f32_e32 v52, v51, v53
	v_mul_f32_e32 v50, v56, v50
	v_sub_f32_e32 v52, v55, v52
	v_add_f32_e32 v50, v52, v50
	v_mul_f32_e32 v55, 0x3f317218, v49
	v_add_f32_e32 v52, v51, v50
	v_fma_f32 v56, v49, s73, -v55
	v_mul_f32_e32 v53, v52, v52
	v_mov_b32_e32 v54, 0x3ecc95a3
	v_fmac_f32_e32 v56, 0xb102e308, v49
	v_sub_f32_e32 v49, v52, v51
	v_fmac_f32_e32 v54, 0x3e9b6dac, v53
	v_sub_f32_e32 v49, v50, v49
	v_add_f32_e32 v50, v55, v56
	v_fma_f32 v54, v53, v54, v26
	v_sub_f32_e32 v51, v50, v55
	v_ldexp_f32 v55, v52, 1
	v_mul_f32_e32 v52, v52, v53
	v_mul_f32_e32 v52, v52, v54
	v_add_f32_e32 v53, v55, v52
	v_sub_f32_e32 v54, v53, v55
	v_ldexp_f32 v49, v49, 1
	v_sub_f32_e32 v52, v52, v54
	v_add_f32_e32 v49, v49, v52
	v_add_f32_e32 v52, v53, v49
	v_sub_f32_e32 v53, v52, v53
	v_sub_f32_e32 v49, v49, v53
	v_add_f32_e32 v53, v50, v52
	v_sub_f32_e32 v54, v53, v50
	v_sub_f32_e32 v55, v53, v54
	;; [unrolled: 1-line block ×5, first 2 shown]
	v_add_f32_e32 v50, v52, v50
	v_add_f32_e32 v52, v51, v49
	v_sub_f32_e32 v54, v52, v51
	v_sub_f32_e32 v55, v52, v54
	;; [unrolled: 1-line block ×4, first 2 shown]
	v_add_f32_e32 v50, v52, v50
	v_add_f32_e32 v49, v49, v51
	;; [unrolled: 1-line block ×3, first 2 shown]
	v_sub_f32_e32 v52, v51, v53
	v_sub_f32_e32 v50, v50, v52
	v_add_f32_e32 v49, v49, v50
	v_add_f32_e32 v49, v51, v49
	v_cmp_neq_f32_e32 vcc, s64, v46
	v_cndmask_b32_e32 v49, v37, v49, vcc
	v_cmp_ngt_f32_e32 vcc, -1.0, v46
	v_cndmask_b32_e32 v49, v39, v49, vcc
	v_cmp_neq_f32_e32 vcc, -1.0, v46
	v_cndmask_b32_e32 v49, v40, v49, vcc
	v_cmp_lt_f32_e64 vcc, |v46|, s74
	v_cndmask_b32_e32 v46, v49, v46, vcc
.LBB49_226:                             ;   in Loop: Header=BB49_4 Depth=1
	s_andn2_saveexec_b64 s[54:55], s[54:55]
	s_cbranch_execz .LBB49_232
; %bb.227:                              ;   in Loop: Header=BB49_4 Depth=1
	v_cmp_nlt_f32_e64 s[20:21], |v8|, 1.0
                                        ; implicit-def: $vgpr46
	s_and_saveexec_b64 s[56:57], s[20:21]
	s_xor_b64 s[56:57], exec, s[56:57]
	s_cbranch_execz .LBB49_229
; %bb.228:                              ;   in Loop: Header=BB49_4 Depth=1
	v_mul_f32_e32 v46, v13, v44
	v_mul_f32_e32 v49, 0x4f800000, v46
	v_cmp_gt_f32_e32 vcc, s66, v46
	v_cndmask_b32_e32 v46, v46, v49, vcc
	v_sqrt_f32_e32 v49, v46
	v_add_u32_e32 v50, -1, v49
	v_fma_f32 v52, -v50, v49, v46
	v_add_u32_e32 v51, 1, v49
	v_cmp_ge_f32_e64 s[20:21], 0, v52
	v_cndmask_b32_e64 v50, v49, v50, s[20:21]
	v_fma_f32 v49, -v51, v49, v46
	v_cmp_lt_f32_e64 s[20:21], 0, v49
	v_cndmask_b32_e64 v49, v50, v51, s[20:21]
	v_mul_f32_e32 v50, 0x37800000, v49
	v_cndmask_b32_e32 v49, v49, v50, vcc
	v_cmp_class_f32_e32 vcc, v46, v25
	v_cndmask_b32_e32 v46, v49, v46, vcc
	v_add_f32_e32 v46, v13, v46
	v_add_f32_e32 v51, 1.0, v46
	v_cvt_f64_f32_e32 v[49:50], v51
	v_add_f32_e32 v52, -1.0, v51
	v_frexp_exp_i32_f64_e32 v49, v[49:50]
	v_sub_f32_e32 v50, v52, v51
	v_add_f32_e32 v50, 1.0, v50
	v_sub_f32_e32 v52, v46, v52
	v_add_f32_e32 v50, v52, v50
	v_frexp_mant_f32_e32 v52, v51
	v_cmp_gt_f32_e32 vcc, s72, v52
	v_subbrev_co_u32_e32 v49, vcc, 0, v49, vcc
	v_sub_u32_e32 v52, 0, v49
	v_ldexp_f32 v51, v51, v52
	v_ldexp_f32 v50, v50, v52
	v_add_f32_e32 v52, -1.0, v51
	v_add_f32_e32 v55, 1.0, v51
	v_add_f32_e32 v53, 1.0, v52
	v_add_f32_e32 v56, -1.0, v55
	v_sub_f32_e32 v53, v51, v53
	v_sub_f32_e32 v51, v51, v56
	v_add_f32_e32 v53, v50, v53
	v_add_f32_e32 v50, v50, v51
	;; [unrolled: 1-line block ×3, first 2 shown]
	v_rcp_f32_e32 v56, v51
	v_add_f32_e32 v54, v52, v53
	v_sub_f32_e32 v52, v54, v52
	v_sub_f32_e32 v52, v53, v52
	;; [unrolled: 1-line block ×4, first 2 shown]
	v_mul_f32_e32 v53, v54, v56
	v_mul_f32_e32 v55, v51, v53
	v_fma_f32 v57, v53, v51, -v55
	v_fmac_f32_e32 v57, v53, v50
	v_add_f32_e32 v58, v55, v57
	v_sub_f32_e32 v59, v54, v58
	v_sub_f32_e32 v54, v54, v59
	v_sub_f32_e32 v55, v58, v55
	v_sub_f32_e32 v54, v54, v58
	v_add_f32_e32 v52, v52, v54
	v_sub_f32_e32 v54, v55, v57
	v_add_f32_e32 v52, v54, v52
	v_add_f32_e32 v54, v59, v52
	v_mul_f32_e32 v55, v56, v54
	v_mul_f32_e32 v57, v51, v55
	v_fma_f32 v51, v55, v51, -v57
	v_fmac_f32_e32 v51, v55, v50
	v_sub_f32_e32 v50, v59, v54
	v_add_f32_e32 v50, v52, v50
	v_add_f32_e32 v52, v57, v51
	v_sub_f32_e32 v58, v54, v52
	v_sub_f32_e32 v54, v54, v58
	;; [unrolled: 1-line block ×4, first 2 shown]
	v_add_f32_e32 v50, v50, v52
	v_sub_f32_e32 v51, v57, v51
	v_cvt_f32_i32_e32 v49, v49
	v_add_f32_e32 v50, v51, v50
	v_add_f32_e32 v51, v53, v55
	;; [unrolled: 1-line block ×3, first 2 shown]
	v_sub_f32_e32 v52, v51, v53
	v_mul_f32_e32 v50, v56, v50
	v_sub_f32_e32 v52, v55, v52
	v_add_f32_e32 v50, v52, v50
	v_mul_f32_e32 v55, 0x3f317218, v49
	v_add_f32_e32 v52, v51, v50
	v_fma_f32 v56, v49, s73, -v55
	v_mul_f32_e32 v53, v52, v52
	v_mov_b32_e32 v54, 0x3ecc95a3
	v_fmac_f32_e32 v56, 0xb102e308, v49
	v_sub_f32_e32 v49, v52, v51
	v_fmac_f32_e32 v54, 0x3e9b6dac, v53
	v_sub_f32_e32 v49, v50, v49
	v_add_f32_e32 v50, v55, v56
	v_fma_f32 v54, v53, v54, v26
	v_sub_f32_e32 v51, v50, v55
	v_ldexp_f32 v55, v52, 1
	v_mul_f32_e32 v52, v52, v53
	v_mul_f32_e32 v52, v52, v54
	v_add_f32_e32 v53, v55, v52
	v_sub_f32_e32 v54, v53, v55
	v_ldexp_f32 v49, v49, 1
	v_sub_f32_e32 v52, v52, v54
	v_add_f32_e32 v49, v49, v52
	v_add_f32_e32 v52, v53, v49
	v_sub_f32_e32 v53, v52, v53
	v_sub_f32_e32 v49, v49, v53
	v_add_f32_e32 v53, v50, v52
	v_sub_f32_e32 v54, v53, v50
	v_sub_f32_e32 v55, v53, v54
	v_sub_f32_e32 v51, v56, v51
	v_sub_f32_e32 v50, v50, v55
	v_sub_f32_e32 v52, v52, v54
	v_add_f32_e32 v50, v52, v50
	v_add_f32_e32 v52, v51, v49
	v_sub_f32_e32 v54, v52, v51
	v_sub_f32_e32 v55, v52, v54
	;; [unrolled: 1-line block ×4, first 2 shown]
	v_add_f32_e32 v50, v52, v50
	v_add_f32_e32 v49, v49, v51
	;; [unrolled: 1-line block ×3, first 2 shown]
	v_sub_f32_e32 v52, v51, v53
	v_sub_f32_e32 v50, v50, v52
	v_add_f32_e32 v49, v49, v50
	v_add_f32_e32 v49, v51, v49
	v_cmp_neq_f32_e32 vcc, s64, v46
	v_cndmask_b32_e32 v49, v37, v49, vcc
	v_cmp_ngt_f32_e32 vcc, -1.0, v46
	v_cndmask_b32_e32 v49, v39, v49, vcc
	v_cmp_neq_f32_e32 vcc, -1.0, v46
	v_cndmask_b32_e32 v49, v40, v49, vcc
	v_cmp_lt_f32_e64 vcc, |v46|, s74
	v_cndmask_b32_e32 v46, v49, v46, vcc
.LBB49_229:                             ;   in Loop: Header=BB49_4 Depth=1
	s_andn2_saveexec_b64 s[56:57], s[56:57]
	s_cbranch_execz .LBB49_231
; %bb.230:                              ;   in Loop: Header=BB49_4 Depth=1
	v_sub_f32_e64 v46, 1.0, |v8|
	v_mul_f32_e32 v46, v46, v44
	v_mul_f32_e32 v49, 0x4f800000, v46
	v_cmp_gt_f32_e32 vcc, s66, v46
	v_cndmask_b32_e32 v46, v46, v49, vcc
	v_sqrt_f32_e32 v49, v46
	v_add_u32_e32 v50, -1, v49
	v_fma_f32 v52, -v50, v49, v46
	v_add_u32_e32 v51, 1, v49
	v_cmp_ge_f32_e64 s[20:21], 0, v52
	v_cndmask_b32_e64 v50, v49, v50, s[20:21]
	v_fma_f32 v49, -v51, v49, v46
	v_cmp_lt_f32_e64 s[20:21], 0, v49
	v_cndmask_b32_e64 v49, v50, v51, s[20:21]
	v_mul_f32_e32 v50, 0x37800000, v49
	v_cndmask_b32_e32 v49, v49, v50, vcc
	v_cmp_class_f32_e32 vcc, v46, v25
	v_cndmask_b32_e32 v46, v49, v46, vcc
	v_and_b32_e32 v49, 0x7fffffff, v9
	v_div_scale_f32 v50, s[20:21], v46, v46, v49
	v_div_scale_f32 v49, vcc, v49, v46, v49
	v_rcp_f32_e32 v51, v50
	v_fma_f32 v52, -v50, v51, 1.0
	v_fmac_f32_e32 v51, v52, v51
	v_mul_f32_e32 v52, v49, v51
	v_fma_f32 v53, -v50, v52, v49
	v_fmac_f32_e32 v52, v53, v51
	v_fma_f32 v49, -v50, v52, v49
	v_div_fmas_f32 v49, v49, v51, v52
	v_div_fixup_f32 v46, v49, v46, |v9|
.LBB49_231:                             ;   in Loop: Header=BB49_4 Depth=1
	s_or_b64 exec, exec, s[56:57]
.LBB49_232:                             ;   in Loop: Header=BB49_4 Depth=1
	s_or_b64 exec, exec, s[54:55]
.LBB49_233:                             ;   in Loop: Header=BB49_4 Depth=1
	s_andn2_saveexec_b64 s[52:53], s[52:53]
	s_cbranch_execz .LBB49_235
; %bb.234:                              ;   in Loop: Header=BB49_4 Depth=1
	v_mul_f32_e64 v46, |v9|, s67
	v_cmp_lt_f32_e64 vcc, |v9|, s66
	v_cndmask_b32_e64 v46, |v9|, v46, vcc
	v_sqrt_f32_e32 v49, v46
	v_add_u32_e32 v50, -1, v49
	v_fma_f32 v52, -v50, v49, v46
	v_add_u32_e32 v51, 1, v49
	v_cmp_ge_f32_e64 s[20:21], 0, v52
	v_cndmask_b32_e64 v50, v49, v50, s[20:21]
	v_fma_f32 v49, -v51, v49, v46
	v_cmp_lt_f32_e64 s[20:21], 0, v49
	v_cndmask_b32_e64 v49, v50, v51, s[20:21]
	v_mul_f32_e32 v50, 0x37800000, v49
	v_cndmask_b32_e32 v49, v49, v50, vcc
	v_cmp_class_f32_e32 vcc, v46, v25
	v_cndmask_b32_e32 v46, v49, v46, vcc
.LBB49_235:                             ;   in Loop: Header=BB49_4 Depth=1
	s_or_b64 exec, exec, s[52:53]
.LBB49_236:                             ;   in Loop: Header=BB49_4 Depth=1
	s_or_b64 exec, exec, s[50:51]
	v_cmp_nlt_f32_e64 s[50:51], |v8|, s75
                                        ; implicit-def: $sgpr20_sgpr21
                                        ; implicit-def: $vgpr49
                                        ; implicit-def: $vgpr51
                                        ; implicit-def: $vgpr50
	s_and_saveexec_b64 s[52:53], s[50:51]
	s_xor_b64 s[50:51], exec, s[52:53]
	s_cbranch_execz .LBB49_260
; %bb.237:                              ;   in Loop: Header=BB49_4 Depth=1
	v_and_b32_e32 v50, 0x7fffffff, v8
	v_div_scale_f32 v49, s[20:21], v12, v12, v50
	v_div_scale_f32 v51, vcc, v50, v12, v50
	s_mov_b64 s[20:21], 0
	v_rcp_f32_e32 v52, v49
	v_fma_f32 v53, -v49, v52, 1.0
	v_fmac_f32_e32 v52, v53, v52
	v_mul_f32_e32 v53, v51, v52
	v_fma_f32 v54, -v49, v53, v51
	v_fmac_f32_e32 v53, v54, v52
	v_fma_f32 v49, -v49, v53, v51
	v_div_fmas_f32 v49, v49, v52, v53
                                        ; implicit-def: $vgpr51
	v_div_fixup_f32 v49, v49, v12, |v8|
	v_cmp_lt_f32_e32 vcc, s76, v49
	s_and_saveexec_b64 s[52:53], vcc
	s_cbranch_execz .LBB49_259
; %bb.238:                              ;   in Loop: Header=BB49_4 Depth=1
	v_cmp_neq_f32_e64 s[20:21], |v8|, 1.0
	v_cmp_nlt_f32_e64 s[54:55], |v9|, s77
	s_or_b64 s[20:21], s[54:55], s[20:21]
                                        ; implicit-def: $vgpr51
	s_and_saveexec_b64 s[54:55], s[20:21]
	s_xor_b64 s[54:55], exec, s[54:55]
	s_cbranch_execz .LBB49_256
; %bb.239:                              ;   in Loop: Header=BB49_4 Depth=1
	v_mul_f32_e64 v51, |v13|, s71
	v_cmp_ge_f32_e64 s[20:21], |v9|, v51
                                        ; implicit-def: $vgpr51
	s_and_saveexec_b64 s[56:57], s[20:21]
	s_xor_b64 s[56:57], exec, s[56:57]
	s_cbranch_execz .LBB49_249
; %bb.240:                              ;   in Loop: Header=BB49_4 Depth=1
	v_cmp_neq_f32_e32 vcc, 0, v44
	v_mov_b32_e32 v51, v47
	s_and_saveexec_b64 s[20:21], vcc
	s_cbranch_execz .LBB49_242
; %bb.241:                              ;   in Loop: Header=BB49_4 Depth=1
	v_mul_f32_e32 v51, v9, v9
	v_add_f32_e32 v44, v44, v48
	v_div_scale_f32 v48, s[58:59], v44, v44, v51
	v_div_scale_f32 v52, vcc, v51, v44, v51
	v_rcp_f32_e32 v53, v48
	v_fma_f32 v54, -v48, v53, 1.0
	v_fmac_f32_e32 v53, v54, v53
	v_mul_f32_e32 v54, v52, v53
	v_fma_f32 v55, -v48, v54, v52
	v_fmac_f32_e32 v54, v55, v53
	v_fma_f32 v48, -v48, v54, v52
	v_div_fmas_f32 v48, v48, v53, v54
	v_div_fixup_f32 v51, v48, v44, v51
.LBB49_242:                             ;   in Loop: Header=BB49_4 Depth=1
	s_or_b64 exec, exec, s[20:21]
	v_cmp_ngt_f32_e32 vcc, 0, v13
	s_and_saveexec_b64 s[20:21], vcc
	s_xor_b64 s[20:21], exec, s[20:21]
	s_cbranch_execz .LBB49_246
; %bb.243:                              ;   in Loop: Header=BB49_4 Depth=1
	v_cmp_neq_f32_e32 vcc, 0, v13
	s_and_saveexec_b64 s[58:59], vcc
	s_cbranch_execz .LBB49_245
; %bb.244:                              ;   in Loop: Header=BB49_4 Depth=1
	v_mul_f32_e32 v9, v9, v9
	v_add_f32_e32 v13, v13, v45
	v_div_scale_f32 v44, s[86:87], v13, v13, v9
	v_div_scale_f32 v45, vcc, v9, v13, v9
	v_rcp_f32_e32 v47, v44
	v_fma_f32 v48, -v44, v47, 1.0
	v_fmac_f32_e32 v47, v48, v47
	v_mul_f32_e32 v48, v45, v47
	v_fma_f32 v52, -v44, v48, v45
	v_fmac_f32_e32 v48, v52, v47
	v_fma_f32 v44, -v44, v48, v45
	v_div_fmas_f32 v44, v44, v47, v48
	v_div_fixup_f32 v47, v44, v13, v9
.LBB49_245:                             ;   in Loop: Header=BB49_4 Depth=1
	s_or_b64 exec, exec, s[58:59]
                                        ; implicit-def: $vgpr45
                                        ; implicit-def: $vgpr13
.LBB49_246:                             ;   in Loop: Header=BB49_4 Depth=1
	s_andn2_saveexec_b64 s[20:21], s[20:21]
; %bb.247:                              ;   in Loop: Header=BB49_4 Depth=1
	v_sub_f32_e32 v47, v45, v13
; %bb.248:                              ;   in Loop: Header=BB49_4 Depth=1
	s_or_b64 exec, exec, s[20:21]
	v_mul_f32_e32 v9, 0.5, v47
	v_fmac_f32_e32 v9, 0.5, v51
	v_add_f32_e64 v8, |v8|, v12
	v_mul_f32_e32 v8, v8, v9
	v_mul_f32_e32 v9, 0x4f800000, v8
	v_cmp_gt_f32_e32 vcc, s66, v8
	v_cndmask_b32_e32 v8, v8, v9, vcc
	v_sqrt_f32_e32 v9, v8
                                        ; implicit-def: $vgpr44
	v_add_u32_e32 v12, -1, v9
	v_fma_f32 v13, -v12, v9, v8
	v_cmp_ge_f32_e64 s[20:21], 0, v13
	v_add_u32_e32 v13, 1, v9
	v_cndmask_b32_e64 v12, v9, v12, s[20:21]
	v_fma_f32 v9, -v13, v9, v8
	v_cmp_lt_f32_e64 s[20:21], 0, v9
	v_cndmask_b32_e64 v9, v12, v13, s[20:21]
	v_mul_f32_e32 v12, 0x37800000, v9
	v_cndmask_b32_e32 v9, v9, v12, vcc
	v_cmp_class_f32_e32 vcc, v8, v25
	v_cndmask_b32_e32 v51, v9, v8, vcc
                                        ; implicit-def: $vgpr9
                                        ; implicit-def: $vgpr13
.LBB49_249:                             ;   in Loop: Header=BB49_4 Depth=1
	s_andn2_saveexec_b64 s[56:57], s[56:57]
	s_cbranch_execz .LBB49_255
; %bb.250:                              ;   in Loop: Header=BB49_4 Depth=1
	v_cmp_ngt_f32_e64 s[20:21], |v8|, 1.0
                                        ; implicit-def: $vgpr51
	s_and_saveexec_b64 s[58:59], s[20:21]
	s_xor_b64 s[58:59], exec, s[58:59]
	s_cbranch_execz .LBB49_252
; %bb.251:                              ;   in Loop: Header=BB49_4 Depth=1
	v_sub_f32_e64 v8, 1.0, |v8|
	v_mul_f32_e32 v8, v8, v44
	v_mul_f32_e32 v9, 0x4f800000, v8
	v_cmp_gt_f32_e32 vcc, s66, v8
	v_cndmask_b32_e32 v8, v8, v9, vcc
	v_sqrt_f32_e32 v9, v8
	v_add_u32_e32 v12, -1, v9
	v_fma_f32 v44, -v12, v9, v8
	v_add_u32_e32 v13, 1, v9
	v_cmp_ge_f32_e64 s[20:21], 0, v44
	v_cndmask_b32_e64 v12, v9, v12, s[20:21]
	v_fma_f32 v9, -v13, v9, v8
	v_cmp_lt_f32_e64 s[20:21], 0, v9
	v_cndmask_b32_e64 v9, v12, v13, s[20:21]
	v_mul_f32_e32 v12, 0x37800000, v9
	v_cndmask_b32_e32 v9, v9, v12, vcc
	v_cmp_class_f32_e32 vcc, v8, v25
	v_cndmask_b32_e32 v51, v9, v8, vcc
                                        ; implicit-def: $vgpr9
                                        ; implicit-def: $vgpr44
                                        ; implicit-def: $vgpr13
.LBB49_252:                             ;   in Loop: Header=BB49_4 Depth=1
	s_andn2_saveexec_b64 s[58:59], s[58:59]
	s_cbranch_execz .LBB49_254
; %bb.253:                              ;   in Loop: Header=BB49_4 Depth=1
	v_mul_f32_e32 v12, v44, v13
	v_mul_f32_e32 v13, 0x4f800000, v12
	v_cmp_gt_f32_e32 vcc, s66, v12
	v_cndmask_b32_e32 v12, v12, v13, vcc
	v_sqrt_f32_e32 v13, v12
	v_mul_f32_e64 v9, |v9|, s78
	v_mul_f32_e64 v9, |v8|, v9
	;; [unrolled: 1-line block ×3, first 2 shown]
	v_add_u32_e32 v44, -1, v13
	v_fma_f32 v45, -v44, v13, v12
	v_cmp_ge_f32_e64 s[20:21], 0, v45
	v_add_u32_e32 v45, 1, v13
	v_cndmask_b32_e64 v44, v13, v44, s[20:21]
	v_fma_f32 v13, -v45, v13, v12
	v_cmp_lt_f32_e64 s[20:21], 0, v13
	v_cndmask_b32_e64 v13, v44, v45, s[20:21]
	v_mul_f32_e32 v44, 0x37800000, v13
	v_cndmask_b32_e32 v13, v13, v44, vcc
	v_cmp_class_f32_e32 vcc, v12, v25
	v_cndmask_b32_e32 v12, v13, v12, vcc
	v_div_scale_f32 v13, s[20:21], v12, v12, v9
	v_div_scale_f32 v44, vcc, v9, v12, v9
	v_rcp_f32_e32 v45, v13
	v_fma_f32 v47, -v13, v45, 1.0
	v_fmac_f32_e32 v45, v47, v45
	v_mul_f32_e32 v47, v44, v45
	v_fma_f32 v48, -v13, v47, v44
	v_fmac_f32_e32 v47, v48, v45
	v_fma_f32 v13, -v13, v47, v44
	v_div_fmas_f32 v13, v13, v45, v47
	v_div_fixup_f32 v51, v13, v12, v9
.LBB49_254:                             ;   in Loop: Header=BB49_4 Depth=1
	s_or_b64 exec, exec, s[58:59]
.LBB49_255:                             ;   in Loop: Header=BB49_4 Depth=1
	s_or_b64 exec, exec, s[56:57]
                                        ; implicit-def: $vgpr9
                                        ; implicit-def: $vgpr12
.LBB49_256:                             ;   in Loop: Header=BB49_4 Depth=1
	s_andn2_saveexec_b64 s[54:55], s[54:55]
	s_cbranch_execz .LBB49_258
; %bb.257:                              ;   in Loop: Header=BB49_4 Depth=1
	v_mul_f32_e64 v8, |v9|, s67
	v_cmp_lt_f32_e64 vcc, |v9|, s66
	v_cndmask_b32_e64 v8, |v9|, v8, vcc
	v_sqrt_f32_e32 v9, v8
	v_add_f32_e32 v12, 1.0, v12
	v_mul_f32_e32 v12, 0.5, v12
	v_mov_b32_e32 v50, 1.0
	v_add_u32_e32 v13, -1, v9
	v_fma_f32 v45, -v13, v9, v8
	v_add_u32_e32 v44, 1, v9
	v_cmp_ge_f32_e64 s[20:21], 0, v45
	v_cndmask_b32_e64 v13, v9, v13, s[20:21]
	v_fma_f32 v9, -v44, v9, v8
	v_cmp_lt_f32_e64 s[20:21], 0, v9
	v_cndmask_b32_e64 v9, v13, v44, s[20:21]
	v_mul_f32_e32 v13, 0x37800000, v9
	v_cndmask_b32_e32 v9, v9, v13, vcc
	v_mul_f32_e32 v13, 0x4f800000, v12
	v_cmp_gt_f32_e32 vcc, s66, v12
	v_cndmask_b32_e32 v12, v12, v13, vcc
	v_sqrt_f32_e32 v13, v12
	v_cmp_class_f32_e64 s[20:21], v8, v25
	v_cndmask_b32_e64 v8, v9, v8, s[20:21]
	v_add_u32_e32 v9, -1, v13
	v_fma_f32 v44, -v9, v13, v12
	v_cmp_ge_f32_e64 s[20:21], 0, v44
	v_add_u32_e32 v44, 1, v13
	v_cndmask_b32_e64 v9, v13, v9, s[20:21]
	v_fma_f32 v13, -v44, v13, v12
	v_cmp_lt_f32_e64 s[20:21], 0, v13
	v_cndmask_b32_e64 v9, v9, v44, s[20:21]
	v_mul_f32_e32 v13, 0x37800000, v9
	v_cndmask_b32_e32 v9, v9, v13, vcc
	v_cmp_class_f32_e32 vcc, v12, v25
	v_cndmask_b32_e32 v9, v9, v12, vcc
	v_mul_f32_e32 v51, v8, v9
.LBB49_258:                             ;   in Loop: Header=BB49_4 Depth=1
	s_or_b64 exec, exec, s[54:55]
	s_mov_b64 s[20:21], exec
.LBB49_259:                             ;   in Loop: Header=BB49_4 Depth=1
	s_or_b64 exec, exec, s[52:53]
                                        ; implicit-def: $vgpr12
                                        ; implicit-def: $vgpr8
.LBB49_260:                             ;   in Loop: Header=BB49_4 Depth=1
	s_andn2_saveexec_b64 s[50:51], s[50:51]
; %bb.261:                              ;   in Loop: Header=BB49_4 Depth=1
	v_mul_f32_e32 v51, 0x4b800000, v12
	v_mul_f32_e64 v50, |v8|, s79
	s_or_b64 s[20:21], s[20:21], exec
                                        ; implicit-def: $vgpr49
; %bb.262:                              ;   in Loop: Header=BB49_4 Depth=1
	s_or_b64 exec, exec, s[50:51]
	s_xor_b64 s[20:21], s[20:21], -1
                                        ; implicit-def: $vgpr12
	s_and_saveexec_b64 s[50:51], s[20:21]
	s_xor_b64 s[50:51], exec, s[50:51]
	s_cbranch_execz .LBB49_268
; %bb.263:                              ;   in Loop: Header=BB49_4 Depth=1
	v_mul_f32_e32 v8, v49, v49
	v_fma_f32 v9, |v49|, -0.5, 0.5
                                        ; implicit-def: $vgpr12
	s_and_saveexec_b64 s[20:21], s[18:19]
	s_xor_b64 s[20:21], exec, s[20:21]
	s_cbranch_execz .LBB49_265
; %bb.264:                              ;   in Loop: Header=BB49_4 Depth=1
	v_cmp_gt_f32_e64 vcc, |v49|, 0.5
	v_cndmask_b32_e32 v8, v8, v9, vcc
	v_mov_b32_e32 v9, 0x3c5fc5da
	v_fmac_f32_e32 v9, 0x3d1c21a7, v8
	v_fma_f32 v9, v8, v9, v27
	v_fma_f32 v9, v8, v9, v28
	v_sqrt_f32_e32 v12, v8
	v_fma_f32 v9, v8, v9, v29
	v_fma_f32 v9, v8, v9, v30
	v_mul_f32_e32 v8, v8, v9
	v_fmac_f32_e32 v12, v12, v8
	v_fmac_f32_e32 v49, v49, v8
	v_add_f32_e32 v9, v12, v12
	v_sub_f32_e32 v8, 0x3fc90fdb, v49
	v_cndmask_b32_e32 v12, v8, v9, vcc
                                        ; implicit-def: $vgpr49
                                        ; implicit-def: $vgpr8
                                        ; implicit-def: $vgpr9
.LBB49_265:                             ;   in Loop: Header=BB49_4 Depth=1
	s_andn2_saveexec_b64 s[52:53], s[20:21]
	s_cbranch_execz .LBB49_267
; %bb.266:                              ;   in Loop: Header=BB49_4 Depth=1
	v_cmp_gt_f32_e64 vcc, |v49|, 0.5
	v_cndmask_b32_e32 v8, v8, v9, vcc
	v_mov_b32_e32 v9, 0x3c5fc5da
	v_fmac_f32_e32 v9, 0x3d1c21a7, v8
	v_fma_f32 v9, v8, v9, v27
	v_fma_f32 v9, v8, v9, v28
	v_sqrt_f32_e32 v12, v8
	v_fma_f32 v9, v8, v9, v29
	v_fma_f32 v9, v8, v9, v30
	v_mul_f32_e32 v8, v8, v9
	v_fmac_f32_e32 v12, v12, v8
	v_add_f32_e32 v9, v12, v12
	v_sub_f32_e32 v12, 0x40490fdb, v9
	v_cmp_lt_f32_e64 s[20:21], 0, v49
	v_fma_f32 v8, -v49, v8, -v49
	v_cndmask_b32_e64 v9, v9, v12, s[20:21]
	v_sub_f32_e32 v8, 0x3fc90fdb, v8
	v_cndmask_b32_e32 v12, v8, v9, vcc
.LBB49_267:                             ;   in Loop: Header=BB49_4 Depth=1
	s_or_b64 exec, exec, s[52:53]
                                        ; implicit-def: $vgpr50
                                        ; implicit-def: $vgpr51
.LBB49_268:                             ;   in Loop: Header=BB49_4 Depth=1
	s_andn2_saveexec_b64 s[20:21], s[50:51]
	s_cbranch_execz .LBB49_274
; %bb.269:                              ;   in Loop: Header=BB49_4 Depth=1
	v_max_f32_e64 v8, |v51|, |v51|
	v_max_f32_e32 v9, v50, v50
	v_min_f32_e32 v12, v9, v8
	v_max_f32_e32 v8, v9, v8
	v_frexp_mant_f32_e32 v9, v8
	v_rcp_f32_e32 v9, v9
	v_frexp_exp_i32_f32_e32 v8, v8
	v_frexp_exp_i32_f32_e32 v13, v12
	v_frexp_mant_f32_e32 v12, v12
	v_mul_f32_e32 v9, v12, v9
	v_sub_u32_e32 v8, v13, v8
	v_ldexp_f32 v8, v9, v8
	v_mul_f32_e32 v9, v8, v8
	v_mov_b32_e32 v12, 0xbc7a590c
	v_fmac_f32_e32 v12, 0x3b2d2a58, v9
	v_fma_f32 v12, v9, v12, v31
	v_fma_f32 v12, v9, v12, v32
	;; [unrolled: 1-line block ×6, first 2 shown]
	v_mul_f32_e32 v9, v9, v12
	v_fmac_f32_e32 v8, v8, v9
	v_sub_f32_e32 v9, 0x3fc90fdb, v8
	v_cmp_gt_f32_e64 vcc, |v51|, v50
	v_cndmask_b32_e32 v8, v8, v9, vcc
	v_cmp_class_f32_e64 s[50:51], v51, s80
                                        ; implicit-def: $vgpr12
	s_and_saveexec_b64 s[52:53], s[18:19]
	s_xor_b64 s[18:19], exec, s[52:53]
; %bb.270:                              ;   in Loop: Header=BB49_4 Depth=1
	v_cmp_neq_f32_e32 vcc, 0, v51
	v_cndmask_b32_e32 v8, 0, v8, vcc
	v_cmp_eq_f32_e32 vcc, s64, v50
	s_and_b64 vcc, vcc, s[50:51]
	v_cndmask_b32_e32 v8, v8, v41, vcc
	v_cmp_o_f32_e32 vcc, v51, v51
	v_cndmask_b32_e32 v8, v39, v8, vcc
	v_bfi_b32 v12, s63, v8, v51
                                        ; implicit-def: $vgpr8
                                        ; implicit-def: $vgpr50
                                        ; implicit-def: $vgpr51
; %bb.271:                              ;   in Loop: Header=BB49_4 Depth=1
	s_andn2_saveexec_b64 s[18:19], s[18:19]
	s_cbranch_execz .LBB49_273
; %bb.272:                              ;   in Loop: Header=BB49_4 Depth=1
	v_sub_f32_e32 v9, 0x40490fdb, v8
	v_cmp_lt_f32_e32 vcc, 0, v50
	v_cndmask_b32_e32 v8, v8, v9, vcc
	v_cmp_neq_f32_e32 vcc, 0, v51
	v_cndmask_b32_e32 v8, v42, v8, vcc
	v_cmp_eq_f32_e32 vcc, s64, v50
	s_and_b64 vcc, vcc, s[50:51]
	v_cndmask_b32_e32 v8, v8, v43, vcc
	v_cmp_o_f32_e32 vcc, v51, v51
	v_cndmask_b32_e32 v8, v39, v8, vcc
	v_bfi_b32 v12, s63, v8, v51
.LBB49_273:                             ;   in Loop: Header=BB49_4 Depth=1
	s_or_b64 exec, exec, s[18:19]
.LBB49_274:                             ;   in Loop: Header=BB49_4 Depth=1
	s_or_b64 exec, exec, s[20:21]
	v_cndmask_b32_e64 v13, -v46, v46, s[14:15]
                                        ; implicit-def: $vgpr8
.LBB49_275:                             ;   in Loop: Header=BB49_4 Depth=1
	s_andn2_saveexec_b64 s[18:19], s[48:49]
	s_cbranch_execz .LBB49_277
; %bb.276:                              ;   in Loop: Header=BB49_4 Depth=1
	v_mov_b32_e32 v45, s27
	v_mov_b32_e32 v44, s26
	flat_load_dword v9, v[44:45] glc
	s_waitcnt vmcnt(0) lgkmcnt(0)
	v_sub_f32_e32 v8, v9, v8
	v_add_f32_e32 v12, 0x3fc90fdb, v8
.LBB49_277:                             ;   in Loop: Header=BB49_4 Depth=1
	s_or_b64 exec, exec, s[18:19]
.LBB49_278:                             ;   in Loop: Header=BB49_4 Depth=1
	s_andn2_saveexec_b64 s[18:19], s[46:47]
; %bb.279:                              ;   in Loop: Header=BB49_4 Depth=1
	v_mov_b32_e32 v12, 0
; %bb.280:                              ;   in Loop: Header=BB49_4 Depth=1
	s_or_b64 exec, exec, s[18:19]
                                        ; implicit-def: $vgpr8
                                        ; implicit-def: $vgpr46
                                        ; implicit-def: $vgpr45
                                        ; implicit-def: $vgpr44
.LBB49_281:                             ;   in Loop: Header=BB49_4 Depth=1
	s_andn2_saveexec_b64 s[44:45], s[44:45]
	s_cbranch_execz .LBB49_291
; %bb.282:                              ;   in Loop: Header=BB49_4 Depth=1
	v_cmp_lt_f32_e64 s[18:19], |v8|, |v9|
	v_cndmask_b32_e64 v47, |v8|, |v9|, s[18:19]
	v_cmp_nlt_f32_e32 vcc, s81, v47
                                        ; implicit-def: $vgpr13
                                        ; implicit-def: $vgpr12
	s_and_saveexec_b64 s[20:21], vcc
	s_xor_b64 s[46:47], exec, s[20:21]
	s_cbranch_execz .LBB49_288
; %bb.283:                              ;   in Loop: Header=BB49_4 Depth=1
	v_cndmask_b32_e64 v48, |v9|, |v8|, s[18:19]
	v_cmp_nlt_f32_e32 vcc, s82, v47
	v_cmp_ngt_f32_e64 s[20:21], s83, v48
	s_and_b64 s[20:21], vcc, s[20:21]
                                        ; implicit-def: $vgpr13
                                        ; implicit-def: $vgpr12
	s_and_saveexec_b64 s[48:49], s[20:21]
	s_xor_b64 s[20:21], exec, s[48:49]
	s_cbranch_execz .LBB49_285
; %bb.284:                              ;   in Loop: Header=BB49_4 Depth=1
	v_mul_f32_e32 v12, v48, v48
	v_fmac_f32_e32 v12, v47, v47
	v_cmp_gt_f32_e32 vcc, s68, v12
	v_cndmask_b32_e64 v13, 0, 32, vcc
	v_ldexp_f32 v12, v12, v13
	v_log_f32_e32 v12, v12
	v_cndmask_b32_e32 v13, 0, v38, vcc
	v_mul_f32_e32 v47, 0x3f317217, v12
	v_fma_f32 v47, v12, s69, -v47
	v_fmac_f32_e32 v47, 0x3377d1cf, v12
	v_fmac_f32_e32 v47, 0x3f317217, v12
	v_cmp_lt_f32_e64 vcc, |v12|, s64
	v_cndmask_b32_e32 v12, v12, v47, vcc
	v_sub_f32_e32 v12, v12, v13
	v_mul_f32_e32 v13, 0.5, v12
	v_min_f32_e32 v12, v46, v45
	v_frexp_mant_f32_e32 v45, v44
	v_rcp_f32_e32 v45, v45
	v_frexp_exp_i32_f32_e32 v44, v44
	v_frexp_exp_i32_f32_e32 v46, v12
	v_frexp_mant_f32_e32 v12, v12
	v_mul_f32_e32 v12, v12, v45
	v_sub_u32_e32 v44, v46, v44
	v_ldexp_f32 v12, v12, v44
	v_mul_f32_e32 v44, v12, v12
	v_mov_b32_e32 v45, 0xbc7a590c
	v_fmac_f32_e32 v45, 0x3b2d2a58, v44
	v_fma_f32 v45, v44, v45, v31
	v_fma_f32 v45, v44, v45, v32
	;; [unrolled: 1-line block ×6, first 2 shown]
	v_mul_f32_e32 v44, v44, v45
	v_fmac_f32_e32 v12, v12, v44
                                        ; implicit-def: $vgpr44
                                        ; implicit-def: $vgpr46
                                        ; implicit-def: $vgpr45
.LBB49_285:                             ;   in Loop: Header=BB49_4 Depth=1
	s_andn2_saveexec_b64 s[20:21], s[20:21]
	s_cbranch_execz .LBB49_287
; %bb.286:                              ;   in Loop: Header=BB49_4 Depth=1
	v_cvt_f64_f32_e32 v[12:13], v44
	v_cmp_neq_f32_e32 vcc, s64, v44
	v_mov_b32_e32 v47, 0xbc7a590c
	v_frexp_exp_i32_f64_e32 v12, v[12:13]
	v_min_f32_e32 v13, v46, v45
	v_frexp_exp_i32_f32_e32 v45, v44
	v_frexp_mant_f32_e32 v46, v44
	v_rcp_f32_e32 v46, v46
	v_frexp_exp_i32_f32_e32 v48, v13
	v_frexp_mant_f32_e32 v13, v13
	v_sub_u32_e32 v45, v48, v45
	v_sub_u32_e32 v49, 0, v12
	v_ldexp_f32 v50, |v8|, v49
	v_ldexp_f32 v49, |v9|, v49
	v_mul_f32_e32 v49, v49, v49
	v_fmac_f32_e32 v49, v50, v50
	v_sqrt_f32_e32 v49, v49
	v_mul_f32_e32 v13, v13, v46
	v_ldexp_f32 v12, v49, v12
	v_cndmask_b32_e32 v12, v37, v12, vcc
	v_cmp_gt_f32_e32 vcc, s68, v12
	v_cndmask_b32_e64 v44, 0, 32, vcc
	v_ldexp_f32 v12, v12, v44
	v_log_f32_e32 v44, v12
	v_ldexp_f32 v12, v13, v45
	v_mul_f32_e32 v45, v12, v12
	v_cndmask_b32_e32 v13, 0, v38, vcc
	v_mul_f32_e32 v46, 0x3f317217, v44
	v_fma_f32 v46, v44, s69, -v46
	v_fmac_f32_e32 v46, 0x3377d1cf, v44
	v_fmac_f32_e32 v46, 0x3f317217, v44
	v_cmp_lt_f32_e64 vcc, |v44|, s64
	v_cndmask_b32_e32 v44, v44, v46, vcc
	v_fmac_f32_e32 v47, 0x3b2d2a58, v45
	v_sub_f32_e32 v13, v44, v13
	v_fma_f32 v44, v45, v47, v31
	v_fma_f32 v44, v45, v44, v32
	;; [unrolled: 1-line block ×6, first 2 shown]
	v_mul_f32_e32 v44, v45, v44
	v_fmac_f32_e32 v12, v12, v44
.LBB49_287:                             ;   in Loop: Header=BB49_4 Depth=1
	s_or_b64 exec, exec, s[20:21]
                                        ; implicit-def: $vgpr46
                                        ; implicit-def: $vgpr45
                                        ; implicit-def: $vgpr44
.LBB49_288:                             ;   in Loop: Header=BB49_4 Depth=1
	s_andn2_saveexec_b64 s[46:47], s[46:47]
	s_cbranch_execz .LBB49_290
; %bb.289:                              ;   in Loop: Header=BB49_4 Depth=1
	v_div_scale_f32 v12, s[20:21], s84, s84, v8
	v_div_scale_f32 v13, s[20:21], s84, s84, v9
	v_div_scale_f32 v47, vcc, v8, s84, v8
	v_div_scale_f32 v48, s[20:21], v9, s84, v9
	v_min_f32_e32 v45, v46, v45
	v_frexp_exp_i32_f32_e32 v46, v44
	v_frexp_mant_f32_e32 v44, v44
	v_rcp_f32_e32 v44, v44
	v_rcp_f32_e32 v49, v12
	v_rcp_f32_e32 v50, v13
	v_fma_f32 v51, -v12, v49, 1.0
	v_fmac_f32_e32 v49, v51, v49
	v_fma_f32 v52, -v13, v50, 1.0
	v_fmac_f32_e32 v50, v52, v50
	v_mul_f32_e32 v51, v47, v49
	v_mul_f32_e32 v52, v48, v50
	v_fma_f32 v53, -v12, v51, v47
	v_fma_f32 v54, -v13, v52, v48
	v_fmac_f32_e32 v51, v53, v49
	v_fmac_f32_e32 v52, v54, v50
	v_fma_f32 v12, -v12, v51, v47
	v_fma_f32 v13, -v13, v52, v48
	v_div_fmas_f32 v12, v12, v49, v51
	s_mov_b64 vcc, s[20:21]
	v_div_fmas_f32 v13, v13, v50, v52
	v_frexp_exp_i32_f32_e32 v51, v45
	v_frexp_mant_f32_e32 v45, v45
	v_mul_f32_e32 v44, v45, v44
	v_mov_b32_e32 v47, 0xbc7a590c
	v_div_fixup_f32 v48, v12, s84, v8
	v_div_fixup_f32 v49, v13, s84, v9
	v_max_f32_e64 v50, |v48|, |v49|
	v_cvt_f64_f32_e32 v[12:13], v50
	v_cmp_neq_f32_e32 vcc, s64, v50
	v_frexp_exp_i32_f64_e32 v13, v[12:13]
	v_sub_u32_e32 v12, v51, v46
	v_ldexp_f32 v12, v44, v12
	v_mul_f32_e32 v44, v12, v12
	v_fmac_f32_e32 v47, 0x3b2d2a58, v44
	v_fma_f32 v45, v44, v47, v31
	v_fma_f32 v45, v44, v45, v32
	;; [unrolled: 1-line block ×3, first 2 shown]
	v_sub_u32_e32 v46, 0, v13
	v_ldexp_f32 v47, |v48|, v46
	v_ldexp_f32 v46, |v49|, v46
	v_mul_f32_e32 v46, v46, v46
	v_fmac_f32_e32 v46, v47, v47
	v_sqrt_f32_e32 v46, v46
	v_fma_f32 v45, v44, v45, v34
	v_fma_f32 v45, v44, v45, v35
	;; [unrolled: 1-line block ×3, first 2 shown]
	v_ldexp_f32 v13, v46, v13
	v_cndmask_b32_e32 v13, v37, v13, vcc
	v_cmp_gt_f32_e32 vcc, s68, v13
	v_cndmask_b32_e64 v46, 0, 32, vcc
	v_ldexp_f32 v13, v13, v46
	v_log_f32_e32 v13, v13
	v_mul_f32_e32 v44, v44, v45
	v_cndmask_b32_e32 v45, 0, v38, vcc
	v_fmac_f32_e32 v12, v12, v44
	v_mul_f32_e32 v46, 0x3f317217, v13
	v_fma_f32 v46, v13, s69, -v46
	v_fmac_f32_e32 v46, 0x3377d1cf, v13
	v_fmac_f32_e32 v46, 0x3f317217, v13
	v_cmp_lt_f32_e64 vcc, |v13|, s64
	v_cndmask_b32_e32 v13, v13, v46, vcc
	v_sub_f32_e32 v13, v13, v45
	v_add_f32_e32 v13, 1.0, v13
.LBB49_290:                             ;   in Loop: Header=BB49_4 Depth=1
	s_or_b64 exec, exec, s[46:47]
	v_sub_f32_e32 v44, 0x3fc90fdb, v12
	v_cndmask_b32_e64 v12, v12, v44, s[18:19]
	v_sub_f32_e32 v44, 0x40490fdb, v12
	v_cmp_gt_f32_e32 vcc, 0, v8
	v_cndmask_b32_e32 v12, v12, v44, vcc
	v_cndmask_b32_e64 v44, 0, v42, s[16:17]
	v_cndmask_b32_e32 v45, v41, v43, vcc
	v_cmp_class_f32_e64 s[16:17], v8, s80
	v_cmp_class_f32_e64 s[18:19], v9, s80
	v_cmp_eq_f32_e32 vcc, 0, v9
	v_cndmask_b32_e64 v8, |v12|, v44, vcc
	s_and_b64 vcc, s[18:19], s[16:17]
	v_cndmask_b32_e32 v12, v8, v45, vcc
	v_add_f32_e32 v8, 0x3f317218, v13
	v_cndmask_b32_e64 v13, -v8, v8, s[14:15]
.LBB49_291:                             ;   in Loop: Header=BB49_4 Depth=1
	s_or_b64 exec, exec, s[44:45]
                                        ; implicit-def: $vgpr9
.LBB49_292:                             ;   in Loop: Header=BB49_4 Depth=1
	s_andn2_saveexec_b64 s[14:15], s[42:43]
	s_cbranch_execz .LBB49_306
; %bb.293:                              ;   in Loop: Header=BB49_4 Depth=1
	v_cmp_neq_f32_e64 s[16:17], |v8|, s64
                                        ; implicit-def: $vgpr13
	s_and_saveexec_b64 s[18:19], s[16:17]
	s_xor_b64 s[16:17], exec, s[18:19]
	s_cbranch_execz .LBB49_303
; %bb.294:                              ;   in Loop: Header=BB49_4 Depth=1
	v_cmp_neq_f32_e64 s[18:19], |v9|, s64
	v_xor_b32_e32 v13, 0x80000000, v9
	s_and_saveexec_b64 s[20:21], s[18:19]
	s_xor_b64 s[18:19], exec, s[20:21]
	s_cbranch_execz .LBB49_300
; %bb.295:                              ;   in Loop: Header=BB49_4 Depth=1
	v_cmp_neq_f32_e32 vcc, 0, v8
                                        ; implicit-def: $vgpr13
	s_and_saveexec_b64 s[20:21], vcc
	s_xor_b64 s[20:21], exec, s[20:21]
; %bb.296:                              ;   in Loop: Header=BB49_4 Depth=1
	v_add_f32_e32 v9, 0, v9
	v_add_f32_e32 v13, v9, v8
                                        ; implicit-def: $vgpr9
; %bb.297:                              ;   in Loop: Header=BB49_4 Depth=1
	s_or_saveexec_b64 s[20:21], s[20:21]
	v_mov_b32_e32 v12, v13
	s_xor_b64 exec, exec, s[20:21]
	s_cbranch_execz .LBB49_299
; %bb.298:                              ;   in Loop: Header=BB49_4 Depth=1
	v_mov_b32_e32 v12, s26
	v_mov_b32_e32 v13, s27
	flat_load_dword v8, v[12:13] glc
	s_waitcnt vmcnt(0)
	v_add_f32_e32 v13, v9, v9
	s_waitcnt lgkmcnt(0)
	v_add_f32_e32 v12, 0x3fc90fdb, v8
.LBB49_299:                             ;   in Loop: Header=BB49_4 Depth=1
	s_or_b64 exec, exec, s[20:21]
                                        ; implicit-def: $vgpr8
.LBB49_300:                             ;   in Loop: Header=BB49_4 Depth=1
	s_andn2_saveexec_b64 s[18:19], s[18:19]
; %bb.301:                              ;   in Loop: Header=BB49_4 Depth=1
	v_add_f32_e32 v12, v8, v8
; %bb.302:                              ;   in Loop: Header=BB49_4 Depth=1
	s_or_b64 exec, exec, s[18:19]
                                        ; implicit-def: $vgpr9
.LBB49_303:                             ;   in Loop: Header=BB49_4 Depth=1
	s_andn2_saveexec_b64 s[16:17], s[16:17]
; %bb.304:                              ;   in Loop: Header=BB49_4 Depth=1
	v_add_f32_e32 v12, v9, v9
	v_mov_b32_e32 v13, 0xff800000
; %bb.305:                              ;   in Loop: Header=BB49_4 Depth=1
	s_or_b64 exec, exec, s[16:17]
.LBB49_306:                             ;   in Loop: Header=BB49_4 Depth=1
	s_or_b64 exec, exec, s[14:15]
	v_mov_b32_e32 v8, s26
	v_mov_b32_e32 v9, s27
	v_cmp_o_f32_e32 vcc, v4, v5
	flat_store_dword v[8:9], v23
	s_waitcnt vmcnt(0)
                                        ; implicit-def: $vgpr9
	s_and_saveexec_b64 s[14:15], vcc
	s_xor_b64 s[42:43], exec, s[14:15]
	s_cbranch_execnz .LBB49_312
; %bb.307:                              ;   in Loop: Header=BB49_4 Depth=1
	s_andn2_saveexec_b64 s[14:15], s[42:43]
	s_cbranch_execnz .LBB49_395
.LBB49_308:                             ;   in Loop: Header=BB49_4 Depth=1
	s_or_b64 exec, exec, s[14:15]
	s_and_saveexec_b64 s[14:15], s[6:7]
	s_xor_b64 s[6:7], exec, s[14:15]
	s_cbranch_execnz .LBB49_408
.LBB49_309:                             ;   in Loop: Header=BB49_4 Depth=1
	s_or_b64 exec, exec, s[6:7]
	s_and_saveexec_b64 s[6:7], s[8:9]
	s_cbranch_execnz .LBB49_409
.LBB49_310:                             ;   in Loop: Header=BB49_4 Depth=1
	s_or_b64 exec, exec, s[6:7]
	s_and_saveexec_b64 s[6:7], s[10:11]
	s_cbranch_execnz .LBB49_410
.LBB49_311:                             ;   in Loop: Header=BB49_4 Depth=1
	s_or_b64 exec, exec, s[6:7]
	s_and_saveexec_b64 s[6:7], s[12:13]
	s_cbranch_execz .LBB49_3
	s_branch .LBB49_411
.LBB49_312:                             ;   in Loop: Header=BB49_4 Depth=1
	v_max_f32_e64 v46, |v4|, |v4|
	v_max_f32_e64 v45, |v5|, |v5|
	v_max_f32_e32 v44, v45, v46
	v_cmp_gt_i32_e64 s[16:17], 0, v4
	v_cmp_lt_i32_e64 s[18:19], -1, v4
	v_cmp_gt_i32_e64 s[14:15], 0, v5
	v_cmp_nlt_f32_e32 vcc, s61, v44
                                        ; implicit-def: $vgpr9
	s_and_saveexec_b64 s[20:21], vcc
	s_xor_b64 s[44:45], exec, s[20:21]
	s_cbranch_execz .LBB49_384
; %bb.313:                              ;   in Loop: Header=BB49_4 Depth=1
	v_cmp_neq_f32_e32 vcc, 1.0, v4
	v_cmp_neq_f32_e64 s[20:21], 0, v5
	s_or_b64 s[20:21], s[20:21], vcc
	v_xor_b32_e32 v9, 0x80000000, v5
	s_and_saveexec_b64 s[46:47], s[20:21]
	s_xor_b64 s[46:47], exec, s[46:47]
	s_cbranch_execz .LBB49_381
; %bb.314:                              ;   in Loop: Header=BB49_4 Depth=1
	v_mov_b32_e32 v8, s34
	v_mov_b32_e32 v9, s35
	flat_store_dword v[8:9], v24
	s_waitcnt vmcnt(0)
	flat_load_dword v8, v[8:9] glc
	s_waitcnt vmcnt(0)
	v_cmp_nlt_f32_e64 s[20:21], |v4|, s62
	v_cmp_nlt_f32_e64 s[48:49], |v5|, s62
	s_or_b64 s[20:21], s[48:49], s[20:21]
	s_waitcnt lgkmcnt(0)
	v_add_f32_e32 v44, 1.0, v8
	v_mov_b32_e32 v8, s36
	v_mov_b32_e32 v9, s37
	flat_store_dword v[8:9], v44
	s_waitcnt vmcnt(0)
	flat_load_dword v8, v[8:9] glc
	s_waitcnt vmcnt(0) lgkmcnt(0)
	v_xor_b32_e32 v9, 0x80000000, v5
	s_and_saveexec_b64 s[48:49], s[20:21]
	s_xor_b64 s[48:49], exec, s[48:49]
	s_cbranch_execz .LBB49_378
; %bb.315:                              ;   in Loop: Header=BB49_4 Depth=1
	v_add_f32_e64 v44, |v4|, 1.0
	v_max_f32_e32 v8, v45, v44
	v_add_f32_e64 v9, |v4|, -1.0
	v_cvt_f64_f32_e32 v[46:47], v8
	v_max_f32_e64 v45, v45, |v9|
	v_cvt_f64_f32_e32 v[48:49], v45
	v_cmp_neq_f32_e32 vcc, s64, v8
	v_frexp_exp_i32_f64_e32 v46, v[46:47]
	v_frexp_exp_i32_f64_e32 v47, v[48:49]
	v_sub_u32_e32 v48, 0, v46
	v_ldexp_f32 v50, |v5|, v48
	v_sub_u32_e32 v49, 0, v47
	v_ldexp_f32 v48, v44, v48
	v_ldexp_f32 v51, |v5|, v49
	v_ldexp_f32 v49, |v9|, v49
	v_mul_f32_e32 v48, v48, v48
	v_mul_f32_e32 v49, v49, v49
	v_fmac_f32_e32 v48, v50, v50
	v_fmac_f32_e32 v49, v51, v51
	v_sqrt_f32_e32 v48, v48
	v_sqrt_f32_e32 v49, v49
	v_ldexp_f32 v46, v48, v46
	v_ldexp_f32 v47, v49, v47
	v_cndmask_b32_e32 v48, v37, v46, vcc
	v_cmp_neq_f32_e32 vcc, s64, v45
	v_cndmask_b32_e32 v45, v37, v47, vcc
	v_add_f32_e32 v8, v48, v45
	v_mul_f32_e32 v8, 0.5, v8
	v_cmp_ngt_f32_e32 vcc, 1.0, v8
	v_cndmask_b32_e32 v8, 1.0, v8, vcc
	v_cmp_ngt_f32_e32 vcc, s65, v8
                                        ; implicit-def: $vgpr46
	s_and_saveexec_b64 s[20:21], vcc
	s_xor_b64 s[50:51], exec, s[20:21]
	s_cbranch_execz .LBB49_317
; %bb.316:                              ;   in Loop: Header=BB49_4 Depth=1
	v_fma_f32 v46, v8, v8, -1.0
	v_mul_f32_e32 v47, 0x4f800000, v46
	v_cmp_gt_f32_e32 vcc, s66, v46
	v_cndmask_b32_e32 v46, v46, v47, vcc
	v_sqrt_f32_e32 v47, v46
	v_add_u32_e32 v49, -1, v47
	v_fma_f32 v51, -v49, v47, v46
	v_add_u32_e32 v50, 1, v47
	v_cmp_ge_f32_e64 s[20:21], 0, v51
	v_cndmask_b32_e64 v49, v47, v49, s[20:21]
	v_fma_f32 v47, -v50, v47, v46
	v_cmp_lt_f32_e64 s[20:21], 0, v47
	v_cndmask_b32_e64 v47, v49, v50, s[20:21]
	v_mul_f32_e32 v49, 0x37800000, v47
	v_cndmask_b32_e32 v47, v47, v49, vcc
	v_cmp_class_f32_e32 vcc, v46, v25
	v_cndmask_b32_e32 v46, v47, v46, vcc
	v_add_f32_e32 v46, v8, v46
	v_cmp_gt_f32_e32 vcc, s68, v46
	v_cndmask_b32_e64 v47, 0, 32, vcc
	v_ldexp_f32 v46, v46, v47
	v_log_f32_e32 v46, v46
	v_mul_f32_e32 v47, 0x3f317217, v46
	v_fma_f32 v47, v46, s69, -v47
	v_fmac_f32_e32 v47, 0x3377d1cf, v46
	v_fmac_f32_e32 v47, 0x3f317217, v46
	v_cmp_lt_f32_e64 s[20:21], |v46|, s64
	v_cndmask_b32_e64 v46, v46, v47, s[20:21]
	v_cndmask_b32_e32 v47, 0, v38, vcc
	v_sub_f32_e32 v46, v46, v47
.LBB49_317:                             ;   in Loop: Header=BB49_4 Depth=1
	s_or_saveexec_b64 s[50:51], s[50:51]
	v_and_b32_e32 v47, 0x7fffffff, v5
	s_xor_b64 exec, exec, s[50:51]
	s_cbranch_execz .LBB49_339
; %bb.318:                              ;   in Loop: Header=BB49_4 Depth=1
	v_cmp_neq_f32_e64 s[20:21], |v4|, 1.0
	v_cmp_nlt_f32_e64 s[52:53], |v5|, s70
	s_or_b64 s[20:21], s[52:53], s[20:21]
                                        ; implicit-def: $vgpr46
	s_and_saveexec_b64 s[52:53], s[20:21]
	s_xor_b64 s[52:53], exec, s[52:53]
	s_cbranch_execz .LBB49_336
; %bb.319:                              ;   in Loop: Header=BB49_4 Depth=1
	v_mul_f32_e64 v46, |v9|, s71
	v_cmp_ge_f32_e64 s[20:21], |v5|, v46
                                        ; implicit-def: $vgpr46
	s_and_saveexec_b64 s[54:55], s[20:21]
	s_xor_b64 s[54:55], exec, s[54:55]
	s_cbranch_execz .LBB49_329
; %bb.320:                              ;   in Loop: Header=BB49_4 Depth=1
	v_cmp_neq_f32_e32 vcc, 0, v44
	v_mov_b32_e32 v46, v47
	s_and_saveexec_b64 s[20:21], vcc
	s_cbranch_execz .LBB49_322
; %bb.321:                              ;   in Loop: Header=BB49_4 Depth=1
	v_mul_f32_e32 v46, v5, v5
	v_add_f32_e32 v49, v44, v48
	v_div_scale_f32 v50, s[56:57], v49, v49, v46
	v_div_scale_f32 v51, vcc, v46, v49, v46
	v_rcp_f32_e32 v52, v50
	v_fma_f32 v53, -v50, v52, 1.0
	v_fmac_f32_e32 v52, v53, v52
	v_mul_f32_e32 v53, v51, v52
	v_fma_f32 v54, -v50, v53, v51
	v_fmac_f32_e32 v53, v54, v52
	v_fma_f32 v50, -v50, v53, v51
	v_div_fmas_f32 v50, v50, v52, v53
	v_div_fixup_f32 v46, v50, v49, v46
.LBB49_322:                             ;   in Loop: Header=BB49_4 Depth=1
	s_or_b64 exec, exec, s[20:21]
	v_sub_f32_e64 v50, 1.0, |v4|
	v_cmp_ngt_f32_e32 vcc, 0, v50
                                        ; implicit-def: $vgpr49
	s_and_saveexec_b64 s[20:21], vcc
	s_xor_b64 s[20:21], exec, s[20:21]
	s_cbranch_execz .LBB49_326
; %bb.323:                              ;   in Loop: Header=BB49_4 Depth=1
	v_cmp_neq_f32_e32 vcc, 0, v50
	v_mov_b32_e32 v49, v47
	s_and_saveexec_b64 s[56:57], vcc
	s_cbranch_execz .LBB49_325
; %bb.324:                              ;   in Loop: Header=BB49_4 Depth=1
	v_mul_f32_e32 v49, v5, v5
	v_add_f32_e32 v50, v50, v45
	v_div_scale_f32 v51, s[58:59], v50, v50, v49
	v_div_scale_f32 v52, vcc, v49, v50, v49
	v_rcp_f32_e32 v53, v51
	v_fma_f32 v54, -v51, v53, 1.0
	v_fmac_f32_e32 v53, v54, v53
	v_mul_f32_e32 v54, v52, v53
	v_fma_f32 v55, -v51, v54, v52
	v_fmac_f32_e32 v54, v55, v53
	v_fma_f32 v51, -v51, v54, v52
	v_div_fmas_f32 v51, v51, v53, v54
	v_div_fixup_f32 v49, v51, v50, v49
.LBB49_325:                             ;   in Loop: Header=BB49_4 Depth=1
	s_or_b64 exec, exec, s[56:57]
                                        ; implicit-def: $vgpr50
.LBB49_326:                             ;   in Loop: Header=BB49_4 Depth=1
	s_andn2_saveexec_b64 s[20:21], s[20:21]
; %bb.327:                              ;   in Loop: Header=BB49_4 Depth=1
	v_sub_f32_e32 v49, v45, v50
; %bb.328:                              ;   in Loop: Header=BB49_4 Depth=1
	s_or_b64 exec, exec, s[20:21]
	v_mul_f32_e32 v49, 0.5, v49
	v_fmac_f32_e32 v49, 0.5, v46
	v_add_f32_e32 v46, 1.0, v8
	v_mul_f32_e32 v46, v46, v49
	v_mul_f32_e32 v50, 0x4f800000, v46
	v_cmp_gt_f32_e32 vcc, s66, v46
	v_cndmask_b32_e32 v46, v46, v50, vcc
	v_sqrt_f32_e32 v50, v46
	v_add_u32_e32 v51, -1, v50
	v_fma_f32 v52, -v51, v50, v46
	v_cmp_ge_f32_e64 s[20:21], 0, v52
	v_add_u32_e32 v52, 1, v50
	v_cndmask_b32_e64 v51, v50, v51, s[20:21]
	v_fma_f32 v50, -v52, v50, v46
	v_cmp_lt_f32_e64 s[20:21], 0, v50
	v_cndmask_b32_e64 v50, v51, v52, s[20:21]
	v_mul_f32_e32 v51, 0x37800000, v50
	v_cndmask_b32_e32 v50, v50, v51, vcc
	v_cmp_class_f32_e32 vcc, v46, v25
	v_cndmask_b32_e32 v46, v50, v46, vcc
	v_add_f32_e32 v46, v49, v46
	v_add_f32_e32 v51, 1.0, v46
	v_cvt_f64_f32_e32 v[49:50], v51
	v_add_f32_e32 v52, -1.0, v51
	v_frexp_exp_i32_f64_e32 v49, v[49:50]
	v_sub_f32_e32 v50, v52, v51
	v_add_f32_e32 v50, 1.0, v50
	v_sub_f32_e32 v52, v46, v52
	v_add_f32_e32 v50, v52, v50
	v_frexp_mant_f32_e32 v52, v51
	v_cmp_gt_f32_e32 vcc, s72, v52
	v_subbrev_co_u32_e32 v49, vcc, 0, v49, vcc
	v_sub_u32_e32 v52, 0, v49
	v_ldexp_f32 v51, v51, v52
	v_ldexp_f32 v50, v50, v52
	v_add_f32_e32 v52, -1.0, v51
	v_add_f32_e32 v55, 1.0, v51
	v_add_f32_e32 v53, 1.0, v52
	v_add_f32_e32 v56, -1.0, v55
	v_sub_f32_e32 v53, v51, v53
	v_sub_f32_e32 v51, v51, v56
	v_add_f32_e32 v53, v50, v53
	v_add_f32_e32 v50, v50, v51
	;; [unrolled: 1-line block ×3, first 2 shown]
	v_rcp_f32_e32 v56, v51
	v_add_f32_e32 v54, v52, v53
	v_sub_f32_e32 v52, v54, v52
	v_sub_f32_e32 v52, v53, v52
	;; [unrolled: 1-line block ×4, first 2 shown]
	v_mul_f32_e32 v53, v54, v56
	v_mul_f32_e32 v55, v51, v53
	v_fma_f32 v57, v53, v51, -v55
	v_fmac_f32_e32 v57, v53, v50
	v_add_f32_e32 v58, v55, v57
	v_sub_f32_e32 v59, v54, v58
	v_sub_f32_e32 v54, v54, v59
	;; [unrolled: 1-line block ×4, first 2 shown]
	v_add_f32_e32 v52, v52, v54
	v_sub_f32_e32 v54, v55, v57
	v_add_f32_e32 v52, v54, v52
	v_add_f32_e32 v54, v59, v52
	v_mul_f32_e32 v55, v56, v54
	v_mul_f32_e32 v57, v51, v55
	v_fma_f32 v51, v55, v51, -v57
	v_fmac_f32_e32 v51, v55, v50
	v_sub_f32_e32 v50, v59, v54
	v_add_f32_e32 v50, v52, v50
	v_add_f32_e32 v52, v57, v51
	v_sub_f32_e32 v58, v54, v52
	v_sub_f32_e32 v54, v54, v58
	;; [unrolled: 1-line block ×4, first 2 shown]
	v_add_f32_e32 v50, v50, v52
	v_sub_f32_e32 v51, v57, v51
	v_cvt_f32_i32_e32 v49, v49
	v_add_f32_e32 v50, v51, v50
	v_add_f32_e32 v51, v53, v55
	;; [unrolled: 1-line block ×3, first 2 shown]
	v_sub_f32_e32 v52, v51, v53
	v_mul_f32_e32 v50, v56, v50
	v_sub_f32_e32 v52, v55, v52
	v_add_f32_e32 v50, v52, v50
	v_mul_f32_e32 v55, 0x3f317218, v49
	v_add_f32_e32 v52, v51, v50
	v_fma_f32 v56, v49, s73, -v55
	v_mul_f32_e32 v53, v52, v52
	v_mov_b32_e32 v54, 0x3ecc95a3
	v_fmac_f32_e32 v56, 0xb102e308, v49
	v_sub_f32_e32 v49, v52, v51
	v_fmac_f32_e32 v54, 0x3e9b6dac, v53
	v_sub_f32_e32 v49, v50, v49
	v_add_f32_e32 v50, v55, v56
	v_fma_f32 v54, v53, v54, v26
	v_sub_f32_e32 v51, v50, v55
	v_ldexp_f32 v55, v52, 1
	v_mul_f32_e32 v52, v52, v53
	v_mul_f32_e32 v52, v52, v54
	v_add_f32_e32 v53, v55, v52
	v_sub_f32_e32 v54, v53, v55
	v_ldexp_f32 v49, v49, 1
	v_sub_f32_e32 v52, v52, v54
	v_add_f32_e32 v49, v49, v52
	v_add_f32_e32 v52, v53, v49
	v_sub_f32_e32 v53, v52, v53
	v_sub_f32_e32 v49, v49, v53
	v_add_f32_e32 v53, v50, v52
	v_sub_f32_e32 v54, v53, v50
	v_sub_f32_e32 v55, v53, v54
	;; [unrolled: 1-line block ×5, first 2 shown]
	v_add_f32_e32 v50, v52, v50
	v_add_f32_e32 v52, v51, v49
	v_sub_f32_e32 v54, v52, v51
	v_sub_f32_e32 v55, v52, v54
	;; [unrolled: 1-line block ×4, first 2 shown]
	v_add_f32_e32 v50, v52, v50
	v_add_f32_e32 v49, v49, v51
	;; [unrolled: 1-line block ×3, first 2 shown]
	v_sub_f32_e32 v52, v51, v53
	v_sub_f32_e32 v50, v50, v52
	v_add_f32_e32 v49, v49, v50
	v_add_f32_e32 v49, v51, v49
	v_cmp_neq_f32_e32 vcc, s64, v46
	v_cndmask_b32_e32 v49, v37, v49, vcc
	v_cmp_ngt_f32_e32 vcc, -1.0, v46
	v_cndmask_b32_e32 v49, v39, v49, vcc
	v_cmp_neq_f32_e32 vcc, -1.0, v46
	v_cndmask_b32_e32 v49, v40, v49, vcc
	v_cmp_lt_f32_e64 vcc, |v46|, s74
	v_cndmask_b32_e32 v46, v49, v46, vcc
.LBB49_329:                             ;   in Loop: Header=BB49_4 Depth=1
	s_andn2_saveexec_b64 s[54:55], s[54:55]
	s_cbranch_execz .LBB49_335
; %bb.330:                              ;   in Loop: Header=BB49_4 Depth=1
	v_cmp_nlt_f32_e64 s[20:21], |v4|, 1.0
                                        ; implicit-def: $vgpr46
	s_and_saveexec_b64 s[56:57], s[20:21]
	s_xor_b64 s[56:57], exec, s[56:57]
	s_cbranch_execz .LBB49_332
; %bb.331:                              ;   in Loop: Header=BB49_4 Depth=1
	v_mul_f32_e32 v46, v9, v44
	v_mul_f32_e32 v49, 0x4f800000, v46
	v_cmp_gt_f32_e32 vcc, s66, v46
	v_cndmask_b32_e32 v46, v46, v49, vcc
	v_sqrt_f32_e32 v49, v46
	v_add_u32_e32 v50, -1, v49
	v_fma_f32 v52, -v50, v49, v46
	v_add_u32_e32 v51, 1, v49
	v_cmp_ge_f32_e64 s[20:21], 0, v52
	v_cndmask_b32_e64 v50, v49, v50, s[20:21]
	v_fma_f32 v49, -v51, v49, v46
	v_cmp_lt_f32_e64 s[20:21], 0, v49
	v_cndmask_b32_e64 v49, v50, v51, s[20:21]
	v_mul_f32_e32 v50, 0x37800000, v49
	v_cndmask_b32_e32 v49, v49, v50, vcc
	v_cmp_class_f32_e32 vcc, v46, v25
	v_cndmask_b32_e32 v46, v49, v46, vcc
	v_add_f32_e32 v46, v9, v46
	v_add_f32_e32 v51, 1.0, v46
	v_cvt_f64_f32_e32 v[49:50], v51
	v_add_f32_e32 v52, -1.0, v51
	v_frexp_exp_i32_f64_e32 v49, v[49:50]
	v_sub_f32_e32 v50, v52, v51
	v_add_f32_e32 v50, 1.0, v50
	v_sub_f32_e32 v52, v46, v52
	v_add_f32_e32 v50, v52, v50
	v_frexp_mant_f32_e32 v52, v51
	v_cmp_gt_f32_e32 vcc, s72, v52
	v_subbrev_co_u32_e32 v49, vcc, 0, v49, vcc
	v_sub_u32_e32 v52, 0, v49
	v_ldexp_f32 v51, v51, v52
	v_ldexp_f32 v50, v50, v52
	v_add_f32_e32 v52, -1.0, v51
	v_add_f32_e32 v55, 1.0, v51
	v_add_f32_e32 v53, 1.0, v52
	v_add_f32_e32 v56, -1.0, v55
	v_sub_f32_e32 v53, v51, v53
	v_sub_f32_e32 v51, v51, v56
	v_add_f32_e32 v53, v50, v53
	v_add_f32_e32 v50, v50, v51
	;; [unrolled: 1-line block ×3, first 2 shown]
	v_rcp_f32_e32 v56, v51
	v_add_f32_e32 v54, v52, v53
	v_sub_f32_e32 v52, v54, v52
	v_sub_f32_e32 v52, v53, v52
	;; [unrolled: 1-line block ×4, first 2 shown]
	v_mul_f32_e32 v53, v54, v56
	v_mul_f32_e32 v55, v51, v53
	v_fma_f32 v57, v53, v51, -v55
	v_fmac_f32_e32 v57, v53, v50
	v_add_f32_e32 v58, v55, v57
	v_sub_f32_e32 v59, v54, v58
	v_sub_f32_e32 v54, v54, v59
	;; [unrolled: 1-line block ×4, first 2 shown]
	v_add_f32_e32 v52, v52, v54
	v_sub_f32_e32 v54, v55, v57
	v_add_f32_e32 v52, v54, v52
	v_add_f32_e32 v54, v59, v52
	v_mul_f32_e32 v55, v56, v54
	v_mul_f32_e32 v57, v51, v55
	v_fma_f32 v51, v55, v51, -v57
	v_fmac_f32_e32 v51, v55, v50
	v_sub_f32_e32 v50, v59, v54
	v_add_f32_e32 v50, v52, v50
	v_add_f32_e32 v52, v57, v51
	v_sub_f32_e32 v58, v54, v52
	v_sub_f32_e32 v54, v54, v58
	;; [unrolled: 1-line block ×4, first 2 shown]
	v_add_f32_e32 v50, v50, v52
	v_sub_f32_e32 v51, v57, v51
	v_cvt_f32_i32_e32 v49, v49
	v_add_f32_e32 v50, v51, v50
	v_add_f32_e32 v51, v53, v55
	;; [unrolled: 1-line block ×3, first 2 shown]
	v_sub_f32_e32 v52, v51, v53
	v_mul_f32_e32 v50, v56, v50
	v_sub_f32_e32 v52, v55, v52
	v_add_f32_e32 v50, v52, v50
	v_mul_f32_e32 v55, 0x3f317218, v49
	v_add_f32_e32 v52, v51, v50
	v_fma_f32 v56, v49, s73, -v55
	v_mul_f32_e32 v53, v52, v52
	v_mov_b32_e32 v54, 0x3ecc95a3
	v_fmac_f32_e32 v56, 0xb102e308, v49
	v_sub_f32_e32 v49, v52, v51
	v_fmac_f32_e32 v54, 0x3e9b6dac, v53
	v_sub_f32_e32 v49, v50, v49
	v_add_f32_e32 v50, v55, v56
	v_fma_f32 v54, v53, v54, v26
	v_sub_f32_e32 v51, v50, v55
	v_ldexp_f32 v55, v52, 1
	v_mul_f32_e32 v52, v52, v53
	v_mul_f32_e32 v52, v52, v54
	v_add_f32_e32 v53, v55, v52
	v_sub_f32_e32 v54, v53, v55
	v_ldexp_f32 v49, v49, 1
	v_sub_f32_e32 v52, v52, v54
	v_add_f32_e32 v49, v49, v52
	v_add_f32_e32 v52, v53, v49
	v_sub_f32_e32 v53, v52, v53
	v_sub_f32_e32 v49, v49, v53
	v_add_f32_e32 v53, v50, v52
	v_sub_f32_e32 v54, v53, v50
	v_sub_f32_e32 v55, v53, v54
	;; [unrolled: 1-line block ×5, first 2 shown]
	v_add_f32_e32 v50, v52, v50
	v_add_f32_e32 v52, v51, v49
	v_sub_f32_e32 v54, v52, v51
	v_sub_f32_e32 v55, v52, v54
	v_sub_f32_e32 v51, v51, v55
	v_sub_f32_e32 v49, v49, v54
	v_add_f32_e32 v50, v52, v50
	v_add_f32_e32 v49, v49, v51
	;; [unrolled: 1-line block ×3, first 2 shown]
	v_sub_f32_e32 v52, v51, v53
	v_sub_f32_e32 v50, v50, v52
	v_add_f32_e32 v49, v49, v50
	v_add_f32_e32 v49, v51, v49
	v_cmp_neq_f32_e32 vcc, s64, v46
	v_cndmask_b32_e32 v49, v37, v49, vcc
	v_cmp_ngt_f32_e32 vcc, -1.0, v46
	v_cndmask_b32_e32 v49, v39, v49, vcc
	v_cmp_neq_f32_e32 vcc, -1.0, v46
	v_cndmask_b32_e32 v49, v40, v49, vcc
	v_cmp_lt_f32_e64 vcc, |v46|, s74
	v_cndmask_b32_e32 v46, v49, v46, vcc
.LBB49_332:                             ;   in Loop: Header=BB49_4 Depth=1
	s_andn2_saveexec_b64 s[56:57], s[56:57]
	s_cbranch_execz .LBB49_334
; %bb.333:                              ;   in Loop: Header=BB49_4 Depth=1
	v_sub_f32_e64 v46, 1.0, |v4|
	v_mul_f32_e32 v46, v46, v44
	v_mul_f32_e32 v49, 0x4f800000, v46
	v_cmp_gt_f32_e32 vcc, s66, v46
	v_cndmask_b32_e32 v46, v46, v49, vcc
	v_sqrt_f32_e32 v49, v46
	v_add_u32_e32 v50, -1, v49
	v_fma_f32 v52, -v50, v49, v46
	v_add_u32_e32 v51, 1, v49
	v_cmp_ge_f32_e64 s[20:21], 0, v52
	v_cndmask_b32_e64 v50, v49, v50, s[20:21]
	v_fma_f32 v49, -v51, v49, v46
	v_cmp_lt_f32_e64 s[20:21], 0, v49
	v_cndmask_b32_e64 v49, v50, v51, s[20:21]
	v_mul_f32_e32 v50, 0x37800000, v49
	v_cndmask_b32_e32 v49, v49, v50, vcc
	v_cmp_class_f32_e32 vcc, v46, v25
	v_cndmask_b32_e32 v46, v49, v46, vcc
	v_and_b32_e32 v49, 0x7fffffff, v5
	v_div_scale_f32 v50, s[20:21], v46, v46, v49
	v_div_scale_f32 v49, vcc, v49, v46, v49
	v_rcp_f32_e32 v51, v50
	v_fma_f32 v52, -v50, v51, 1.0
	v_fmac_f32_e32 v51, v52, v51
	v_mul_f32_e32 v52, v49, v51
	v_fma_f32 v53, -v50, v52, v49
	v_fmac_f32_e32 v52, v53, v51
	v_fma_f32 v49, -v50, v52, v49
	v_div_fmas_f32 v49, v49, v51, v52
	v_div_fixup_f32 v46, v49, v46, |v5|
.LBB49_334:                             ;   in Loop: Header=BB49_4 Depth=1
	s_or_b64 exec, exec, s[56:57]
.LBB49_335:                             ;   in Loop: Header=BB49_4 Depth=1
	s_or_b64 exec, exec, s[54:55]
.LBB49_336:                             ;   in Loop: Header=BB49_4 Depth=1
	s_andn2_saveexec_b64 s[52:53], s[52:53]
	s_cbranch_execz .LBB49_338
; %bb.337:                              ;   in Loop: Header=BB49_4 Depth=1
	v_mul_f32_e64 v46, |v5|, s67
	v_cmp_lt_f32_e64 vcc, |v5|, s66
	v_cndmask_b32_e64 v46, |v5|, v46, vcc
	v_sqrt_f32_e32 v49, v46
	v_add_u32_e32 v50, -1, v49
	v_fma_f32 v52, -v50, v49, v46
	v_add_u32_e32 v51, 1, v49
	v_cmp_ge_f32_e64 s[20:21], 0, v52
	v_cndmask_b32_e64 v50, v49, v50, s[20:21]
	v_fma_f32 v49, -v51, v49, v46
	v_cmp_lt_f32_e64 s[20:21], 0, v49
	v_cndmask_b32_e64 v49, v50, v51, s[20:21]
	v_mul_f32_e32 v50, 0x37800000, v49
	v_cndmask_b32_e32 v49, v49, v50, vcc
	v_cmp_class_f32_e32 vcc, v46, v25
	v_cndmask_b32_e32 v46, v49, v46, vcc
.LBB49_338:                             ;   in Loop: Header=BB49_4 Depth=1
	s_or_b64 exec, exec, s[52:53]
.LBB49_339:                             ;   in Loop: Header=BB49_4 Depth=1
	s_or_b64 exec, exec, s[50:51]
	v_cmp_nlt_f32_e64 s[50:51], |v4|, s75
                                        ; implicit-def: $sgpr20_sgpr21
                                        ; implicit-def: $vgpr49
                                        ; implicit-def: $vgpr51
                                        ; implicit-def: $vgpr50
	s_and_saveexec_b64 s[52:53], s[50:51]
	s_xor_b64 s[50:51], exec, s[52:53]
	s_cbranch_execz .LBB49_363
; %bb.340:                              ;   in Loop: Header=BB49_4 Depth=1
	v_and_b32_e32 v50, 0x7fffffff, v4
	v_div_scale_f32 v49, s[20:21], v8, v8, v50
	v_div_scale_f32 v51, vcc, v50, v8, v50
	s_mov_b64 s[20:21], 0
	v_rcp_f32_e32 v52, v49
	v_fma_f32 v53, -v49, v52, 1.0
	v_fmac_f32_e32 v52, v53, v52
	v_mul_f32_e32 v53, v51, v52
	v_fma_f32 v54, -v49, v53, v51
	v_fmac_f32_e32 v53, v54, v52
	v_fma_f32 v49, -v49, v53, v51
	v_div_fmas_f32 v49, v49, v52, v53
                                        ; implicit-def: $vgpr51
	v_div_fixup_f32 v49, v49, v8, |v4|
	v_cmp_lt_f32_e32 vcc, s76, v49
	s_and_saveexec_b64 s[52:53], vcc
	s_cbranch_execz .LBB49_362
; %bb.341:                              ;   in Loop: Header=BB49_4 Depth=1
	v_cmp_neq_f32_e64 s[20:21], |v4|, 1.0
	v_cmp_nlt_f32_e64 s[54:55], |v5|, s77
	s_or_b64 s[20:21], s[54:55], s[20:21]
                                        ; implicit-def: $vgpr51
	s_and_saveexec_b64 s[54:55], s[20:21]
	s_xor_b64 s[54:55], exec, s[54:55]
	s_cbranch_execz .LBB49_359
; %bb.342:                              ;   in Loop: Header=BB49_4 Depth=1
	v_mul_f32_e64 v51, |v9|, s71
	v_cmp_ge_f32_e64 s[20:21], |v5|, v51
                                        ; implicit-def: $vgpr51
	s_and_saveexec_b64 s[56:57], s[20:21]
	s_xor_b64 s[56:57], exec, s[56:57]
	s_cbranch_execz .LBB49_352
; %bb.343:                              ;   in Loop: Header=BB49_4 Depth=1
	v_cmp_neq_f32_e32 vcc, 0, v44
	v_mov_b32_e32 v51, v47
	s_and_saveexec_b64 s[20:21], vcc
	s_cbranch_execz .LBB49_345
; %bb.344:                              ;   in Loop: Header=BB49_4 Depth=1
	v_mul_f32_e32 v51, v5, v5
	v_add_f32_e32 v44, v44, v48
	v_div_scale_f32 v48, s[58:59], v44, v44, v51
	v_div_scale_f32 v52, vcc, v51, v44, v51
	v_rcp_f32_e32 v53, v48
	v_fma_f32 v54, -v48, v53, 1.0
	v_fmac_f32_e32 v53, v54, v53
	v_mul_f32_e32 v54, v52, v53
	v_fma_f32 v55, -v48, v54, v52
	v_fmac_f32_e32 v54, v55, v53
	v_fma_f32 v48, -v48, v54, v52
	v_div_fmas_f32 v48, v48, v53, v54
	v_div_fixup_f32 v51, v48, v44, v51
.LBB49_345:                             ;   in Loop: Header=BB49_4 Depth=1
	s_or_b64 exec, exec, s[20:21]
	v_cmp_ngt_f32_e32 vcc, 0, v9
	s_and_saveexec_b64 s[20:21], vcc
	s_xor_b64 s[20:21], exec, s[20:21]
	s_cbranch_execz .LBB49_349
; %bb.346:                              ;   in Loop: Header=BB49_4 Depth=1
	v_cmp_neq_f32_e32 vcc, 0, v9
	s_and_saveexec_b64 s[58:59], vcc
	s_cbranch_execz .LBB49_348
; %bb.347:                              ;   in Loop: Header=BB49_4 Depth=1
	v_mul_f32_e32 v5, v5, v5
	v_add_f32_e32 v9, v9, v45
	v_div_scale_f32 v44, s[86:87], v9, v9, v5
	v_div_scale_f32 v45, vcc, v5, v9, v5
	v_rcp_f32_e32 v47, v44
	v_fma_f32 v48, -v44, v47, 1.0
	v_fmac_f32_e32 v47, v48, v47
	v_mul_f32_e32 v48, v45, v47
	v_fma_f32 v52, -v44, v48, v45
	v_fmac_f32_e32 v48, v52, v47
	v_fma_f32 v44, -v44, v48, v45
	v_div_fmas_f32 v44, v44, v47, v48
	v_div_fixup_f32 v47, v44, v9, v5
.LBB49_348:                             ;   in Loop: Header=BB49_4 Depth=1
	s_or_b64 exec, exec, s[58:59]
                                        ; implicit-def: $vgpr45
                                        ; implicit-def: $vgpr9
.LBB49_349:                             ;   in Loop: Header=BB49_4 Depth=1
	s_andn2_saveexec_b64 s[20:21], s[20:21]
; %bb.350:                              ;   in Loop: Header=BB49_4 Depth=1
	v_sub_f32_e32 v47, v45, v9
; %bb.351:                              ;   in Loop: Header=BB49_4 Depth=1
	s_or_b64 exec, exec, s[20:21]
	v_mul_f32_e32 v5, 0.5, v47
	v_fmac_f32_e32 v5, 0.5, v51
	v_add_f32_e64 v4, |v4|, v8
	v_mul_f32_e32 v4, v4, v5
	v_mul_f32_e32 v5, 0x4f800000, v4
	v_cmp_gt_f32_e32 vcc, s66, v4
	v_cndmask_b32_e32 v4, v4, v5, vcc
	v_sqrt_f32_e32 v5, v4
                                        ; implicit-def: $vgpr44
	v_add_u32_e32 v8, -1, v5
	v_fma_f32 v9, -v8, v5, v4
	v_cmp_ge_f32_e64 s[20:21], 0, v9
	v_add_u32_e32 v9, 1, v5
	v_cndmask_b32_e64 v8, v5, v8, s[20:21]
	v_fma_f32 v5, -v9, v5, v4
	v_cmp_lt_f32_e64 s[20:21], 0, v5
	v_cndmask_b32_e64 v5, v8, v9, s[20:21]
	v_mul_f32_e32 v8, 0x37800000, v5
	v_cndmask_b32_e32 v5, v5, v8, vcc
	v_cmp_class_f32_e32 vcc, v4, v25
	v_cndmask_b32_e32 v51, v5, v4, vcc
                                        ; implicit-def: $vgpr5
                                        ; implicit-def: $vgpr9
.LBB49_352:                             ;   in Loop: Header=BB49_4 Depth=1
	s_andn2_saveexec_b64 s[56:57], s[56:57]
	s_cbranch_execz .LBB49_358
; %bb.353:                              ;   in Loop: Header=BB49_4 Depth=1
	v_cmp_ngt_f32_e64 s[20:21], |v4|, 1.0
                                        ; implicit-def: $vgpr51
	s_and_saveexec_b64 s[58:59], s[20:21]
	s_xor_b64 s[58:59], exec, s[58:59]
	s_cbranch_execz .LBB49_355
; %bb.354:                              ;   in Loop: Header=BB49_4 Depth=1
	v_sub_f32_e64 v4, 1.0, |v4|
	v_mul_f32_e32 v4, v4, v44
	v_mul_f32_e32 v5, 0x4f800000, v4
	v_cmp_gt_f32_e32 vcc, s66, v4
	v_cndmask_b32_e32 v4, v4, v5, vcc
	v_sqrt_f32_e32 v5, v4
	v_add_u32_e32 v8, -1, v5
	v_fma_f32 v44, -v8, v5, v4
	v_add_u32_e32 v9, 1, v5
	v_cmp_ge_f32_e64 s[20:21], 0, v44
	v_cndmask_b32_e64 v8, v5, v8, s[20:21]
	v_fma_f32 v5, -v9, v5, v4
	v_cmp_lt_f32_e64 s[20:21], 0, v5
	v_cndmask_b32_e64 v5, v8, v9, s[20:21]
	v_mul_f32_e32 v8, 0x37800000, v5
	v_cndmask_b32_e32 v5, v5, v8, vcc
	v_cmp_class_f32_e32 vcc, v4, v25
	v_cndmask_b32_e32 v51, v5, v4, vcc
                                        ; implicit-def: $vgpr5
                                        ; implicit-def: $vgpr44
                                        ; implicit-def: $vgpr9
.LBB49_355:                             ;   in Loop: Header=BB49_4 Depth=1
	s_andn2_saveexec_b64 s[58:59], s[58:59]
	s_cbranch_execz .LBB49_357
; %bb.356:                              ;   in Loop: Header=BB49_4 Depth=1
	v_mul_f32_e32 v8, v44, v9
	v_mul_f32_e32 v9, 0x4f800000, v8
	v_cmp_gt_f32_e32 vcc, s66, v8
	v_cndmask_b32_e32 v8, v8, v9, vcc
	v_sqrt_f32_e32 v9, v8
	v_mul_f32_e64 v5, |v5|, s78
	v_mul_f32_e64 v5, |v4|, v5
	;; [unrolled: 1-line block ×3, first 2 shown]
	v_add_u32_e32 v44, -1, v9
	v_fma_f32 v45, -v44, v9, v8
	v_cmp_ge_f32_e64 s[20:21], 0, v45
	v_add_u32_e32 v45, 1, v9
	v_cndmask_b32_e64 v44, v9, v44, s[20:21]
	v_fma_f32 v9, -v45, v9, v8
	v_cmp_lt_f32_e64 s[20:21], 0, v9
	v_cndmask_b32_e64 v9, v44, v45, s[20:21]
	v_mul_f32_e32 v44, 0x37800000, v9
	v_cndmask_b32_e32 v9, v9, v44, vcc
	v_cmp_class_f32_e32 vcc, v8, v25
	v_cndmask_b32_e32 v8, v9, v8, vcc
	v_div_scale_f32 v9, s[20:21], v8, v8, v5
	v_div_scale_f32 v44, vcc, v5, v8, v5
	v_rcp_f32_e32 v45, v9
	v_fma_f32 v47, -v9, v45, 1.0
	v_fmac_f32_e32 v45, v47, v45
	v_mul_f32_e32 v47, v44, v45
	v_fma_f32 v48, -v9, v47, v44
	v_fmac_f32_e32 v47, v48, v45
	v_fma_f32 v9, -v9, v47, v44
	v_div_fmas_f32 v9, v9, v45, v47
	v_div_fixup_f32 v51, v9, v8, v5
.LBB49_357:                             ;   in Loop: Header=BB49_4 Depth=1
	s_or_b64 exec, exec, s[58:59]
.LBB49_358:                             ;   in Loop: Header=BB49_4 Depth=1
	s_or_b64 exec, exec, s[56:57]
                                        ; implicit-def: $vgpr5
                                        ; implicit-def: $vgpr8
.LBB49_359:                             ;   in Loop: Header=BB49_4 Depth=1
	s_andn2_saveexec_b64 s[54:55], s[54:55]
	s_cbranch_execz .LBB49_361
; %bb.360:                              ;   in Loop: Header=BB49_4 Depth=1
	v_mul_f32_e64 v4, |v5|, s67
	v_cmp_lt_f32_e64 vcc, |v5|, s66
	v_cndmask_b32_e64 v4, |v5|, v4, vcc
	v_sqrt_f32_e32 v5, v4
	v_add_f32_e32 v8, 1.0, v8
	v_mul_f32_e32 v8, 0.5, v8
	v_mov_b32_e32 v50, 1.0
	v_add_u32_e32 v9, -1, v5
	v_fma_f32 v45, -v9, v5, v4
	v_add_u32_e32 v44, 1, v5
	v_cmp_ge_f32_e64 s[20:21], 0, v45
	v_cndmask_b32_e64 v9, v5, v9, s[20:21]
	v_fma_f32 v5, -v44, v5, v4
	v_cmp_lt_f32_e64 s[20:21], 0, v5
	v_cndmask_b32_e64 v5, v9, v44, s[20:21]
	v_mul_f32_e32 v9, 0x37800000, v5
	v_cndmask_b32_e32 v5, v5, v9, vcc
	v_mul_f32_e32 v9, 0x4f800000, v8
	v_cmp_gt_f32_e32 vcc, s66, v8
	v_cndmask_b32_e32 v8, v8, v9, vcc
	v_sqrt_f32_e32 v9, v8
	v_cmp_class_f32_e64 s[20:21], v4, v25
	v_cndmask_b32_e64 v4, v5, v4, s[20:21]
	v_add_u32_e32 v5, -1, v9
	v_fma_f32 v44, -v5, v9, v8
	v_cmp_ge_f32_e64 s[20:21], 0, v44
	v_add_u32_e32 v44, 1, v9
	v_cndmask_b32_e64 v5, v9, v5, s[20:21]
	v_fma_f32 v9, -v44, v9, v8
	v_cmp_lt_f32_e64 s[20:21], 0, v9
	v_cndmask_b32_e64 v5, v5, v44, s[20:21]
	v_mul_f32_e32 v9, 0x37800000, v5
	v_cndmask_b32_e32 v5, v5, v9, vcc
	v_cmp_class_f32_e32 vcc, v8, v25
	v_cndmask_b32_e32 v5, v5, v8, vcc
	v_mul_f32_e32 v51, v4, v5
.LBB49_361:                             ;   in Loop: Header=BB49_4 Depth=1
	s_or_b64 exec, exec, s[54:55]
	s_mov_b64 s[20:21], exec
.LBB49_362:                             ;   in Loop: Header=BB49_4 Depth=1
	s_or_b64 exec, exec, s[52:53]
                                        ; implicit-def: $vgpr8
                                        ; implicit-def: $vgpr4
.LBB49_363:                             ;   in Loop: Header=BB49_4 Depth=1
	s_andn2_saveexec_b64 s[50:51], s[50:51]
; %bb.364:                              ;   in Loop: Header=BB49_4 Depth=1
	v_mul_f32_e32 v51, 0x4b800000, v8
	v_mul_f32_e64 v50, |v4|, s79
	s_or_b64 s[20:21], s[20:21], exec
                                        ; implicit-def: $vgpr49
; %bb.365:                              ;   in Loop: Header=BB49_4 Depth=1
	s_or_b64 exec, exec, s[50:51]
	s_xor_b64 s[20:21], s[20:21], -1
                                        ; implicit-def: $vgpr8
	s_and_saveexec_b64 s[50:51], s[20:21]
	s_xor_b64 s[50:51], exec, s[50:51]
	s_cbranch_execz .LBB49_371
; %bb.366:                              ;   in Loop: Header=BB49_4 Depth=1
	v_mul_f32_e32 v4, v49, v49
	v_fma_f32 v5, |v49|, -0.5, 0.5
                                        ; implicit-def: $vgpr8
	s_and_saveexec_b64 s[20:21], s[18:19]
	s_xor_b64 s[20:21], exec, s[20:21]
	s_cbranch_execz .LBB49_368
; %bb.367:                              ;   in Loop: Header=BB49_4 Depth=1
	v_cmp_gt_f32_e64 vcc, |v49|, 0.5
	v_cndmask_b32_e32 v4, v4, v5, vcc
	v_mov_b32_e32 v5, 0x3c5fc5da
	v_fmac_f32_e32 v5, 0x3d1c21a7, v4
	v_fma_f32 v5, v4, v5, v27
	v_fma_f32 v5, v4, v5, v28
	v_sqrt_f32_e32 v8, v4
	v_fma_f32 v5, v4, v5, v29
	v_fma_f32 v5, v4, v5, v30
	v_mul_f32_e32 v4, v4, v5
	v_fmac_f32_e32 v8, v8, v4
	v_fmac_f32_e32 v49, v49, v4
	v_add_f32_e32 v5, v8, v8
	v_sub_f32_e32 v4, 0x3fc90fdb, v49
	v_cndmask_b32_e32 v8, v4, v5, vcc
                                        ; implicit-def: $vgpr49
                                        ; implicit-def: $vgpr4
                                        ; implicit-def: $vgpr5
.LBB49_368:                             ;   in Loop: Header=BB49_4 Depth=1
	s_andn2_saveexec_b64 s[52:53], s[20:21]
	s_cbranch_execz .LBB49_370
; %bb.369:                              ;   in Loop: Header=BB49_4 Depth=1
	v_cmp_gt_f32_e64 vcc, |v49|, 0.5
	v_cndmask_b32_e32 v4, v4, v5, vcc
	v_mov_b32_e32 v5, 0x3c5fc5da
	v_fmac_f32_e32 v5, 0x3d1c21a7, v4
	v_fma_f32 v5, v4, v5, v27
	v_fma_f32 v5, v4, v5, v28
	v_sqrt_f32_e32 v8, v4
	v_fma_f32 v5, v4, v5, v29
	v_fma_f32 v5, v4, v5, v30
	v_mul_f32_e32 v4, v4, v5
	v_fmac_f32_e32 v8, v8, v4
	v_add_f32_e32 v5, v8, v8
	v_sub_f32_e32 v8, 0x40490fdb, v5
	v_cmp_lt_f32_e64 s[20:21], 0, v49
	v_fma_f32 v4, -v49, v4, -v49
	v_cndmask_b32_e64 v5, v5, v8, s[20:21]
	v_sub_f32_e32 v4, 0x3fc90fdb, v4
	v_cndmask_b32_e32 v8, v4, v5, vcc
.LBB49_370:                             ;   in Loop: Header=BB49_4 Depth=1
	s_or_b64 exec, exec, s[52:53]
                                        ; implicit-def: $vgpr50
                                        ; implicit-def: $vgpr51
.LBB49_371:                             ;   in Loop: Header=BB49_4 Depth=1
	s_andn2_saveexec_b64 s[20:21], s[50:51]
	s_cbranch_execz .LBB49_377
; %bb.372:                              ;   in Loop: Header=BB49_4 Depth=1
	v_max_f32_e64 v4, |v51|, |v51|
	v_max_f32_e32 v5, v50, v50
	v_min_f32_e32 v8, v5, v4
	v_max_f32_e32 v4, v5, v4
	v_frexp_mant_f32_e32 v5, v4
	v_rcp_f32_e32 v5, v5
	v_frexp_exp_i32_f32_e32 v4, v4
	v_frexp_exp_i32_f32_e32 v9, v8
	v_frexp_mant_f32_e32 v8, v8
	v_mul_f32_e32 v5, v8, v5
	v_sub_u32_e32 v4, v9, v4
	v_ldexp_f32 v4, v5, v4
	v_mul_f32_e32 v5, v4, v4
	v_mov_b32_e32 v8, 0xbc7a590c
	v_fmac_f32_e32 v8, 0x3b2d2a58, v5
	v_fma_f32 v8, v5, v8, v31
	v_fma_f32 v8, v5, v8, v32
	;; [unrolled: 1-line block ×6, first 2 shown]
	v_mul_f32_e32 v5, v5, v8
	v_fmac_f32_e32 v4, v4, v5
	v_sub_f32_e32 v5, 0x3fc90fdb, v4
	v_cmp_gt_f32_e64 vcc, |v51|, v50
	v_cndmask_b32_e32 v4, v4, v5, vcc
	v_cmp_class_f32_e64 s[50:51], v51, s80
                                        ; implicit-def: $vgpr8
	s_and_saveexec_b64 s[52:53], s[18:19]
	s_xor_b64 s[18:19], exec, s[52:53]
; %bb.373:                              ;   in Loop: Header=BB49_4 Depth=1
	v_cmp_neq_f32_e32 vcc, 0, v51
	v_cndmask_b32_e32 v4, 0, v4, vcc
	v_cmp_eq_f32_e32 vcc, s64, v50
	s_and_b64 vcc, vcc, s[50:51]
	v_cndmask_b32_e32 v4, v4, v41, vcc
	v_cmp_o_f32_e32 vcc, v51, v51
	v_cndmask_b32_e32 v4, v39, v4, vcc
	v_bfi_b32 v8, s63, v4, v51
                                        ; implicit-def: $vgpr4
                                        ; implicit-def: $vgpr50
                                        ; implicit-def: $vgpr51
; %bb.374:                              ;   in Loop: Header=BB49_4 Depth=1
	s_andn2_saveexec_b64 s[18:19], s[18:19]
	s_cbranch_execz .LBB49_376
; %bb.375:                              ;   in Loop: Header=BB49_4 Depth=1
	v_sub_f32_e32 v5, 0x40490fdb, v4
	v_cmp_lt_f32_e32 vcc, 0, v50
	v_cndmask_b32_e32 v4, v4, v5, vcc
	v_cmp_neq_f32_e32 vcc, 0, v51
	v_cndmask_b32_e32 v4, v42, v4, vcc
	v_cmp_eq_f32_e32 vcc, s64, v50
	s_and_b64 vcc, vcc, s[50:51]
	v_cndmask_b32_e32 v4, v4, v43, vcc
	v_cmp_o_f32_e32 vcc, v51, v51
	v_cndmask_b32_e32 v4, v39, v4, vcc
	v_bfi_b32 v8, s63, v4, v51
.LBB49_376:                             ;   in Loop: Header=BB49_4 Depth=1
	s_or_b64 exec, exec, s[18:19]
.LBB49_377:                             ;   in Loop: Header=BB49_4 Depth=1
	s_or_b64 exec, exec, s[20:21]
	v_cndmask_b32_e64 v9, -v46, v46, s[14:15]
                                        ; implicit-def: $vgpr4
.LBB49_378:                             ;   in Loop: Header=BB49_4 Depth=1
	s_andn2_saveexec_b64 s[18:19], s[48:49]
	s_cbranch_execz .LBB49_380
; %bb.379:                              ;   in Loop: Header=BB49_4 Depth=1
	v_mov_b32_e32 v45, s27
	v_mov_b32_e32 v44, s26
	flat_load_dword v5, v[44:45] glc
	s_waitcnt vmcnt(0) lgkmcnt(0)
	v_sub_f32_e32 v4, v5, v4
	v_add_f32_e32 v8, 0x3fc90fdb, v4
.LBB49_380:                             ;   in Loop: Header=BB49_4 Depth=1
	s_or_b64 exec, exec, s[18:19]
.LBB49_381:                             ;   in Loop: Header=BB49_4 Depth=1
	s_andn2_saveexec_b64 s[18:19], s[46:47]
; %bb.382:                              ;   in Loop: Header=BB49_4 Depth=1
	v_mov_b32_e32 v8, 0
; %bb.383:                              ;   in Loop: Header=BB49_4 Depth=1
	s_or_b64 exec, exec, s[18:19]
                                        ; implicit-def: $vgpr4
                                        ; implicit-def: $vgpr46
                                        ; implicit-def: $vgpr45
                                        ; implicit-def: $vgpr44
.LBB49_384:                             ;   in Loop: Header=BB49_4 Depth=1
	s_andn2_saveexec_b64 s[44:45], s[44:45]
	s_cbranch_execz .LBB49_394
; %bb.385:                              ;   in Loop: Header=BB49_4 Depth=1
	v_cmp_lt_f32_e64 s[18:19], |v4|, |v5|
	v_cndmask_b32_e64 v47, |v4|, |v5|, s[18:19]
	v_cmp_nlt_f32_e32 vcc, s81, v47
                                        ; implicit-def: $vgpr9
                                        ; implicit-def: $vgpr8
	s_and_saveexec_b64 s[20:21], vcc
	s_xor_b64 s[46:47], exec, s[20:21]
	s_cbranch_execz .LBB49_391
; %bb.386:                              ;   in Loop: Header=BB49_4 Depth=1
	v_cndmask_b32_e64 v48, |v5|, |v4|, s[18:19]
	v_cmp_nlt_f32_e32 vcc, s82, v47
	v_cmp_ngt_f32_e64 s[20:21], s83, v48
	s_and_b64 s[20:21], vcc, s[20:21]
                                        ; implicit-def: $vgpr9
                                        ; implicit-def: $vgpr8
	s_and_saveexec_b64 s[48:49], s[20:21]
	s_xor_b64 s[20:21], exec, s[48:49]
	s_cbranch_execz .LBB49_388
; %bb.387:                              ;   in Loop: Header=BB49_4 Depth=1
	v_mul_f32_e32 v8, v48, v48
	v_fmac_f32_e32 v8, v47, v47
	v_cmp_gt_f32_e32 vcc, s68, v8
	v_cndmask_b32_e64 v9, 0, 32, vcc
	v_ldexp_f32 v8, v8, v9
	v_log_f32_e32 v8, v8
	v_cndmask_b32_e32 v9, 0, v38, vcc
	v_mul_f32_e32 v47, 0x3f317217, v8
	v_fma_f32 v47, v8, s69, -v47
	v_fmac_f32_e32 v47, 0x3377d1cf, v8
	v_fmac_f32_e32 v47, 0x3f317217, v8
	v_cmp_lt_f32_e64 vcc, |v8|, s64
	v_cndmask_b32_e32 v8, v8, v47, vcc
	v_sub_f32_e32 v8, v8, v9
	v_mul_f32_e32 v9, 0.5, v8
	v_min_f32_e32 v8, v46, v45
	v_frexp_mant_f32_e32 v45, v44
	v_rcp_f32_e32 v45, v45
	v_frexp_exp_i32_f32_e32 v44, v44
	v_frexp_exp_i32_f32_e32 v46, v8
	v_frexp_mant_f32_e32 v8, v8
	v_mul_f32_e32 v8, v8, v45
	v_sub_u32_e32 v44, v46, v44
	v_ldexp_f32 v8, v8, v44
	v_mul_f32_e32 v44, v8, v8
	v_mov_b32_e32 v45, 0xbc7a590c
	v_fmac_f32_e32 v45, 0x3b2d2a58, v44
	v_fma_f32 v45, v44, v45, v31
	v_fma_f32 v45, v44, v45, v32
	;; [unrolled: 1-line block ×6, first 2 shown]
	v_mul_f32_e32 v44, v44, v45
	v_fmac_f32_e32 v8, v8, v44
                                        ; implicit-def: $vgpr44
                                        ; implicit-def: $vgpr46
                                        ; implicit-def: $vgpr45
.LBB49_388:                             ;   in Loop: Header=BB49_4 Depth=1
	s_andn2_saveexec_b64 s[20:21], s[20:21]
	s_cbranch_execz .LBB49_390
; %bb.389:                              ;   in Loop: Header=BB49_4 Depth=1
	v_cvt_f64_f32_e32 v[8:9], v44
	v_cmp_neq_f32_e32 vcc, s64, v44
	v_mov_b32_e32 v47, 0xbc7a590c
	v_frexp_exp_i32_f64_e32 v8, v[8:9]
	v_min_f32_e32 v9, v46, v45
	v_frexp_exp_i32_f32_e32 v45, v44
	v_frexp_mant_f32_e32 v46, v44
	v_rcp_f32_e32 v46, v46
	v_frexp_exp_i32_f32_e32 v48, v9
	v_frexp_mant_f32_e32 v9, v9
	v_sub_u32_e32 v45, v48, v45
	v_sub_u32_e32 v49, 0, v8
	v_ldexp_f32 v50, |v4|, v49
	v_ldexp_f32 v49, |v5|, v49
	v_mul_f32_e32 v49, v49, v49
	v_fmac_f32_e32 v49, v50, v50
	v_sqrt_f32_e32 v49, v49
	v_mul_f32_e32 v9, v9, v46
	v_ldexp_f32 v8, v49, v8
	v_cndmask_b32_e32 v8, v37, v8, vcc
	v_cmp_gt_f32_e32 vcc, s68, v8
	v_cndmask_b32_e64 v44, 0, 32, vcc
	v_ldexp_f32 v8, v8, v44
	v_log_f32_e32 v44, v8
	v_ldexp_f32 v8, v9, v45
	v_mul_f32_e32 v45, v8, v8
	v_cndmask_b32_e32 v9, 0, v38, vcc
	v_mul_f32_e32 v46, 0x3f317217, v44
	v_fma_f32 v46, v44, s69, -v46
	v_fmac_f32_e32 v46, 0x3377d1cf, v44
	v_fmac_f32_e32 v46, 0x3f317217, v44
	v_cmp_lt_f32_e64 vcc, |v44|, s64
	v_cndmask_b32_e32 v44, v44, v46, vcc
	v_fmac_f32_e32 v47, 0x3b2d2a58, v45
	v_sub_f32_e32 v9, v44, v9
	v_fma_f32 v44, v45, v47, v31
	v_fma_f32 v44, v45, v44, v32
	;; [unrolled: 1-line block ×6, first 2 shown]
	v_mul_f32_e32 v44, v45, v44
	v_fmac_f32_e32 v8, v8, v44
.LBB49_390:                             ;   in Loop: Header=BB49_4 Depth=1
	s_or_b64 exec, exec, s[20:21]
                                        ; implicit-def: $vgpr46
                                        ; implicit-def: $vgpr45
                                        ; implicit-def: $vgpr44
.LBB49_391:                             ;   in Loop: Header=BB49_4 Depth=1
	s_andn2_saveexec_b64 s[46:47], s[46:47]
	s_cbranch_execz .LBB49_393
; %bb.392:                              ;   in Loop: Header=BB49_4 Depth=1
	v_div_scale_f32 v8, s[20:21], s84, s84, v4
	v_div_scale_f32 v9, s[20:21], s84, s84, v5
	v_div_scale_f32 v47, vcc, v4, s84, v4
	v_div_scale_f32 v48, s[20:21], v5, s84, v5
	v_min_f32_e32 v45, v46, v45
	v_frexp_exp_i32_f32_e32 v46, v44
	v_frexp_mant_f32_e32 v44, v44
	v_rcp_f32_e32 v44, v44
	v_rcp_f32_e32 v49, v8
	;; [unrolled: 1-line block ×3, first 2 shown]
	v_fma_f32 v51, -v8, v49, 1.0
	v_fmac_f32_e32 v49, v51, v49
	v_fma_f32 v52, -v9, v50, 1.0
	v_fmac_f32_e32 v50, v52, v50
	v_mul_f32_e32 v51, v47, v49
	v_mul_f32_e32 v52, v48, v50
	v_fma_f32 v53, -v8, v51, v47
	v_fma_f32 v54, -v9, v52, v48
	v_fmac_f32_e32 v51, v53, v49
	v_fmac_f32_e32 v52, v54, v50
	v_fma_f32 v8, -v8, v51, v47
	v_fma_f32 v9, -v9, v52, v48
	v_div_fmas_f32 v8, v8, v49, v51
	s_mov_b64 vcc, s[20:21]
	v_div_fmas_f32 v9, v9, v50, v52
	v_frexp_exp_i32_f32_e32 v51, v45
	v_frexp_mant_f32_e32 v45, v45
	v_mul_f32_e32 v44, v45, v44
	v_mov_b32_e32 v47, 0xbc7a590c
	v_div_fixup_f32 v48, v8, s84, v4
	v_div_fixup_f32 v49, v9, s84, v5
	v_max_f32_e64 v50, |v48|, |v49|
	v_cvt_f64_f32_e32 v[8:9], v50
	v_cmp_neq_f32_e32 vcc, s64, v50
	v_frexp_exp_i32_f64_e32 v9, v[8:9]
	v_sub_u32_e32 v8, v51, v46
	v_ldexp_f32 v8, v44, v8
	v_mul_f32_e32 v44, v8, v8
	v_fmac_f32_e32 v47, 0x3b2d2a58, v44
	v_fma_f32 v45, v44, v47, v31
	v_fma_f32 v45, v44, v45, v32
	;; [unrolled: 1-line block ×3, first 2 shown]
	v_sub_u32_e32 v46, 0, v9
	v_ldexp_f32 v47, |v48|, v46
	v_ldexp_f32 v46, |v49|, v46
	v_mul_f32_e32 v46, v46, v46
	v_fmac_f32_e32 v46, v47, v47
	v_sqrt_f32_e32 v46, v46
	v_fma_f32 v45, v44, v45, v34
	v_fma_f32 v45, v44, v45, v35
	;; [unrolled: 1-line block ×3, first 2 shown]
	v_ldexp_f32 v9, v46, v9
	v_cndmask_b32_e32 v9, v37, v9, vcc
	v_cmp_gt_f32_e32 vcc, s68, v9
	v_cndmask_b32_e64 v46, 0, 32, vcc
	v_ldexp_f32 v9, v9, v46
	v_log_f32_e32 v9, v9
	v_mul_f32_e32 v44, v44, v45
	v_cndmask_b32_e32 v45, 0, v38, vcc
	v_fmac_f32_e32 v8, v8, v44
	v_mul_f32_e32 v46, 0x3f317217, v9
	v_fma_f32 v46, v9, s69, -v46
	v_fmac_f32_e32 v46, 0x3377d1cf, v9
	v_fmac_f32_e32 v46, 0x3f317217, v9
	v_cmp_lt_f32_e64 vcc, |v9|, s64
	v_cndmask_b32_e32 v9, v9, v46, vcc
	v_sub_f32_e32 v9, v9, v45
	v_add_f32_e32 v9, 1.0, v9
.LBB49_393:                             ;   in Loop: Header=BB49_4 Depth=1
	s_or_b64 exec, exec, s[46:47]
	v_sub_f32_e32 v44, 0x3fc90fdb, v8
	v_cndmask_b32_e64 v8, v8, v44, s[18:19]
	v_sub_f32_e32 v44, 0x40490fdb, v8
	v_cmp_gt_f32_e32 vcc, 0, v4
	v_cndmask_b32_e32 v8, v8, v44, vcc
	v_cndmask_b32_e64 v44, 0, v42, s[16:17]
	v_cndmask_b32_e32 v45, v41, v43, vcc
	v_cmp_class_f32_e64 s[16:17], v4, s80
	v_cmp_class_f32_e64 s[18:19], v5, s80
	v_cmp_eq_f32_e32 vcc, 0, v5
	v_cndmask_b32_e64 v4, |v8|, v44, vcc
	s_and_b64 vcc, s[18:19], s[16:17]
	v_cndmask_b32_e32 v8, v4, v45, vcc
	v_add_f32_e32 v4, 0x3f317218, v9
	v_cndmask_b32_e64 v9, -v4, v4, s[14:15]
.LBB49_394:                             ;   in Loop: Header=BB49_4 Depth=1
	s_or_b64 exec, exec, s[44:45]
                                        ; implicit-def: $vgpr5
	s_andn2_saveexec_b64 s[14:15], s[42:43]
	s_cbranch_execz .LBB49_308
.LBB49_395:                             ;   in Loop: Header=BB49_4 Depth=1
	v_cmp_neq_f32_e64 s[16:17], |v4|, s64
                                        ; implicit-def: $vgpr9
	s_and_saveexec_b64 s[18:19], s[16:17]
	s_xor_b64 s[16:17], exec, s[18:19]
	s_cbranch_execz .LBB49_405
; %bb.396:                              ;   in Loop: Header=BB49_4 Depth=1
	v_cmp_neq_f32_e64 s[18:19], |v5|, s64
	v_xor_b32_e32 v9, 0x80000000, v5
	s_and_saveexec_b64 s[20:21], s[18:19]
	s_xor_b64 s[18:19], exec, s[20:21]
	s_cbranch_execz .LBB49_402
; %bb.397:                              ;   in Loop: Header=BB49_4 Depth=1
	v_cmp_neq_f32_e32 vcc, 0, v4
                                        ; implicit-def: $vgpr9
	s_and_saveexec_b64 s[20:21], vcc
	s_xor_b64 s[20:21], exec, s[20:21]
; %bb.398:                              ;   in Loop: Header=BB49_4 Depth=1
	v_add_f32_e32 v5, 0, v5
	v_add_f32_e32 v9, v5, v4
                                        ; implicit-def: $vgpr5
; %bb.399:                              ;   in Loop: Header=BB49_4 Depth=1
	s_or_saveexec_b64 s[20:21], s[20:21]
	v_mov_b32_e32 v8, v9
	s_xor_b64 exec, exec, s[20:21]
	s_cbranch_execz .LBB49_401
; %bb.400:                              ;   in Loop: Header=BB49_4 Depth=1
	v_mov_b32_e32 v8, s26
	v_mov_b32_e32 v9, s27
	flat_load_dword v4, v[8:9] glc
	s_waitcnt vmcnt(0)
	v_add_f32_e32 v9, v5, v5
	s_waitcnt lgkmcnt(0)
	v_add_f32_e32 v8, 0x3fc90fdb, v4
.LBB49_401:                             ;   in Loop: Header=BB49_4 Depth=1
	s_or_b64 exec, exec, s[20:21]
                                        ; implicit-def: $vgpr4
.LBB49_402:                             ;   in Loop: Header=BB49_4 Depth=1
	s_andn2_saveexec_b64 s[18:19], s[18:19]
; %bb.403:                              ;   in Loop: Header=BB49_4 Depth=1
	v_add_f32_e32 v8, v4, v4
; %bb.404:                              ;   in Loop: Header=BB49_4 Depth=1
	s_or_b64 exec, exec, s[18:19]
                                        ; implicit-def: $vgpr5
.LBB49_405:                             ;   in Loop: Header=BB49_4 Depth=1
	s_andn2_saveexec_b64 s[16:17], s[16:17]
; %bb.406:                              ;   in Loop: Header=BB49_4 Depth=1
	v_add_f32_e32 v8, v5, v5
	v_mov_b32_e32 v9, 0xff800000
; %bb.407:                              ;   in Loop: Header=BB49_4 Depth=1
	s_or_b64 exec, exec, s[16:17]
	s_or_b64 exec, exec, s[14:15]
	s_and_saveexec_b64 s[14:15], s[6:7]
	s_xor_b64 s[6:7], exec, s[14:15]
	s_cbranch_execz .LBB49_309
.LBB49_408:                             ;   in Loop: Header=BB49_4 Depth=1
	v_mov_b32_e32 v5, s41
	v_add_co_u32_e32 v4, vcc, s40, v1
	v_addc_co_u32_e32 v5, vcc, 0, v5, vcc
	global_store_dwordx2 v[4:5], v[6:7], off
	s_or_b64 exec, exec, s[6:7]
	s_and_saveexec_b64 s[6:7], s[8:9]
	s_cbranch_execz .LBB49_310
.LBB49_409:                             ;   in Loop: Header=BB49_4 Depth=1
	v_mov_b32_e32 v5, s41
	v_add_co_u32_e32 v4, vcc, s40, v18
	v_addc_co_u32_e32 v5, vcc, 0, v5, vcc
	global_store_dwordx2 v[4:5], v[10:11], off
	s_or_b64 exec, exec, s[6:7]
	s_and_saveexec_b64 s[6:7], s[10:11]
	s_cbranch_execz .LBB49_311
.LBB49_410:                             ;   in Loop: Header=BB49_4 Depth=1
	v_mov_b32_e32 v5, s41
	v_add_co_u32_e32 v4, vcc, s40, v20
	v_addc_co_u32_e32 v5, vcc, v5, v19, vcc
	global_store_dwordx2 v[4:5], v[12:13], off offset:-4
	s_or_b64 exec, exec, s[6:7]
	s_and_saveexec_b64 s[6:7], s[12:13]
	s_cbranch_execz .LBB49_3
.LBB49_411:                             ;   in Loop: Header=BB49_4 Depth=1
	v_mov_b32_e32 v5, s41
	v_add_co_u32_e32 v4, vcc, s40, v2
	v_addc_co_u32_e32 v5, vcc, v5, v3, vcc
	global_store_dwordx2 v[4:5], v[8:9], off offset:-4
	s_branch .LBB49_3
.LBB49_412:
	s_cbranch_execz .LBB49_414
	s_branch .LBB49_809
.LBB49_413:
.LBB49_414:
	v_mov_b32_e32 v1, 0x10000
	v_mov_b32_e32 v2, 0
	v_cmp_lt_i64_e32 vcc, s[24:25], v[1:2]
	v_mov_b32_e32 v2, 0
	s_and_b64 s[6:7], vcc, exec
	s_cselect_b32 s13, s25, 0
	s_cselect_b32 s12, s24, 0x10000
	v_lshlrev_b32_e32 v1, 2, v0
	v_cmp_gt_i64_e32 vcc, s[12:13], v[1:2]
	s_and_saveexec_b64 s[6:7], vcc
	s_cbranch_execz .LBB49_809
; %bb.415:
	s_mov_b64 s[14:15], src_private_base
	s_mov_b32 s14, 8
	s_add_u32 s16, s4, 0xd30
	v_mov_b32_e32 v14, s14
	v_mov_b32_e32 v1, v2
	s_addc_u32 s17, s5, 0
	s_mov_b32 s18, 0
	s_mov_b32 s19, s15
	;; [unrolled: 1-line block ×4, first 2 shown]
	s_mov_b64 s[24:25], 0
	v_mov_b32_e32 v18, s23
	v_mov_b32_e32 v19, 0x248d3132
	;; [unrolled: 1-line block ×3, first 2 shown]
	s_mov_b32 s23, 0x4b000000
	v_mov_b32_e32 v20, 0xd800000
	s_mov_b32 s33, 0x395db3d7
	s_brev_b32 s46, -2
	s_mov_b32 s47, 0x7f800000
	s_mov_b32 s48, 0x41200000
	;; [unrolled: 1-line block ×4, first 2 shown]
	v_mov_b32_e32 v21, 0x260
	s_mov_b32 s51, 0x800000
	s_mov_b32 s52, 0x3f317217
	;; [unrolled: 1-line block ×3, first 2 shown]
	s_brev_b32 s54, 44
	s_mov_b32 s55, 0x3f2aaaab
	v_mov_b32_e32 v22, 0x3f2aaada
	s_mov_b32 s56, 0x3f317218
	s_mov_b32 s57, 0x33800000
	;; [unrolled: 1-line block ×7, first 2 shown]
	v_mov_b32_e32 v23, 0x3d034c3c
	v_mov_b32_e32 v24, 0x3d3641b1
	;; [unrolled: 1-line block ×10, first 2 shown]
	s_movk_i32 s63, 0x204
	s_mov_b32 s64, 0x7effffff
	s_mov_b32 s65, 0x5e000000
	s_brev_b32 s66, 4
	s_mov_b32 s67, 0x402df854
	v_mov_b32_e32 v33, 0x7f800000
	v_mov_b32_e32 v34, 0x41b17218
	;; [unrolled: 1-line block ×7, first 2 shown]
	s_branch .LBB49_418
.LBB49_416:                             ;   in Loop: Header=BB49_418 Depth=1
	s_or_b64 exec, exec, s[6:7]
.LBB49_417:                             ;   in Loop: Header=BB49_418 Depth=1
	s_or_b64 exec, exec, s[4:5]
	s_waitcnt lgkmcnt(0)
	global_store_dwordx4 v[16:17], v[6:9], off
	global_store_dwordx4 v[16:17], v[10:13], off offset:16
	s_load_dword s4, s[16:17], 0xc
	s_waitcnt lgkmcnt(0)
	s_and_b32 s4, s4, 0xffff
	v_add_co_u32_e32 v0, vcc, s4, v0
	v_addc_co_u32_e32 v1, vcc, 0, v1, vcc
	v_lshlrev_b64 v[2:3], 2, v[0:1]
	v_cmp_le_i64_e32 vcc, s[12:13], v[2:3]
	s_or_b64 s[24:25], vcc, s[24:25]
	s_andn2_b64 exec, exec, s[24:25]
	s_cbranch_execz .LBB49_809
.LBB49_418:                             ; =>This Inner Loop Header: Depth=1
	v_lshlrev_b64 v[2:3], 5, v[0:1]
                                        ; implicit-def: $vgpr7
	v_add_co_u32_e32 v16, vcc, s22, v2
	v_addc_co_u32_e32 v17, vcc, v18, v3, vcc
	global_load_dwordx4 v[10:13], v[16:17], off
	global_load_dwordx4 v[2:5], v[16:17], off offset:16
	s_waitcnt vmcnt(0)
	v_cmp_o_f32_e32 vcc, v10, v11
	flat_store_dword v[14:15], v19
	s_waitcnt vmcnt(0)
	s_and_saveexec_b64 s[4:5], vcc
	s_xor_b64 s[26:27], exec, s[4:5]
	s_cbranch_execz .LBB49_502
; %bb.419:                              ;   in Loop: Header=BB49_418 Depth=1
	v_max_f32_e64 v9, |v11|, |v11|
	v_max_f32_e64 v40, |v10|, |v10|
	v_max_f32_e32 v8, v40, v9
	v_cmp_gt_i32_e64 s[6:7], 0, v10
	v_cmp_lt_i32_e64 s[8:9], -1, v10
	v_cmp_gt_i32_e64 s[4:5], 0, v11
	v_cmp_nlt_f32_e32 vcc, s23, v8
                                        ; implicit-def: $vgpr7
	s_and_saveexec_b64 s[10:11], vcc
	s_xor_b64 s[28:29], exec, s[10:11]
	s_cbranch_execz .LBB49_491
; %bb.420:                              ;   in Loop: Header=BB49_418 Depth=1
	v_cmp_neq_f32_e32 vcc, 1.0, v10
	v_cmp_neq_f32_e64 s[10:11], 0, v11
	s_or_b64 s[10:11], vcc, s[10:11]
	v_xor_b32_e32 v7, 0x80000000, v11
	s_and_saveexec_b64 s[30:31], s[10:11]
	s_xor_b64 s[30:31], exec, s[30:31]
	s_cbranch_execz .LBB49_488
; %bb.421:                              ;   in Loop: Header=BB49_418 Depth=1
	v_mov_b32_e32 v6, s18
	v_mov_b32_e32 v7, s19
	flat_store_dword v[6:7], v20
	s_waitcnt vmcnt(0)
	flat_load_dword v6, v[6:7] glc
	s_waitcnt vmcnt(0)
	v_cmp_nlt_f32_e64 s[10:11], |v10|, s33
	v_cmp_nlt_f32_e64 s[34:35], |v11|, s33
	s_or_b64 s[10:11], s[10:11], s[34:35]
	s_waitcnt lgkmcnt(0)
	v_add_f32_e32 v8, 1.0, v6
	v_mov_b32_e32 v6, s20
	v_mov_b32_e32 v7, s21
	flat_store_dword v[6:7], v8
	s_waitcnt vmcnt(0)
	flat_load_dword v6, v[6:7] glc
	s_waitcnt vmcnt(0) lgkmcnt(0)
	v_xor_b32_e32 v7, 0x80000000, v11
	s_and_saveexec_b64 s[34:35], s[10:11]
	s_xor_b64 s[34:35], exec, s[34:35]
	s_cbranch_execz .LBB49_485
; %bb.422:                              ;   in Loop: Header=BB49_418 Depth=1
	v_add_f32_e64 v8, |v10|, 1.0
	v_max_f32_e32 v6, v9, v8
	v_add_f32_e64 v7, |v10|, -1.0
	v_cvt_f64_f32_e32 v[40:41], v6
	v_max_f32_e64 v9, v9, |v7|
	v_cvt_f64_f32_e32 v[42:43], v9
	v_cmp_neq_f32_e32 vcc, s47, v6
	v_frexp_exp_i32_f64_e32 v40, v[40:41]
	v_frexp_exp_i32_f64_e32 v41, v[42:43]
	v_sub_u32_e32 v42, 0, v40
	v_ldexp_f32 v44, |v11|, v42
	v_sub_u32_e32 v43, 0, v41
	v_ldexp_f32 v42, v8, v42
	v_ldexp_f32 v45, |v11|, v43
	v_ldexp_f32 v43, |v7|, v43
	v_mul_f32_e32 v42, v42, v42
	v_mul_f32_e32 v43, v43, v43
	v_fmac_f32_e32 v42, v44, v44
	v_fmac_f32_e32 v43, v45, v45
	v_sqrt_f32_e32 v42, v42
	v_sqrt_f32_e32 v43, v43
	v_ldexp_f32 v40, v42, v40
	v_ldexp_f32 v41, v43, v41
	v_cndmask_b32_e32 v42, v33, v40, vcc
	v_cmp_neq_f32_e32 vcc, s47, v9
	v_cndmask_b32_e32 v9, v33, v41, vcc
	v_add_f32_e32 v6, v42, v9
	v_mul_f32_e32 v6, 0.5, v6
	v_cmp_ngt_f32_e32 vcc, 1.0, v6
	v_cndmask_b32_e32 v6, 1.0, v6, vcc
	v_cmp_ngt_f32_e32 vcc, s48, v6
                                        ; implicit-def: $vgpr40
	s_and_saveexec_b64 s[10:11], vcc
	s_xor_b64 s[36:37], exec, s[10:11]
	s_cbranch_execz .LBB49_424
; %bb.423:                              ;   in Loop: Header=BB49_418 Depth=1
	v_fma_f32 v40, v6, v6, -1.0
	v_mul_f32_e32 v41, 0x4f800000, v40
	v_cmp_gt_f32_e32 vcc, s49, v40
	v_cndmask_b32_e32 v40, v40, v41, vcc
	v_sqrt_f32_e32 v41, v40
	v_add_u32_e32 v43, -1, v41
	v_fma_f32 v45, -v43, v41, v40
	v_add_u32_e32 v44, 1, v41
	v_cmp_ge_f32_e64 s[10:11], 0, v45
	v_cndmask_b32_e64 v43, v41, v43, s[10:11]
	v_fma_f32 v41, -v44, v41, v40
	v_cmp_lt_f32_e64 s[10:11], 0, v41
	v_cndmask_b32_e64 v41, v43, v44, s[10:11]
	v_mul_f32_e32 v43, 0x37800000, v41
	v_cndmask_b32_e32 v41, v41, v43, vcc
	v_cmp_class_f32_e32 vcc, v40, v21
	v_cndmask_b32_e32 v40, v41, v40, vcc
	v_add_f32_e32 v40, v6, v40
	v_cmp_gt_f32_e32 vcc, s51, v40
	v_cndmask_b32_e64 v41, 0, 32, vcc
	v_ldexp_f32 v40, v40, v41
	v_log_f32_e32 v40, v40
	v_mul_f32_e32 v41, 0x3f317217, v40
	v_fma_f32 v41, v40, s52, -v41
	v_fmac_f32_e32 v41, 0x3377d1cf, v40
	v_fmac_f32_e32 v41, 0x3f317217, v40
	v_cmp_lt_f32_e64 s[10:11], |v40|, s47
	v_cndmask_b32_e64 v40, v40, v41, s[10:11]
	v_cndmask_b32_e32 v41, 0, v34, vcc
	v_sub_f32_e32 v40, v40, v41
.LBB49_424:                             ;   in Loop: Header=BB49_418 Depth=1
	s_or_saveexec_b64 s[36:37], s[36:37]
	v_and_b32_e32 v41, 0x7fffffff, v11
	s_xor_b64 exec, exec, s[36:37]
	s_cbranch_execz .LBB49_446
; %bb.425:                              ;   in Loop: Header=BB49_418 Depth=1
	v_cmp_neq_f32_e64 s[10:11], |v10|, 1.0
	v_cmp_nlt_f32_e64 s[38:39], |v11|, s53
	s_or_b64 s[10:11], s[10:11], s[38:39]
                                        ; implicit-def: $vgpr40
	s_and_saveexec_b64 s[38:39], s[10:11]
	s_xor_b64 s[38:39], exec, s[38:39]
	s_cbranch_execz .LBB49_443
; %bb.426:                              ;   in Loop: Header=BB49_418 Depth=1
	v_mul_f32_e64 v40, |v7|, s54
	v_cmp_ge_f32_e64 s[10:11], |v11|, v40
                                        ; implicit-def: $vgpr40
	s_and_saveexec_b64 s[40:41], s[10:11]
	s_xor_b64 s[40:41], exec, s[40:41]
	s_cbranch_execz .LBB49_436
; %bb.427:                              ;   in Loop: Header=BB49_418 Depth=1
	v_cmp_neq_f32_e32 vcc, 0, v8
	v_mov_b32_e32 v40, v41
	s_and_saveexec_b64 s[10:11], vcc
	s_cbranch_execz .LBB49_429
; %bb.428:                              ;   in Loop: Header=BB49_418 Depth=1
	v_mul_f32_e32 v40, v11, v11
	v_add_f32_e32 v43, v8, v42
	v_div_scale_f32 v44, s[42:43], v43, v43, v40
	v_div_scale_f32 v45, vcc, v40, v43, v40
	v_rcp_f32_e32 v46, v44
	v_fma_f32 v47, -v44, v46, 1.0
	v_fmac_f32_e32 v46, v47, v46
	v_mul_f32_e32 v47, v45, v46
	v_fma_f32 v48, -v44, v47, v45
	v_fmac_f32_e32 v47, v48, v46
	v_fma_f32 v44, -v44, v47, v45
	v_div_fmas_f32 v44, v44, v46, v47
	v_div_fixup_f32 v40, v44, v43, v40
.LBB49_429:                             ;   in Loop: Header=BB49_418 Depth=1
	s_or_b64 exec, exec, s[10:11]
	v_sub_f32_e64 v44, 1.0, |v10|
	v_cmp_ngt_f32_e32 vcc, 0, v44
                                        ; implicit-def: $vgpr43
	s_and_saveexec_b64 s[10:11], vcc
	s_xor_b64 s[10:11], exec, s[10:11]
	s_cbranch_execz .LBB49_433
; %bb.430:                              ;   in Loop: Header=BB49_418 Depth=1
	v_cmp_neq_f32_e32 vcc, 0, v44
	v_mov_b32_e32 v43, v41
	s_and_saveexec_b64 s[42:43], vcc
	s_cbranch_execz .LBB49_432
; %bb.431:                              ;   in Loop: Header=BB49_418 Depth=1
	v_mul_f32_e32 v43, v11, v11
	v_add_f32_e32 v44, v44, v9
	v_div_scale_f32 v45, s[44:45], v44, v44, v43
	v_div_scale_f32 v46, vcc, v43, v44, v43
	v_rcp_f32_e32 v47, v45
	v_fma_f32 v48, -v45, v47, 1.0
	v_fmac_f32_e32 v47, v48, v47
	v_mul_f32_e32 v48, v46, v47
	v_fma_f32 v49, -v45, v48, v46
	v_fmac_f32_e32 v48, v49, v47
	v_fma_f32 v45, -v45, v48, v46
	v_div_fmas_f32 v45, v45, v47, v48
	v_div_fixup_f32 v43, v45, v44, v43
.LBB49_432:                             ;   in Loop: Header=BB49_418 Depth=1
	s_or_b64 exec, exec, s[42:43]
                                        ; implicit-def: $vgpr44
.LBB49_433:                             ;   in Loop: Header=BB49_418 Depth=1
	s_andn2_saveexec_b64 s[10:11], s[10:11]
; %bb.434:                              ;   in Loop: Header=BB49_418 Depth=1
	v_sub_f32_e32 v43, v9, v44
; %bb.435:                              ;   in Loop: Header=BB49_418 Depth=1
	s_or_b64 exec, exec, s[10:11]
	v_mul_f32_e32 v43, 0.5, v43
	v_fmac_f32_e32 v43, 0.5, v40
	v_add_f32_e32 v40, 1.0, v6
	v_mul_f32_e32 v40, v40, v43
	v_mul_f32_e32 v44, 0x4f800000, v40
	v_cmp_gt_f32_e32 vcc, s49, v40
	v_cndmask_b32_e32 v40, v40, v44, vcc
	v_sqrt_f32_e32 v44, v40
	v_add_u32_e32 v45, -1, v44
	v_fma_f32 v46, -v45, v44, v40
	v_cmp_ge_f32_e64 s[10:11], 0, v46
	v_add_u32_e32 v46, 1, v44
	v_cndmask_b32_e64 v45, v44, v45, s[10:11]
	v_fma_f32 v44, -v46, v44, v40
	v_cmp_lt_f32_e64 s[10:11], 0, v44
	v_cndmask_b32_e64 v44, v45, v46, s[10:11]
	v_mul_f32_e32 v45, 0x37800000, v44
	v_cndmask_b32_e32 v44, v44, v45, vcc
	v_cmp_class_f32_e32 vcc, v40, v21
	v_cndmask_b32_e32 v40, v44, v40, vcc
	v_add_f32_e32 v40, v43, v40
	v_add_f32_e32 v45, 1.0, v40
	v_cvt_f64_f32_e32 v[43:44], v45
	v_add_f32_e32 v46, -1.0, v45
	v_frexp_exp_i32_f64_e32 v43, v[43:44]
	v_sub_f32_e32 v44, v46, v45
	v_add_f32_e32 v44, 1.0, v44
	v_sub_f32_e32 v46, v40, v46
	v_add_f32_e32 v44, v46, v44
	v_frexp_mant_f32_e32 v46, v45
	v_cmp_gt_f32_e32 vcc, s55, v46
	v_subbrev_co_u32_e32 v43, vcc, 0, v43, vcc
	v_sub_u32_e32 v46, 0, v43
	v_ldexp_f32 v45, v45, v46
	v_ldexp_f32 v44, v44, v46
	v_add_f32_e32 v46, -1.0, v45
	v_add_f32_e32 v49, 1.0, v45
	v_add_f32_e32 v47, 1.0, v46
	v_add_f32_e32 v50, -1.0, v49
	v_sub_f32_e32 v47, v45, v47
	v_sub_f32_e32 v45, v45, v50
	v_add_f32_e32 v47, v44, v47
	v_add_f32_e32 v44, v44, v45
	;; [unrolled: 1-line block ×3, first 2 shown]
	v_rcp_f32_e32 v50, v45
	v_add_f32_e32 v48, v46, v47
	v_sub_f32_e32 v46, v48, v46
	v_sub_f32_e32 v46, v47, v46
	;; [unrolled: 1-line block ×4, first 2 shown]
	v_mul_f32_e32 v47, v48, v50
	v_mul_f32_e32 v49, v45, v47
	v_fma_f32 v51, v47, v45, -v49
	v_fmac_f32_e32 v51, v47, v44
	v_add_f32_e32 v52, v49, v51
	v_sub_f32_e32 v53, v48, v52
	v_sub_f32_e32 v48, v48, v53
	;; [unrolled: 1-line block ×4, first 2 shown]
	v_add_f32_e32 v46, v46, v48
	v_sub_f32_e32 v48, v49, v51
	v_add_f32_e32 v46, v48, v46
	v_add_f32_e32 v48, v53, v46
	v_mul_f32_e32 v49, v50, v48
	v_mul_f32_e32 v51, v45, v49
	v_fma_f32 v45, v49, v45, -v51
	v_fmac_f32_e32 v45, v49, v44
	v_sub_f32_e32 v44, v53, v48
	v_add_f32_e32 v44, v46, v44
	v_add_f32_e32 v46, v51, v45
	v_sub_f32_e32 v52, v48, v46
	v_sub_f32_e32 v48, v48, v52
	;; [unrolled: 1-line block ×4, first 2 shown]
	v_add_f32_e32 v44, v44, v46
	v_sub_f32_e32 v45, v51, v45
	v_cvt_f32_i32_e32 v43, v43
	v_add_f32_e32 v44, v45, v44
	v_add_f32_e32 v45, v47, v49
	;; [unrolled: 1-line block ×3, first 2 shown]
	v_sub_f32_e32 v46, v45, v47
	v_mul_f32_e32 v44, v50, v44
	v_sub_f32_e32 v46, v49, v46
	v_add_f32_e32 v44, v46, v44
	v_mul_f32_e32 v49, 0x3f317218, v43
	v_add_f32_e32 v46, v45, v44
	v_fma_f32 v50, v43, s56, -v49
	v_mul_f32_e32 v47, v46, v46
	v_mov_b32_e32 v48, 0x3ecc95a3
	v_fmac_f32_e32 v50, 0xb102e308, v43
	v_sub_f32_e32 v43, v46, v45
	v_fmac_f32_e32 v48, 0x3e9b6dac, v47
	v_sub_f32_e32 v43, v44, v43
	v_add_f32_e32 v44, v49, v50
	v_fma_f32 v48, v47, v48, v22
	v_sub_f32_e32 v45, v44, v49
	v_ldexp_f32 v49, v46, 1
	v_mul_f32_e32 v46, v46, v47
	v_mul_f32_e32 v46, v46, v48
	v_add_f32_e32 v47, v49, v46
	v_sub_f32_e32 v48, v47, v49
	v_ldexp_f32 v43, v43, 1
	v_sub_f32_e32 v46, v46, v48
	v_add_f32_e32 v43, v43, v46
	v_add_f32_e32 v46, v47, v43
	v_sub_f32_e32 v47, v46, v47
	v_sub_f32_e32 v43, v43, v47
	v_add_f32_e32 v47, v44, v46
	v_sub_f32_e32 v48, v47, v44
	v_sub_f32_e32 v49, v47, v48
	;; [unrolled: 1-line block ×5, first 2 shown]
	v_add_f32_e32 v44, v46, v44
	v_add_f32_e32 v46, v45, v43
	v_sub_f32_e32 v48, v46, v45
	v_sub_f32_e32 v49, v46, v48
	;; [unrolled: 1-line block ×4, first 2 shown]
	v_add_f32_e32 v44, v46, v44
	v_add_f32_e32 v43, v43, v45
	;; [unrolled: 1-line block ×3, first 2 shown]
	v_sub_f32_e32 v46, v45, v47
	v_sub_f32_e32 v44, v44, v46
	v_add_f32_e32 v43, v43, v44
	v_add_f32_e32 v43, v45, v43
	v_cmp_neq_f32_e32 vcc, s47, v40
	v_cndmask_b32_e32 v43, v33, v43, vcc
	v_cmp_ngt_f32_e32 vcc, -1.0, v40
	v_cndmask_b32_e32 v43, v35, v43, vcc
	v_cmp_neq_f32_e32 vcc, -1.0, v40
	v_cndmask_b32_e32 v43, v36, v43, vcc
	v_cmp_lt_f32_e64 vcc, |v40|, s57
	v_cndmask_b32_e32 v40, v43, v40, vcc
.LBB49_436:                             ;   in Loop: Header=BB49_418 Depth=1
	s_andn2_saveexec_b64 s[40:41], s[40:41]
	s_cbranch_execz .LBB49_442
; %bb.437:                              ;   in Loop: Header=BB49_418 Depth=1
	v_cmp_nlt_f32_e64 s[10:11], |v10|, 1.0
                                        ; implicit-def: $vgpr40
	s_and_saveexec_b64 s[42:43], s[10:11]
	s_xor_b64 s[42:43], exec, s[42:43]
	s_cbranch_execz .LBB49_439
; %bb.438:                              ;   in Loop: Header=BB49_418 Depth=1
	v_mul_f32_e32 v40, v7, v8
	v_mul_f32_e32 v43, 0x4f800000, v40
	v_cmp_gt_f32_e32 vcc, s49, v40
	v_cndmask_b32_e32 v40, v40, v43, vcc
	v_sqrt_f32_e32 v43, v40
	v_add_u32_e32 v44, -1, v43
	v_fma_f32 v46, -v44, v43, v40
	v_add_u32_e32 v45, 1, v43
	v_cmp_ge_f32_e64 s[10:11], 0, v46
	v_cndmask_b32_e64 v44, v43, v44, s[10:11]
	v_fma_f32 v43, -v45, v43, v40
	v_cmp_lt_f32_e64 s[10:11], 0, v43
	v_cndmask_b32_e64 v43, v44, v45, s[10:11]
	v_mul_f32_e32 v44, 0x37800000, v43
	v_cndmask_b32_e32 v43, v43, v44, vcc
	v_cmp_class_f32_e32 vcc, v40, v21
	v_cndmask_b32_e32 v40, v43, v40, vcc
	v_add_f32_e32 v40, v7, v40
	v_add_f32_e32 v45, 1.0, v40
	v_cvt_f64_f32_e32 v[43:44], v45
	v_add_f32_e32 v46, -1.0, v45
	v_frexp_exp_i32_f64_e32 v43, v[43:44]
	v_sub_f32_e32 v44, v46, v45
	v_add_f32_e32 v44, 1.0, v44
	v_sub_f32_e32 v46, v40, v46
	v_add_f32_e32 v44, v46, v44
	v_frexp_mant_f32_e32 v46, v45
	v_cmp_gt_f32_e32 vcc, s55, v46
	v_subbrev_co_u32_e32 v43, vcc, 0, v43, vcc
	v_sub_u32_e32 v46, 0, v43
	v_ldexp_f32 v45, v45, v46
	v_ldexp_f32 v44, v44, v46
	v_add_f32_e32 v46, -1.0, v45
	v_add_f32_e32 v49, 1.0, v45
	v_add_f32_e32 v47, 1.0, v46
	v_add_f32_e32 v50, -1.0, v49
	v_sub_f32_e32 v47, v45, v47
	v_sub_f32_e32 v45, v45, v50
	v_add_f32_e32 v47, v44, v47
	v_add_f32_e32 v44, v44, v45
	;; [unrolled: 1-line block ×3, first 2 shown]
	v_rcp_f32_e32 v50, v45
	v_add_f32_e32 v48, v46, v47
	v_sub_f32_e32 v46, v48, v46
	v_sub_f32_e32 v46, v47, v46
	;; [unrolled: 1-line block ×4, first 2 shown]
	v_mul_f32_e32 v47, v48, v50
	v_mul_f32_e32 v49, v45, v47
	v_fma_f32 v51, v47, v45, -v49
	v_fmac_f32_e32 v51, v47, v44
	v_add_f32_e32 v52, v49, v51
	v_sub_f32_e32 v53, v48, v52
	v_sub_f32_e32 v48, v48, v53
	v_sub_f32_e32 v49, v52, v49
	v_sub_f32_e32 v48, v48, v52
	v_add_f32_e32 v46, v46, v48
	v_sub_f32_e32 v48, v49, v51
	v_add_f32_e32 v46, v48, v46
	v_add_f32_e32 v48, v53, v46
	v_mul_f32_e32 v49, v50, v48
	v_mul_f32_e32 v51, v45, v49
	v_fma_f32 v45, v49, v45, -v51
	v_fmac_f32_e32 v45, v49, v44
	v_sub_f32_e32 v44, v53, v48
	v_add_f32_e32 v44, v46, v44
	v_add_f32_e32 v46, v51, v45
	v_sub_f32_e32 v52, v48, v46
	v_sub_f32_e32 v48, v48, v52
	;; [unrolled: 1-line block ×4, first 2 shown]
	v_add_f32_e32 v44, v44, v46
	v_sub_f32_e32 v45, v51, v45
	v_cvt_f32_i32_e32 v43, v43
	v_add_f32_e32 v44, v45, v44
	v_add_f32_e32 v45, v47, v49
	v_add_f32_e32 v44, v52, v44
	v_sub_f32_e32 v46, v45, v47
	v_mul_f32_e32 v44, v50, v44
	v_sub_f32_e32 v46, v49, v46
	v_add_f32_e32 v44, v46, v44
	v_mul_f32_e32 v49, 0x3f317218, v43
	v_add_f32_e32 v46, v45, v44
	v_fma_f32 v50, v43, s56, -v49
	v_mul_f32_e32 v47, v46, v46
	v_mov_b32_e32 v48, 0x3ecc95a3
	v_fmac_f32_e32 v50, 0xb102e308, v43
	v_sub_f32_e32 v43, v46, v45
	v_fmac_f32_e32 v48, 0x3e9b6dac, v47
	v_sub_f32_e32 v43, v44, v43
	v_add_f32_e32 v44, v49, v50
	v_fma_f32 v48, v47, v48, v22
	v_sub_f32_e32 v45, v44, v49
	v_ldexp_f32 v49, v46, 1
	v_mul_f32_e32 v46, v46, v47
	v_mul_f32_e32 v46, v46, v48
	v_add_f32_e32 v47, v49, v46
	v_sub_f32_e32 v48, v47, v49
	v_ldexp_f32 v43, v43, 1
	v_sub_f32_e32 v46, v46, v48
	v_add_f32_e32 v43, v43, v46
	v_add_f32_e32 v46, v47, v43
	v_sub_f32_e32 v47, v46, v47
	v_sub_f32_e32 v43, v43, v47
	v_add_f32_e32 v47, v44, v46
	v_sub_f32_e32 v48, v47, v44
	v_sub_f32_e32 v49, v47, v48
	v_sub_f32_e32 v45, v50, v45
	v_sub_f32_e32 v44, v44, v49
	v_sub_f32_e32 v46, v46, v48
	v_add_f32_e32 v44, v46, v44
	v_add_f32_e32 v46, v45, v43
	v_sub_f32_e32 v48, v46, v45
	v_sub_f32_e32 v49, v46, v48
	;; [unrolled: 1-line block ×4, first 2 shown]
	v_add_f32_e32 v44, v46, v44
	v_add_f32_e32 v43, v43, v45
	;; [unrolled: 1-line block ×3, first 2 shown]
	v_sub_f32_e32 v46, v45, v47
	v_sub_f32_e32 v44, v44, v46
	v_add_f32_e32 v43, v43, v44
	v_add_f32_e32 v43, v45, v43
	v_cmp_neq_f32_e32 vcc, s47, v40
	v_cndmask_b32_e32 v43, v33, v43, vcc
	v_cmp_ngt_f32_e32 vcc, -1.0, v40
	v_cndmask_b32_e32 v43, v35, v43, vcc
	v_cmp_neq_f32_e32 vcc, -1.0, v40
	v_cndmask_b32_e32 v43, v36, v43, vcc
	v_cmp_lt_f32_e64 vcc, |v40|, s57
	v_cndmask_b32_e32 v40, v43, v40, vcc
.LBB49_439:                             ;   in Loop: Header=BB49_418 Depth=1
	s_andn2_saveexec_b64 s[42:43], s[42:43]
	s_cbranch_execz .LBB49_441
; %bb.440:                              ;   in Loop: Header=BB49_418 Depth=1
	v_sub_f32_e64 v40, 1.0, |v10|
	v_mul_f32_e32 v40, v40, v8
	v_mul_f32_e32 v43, 0x4f800000, v40
	v_cmp_gt_f32_e32 vcc, s49, v40
	v_cndmask_b32_e32 v40, v40, v43, vcc
	v_sqrt_f32_e32 v43, v40
	v_add_u32_e32 v44, -1, v43
	v_fma_f32 v46, -v44, v43, v40
	v_add_u32_e32 v45, 1, v43
	v_cmp_ge_f32_e64 s[10:11], 0, v46
	v_cndmask_b32_e64 v44, v43, v44, s[10:11]
	v_fma_f32 v43, -v45, v43, v40
	v_cmp_lt_f32_e64 s[10:11], 0, v43
	v_cndmask_b32_e64 v43, v44, v45, s[10:11]
	v_mul_f32_e32 v44, 0x37800000, v43
	v_cndmask_b32_e32 v43, v43, v44, vcc
	v_cmp_class_f32_e32 vcc, v40, v21
	v_cndmask_b32_e32 v40, v43, v40, vcc
	v_and_b32_e32 v43, 0x7fffffff, v11
	v_div_scale_f32 v44, s[10:11], v40, v40, v43
	v_div_scale_f32 v43, vcc, v43, v40, v43
	v_rcp_f32_e32 v45, v44
	v_fma_f32 v46, -v44, v45, 1.0
	v_fmac_f32_e32 v45, v46, v45
	v_mul_f32_e32 v46, v43, v45
	v_fma_f32 v47, -v44, v46, v43
	v_fmac_f32_e32 v46, v47, v45
	v_fma_f32 v43, -v44, v46, v43
	v_div_fmas_f32 v43, v43, v45, v46
	v_div_fixup_f32 v40, v43, v40, |v11|
.LBB49_441:                             ;   in Loop: Header=BB49_418 Depth=1
	s_or_b64 exec, exec, s[42:43]
.LBB49_442:                             ;   in Loop: Header=BB49_418 Depth=1
	s_or_b64 exec, exec, s[40:41]
.LBB49_443:                             ;   in Loop: Header=BB49_418 Depth=1
	s_andn2_saveexec_b64 s[38:39], s[38:39]
	s_cbranch_execz .LBB49_445
; %bb.444:                              ;   in Loop: Header=BB49_418 Depth=1
	v_mul_f32_e64 v40, |v11|, s50
	v_cmp_lt_f32_e64 vcc, |v11|, s49
	v_cndmask_b32_e64 v40, |v11|, v40, vcc
	v_sqrt_f32_e32 v43, v40
	v_add_u32_e32 v44, -1, v43
	v_fma_f32 v46, -v44, v43, v40
	v_add_u32_e32 v45, 1, v43
	v_cmp_ge_f32_e64 s[10:11], 0, v46
	v_cndmask_b32_e64 v44, v43, v44, s[10:11]
	v_fma_f32 v43, -v45, v43, v40
	v_cmp_lt_f32_e64 s[10:11], 0, v43
	v_cndmask_b32_e64 v43, v44, v45, s[10:11]
	v_mul_f32_e32 v44, 0x37800000, v43
	v_cndmask_b32_e32 v43, v43, v44, vcc
	v_cmp_class_f32_e32 vcc, v40, v21
	v_cndmask_b32_e32 v40, v43, v40, vcc
.LBB49_445:                             ;   in Loop: Header=BB49_418 Depth=1
	s_or_b64 exec, exec, s[38:39]
.LBB49_446:                             ;   in Loop: Header=BB49_418 Depth=1
	s_or_b64 exec, exec, s[36:37]
	v_cmp_nlt_f32_e64 s[36:37], |v10|, s58
                                        ; implicit-def: $sgpr10_sgpr11
                                        ; implicit-def: $vgpr43
                                        ; implicit-def: $vgpr45
                                        ; implicit-def: $vgpr44
	s_and_saveexec_b64 s[38:39], s[36:37]
	s_xor_b64 s[36:37], exec, s[38:39]
	s_cbranch_execz .LBB49_470
; %bb.447:                              ;   in Loop: Header=BB49_418 Depth=1
	v_and_b32_e32 v44, 0x7fffffff, v10
	v_div_scale_f32 v43, s[10:11], v6, v6, v44
	v_div_scale_f32 v45, vcc, v44, v6, v44
	s_mov_b64 s[10:11], 0
	v_rcp_f32_e32 v46, v43
	v_fma_f32 v47, -v43, v46, 1.0
	v_fmac_f32_e32 v46, v47, v46
	v_mul_f32_e32 v47, v45, v46
	v_fma_f32 v48, -v43, v47, v45
	v_fmac_f32_e32 v47, v48, v46
	v_fma_f32 v43, -v43, v47, v45
	v_div_fmas_f32 v43, v43, v46, v47
                                        ; implicit-def: $vgpr45
	v_div_fixup_f32 v43, v43, v6, |v10|
	v_cmp_lt_f32_e32 vcc, s59, v43
	s_and_saveexec_b64 s[38:39], vcc
	s_cbranch_execz .LBB49_469
; %bb.448:                              ;   in Loop: Header=BB49_418 Depth=1
	v_cmp_neq_f32_e64 s[10:11], |v10|, 1.0
	v_cmp_nlt_f32_e64 s[40:41], |v11|, s60
	s_or_b64 s[10:11], s[10:11], s[40:41]
                                        ; implicit-def: $vgpr45
	s_and_saveexec_b64 s[40:41], s[10:11]
	s_xor_b64 s[40:41], exec, s[40:41]
	s_cbranch_execz .LBB49_466
; %bb.449:                              ;   in Loop: Header=BB49_418 Depth=1
	v_mul_f32_e64 v45, |v7|, s54
	v_cmp_ge_f32_e64 s[10:11], |v11|, v45
                                        ; implicit-def: $vgpr45
	s_and_saveexec_b64 s[42:43], s[10:11]
	s_xor_b64 s[42:43], exec, s[42:43]
	s_cbranch_execz .LBB49_459
; %bb.450:                              ;   in Loop: Header=BB49_418 Depth=1
	v_cmp_neq_f32_e32 vcc, 0, v8
	v_mov_b32_e32 v45, v41
	s_and_saveexec_b64 s[10:11], vcc
	s_cbranch_execz .LBB49_452
; %bb.451:                              ;   in Loop: Header=BB49_418 Depth=1
	v_mul_f32_e32 v45, v11, v11
	v_add_f32_e32 v8, v8, v42
	v_div_scale_f32 v42, s[44:45], v8, v8, v45
	v_div_scale_f32 v46, vcc, v45, v8, v45
	v_rcp_f32_e32 v47, v42
	v_fma_f32 v48, -v42, v47, 1.0
	v_fmac_f32_e32 v47, v48, v47
	v_mul_f32_e32 v48, v46, v47
	v_fma_f32 v49, -v42, v48, v46
	v_fmac_f32_e32 v48, v49, v47
	v_fma_f32 v42, -v42, v48, v46
	v_div_fmas_f32 v42, v42, v47, v48
	v_div_fixup_f32 v45, v42, v8, v45
.LBB49_452:                             ;   in Loop: Header=BB49_418 Depth=1
	s_or_b64 exec, exec, s[10:11]
	v_cmp_ngt_f32_e32 vcc, 0, v7
	s_and_saveexec_b64 s[10:11], vcc
	s_xor_b64 s[10:11], exec, s[10:11]
	s_cbranch_execz .LBB49_456
; %bb.453:                              ;   in Loop: Header=BB49_418 Depth=1
	v_cmp_neq_f32_e32 vcc, 0, v7
	s_and_saveexec_b64 s[44:45], vcc
	s_cbranch_execz .LBB49_455
; %bb.454:                              ;   in Loop: Header=BB49_418 Depth=1
	v_mul_f32_e32 v8, v11, v11
	v_add_f32_e32 v7, v7, v9
	v_div_scale_f32 v9, s[68:69], v7, v7, v8
	v_div_scale_f32 v41, vcc, v8, v7, v8
	v_rcp_f32_e32 v42, v9
	v_fma_f32 v46, -v9, v42, 1.0
	v_fmac_f32_e32 v42, v46, v42
	v_mul_f32_e32 v46, v41, v42
	v_fma_f32 v47, -v9, v46, v41
	v_fmac_f32_e32 v46, v47, v42
	v_fma_f32 v9, -v9, v46, v41
	v_div_fmas_f32 v9, v9, v42, v46
	v_div_fixup_f32 v41, v9, v7, v8
.LBB49_455:                             ;   in Loop: Header=BB49_418 Depth=1
	s_or_b64 exec, exec, s[44:45]
                                        ; implicit-def: $vgpr9
                                        ; implicit-def: $vgpr7
.LBB49_456:                             ;   in Loop: Header=BB49_418 Depth=1
	s_andn2_saveexec_b64 s[10:11], s[10:11]
; %bb.457:                              ;   in Loop: Header=BB49_418 Depth=1
	v_sub_f32_e32 v41, v9, v7
; %bb.458:                              ;   in Loop: Header=BB49_418 Depth=1
	s_or_b64 exec, exec, s[10:11]
	v_mul_f32_e32 v7, 0.5, v41
	v_fmac_f32_e32 v7, 0.5, v45
	v_add_f32_e64 v6, |v10|, v6
	v_mul_f32_e32 v6, v6, v7
	v_mul_f32_e32 v7, 0x4f800000, v6
	v_cmp_gt_f32_e32 vcc, s49, v6
	v_cndmask_b32_e32 v6, v6, v7, vcc
	v_sqrt_f32_e32 v7, v6
	v_add_u32_e32 v8, -1, v7
	v_fma_f32 v9, -v8, v7, v6
	v_cmp_ge_f32_e64 s[10:11], 0, v9
	v_add_u32_e32 v9, 1, v7
	v_cndmask_b32_e64 v8, v7, v8, s[10:11]
	v_fma_f32 v7, -v9, v7, v6
	v_cmp_lt_f32_e64 s[10:11], 0, v7
	v_cndmask_b32_e64 v7, v8, v9, s[10:11]
	v_mul_f32_e32 v8, 0x37800000, v7
	v_cndmask_b32_e32 v7, v7, v8, vcc
	v_cmp_class_f32_e32 vcc, v6, v21
	v_cndmask_b32_e32 v45, v7, v6, vcc
                                        ; implicit-def: $vgpr8
                                        ; implicit-def: $vgpr7
.LBB49_459:                             ;   in Loop: Header=BB49_418 Depth=1
	s_andn2_saveexec_b64 s[42:43], s[42:43]
	s_cbranch_execz .LBB49_465
; %bb.460:                              ;   in Loop: Header=BB49_418 Depth=1
	v_cmp_ngt_f32_e64 s[10:11], |v10|, 1.0
                                        ; implicit-def: $vgpr45
	s_and_saveexec_b64 s[44:45], s[10:11]
	s_xor_b64 s[44:45], exec, s[44:45]
	s_cbranch_execz .LBB49_462
; %bb.461:                              ;   in Loop: Header=BB49_418 Depth=1
	v_sub_f32_e64 v6, 1.0, |v10|
	v_mul_f32_e32 v6, v6, v8
	v_mul_f32_e32 v7, 0x4f800000, v6
	v_cmp_gt_f32_e32 vcc, s49, v6
	v_cndmask_b32_e32 v6, v6, v7, vcc
	v_sqrt_f32_e32 v7, v6
	v_add_u32_e32 v8, -1, v7
	v_fma_f32 v41, -v8, v7, v6
	v_add_u32_e32 v9, 1, v7
	v_cmp_ge_f32_e64 s[10:11], 0, v41
	v_cndmask_b32_e64 v8, v7, v8, s[10:11]
	v_fma_f32 v7, -v9, v7, v6
	v_cmp_lt_f32_e64 s[10:11], 0, v7
	v_cndmask_b32_e64 v7, v8, v9, s[10:11]
	v_mul_f32_e32 v8, 0x37800000, v7
	v_cndmask_b32_e32 v7, v7, v8, vcc
	v_cmp_class_f32_e32 vcc, v6, v21
	v_cndmask_b32_e32 v45, v7, v6, vcc
                                        ; implicit-def: $vgpr8
                                        ; implicit-def: $vgpr7
.LBB49_462:                             ;   in Loop: Header=BB49_418 Depth=1
	s_andn2_saveexec_b64 s[44:45], s[44:45]
	s_cbranch_execz .LBB49_464
; %bb.463:                              ;   in Loop: Header=BB49_418 Depth=1
	v_mul_f32_e32 v6, v8, v7
	v_mul_f32_e32 v7, 0x4f800000, v6
	v_cmp_gt_f32_e32 vcc, s49, v6
	v_cndmask_b32_e32 v6, v6, v7, vcc
	v_sqrt_f32_e32 v7, v6
	v_mul_f32_e64 v8, |v11|, s61
	v_mul_f32_e64 v8, |v10|, v8
	v_add_u32_e32 v9, -1, v7
	v_fma_f32 v41, -v9, v7, v6
	v_cmp_ge_f32_e64 s[10:11], 0, v41
	v_add_u32_e32 v41, 1, v7
	v_cndmask_b32_e64 v9, v7, v9, s[10:11]
	v_fma_f32 v7, -v41, v7, v6
	v_cmp_lt_f32_e64 s[10:11], 0, v7
	v_cndmask_b32_e64 v7, v9, v41, s[10:11]
	v_mul_f32_e32 v9, 0x37800000, v7
	v_cndmask_b32_e32 v7, v7, v9, vcc
	v_cmp_class_f32_e32 vcc, v6, v21
	v_cndmask_b32_e32 v6, v7, v6, vcc
	v_div_scale_f32 v7, s[10:11], v6, v6, v8
	v_div_scale_f32 v9, vcc, v8, v6, v8
	v_rcp_f32_e32 v41, v7
	v_fma_f32 v42, -v7, v41, 1.0
	v_fmac_f32_e32 v41, v42, v41
	v_mul_f32_e32 v42, v9, v41
	v_fma_f32 v44, -v7, v42, v9
	v_fmac_f32_e32 v42, v44, v41
	v_fma_f32 v7, -v7, v42, v9
	v_div_fmas_f32 v7, v7, v41, v42
	v_mul_f32_e64 v44, |v10|, s61
	v_div_fixup_f32 v45, v7, v6, v8
.LBB49_464:                             ;   in Loop: Header=BB49_418 Depth=1
	s_or_b64 exec, exec, s[44:45]
.LBB49_465:                             ;   in Loop: Header=BB49_418 Depth=1
	s_or_b64 exec, exec, s[42:43]
                                        ; implicit-def: $vgpr6
.LBB49_466:                             ;   in Loop: Header=BB49_418 Depth=1
	s_andn2_saveexec_b64 s[40:41], s[40:41]
	s_cbranch_execz .LBB49_468
; %bb.467:                              ;   in Loop: Header=BB49_418 Depth=1
	v_mul_f32_e64 v7, |v11|, s50
	v_cmp_lt_f32_e64 vcc, |v11|, s49
	v_cndmask_b32_e64 v7, |v11|, v7, vcc
	v_sqrt_f32_e32 v8, v7
	v_add_f32_e32 v6, 1.0, v6
	v_mul_f32_e32 v6, 0.5, v6
	v_mov_b32_e32 v44, 1.0
	v_add_u32_e32 v9, -1, v8
	v_fma_f32 v42, -v9, v8, v7
	v_add_u32_e32 v41, 1, v8
	v_cmp_ge_f32_e64 s[10:11], 0, v42
	v_cndmask_b32_e64 v9, v8, v9, s[10:11]
	v_fma_f32 v8, -v41, v8, v7
	v_cmp_lt_f32_e64 s[10:11], 0, v8
	v_cndmask_b32_e64 v8, v9, v41, s[10:11]
	v_mul_f32_e32 v9, 0x37800000, v8
	v_cndmask_b32_e32 v8, v8, v9, vcc
	v_mul_f32_e32 v9, 0x4f800000, v6
	v_cmp_gt_f32_e32 vcc, s49, v6
	v_cndmask_b32_e32 v6, v6, v9, vcc
	v_sqrt_f32_e32 v9, v6
	v_cmp_class_f32_e64 s[10:11], v7, v21
	v_cndmask_b32_e64 v7, v8, v7, s[10:11]
	v_add_u32_e32 v8, -1, v9
	v_fma_f32 v41, -v8, v9, v6
	v_cmp_ge_f32_e64 s[10:11], 0, v41
	v_add_u32_e32 v41, 1, v9
	v_cndmask_b32_e64 v8, v9, v8, s[10:11]
	v_fma_f32 v9, -v41, v9, v6
	v_cmp_lt_f32_e64 s[10:11], 0, v9
	v_cndmask_b32_e64 v8, v8, v41, s[10:11]
	v_mul_f32_e32 v9, 0x37800000, v8
	v_cndmask_b32_e32 v8, v8, v9, vcc
	v_cmp_class_f32_e32 vcc, v6, v21
	v_cndmask_b32_e32 v6, v8, v6, vcc
	v_mul_f32_e32 v45, v7, v6
.LBB49_468:                             ;   in Loop: Header=BB49_418 Depth=1
	s_or_b64 exec, exec, s[40:41]
	s_mov_b64 s[10:11], exec
.LBB49_469:                             ;   in Loop: Header=BB49_418 Depth=1
	s_or_b64 exec, exec, s[38:39]
                                        ; implicit-def: $vgpr6
.LBB49_470:                             ;   in Loop: Header=BB49_418 Depth=1
	s_andn2_saveexec_b64 s[36:37], s[36:37]
; %bb.471:                              ;   in Loop: Header=BB49_418 Depth=1
	v_mul_f32_e32 v45, 0x4b800000, v6
	v_mul_f32_e64 v44, |v10|, s62
	s_or_b64 s[10:11], s[10:11], exec
                                        ; implicit-def: $vgpr43
; %bb.472:                              ;   in Loop: Header=BB49_418 Depth=1
	s_or_b64 exec, exec, s[36:37]
	s_xor_b64 s[10:11], s[10:11], -1
                                        ; implicit-def: $vgpr6
	s_and_saveexec_b64 s[36:37], s[10:11]
	s_xor_b64 s[36:37], exec, s[36:37]
	s_cbranch_execz .LBB49_478
; %bb.473:                              ;   in Loop: Header=BB49_418 Depth=1
                                        ; implicit-def: $vgpr6
	s_and_saveexec_b64 s[10:11], s[8:9]
	s_xor_b64 s[10:11], exec, s[10:11]
	s_cbranch_execz .LBB49_475
; %bb.474:                              ;   in Loop: Header=BB49_418 Depth=1
	v_fma_f32 v6, |v43|, -0.5, 0.5
	v_mul_f32_e32 v7, v43, v43
	v_cmp_gt_f32_e64 vcc, |v43|, 0.5
	v_cndmask_b32_e32 v6, v7, v6, vcc
	v_mov_b32_e32 v7, 0x3c5fc5da
	v_fmac_f32_e32 v7, 0x3d1c21a7, v6
	v_fma_f32 v7, v6, v7, v23
	v_fma_f32 v7, v6, v7, v24
	v_sqrt_f32_e32 v8, v6
	v_fma_f32 v7, v6, v7, v25
	v_fma_f32 v7, v6, v7, v26
	v_mul_f32_e32 v6, v6, v7
	v_fmac_f32_e32 v8, v8, v6
	v_fmac_f32_e32 v43, v43, v6
	v_add_f32_e32 v7, v8, v8
	v_sub_f32_e32 v6, 0x3fc90fdb, v43
	v_cndmask_b32_e32 v6, v6, v7, vcc
                                        ; implicit-def: $vgpr43
.LBB49_475:                             ;   in Loop: Header=BB49_418 Depth=1
	s_andn2_saveexec_b64 s[38:39], s[10:11]
	s_cbranch_execz .LBB49_477
; %bb.476:                              ;   in Loop: Header=BB49_418 Depth=1
	v_fma_f32 v6, |v43|, -0.5, 0.5
	v_mul_f32_e32 v7, v43, v43
	v_cmp_gt_f32_e64 vcc, |v43|, 0.5
	v_cndmask_b32_e32 v6, v7, v6, vcc
	v_mov_b32_e32 v7, 0x3c5fc5da
	v_fmac_f32_e32 v7, 0x3d1c21a7, v6
	v_fma_f32 v7, v6, v7, v23
	v_fma_f32 v7, v6, v7, v24
	v_sqrt_f32_e32 v8, v6
	v_fma_f32 v7, v6, v7, v25
	v_fma_f32 v7, v6, v7, v26
	v_mul_f32_e32 v6, v6, v7
	v_fmac_f32_e32 v8, v8, v6
	v_add_f32_e32 v7, v8, v8
	v_sub_f32_e32 v8, 0x40490fdb, v7
	v_cmp_lt_f32_e64 s[10:11], 0, v43
	v_fma_f32 v6, -v43, v6, -v43
	v_cndmask_b32_e64 v7, v7, v8, s[10:11]
	v_sub_f32_e32 v6, 0x3fc90fdb, v6
	v_cndmask_b32_e32 v6, v6, v7, vcc
.LBB49_477:                             ;   in Loop: Header=BB49_418 Depth=1
	s_or_b64 exec, exec, s[38:39]
                                        ; implicit-def: $vgpr44
                                        ; implicit-def: $vgpr45
.LBB49_478:                             ;   in Loop: Header=BB49_418 Depth=1
	s_andn2_saveexec_b64 s[10:11], s[36:37]
	s_cbranch_execz .LBB49_484
; %bb.479:                              ;   in Loop: Header=BB49_418 Depth=1
	v_max_f32_e64 v6, |v45|, |v45|
	v_max_f32_e32 v7, v44, v44
	v_min_f32_e32 v8, v7, v6
	v_max_f32_e32 v6, v7, v6
	v_frexp_mant_f32_e32 v7, v6
	v_rcp_f32_e32 v7, v7
	v_frexp_exp_i32_f32_e32 v6, v6
	v_frexp_exp_i32_f32_e32 v9, v8
	v_frexp_mant_f32_e32 v8, v8
	v_mul_f32_e32 v7, v8, v7
	v_sub_u32_e32 v6, v9, v6
	v_ldexp_f32 v6, v7, v6
	v_mul_f32_e32 v7, v6, v6
	v_mov_b32_e32 v8, 0xbc7a590c
	v_fmac_f32_e32 v8, 0x3b2d2a58, v7
	v_fma_f32 v8, v7, v8, v27
	v_fma_f32 v8, v7, v8, v28
	;; [unrolled: 1-line block ×6, first 2 shown]
	v_mul_f32_e32 v7, v7, v8
	v_fmac_f32_e32 v6, v6, v7
	v_sub_f32_e32 v7, 0x3fc90fdb, v6
	v_cmp_gt_f32_e64 vcc, |v45|, v44
	v_cndmask_b32_e32 v7, v6, v7, vcc
                                        ; implicit-def: $vgpr6
	s_and_saveexec_b64 s[36:37], s[8:9]
	s_xor_b64 s[8:9], exec, s[36:37]
; %bb.480:                              ;   in Loop: Header=BB49_418 Depth=1
	v_cmp_neq_f32_e32 vcc, 0, v45
	v_cndmask_b32_e32 v6, 0, v7, vcc
	v_cmp_eq_f32_e32 vcc, s47, v44
	v_cmp_class_f32_e64 s[36:37], v45, s63
	s_and_b64 vcc, vcc, s[36:37]
	v_cndmask_b32_e32 v6, v6, v37, vcc
	v_cmp_o_f32_e32 vcc, v45, v45
	v_cndmask_b32_e32 v6, v35, v6, vcc
	v_bfi_b32 v6, s46, v6, v45
                                        ; implicit-def: $vgpr7
                                        ; implicit-def: $vgpr44
                                        ; implicit-def: $vgpr45
; %bb.481:                              ;   in Loop: Header=BB49_418 Depth=1
	s_andn2_saveexec_b64 s[8:9], s[8:9]
	s_cbranch_execz .LBB49_483
; %bb.482:                              ;   in Loop: Header=BB49_418 Depth=1
	v_sub_f32_e32 v6, 0x40490fdb, v7
	v_cmp_lt_f32_e32 vcc, 0, v44
	v_cndmask_b32_e32 v6, v7, v6, vcc
	v_cmp_neq_f32_e32 vcc, 0, v45
	v_cndmask_b32_e32 v6, v38, v6, vcc
	v_cmp_eq_f32_e32 vcc, s47, v44
	v_cmp_class_f32_e64 s[36:37], v45, s63
	s_and_b64 vcc, vcc, s[36:37]
	v_cndmask_b32_e32 v6, v6, v39, vcc
	v_cmp_o_f32_e32 vcc, v45, v45
	v_cndmask_b32_e32 v6, v35, v6, vcc
	v_bfi_b32 v6, s46, v6, v45
.LBB49_483:                             ;   in Loop: Header=BB49_418 Depth=1
	s_or_b64 exec, exec, s[8:9]
.LBB49_484:                             ;   in Loop: Header=BB49_418 Depth=1
	s_or_b64 exec, exec, s[10:11]
	v_cndmask_b32_e64 v7, -v40, v40, s[4:5]
.LBB49_485:                             ;   in Loop: Header=BB49_418 Depth=1
	s_andn2_saveexec_b64 s[8:9], s[34:35]
	s_cbranch_execz .LBB49_487
; %bb.486:                              ;   in Loop: Header=BB49_418 Depth=1
	v_mov_b32_e32 v8, s14
	v_mov_b32_e32 v9, s15
	flat_load_dword v6, v[8:9] glc
	s_waitcnt vmcnt(0) lgkmcnt(0)
	v_sub_f32_e32 v6, v6, v10
	v_add_f32_e32 v6, 0x3fc90fdb, v6
.LBB49_487:                             ;   in Loop: Header=BB49_418 Depth=1
	s_or_b64 exec, exec, s[8:9]
.LBB49_488:                             ;   in Loop: Header=BB49_418 Depth=1
	s_andn2_saveexec_b64 s[8:9], s[30:31]
; %bb.489:                              ;   in Loop: Header=BB49_418 Depth=1
	v_mov_b32_e32 v6, 0
; %bb.490:                              ;   in Loop: Header=BB49_418 Depth=1
	s_or_b64 exec, exec, s[8:9]
                                        ; implicit-def: $vgpr40
                                        ; implicit-def: $vgpr9
                                        ; implicit-def: $vgpr8
.LBB49_491:                             ;   in Loop: Header=BB49_418 Depth=1
	s_andn2_saveexec_b64 s[28:29], s[28:29]
	s_cbranch_execz .LBB49_501
; %bb.492:                              ;   in Loop: Header=BB49_418 Depth=1
	v_cmp_lt_f32_e64 s[8:9], |v10|, |v11|
	v_cndmask_b32_e64 v41, |v10|, |v11|, s[8:9]
	v_cmp_nlt_f32_e32 vcc, s64, v41
                                        ; implicit-def: $vgpr7
                                        ; implicit-def: $vgpr6
	s_and_saveexec_b64 s[10:11], vcc
	s_xor_b64 s[30:31], exec, s[10:11]
	s_cbranch_execz .LBB49_498
; %bb.493:                              ;   in Loop: Header=BB49_418 Depth=1
	v_cndmask_b32_e64 v42, |v11|, |v10|, s[8:9]
	v_cmp_nlt_f32_e32 vcc, s65, v41
	v_cmp_ngt_f32_e64 s[10:11], s66, v42
	s_and_b64 s[10:11], vcc, s[10:11]
                                        ; implicit-def: $vgpr7
                                        ; implicit-def: $vgpr6
	s_and_saveexec_b64 s[34:35], s[10:11]
	s_xor_b64 s[10:11], exec, s[34:35]
	s_cbranch_execz .LBB49_495
; %bb.494:                              ;   in Loop: Header=BB49_418 Depth=1
	v_mul_f32_e32 v6, v42, v42
	v_fmac_f32_e32 v6, v41, v41
	v_cmp_gt_f32_e32 vcc, s51, v6
	v_cndmask_b32_e64 v7, 0, 32, vcc
	v_ldexp_f32 v6, v6, v7
	v_log_f32_e32 v6, v6
	v_cndmask_b32_e32 v7, 0, v34, vcc
	v_mul_f32_e32 v41, 0x3f317217, v6
	v_fma_f32 v41, v6, s52, -v41
	v_fmac_f32_e32 v41, 0x3377d1cf, v6
	v_fmac_f32_e32 v41, 0x3f317217, v6
	v_cmp_lt_f32_e64 vcc, |v6|, s47
	v_cndmask_b32_e32 v6, v6, v41, vcc
	v_sub_f32_e32 v6, v6, v7
	v_mul_f32_e32 v7, 0.5, v6
	v_min_f32_e32 v6, v40, v9
	v_frexp_mant_f32_e32 v9, v8
	v_rcp_f32_e32 v9, v9
	v_frexp_exp_i32_f32_e32 v8, v8
	v_frexp_exp_i32_f32_e32 v40, v6
	v_frexp_mant_f32_e32 v6, v6
	v_mul_f32_e32 v6, v6, v9
	v_sub_u32_e32 v8, v40, v8
	v_ldexp_f32 v6, v6, v8
	v_mul_f32_e32 v8, v6, v6
	v_mov_b32_e32 v9, 0xbc7a590c
	v_fmac_f32_e32 v9, 0x3b2d2a58, v8
	v_fma_f32 v9, v8, v9, v27
	v_fma_f32 v9, v8, v9, v28
	;; [unrolled: 1-line block ×6, first 2 shown]
	v_mul_f32_e32 v8, v8, v9
	v_fmac_f32_e32 v6, v6, v8
                                        ; implicit-def: $vgpr8
                                        ; implicit-def: $vgpr40
                                        ; implicit-def: $vgpr9
.LBB49_495:                             ;   in Loop: Header=BB49_418 Depth=1
	s_andn2_saveexec_b64 s[10:11], s[10:11]
	s_cbranch_execz .LBB49_497
; %bb.496:                              ;   in Loop: Header=BB49_418 Depth=1
	v_cvt_f64_f32_e32 v[6:7], v8
	v_cmp_neq_f32_e32 vcc, s47, v8
	v_mov_b32_e32 v41, 0xbc7a590c
	v_frexp_exp_i32_f64_e32 v6, v[6:7]
	v_min_f32_e32 v7, v40, v9
	v_frexp_exp_i32_f32_e32 v9, v8
	v_frexp_mant_f32_e32 v40, v8
	v_rcp_f32_e32 v40, v40
	v_frexp_exp_i32_f32_e32 v42, v7
	v_frexp_mant_f32_e32 v7, v7
	v_sub_u32_e32 v9, v42, v9
	v_sub_u32_e32 v43, 0, v6
	v_ldexp_f32 v44, |v10|, v43
	v_ldexp_f32 v43, |v11|, v43
	v_mul_f32_e32 v43, v43, v43
	v_fmac_f32_e32 v43, v44, v44
	v_sqrt_f32_e32 v43, v43
	v_mul_f32_e32 v7, v7, v40
	v_ldexp_f32 v6, v43, v6
	v_cndmask_b32_e32 v6, v33, v6, vcc
	v_cmp_gt_f32_e32 vcc, s51, v6
	v_cndmask_b32_e64 v8, 0, 32, vcc
	v_ldexp_f32 v6, v6, v8
	v_log_f32_e32 v8, v6
	v_ldexp_f32 v6, v7, v9
	v_mul_f32_e32 v9, v6, v6
	v_cndmask_b32_e32 v7, 0, v34, vcc
	v_mul_f32_e32 v40, 0x3f317217, v8
	v_fma_f32 v40, v8, s52, -v40
	v_fmac_f32_e32 v40, 0x3377d1cf, v8
	v_fmac_f32_e32 v40, 0x3f317217, v8
	v_cmp_lt_f32_e64 vcc, |v8|, s47
	v_cndmask_b32_e32 v8, v8, v40, vcc
	v_fmac_f32_e32 v41, 0x3b2d2a58, v9
	v_sub_f32_e32 v7, v8, v7
	v_fma_f32 v8, v9, v41, v27
	v_fma_f32 v8, v9, v8, v28
	;; [unrolled: 1-line block ×6, first 2 shown]
	v_mul_f32_e32 v8, v9, v8
	v_fmac_f32_e32 v6, v6, v8
.LBB49_497:                             ;   in Loop: Header=BB49_418 Depth=1
	s_or_b64 exec, exec, s[10:11]
                                        ; implicit-def: $vgpr40
                                        ; implicit-def: $vgpr9
                                        ; implicit-def: $vgpr8
.LBB49_498:                             ;   in Loop: Header=BB49_418 Depth=1
	s_andn2_saveexec_b64 s[30:31], s[30:31]
	s_cbranch_execz .LBB49_500
; %bb.499:                              ;   in Loop: Header=BB49_418 Depth=1
	v_div_scale_f32 v6, s[10:11], s67, s67, v10
	v_rcp_f32_e32 v7, v6
	v_fma_f32 v41, -v6, v7, 1.0
	v_fmac_f32_e32 v7, v41, v7
	v_div_scale_f32 v41, vcc, v10, s67, v10
	v_mul_f32_e32 v42, v41, v7
	v_fma_f32 v43, -v6, v42, v41
	v_fmac_f32_e32 v42, v43, v7
	v_fma_f32 v6, -v6, v42, v41
	v_div_fmas_f32 v6, v6, v7, v42
	v_div_fixup_f32 v41, v6, s67, v10
	v_div_scale_f32 v6, s[10:11], s67, s67, v11
	v_rcp_f32_e32 v7, v6
	v_fma_f32 v42, -v6, v7, 1.0
	v_fmac_f32_e32 v7, v42, v7
	v_div_scale_f32 v42, vcc, v11, s67, v11
	v_mul_f32_e32 v43, v42, v7
	v_fma_f32 v44, -v6, v43, v42
	v_fmac_f32_e32 v43, v44, v7
	v_fma_f32 v6, -v6, v43, v42
	v_div_fmas_f32 v6, v6, v7, v43
	v_div_fixup_f32 v42, v6, s67, v11
	v_max_f32_e64 v43, |v41|, |v42|
	v_cvt_f64_f32_e32 v[6:7], v43
	v_cmp_neq_f32_e32 vcc, s47, v43
	v_frexp_exp_i32_f64_e32 v6, v[6:7]
	v_sub_u32_e32 v7, 0, v6
	v_ldexp_f32 v41, |v41|, v7
	v_ldexp_f32 v7, |v42|, v7
	v_mul_f32_e32 v7, v7, v7
	v_fmac_f32_e32 v7, v41, v41
	v_sqrt_f32_e32 v7, v7
	v_ldexp_f32 v6, v7, v6
	v_cndmask_b32_e32 v6, v33, v6, vcc
	v_cmp_gt_f32_e32 vcc, s51, v6
	v_cndmask_b32_e64 v7, 0, 32, vcc
	v_ldexp_f32 v6, v6, v7
	v_log_f32_e32 v6, v6
	v_mul_f32_e32 v7, 0x3f317217, v6
	v_fma_f32 v7, v6, s52, -v7
	v_fmac_f32_e32 v7, 0x3377d1cf, v6
	v_fmac_f32_e32 v7, 0x3f317217, v6
	v_cmp_lt_f32_e64 s[10:11], |v6|, s47
	v_cndmask_b32_e64 v6, v6, v7, s[10:11]
	v_cndmask_b32_e32 v7, 0, v34, vcc
	v_sub_f32_e32 v6, v6, v7
	v_add_f32_e32 v7, 1.0, v6
	v_min_f32_e32 v6, v40, v9
	v_frexp_exp_i32_f32_e32 v9, v8
	v_frexp_mant_f32_e32 v8, v8
	v_rcp_f32_e32 v8, v8
	v_frexp_exp_i32_f32_e32 v40, v6
	v_frexp_mant_f32_e32 v6, v6
	v_mul_f32_e32 v6, v6, v8
	v_sub_u32_e32 v8, v40, v9
	v_ldexp_f32 v6, v6, v8
	v_mul_f32_e32 v8, v6, v6
	v_mov_b32_e32 v9, 0xbc7a590c
	v_fmac_f32_e32 v9, 0x3b2d2a58, v8
	v_fma_f32 v9, v8, v9, v27
	v_fma_f32 v9, v8, v9, v28
	;; [unrolled: 1-line block ×6, first 2 shown]
	v_mul_f32_e32 v8, v8, v9
	v_fmac_f32_e32 v6, v6, v8
.LBB49_500:                             ;   in Loop: Header=BB49_418 Depth=1
	s_or_b64 exec, exec, s[30:31]
	v_sub_f32_e32 v8, 0x3fc90fdb, v6
	v_cndmask_b32_e64 v6, v6, v8, s[8:9]
	v_sub_f32_e32 v8, 0x40490fdb, v6
	v_cmp_gt_f32_e32 vcc, 0, v10
	v_cndmask_b32_e32 v6, v6, v8, vcc
	v_cndmask_b32_e64 v8, 0, v38, s[6:7]
	v_cndmask_b32_e32 v9, v37, v39, vcc
	v_cmp_class_f32_e64 s[6:7], v10, s63
	v_cmp_class_f32_e64 s[8:9], v11, s63
	v_cmp_eq_f32_e32 vcc, 0, v11
	v_cndmask_b32_e64 v6, |v6|, v8, vcc
	s_and_b64 vcc, s[6:7], s[8:9]
	v_add_f32_e32 v7, 0x3f317218, v7
	v_cndmask_b32_e32 v6, v6, v9, vcc
	v_cndmask_b32_e64 v7, -v7, v7, s[4:5]
.LBB49_501:                             ;   in Loop: Header=BB49_418 Depth=1
	s_or_b64 exec, exec, s[28:29]
.LBB49_502:                             ;   in Loop: Header=BB49_418 Depth=1
	s_andn2_saveexec_b64 s[4:5], s[26:27]
	s_cbranch_execz .LBB49_516
; %bb.503:                              ;   in Loop: Header=BB49_418 Depth=1
	v_cmp_neq_f32_e64 s[6:7], |v10|, s47
                                        ; implicit-def: $vgpr7
	s_and_saveexec_b64 s[8:9], s[6:7]
	s_xor_b64 s[6:7], exec, s[8:9]
	s_cbranch_execz .LBB49_513
; %bb.504:                              ;   in Loop: Header=BB49_418 Depth=1
	v_cmp_neq_f32_e64 s[8:9], |v11|, s47
	v_xor_b32_e32 v7, 0x80000000, v11
	s_and_saveexec_b64 s[10:11], s[8:9]
	s_xor_b64 s[8:9], exec, s[10:11]
	s_cbranch_execz .LBB49_510
; %bb.505:                              ;   in Loop: Header=BB49_418 Depth=1
	v_cmp_neq_f32_e32 vcc, 0, v10
                                        ; implicit-def: $vgpr7
	s_and_saveexec_b64 s[10:11], vcc
	s_xor_b64 s[10:11], exec, s[10:11]
; %bb.506:                              ;   in Loop: Header=BB49_418 Depth=1
	v_add_f32_e32 v6, 0, v11
	v_add_f32_e32 v7, v10, v6
; %bb.507:                              ;   in Loop: Header=BB49_418 Depth=1
	s_or_saveexec_b64 s[10:11], s[10:11]
	v_mov_b32_e32 v6, v7
	s_xor_b64 exec, exec, s[10:11]
	s_cbranch_execz .LBB49_509
; %bb.508:                              ;   in Loop: Header=BB49_418 Depth=1
	v_mov_b32_e32 v6, s14
	v_mov_b32_e32 v7, s15
	flat_load_dword v6, v[6:7] glc
	s_waitcnt vmcnt(0)
	v_add_f32_e32 v7, v11, v11
	s_waitcnt lgkmcnt(0)
	v_add_f32_e32 v6, 0x3fc90fdb, v6
.LBB49_509:                             ;   in Loop: Header=BB49_418 Depth=1
	s_or_b64 exec, exec, s[10:11]
.LBB49_510:                             ;   in Loop: Header=BB49_418 Depth=1
	s_andn2_saveexec_b64 s[8:9], s[8:9]
; %bb.511:                              ;   in Loop: Header=BB49_418 Depth=1
	v_add_f32_e32 v6, v10, v10
; %bb.512:                              ;   in Loop: Header=BB49_418 Depth=1
	s_or_b64 exec, exec, s[8:9]
.LBB49_513:                             ;   in Loop: Header=BB49_418 Depth=1
	s_andn2_saveexec_b64 s[6:7], s[6:7]
; %bb.514:                              ;   in Loop: Header=BB49_418 Depth=1
	v_add_f32_e32 v6, v11, v11
	v_mov_b32_e32 v7, 0xff800000
; %bb.515:                              ;   in Loop: Header=BB49_418 Depth=1
	s_or_b64 exec, exec, s[6:7]
.LBB49_516:                             ;   in Loop: Header=BB49_418 Depth=1
	s_or_b64 exec, exec, s[4:5]
	v_mov_b32_e32 v8, s14
	v_mov_b32_e32 v9, s15
	v_cmp_o_f32_e32 vcc, v12, v13
	flat_store_dword v[8:9], v19
	s_waitcnt vmcnt(0)
	s_and_saveexec_b64 s[4:5], vcc
	s_xor_b64 s[26:27], exec, s[4:5]
	s_cbranch_execz .LBB49_600
; %bb.517:                              ;   in Loop: Header=BB49_418 Depth=1
	v_max_f32_e64 v11, |v13|, |v13|
	v_max_f32_e64 v40, |v12|, |v12|
	v_max_f32_e32 v10, v40, v11
	v_cmp_gt_i32_e64 s[6:7], 0, v12
	v_cmp_lt_i32_e64 s[8:9], -1, v12
	v_cmp_gt_i32_e64 s[4:5], 0, v13
	v_cmp_nlt_f32_e32 vcc, s23, v10
	s_and_saveexec_b64 s[10:11], vcc
	s_xor_b64 s[28:29], exec, s[10:11]
	s_cbranch_execz .LBB49_589
; %bb.518:                              ;   in Loop: Header=BB49_418 Depth=1
	v_cmp_neq_f32_e32 vcc, 1.0, v12
	v_cmp_neq_f32_e64 s[10:11], 0, v13
	s_or_b64 s[10:11], vcc, s[10:11]
	v_xor_b32_e32 v9, 0x80000000, v13
	s_and_saveexec_b64 s[30:31], s[10:11]
	s_xor_b64 s[30:31], exec, s[30:31]
	s_cbranch_execz .LBB49_586
; %bb.519:                              ;   in Loop: Header=BB49_418 Depth=1
	v_mov_b32_e32 v8, s18
	v_mov_b32_e32 v9, s19
	flat_store_dword v[8:9], v20
	s_waitcnt vmcnt(0)
	flat_load_dword v8, v[8:9] glc
	s_waitcnt vmcnt(0)
	v_cmp_nlt_f32_e64 s[10:11], |v12|, s33
	v_cmp_nlt_f32_e64 s[34:35], |v13|, s33
	s_or_b64 s[10:11], s[10:11], s[34:35]
	s_waitcnt lgkmcnt(0)
	v_add_f32_e32 v10, 1.0, v8
	v_mov_b32_e32 v8, s20
	v_mov_b32_e32 v9, s21
	flat_store_dword v[8:9], v10
	s_waitcnt vmcnt(0)
	flat_load_dword v8, v[8:9] glc
	s_waitcnt vmcnt(0)
	v_xor_b32_e32 v9, 0x80000000, v13
	s_and_saveexec_b64 s[34:35], s[10:11]
	s_xor_b64 s[34:35], exec, s[34:35]
	s_cbranch_execz .LBB49_583
; %bb.520:                              ;   in Loop: Header=BB49_418 Depth=1
	v_add_f32_e64 v10, |v12|, 1.0
	s_waitcnt lgkmcnt(0)
	v_max_f32_e32 v8, v11, v10
	v_add_f32_e64 v9, |v12|, -1.0
	v_cvt_f64_f32_e32 v[40:41], v8
	v_max_f32_e64 v11, v11, |v9|
	v_cvt_f64_f32_e32 v[42:43], v11
	v_cmp_neq_f32_e32 vcc, s47, v8
	v_frexp_exp_i32_f64_e32 v40, v[40:41]
	v_frexp_exp_i32_f64_e32 v41, v[42:43]
	v_sub_u32_e32 v42, 0, v40
	v_ldexp_f32 v44, |v13|, v42
	v_sub_u32_e32 v43, 0, v41
	v_ldexp_f32 v42, v10, v42
	v_ldexp_f32 v45, |v13|, v43
	v_ldexp_f32 v43, |v9|, v43
	v_mul_f32_e32 v42, v42, v42
	v_mul_f32_e32 v43, v43, v43
	v_fmac_f32_e32 v42, v44, v44
	v_fmac_f32_e32 v43, v45, v45
	v_sqrt_f32_e32 v42, v42
	v_sqrt_f32_e32 v43, v43
	v_ldexp_f32 v40, v42, v40
	v_ldexp_f32 v41, v43, v41
	v_cndmask_b32_e32 v42, v33, v40, vcc
	v_cmp_neq_f32_e32 vcc, s47, v11
	v_cndmask_b32_e32 v11, v33, v41, vcc
	v_add_f32_e32 v8, v42, v11
	v_mul_f32_e32 v8, 0.5, v8
	v_cmp_ngt_f32_e32 vcc, 1.0, v8
	v_cndmask_b32_e32 v8, 1.0, v8, vcc
	v_cmp_ngt_f32_e32 vcc, s48, v8
                                        ; implicit-def: $vgpr40
	s_and_saveexec_b64 s[10:11], vcc
	s_xor_b64 s[36:37], exec, s[10:11]
	s_cbranch_execz .LBB49_522
; %bb.521:                              ;   in Loop: Header=BB49_418 Depth=1
	v_fma_f32 v40, v8, v8, -1.0
	v_mul_f32_e32 v41, 0x4f800000, v40
	v_cmp_gt_f32_e32 vcc, s49, v40
	v_cndmask_b32_e32 v40, v40, v41, vcc
	v_sqrt_f32_e32 v41, v40
	v_add_u32_e32 v43, -1, v41
	v_fma_f32 v45, -v43, v41, v40
	v_add_u32_e32 v44, 1, v41
	v_cmp_ge_f32_e64 s[10:11], 0, v45
	v_cndmask_b32_e64 v43, v41, v43, s[10:11]
	v_fma_f32 v41, -v44, v41, v40
	v_cmp_lt_f32_e64 s[10:11], 0, v41
	v_cndmask_b32_e64 v41, v43, v44, s[10:11]
	v_mul_f32_e32 v43, 0x37800000, v41
	v_cndmask_b32_e32 v41, v41, v43, vcc
	v_cmp_class_f32_e32 vcc, v40, v21
	v_cndmask_b32_e32 v40, v41, v40, vcc
	v_add_f32_e32 v40, v8, v40
	v_cmp_gt_f32_e32 vcc, s51, v40
	v_cndmask_b32_e64 v41, 0, 32, vcc
	v_ldexp_f32 v40, v40, v41
	v_log_f32_e32 v40, v40
	v_mul_f32_e32 v41, 0x3f317217, v40
	v_fma_f32 v41, v40, s52, -v41
	v_fmac_f32_e32 v41, 0x3377d1cf, v40
	v_fmac_f32_e32 v41, 0x3f317217, v40
	v_cmp_lt_f32_e64 s[10:11], |v40|, s47
	v_cndmask_b32_e64 v40, v40, v41, s[10:11]
	v_cndmask_b32_e32 v41, 0, v34, vcc
	v_sub_f32_e32 v40, v40, v41
.LBB49_522:                             ;   in Loop: Header=BB49_418 Depth=1
	s_or_saveexec_b64 s[36:37], s[36:37]
	v_and_b32_e32 v41, 0x7fffffff, v13
	s_xor_b64 exec, exec, s[36:37]
	s_cbranch_execz .LBB49_544
; %bb.523:                              ;   in Loop: Header=BB49_418 Depth=1
	v_cmp_neq_f32_e64 s[10:11], |v12|, 1.0
	v_cmp_nlt_f32_e64 s[38:39], |v13|, s53
	s_or_b64 s[10:11], s[10:11], s[38:39]
                                        ; implicit-def: $vgpr40
	s_and_saveexec_b64 s[38:39], s[10:11]
	s_xor_b64 s[38:39], exec, s[38:39]
	s_cbranch_execz .LBB49_541
; %bb.524:                              ;   in Loop: Header=BB49_418 Depth=1
	v_mul_f32_e64 v40, |v9|, s54
	v_cmp_ge_f32_e64 s[10:11], |v13|, v40
                                        ; implicit-def: $vgpr40
	s_and_saveexec_b64 s[40:41], s[10:11]
	s_xor_b64 s[40:41], exec, s[40:41]
	s_cbranch_execz .LBB49_534
; %bb.525:                              ;   in Loop: Header=BB49_418 Depth=1
	v_cmp_neq_f32_e32 vcc, 0, v10
	v_mov_b32_e32 v40, v41
	s_and_saveexec_b64 s[10:11], vcc
	s_cbranch_execz .LBB49_527
; %bb.526:                              ;   in Loop: Header=BB49_418 Depth=1
	v_mul_f32_e32 v40, v13, v13
	v_add_f32_e32 v43, v10, v42
	v_div_scale_f32 v44, s[42:43], v43, v43, v40
	v_div_scale_f32 v45, vcc, v40, v43, v40
	v_rcp_f32_e32 v46, v44
	v_fma_f32 v47, -v44, v46, 1.0
	v_fmac_f32_e32 v46, v47, v46
	v_mul_f32_e32 v47, v45, v46
	v_fma_f32 v48, -v44, v47, v45
	v_fmac_f32_e32 v47, v48, v46
	v_fma_f32 v44, -v44, v47, v45
	v_div_fmas_f32 v44, v44, v46, v47
	v_div_fixup_f32 v40, v44, v43, v40
.LBB49_527:                             ;   in Loop: Header=BB49_418 Depth=1
	s_or_b64 exec, exec, s[10:11]
	v_sub_f32_e64 v44, 1.0, |v12|
	v_cmp_ngt_f32_e32 vcc, 0, v44
                                        ; implicit-def: $vgpr43
	s_and_saveexec_b64 s[10:11], vcc
	s_xor_b64 s[10:11], exec, s[10:11]
	s_cbranch_execz .LBB49_531
; %bb.528:                              ;   in Loop: Header=BB49_418 Depth=1
	v_cmp_neq_f32_e32 vcc, 0, v44
	v_mov_b32_e32 v43, v41
	s_and_saveexec_b64 s[42:43], vcc
	s_cbranch_execz .LBB49_530
; %bb.529:                              ;   in Loop: Header=BB49_418 Depth=1
	v_mul_f32_e32 v43, v13, v13
	v_add_f32_e32 v44, v44, v11
	v_div_scale_f32 v45, s[44:45], v44, v44, v43
	v_div_scale_f32 v46, vcc, v43, v44, v43
	v_rcp_f32_e32 v47, v45
	v_fma_f32 v48, -v45, v47, 1.0
	v_fmac_f32_e32 v47, v48, v47
	v_mul_f32_e32 v48, v46, v47
	v_fma_f32 v49, -v45, v48, v46
	v_fmac_f32_e32 v48, v49, v47
	v_fma_f32 v45, -v45, v48, v46
	v_div_fmas_f32 v45, v45, v47, v48
	v_div_fixup_f32 v43, v45, v44, v43
.LBB49_530:                             ;   in Loop: Header=BB49_418 Depth=1
	s_or_b64 exec, exec, s[42:43]
                                        ; implicit-def: $vgpr44
.LBB49_531:                             ;   in Loop: Header=BB49_418 Depth=1
	s_andn2_saveexec_b64 s[10:11], s[10:11]
; %bb.532:                              ;   in Loop: Header=BB49_418 Depth=1
	v_sub_f32_e32 v43, v11, v44
; %bb.533:                              ;   in Loop: Header=BB49_418 Depth=1
	s_or_b64 exec, exec, s[10:11]
	v_mul_f32_e32 v43, 0.5, v43
	v_fmac_f32_e32 v43, 0.5, v40
	v_add_f32_e32 v40, 1.0, v8
	v_mul_f32_e32 v40, v40, v43
	v_mul_f32_e32 v44, 0x4f800000, v40
	v_cmp_gt_f32_e32 vcc, s49, v40
	v_cndmask_b32_e32 v40, v40, v44, vcc
	v_sqrt_f32_e32 v44, v40
	v_add_u32_e32 v45, -1, v44
	v_fma_f32 v46, -v45, v44, v40
	v_cmp_ge_f32_e64 s[10:11], 0, v46
	v_add_u32_e32 v46, 1, v44
	v_cndmask_b32_e64 v45, v44, v45, s[10:11]
	v_fma_f32 v44, -v46, v44, v40
	v_cmp_lt_f32_e64 s[10:11], 0, v44
	v_cndmask_b32_e64 v44, v45, v46, s[10:11]
	v_mul_f32_e32 v45, 0x37800000, v44
	v_cndmask_b32_e32 v44, v44, v45, vcc
	v_cmp_class_f32_e32 vcc, v40, v21
	v_cndmask_b32_e32 v40, v44, v40, vcc
	v_add_f32_e32 v40, v43, v40
	v_add_f32_e32 v45, 1.0, v40
	v_cvt_f64_f32_e32 v[43:44], v45
	v_add_f32_e32 v46, -1.0, v45
	v_frexp_exp_i32_f64_e32 v43, v[43:44]
	v_sub_f32_e32 v44, v46, v45
	v_add_f32_e32 v44, 1.0, v44
	v_sub_f32_e32 v46, v40, v46
	v_add_f32_e32 v44, v46, v44
	v_frexp_mant_f32_e32 v46, v45
	v_cmp_gt_f32_e32 vcc, s55, v46
	v_subbrev_co_u32_e32 v43, vcc, 0, v43, vcc
	v_sub_u32_e32 v46, 0, v43
	v_ldexp_f32 v45, v45, v46
	v_ldexp_f32 v44, v44, v46
	v_add_f32_e32 v46, -1.0, v45
	v_add_f32_e32 v49, 1.0, v45
	v_add_f32_e32 v47, 1.0, v46
	v_add_f32_e32 v50, -1.0, v49
	v_sub_f32_e32 v47, v45, v47
	v_sub_f32_e32 v45, v45, v50
	v_add_f32_e32 v47, v44, v47
	v_add_f32_e32 v44, v44, v45
	;; [unrolled: 1-line block ×3, first 2 shown]
	v_rcp_f32_e32 v50, v45
	v_add_f32_e32 v48, v46, v47
	v_sub_f32_e32 v46, v48, v46
	v_sub_f32_e32 v46, v47, v46
	;; [unrolled: 1-line block ×4, first 2 shown]
	v_mul_f32_e32 v47, v48, v50
	v_mul_f32_e32 v49, v45, v47
	v_fma_f32 v51, v47, v45, -v49
	v_fmac_f32_e32 v51, v47, v44
	v_add_f32_e32 v52, v49, v51
	v_sub_f32_e32 v53, v48, v52
	v_sub_f32_e32 v48, v48, v53
	;; [unrolled: 1-line block ×4, first 2 shown]
	v_add_f32_e32 v46, v46, v48
	v_sub_f32_e32 v48, v49, v51
	v_add_f32_e32 v46, v48, v46
	v_add_f32_e32 v48, v53, v46
	v_mul_f32_e32 v49, v50, v48
	v_mul_f32_e32 v51, v45, v49
	v_fma_f32 v45, v49, v45, -v51
	v_fmac_f32_e32 v45, v49, v44
	v_sub_f32_e32 v44, v53, v48
	v_add_f32_e32 v44, v46, v44
	v_add_f32_e32 v46, v51, v45
	v_sub_f32_e32 v52, v48, v46
	v_sub_f32_e32 v48, v48, v52
	;; [unrolled: 1-line block ×4, first 2 shown]
	v_add_f32_e32 v44, v44, v46
	v_sub_f32_e32 v45, v51, v45
	v_cvt_f32_i32_e32 v43, v43
	v_add_f32_e32 v44, v45, v44
	v_add_f32_e32 v45, v47, v49
	;; [unrolled: 1-line block ×3, first 2 shown]
	v_sub_f32_e32 v46, v45, v47
	v_mul_f32_e32 v44, v50, v44
	v_sub_f32_e32 v46, v49, v46
	v_add_f32_e32 v44, v46, v44
	v_mul_f32_e32 v49, 0x3f317218, v43
	v_add_f32_e32 v46, v45, v44
	v_fma_f32 v50, v43, s56, -v49
	v_mul_f32_e32 v47, v46, v46
	v_mov_b32_e32 v48, 0x3ecc95a3
	v_fmac_f32_e32 v50, 0xb102e308, v43
	v_sub_f32_e32 v43, v46, v45
	v_fmac_f32_e32 v48, 0x3e9b6dac, v47
	v_sub_f32_e32 v43, v44, v43
	v_add_f32_e32 v44, v49, v50
	v_fma_f32 v48, v47, v48, v22
	v_sub_f32_e32 v45, v44, v49
	v_ldexp_f32 v49, v46, 1
	v_mul_f32_e32 v46, v46, v47
	v_mul_f32_e32 v46, v46, v48
	v_add_f32_e32 v47, v49, v46
	v_sub_f32_e32 v48, v47, v49
	v_ldexp_f32 v43, v43, 1
	v_sub_f32_e32 v46, v46, v48
	v_add_f32_e32 v43, v43, v46
	v_add_f32_e32 v46, v47, v43
	v_sub_f32_e32 v47, v46, v47
	v_sub_f32_e32 v43, v43, v47
	v_add_f32_e32 v47, v44, v46
	v_sub_f32_e32 v48, v47, v44
	v_sub_f32_e32 v49, v47, v48
	v_sub_f32_e32 v45, v50, v45
	v_sub_f32_e32 v44, v44, v49
	v_sub_f32_e32 v46, v46, v48
	v_add_f32_e32 v44, v46, v44
	v_add_f32_e32 v46, v45, v43
	v_sub_f32_e32 v48, v46, v45
	v_sub_f32_e32 v49, v46, v48
	;; [unrolled: 1-line block ×4, first 2 shown]
	v_add_f32_e32 v44, v46, v44
	v_add_f32_e32 v43, v43, v45
	;; [unrolled: 1-line block ×3, first 2 shown]
	v_sub_f32_e32 v46, v45, v47
	v_sub_f32_e32 v44, v44, v46
	v_add_f32_e32 v43, v43, v44
	v_add_f32_e32 v43, v45, v43
	v_cmp_neq_f32_e32 vcc, s47, v40
	v_cndmask_b32_e32 v43, v33, v43, vcc
	v_cmp_ngt_f32_e32 vcc, -1.0, v40
	v_cndmask_b32_e32 v43, v35, v43, vcc
	v_cmp_neq_f32_e32 vcc, -1.0, v40
	v_cndmask_b32_e32 v43, v36, v43, vcc
	v_cmp_lt_f32_e64 vcc, |v40|, s57
	v_cndmask_b32_e32 v40, v43, v40, vcc
.LBB49_534:                             ;   in Loop: Header=BB49_418 Depth=1
	s_andn2_saveexec_b64 s[40:41], s[40:41]
	s_cbranch_execz .LBB49_540
; %bb.535:                              ;   in Loop: Header=BB49_418 Depth=1
	v_cmp_nlt_f32_e64 s[10:11], |v12|, 1.0
                                        ; implicit-def: $vgpr40
	s_and_saveexec_b64 s[42:43], s[10:11]
	s_xor_b64 s[42:43], exec, s[42:43]
	s_cbranch_execz .LBB49_537
; %bb.536:                              ;   in Loop: Header=BB49_418 Depth=1
	v_mul_f32_e32 v40, v9, v10
	v_mul_f32_e32 v43, 0x4f800000, v40
	v_cmp_gt_f32_e32 vcc, s49, v40
	v_cndmask_b32_e32 v40, v40, v43, vcc
	v_sqrt_f32_e32 v43, v40
	v_add_u32_e32 v44, -1, v43
	v_fma_f32 v46, -v44, v43, v40
	v_add_u32_e32 v45, 1, v43
	v_cmp_ge_f32_e64 s[10:11], 0, v46
	v_cndmask_b32_e64 v44, v43, v44, s[10:11]
	v_fma_f32 v43, -v45, v43, v40
	v_cmp_lt_f32_e64 s[10:11], 0, v43
	v_cndmask_b32_e64 v43, v44, v45, s[10:11]
	v_mul_f32_e32 v44, 0x37800000, v43
	v_cndmask_b32_e32 v43, v43, v44, vcc
	v_cmp_class_f32_e32 vcc, v40, v21
	v_cndmask_b32_e32 v40, v43, v40, vcc
	v_add_f32_e32 v40, v9, v40
	v_add_f32_e32 v45, 1.0, v40
	v_cvt_f64_f32_e32 v[43:44], v45
	v_add_f32_e32 v46, -1.0, v45
	v_frexp_exp_i32_f64_e32 v43, v[43:44]
	v_sub_f32_e32 v44, v46, v45
	v_add_f32_e32 v44, 1.0, v44
	v_sub_f32_e32 v46, v40, v46
	v_add_f32_e32 v44, v46, v44
	v_frexp_mant_f32_e32 v46, v45
	v_cmp_gt_f32_e32 vcc, s55, v46
	v_subbrev_co_u32_e32 v43, vcc, 0, v43, vcc
	v_sub_u32_e32 v46, 0, v43
	v_ldexp_f32 v45, v45, v46
	v_ldexp_f32 v44, v44, v46
	v_add_f32_e32 v46, -1.0, v45
	v_add_f32_e32 v49, 1.0, v45
	v_add_f32_e32 v47, 1.0, v46
	v_add_f32_e32 v50, -1.0, v49
	v_sub_f32_e32 v47, v45, v47
	v_sub_f32_e32 v45, v45, v50
	v_add_f32_e32 v47, v44, v47
	v_add_f32_e32 v44, v44, v45
	;; [unrolled: 1-line block ×3, first 2 shown]
	v_rcp_f32_e32 v50, v45
	v_add_f32_e32 v48, v46, v47
	v_sub_f32_e32 v46, v48, v46
	v_sub_f32_e32 v46, v47, v46
	v_sub_f32_e32 v47, v45, v49
	v_sub_f32_e32 v44, v44, v47
	v_mul_f32_e32 v47, v48, v50
	v_mul_f32_e32 v49, v45, v47
	v_fma_f32 v51, v47, v45, -v49
	v_fmac_f32_e32 v51, v47, v44
	v_add_f32_e32 v52, v49, v51
	v_sub_f32_e32 v53, v48, v52
	v_sub_f32_e32 v48, v48, v53
	;; [unrolled: 1-line block ×4, first 2 shown]
	v_add_f32_e32 v46, v46, v48
	v_sub_f32_e32 v48, v49, v51
	v_add_f32_e32 v46, v48, v46
	v_add_f32_e32 v48, v53, v46
	v_mul_f32_e32 v49, v50, v48
	v_mul_f32_e32 v51, v45, v49
	v_fma_f32 v45, v49, v45, -v51
	v_fmac_f32_e32 v45, v49, v44
	v_sub_f32_e32 v44, v53, v48
	v_add_f32_e32 v44, v46, v44
	v_add_f32_e32 v46, v51, v45
	v_sub_f32_e32 v52, v48, v46
	v_sub_f32_e32 v48, v48, v52
	;; [unrolled: 1-line block ×4, first 2 shown]
	v_add_f32_e32 v44, v44, v46
	v_sub_f32_e32 v45, v51, v45
	v_cvt_f32_i32_e32 v43, v43
	v_add_f32_e32 v44, v45, v44
	v_add_f32_e32 v45, v47, v49
	;; [unrolled: 1-line block ×3, first 2 shown]
	v_sub_f32_e32 v46, v45, v47
	v_mul_f32_e32 v44, v50, v44
	v_sub_f32_e32 v46, v49, v46
	v_add_f32_e32 v44, v46, v44
	v_mul_f32_e32 v49, 0x3f317218, v43
	v_add_f32_e32 v46, v45, v44
	v_fma_f32 v50, v43, s56, -v49
	v_mul_f32_e32 v47, v46, v46
	v_mov_b32_e32 v48, 0x3ecc95a3
	v_fmac_f32_e32 v50, 0xb102e308, v43
	v_sub_f32_e32 v43, v46, v45
	v_fmac_f32_e32 v48, 0x3e9b6dac, v47
	v_sub_f32_e32 v43, v44, v43
	v_add_f32_e32 v44, v49, v50
	v_fma_f32 v48, v47, v48, v22
	v_sub_f32_e32 v45, v44, v49
	v_ldexp_f32 v49, v46, 1
	v_mul_f32_e32 v46, v46, v47
	v_mul_f32_e32 v46, v46, v48
	v_add_f32_e32 v47, v49, v46
	v_sub_f32_e32 v48, v47, v49
	v_ldexp_f32 v43, v43, 1
	v_sub_f32_e32 v46, v46, v48
	v_add_f32_e32 v43, v43, v46
	v_add_f32_e32 v46, v47, v43
	v_sub_f32_e32 v47, v46, v47
	v_sub_f32_e32 v43, v43, v47
	v_add_f32_e32 v47, v44, v46
	v_sub_f32_e32 v48, v47, v44
	v_sub_f32_e32 v49, v47, v48
	;; [unrolled: 1-line block ×5, first 2 shown]
	v_add_f32_e32 v44, v46, v44
	v_add_f32_e32 v46, v45, v43
	v_sub_f32_e32 v48, v46, v45
	v_sub_f32_e32 v49, v46, v48
	;; [unrolled: 1-line block ×4, first 2 shown]
	v_add_f32_e32 v44, v46, v44
	v_add_f32_e32 v43, v43, v45
	;; [unrolled: 1-line block ×3, first 2 shown]
	v_sub_f32_e32 v46, v45, v47
	v_sub_f32_e32 v44, v44, v46
	v_add_f32_e32 v43, v43, v44
	v_add_f32_e32 v43, v45, v43
	v_cmp_neq_f32_e32 vcc, s47, v40
	v_cndmask_b32_e32 v43, v33, v43, vcc
	v_cmp_ngt_f32_e32 vcc, -1.0, v40
	v_cndmask_b32_e32 v43, v35, v43, vcc
	v_cmp_neq_f32_e32 vcc, -1.0, v40
	v_cndmask_b32_e32 v43, v36, v43, vcc
	v_cmp_lt_f32_e64 vcc, |v40|, s57
	v_cndmask_b32_e32 v40, v43, v40, vcc
.LBB49_537:                             ;   in Loop: Header=BB49_418 Depth=1
	s_andn2_saveexec_b64 s[42:43], s[42:43]
	s_cbranch_execz .LBB49_539
; %bb.538:                              ;   in Loop: Header=BB49_418 Depth=1
	v_sub_f32_e64 v40, 1.0, |v12|
	v_mul_f32_e32 v40, v40, v10
	v_mul_f32_e32 v43, 0x4f800000, v40
	v_cmp_gt_f32_e32 vcc, s49, v40
	v_cndmask_b32_e32 v40, v40, v43, vcc
	v_sqrt_f32_e32 v43, v40
	v_add_u32_e32 v44, -1, v43
	v_fma_f32 v46, -v44, v43, v40
	v_add_u32_e32 v45, 1, v43
	v_cmp_ge_f32_e64 s[10:11], 0, v46
	v_cndmask_b32_e64 v44, v43, v44, s[10:11]
	v_fma_f32 v43, -v45, v43, v40
	v_cmp_lt_f32_e64 s[10:11], 0, v43
	v_cndmask_b32_e64 v43, v44, v45, s[10:11]
	v_mul_f32_e32 v44, 0x37800000, v43
	v_cndmask_b32_e32 v43, v43, v44, vcc
	v_cmp_class_f32_e32 vcc, v40, v21
	v_cndmask_b32_e32 v40, v43, v40, vcc
	v_and_b32_e32 v43, 0x7fffffff, v13
	v_div_scale_f32 v44, s[10:11], v40, v40, v43
	v_div_scale_f32 v43, vcc, v43, v40, v43
	v_rcp_f32_e32 v45, v44
	v_fma_f32 v46, -v44, v45, 1.0
	v_fmac_f32_e32 v45, v46, v45
	v_mul_f32_e32 v46, v43, v45
	v_fma_f32 v47, -v44, v46, v43
	v_fmac_f32_e32 v46, v47, v45
	v_fma_f32 v43, -v44, v46, v43
	v_div_fmas_f32 v43, v43, v45, v46
	v_div_fixup_f32 v40, v43, v40, |v13|
.LBB49_539:                             ;   in Loop: Header=BB49_418 Depth=1
	s_or_b64 exec, exec, s[42:43]
.LBB49_540:                             ;   in Loop: Header=BB49_418 Depth=1
	s_or_b64 exec, exec, s[40:41]
.LBB49_541:                             ;   in Loop: Header=BB49_418 Depth=1
	s_andn2_saveexec_b64 s[38:39], s[38:39]
	s_cbranch_execz .LBB49_543
; %bb.542:                              ;   in Loop: Header=BB49_418 Depth=1
	v_mul_f32_e64 v40, |v13|, s50
	v_cmp_lt_f32_e64 vcc, |v13|, s49
	v_cndmask_b32_e64 v40, |v13|, v40, vcc
	v_sqrt_f32_e32 v43, v40
	v_add_u32_e32 v44, -1, v43
	v_fma_f32 v46, -v44, v43, v40
	v_add_u32_e32 v45, 1, v43
	v_cmp_ge_f32_e64 s[10:11], 0, v46
	v_cndmask_b32_e64 v44, v43, v44, s[10:11]
	v_fma_f32 v43, -v45, v43, v40
	v_cmp_lt_f32_e64 s[10:11], 0, v43
	v_cndmask_b32_e64 v43, v44, v45, s[10:11]
	v_mul_f32_e32 v44, 0x37800000, v43
	v_cndmask_b32_e32 v43, v43, v44, vcc
	v_cmp_class_f32_e32 vcc, v40, v21
	v_cndmask_b32_e32 v40, v43, v40, vcc
.LBB49_543:                             ;   in Loop: Header=BB49_418 Depth=1
	s_or_b64 exec, exec, s[38:39]
.LBB49_544:                             ;   in Loop: Header=BB49_418 Depth=1
	s_or_b64 exec, exec, s[36:37]
	v_cmp_nlt_f32_e64 s[36:37], |v12|, s58
                                        ; implicit-def: $sgpr10_sgpr11
                                        ; implicit-def: $vgpr43
                                        ; implicit-def: $vgpr45
                                        ; implicit-def: $vgpr44
	s_and_saveexec_b64 s[38:39], s[36:37]
	s_xor_b64 s[36:37], exec, s[38:39]
	s_cbranch_execz .LBB49_568
; %bb.545:                              ;   in Loop: Header=BB49_418 Depth=1
	v_and_b32_e32 v44, 0x7fffffff, v12
	v_div_scale_f32 v43, s[10:11], v8, v8, v44
	v_div_scale_f32 v45, vcc, v44, v8, v44
	s_mov_b64 s[10:11], 0
	v_rcp_f32_e32 v46, v43
	v_fma_f32 v47, -v43, v46, 1.0
	v_fmac_f32_e32 v46, v47, v46
	v_mul_f32_e32 v47, v45, v46
	v_fma_f32 v48, -v43, v47, v45
	v_fmac_f32_e32 v47, v48, v46
	v_fma_f32 v43, -v43, v47, v45
	v_div_fmas_f32 v43, v43, v46, v47
                                        ; implicit-def: $vgpr45
	v_div_fixup_f32 v43, v43, v8, |v12|
	v_cmp_lt_f32_e32 vcc, s59, v43
	s_and_saveexec_b64 s[38:39], vcc
	s_cbranch_execz .LBB49_567
; %bb.546:                              ;   in Loop: Header=BB49_418 Depth=1
	v_cmp_neq_f32_e64 s[10:11], |v12|, 1.0
	v_cmp_nlt_f32_e64 s[40:41], |v13|, s60
	s_or_b64 s[10:11], s[10:11], s[40:41]
                                        ; implicit-def: $vgpr45
	s_and_saveexec_b64 s[40:41], s[10:11]
	s_xor_b64 s[40:41], exec, s[40:41]
	s_cbranch_execz .LBB49_564
; %bb.547:                              ;   in Loop: Header=BB49_418 Depth=1
	v_mul_f32_e64 v45, |v9|, s54
	v_cmp_ge_f32_e64 s[10:11], |v13|, v45
                                        ; implicit-def: $vgpr45
	s_and_saveexec_b64 s[42:43], s[10:11]
	s_xor_b64 s[42:43], exec, s[42:43]
	s_cbranch_execz .LBB49_557
; %bb.548:                              ;   in Loop: Header=BB49_418 Depth=1
	v_cmp_neq_f32_e32 vcc, 0, v10
	v_mov_b32_e32 v45, v41
	s_and_saveexec_b64 s[10:11], vcc
	s_cbranch_execz .LBB49_550
; %bb.549:                              ;   in Loop: Header=BB49_418 Depth=1
	v_mul_f32_e32 v45, v13, v13
	v_add_f32_e32 v10, v10, v42
	v_div_scale_f32 v42, s[44:45], v10, v10, v45
	v_div_scale_f32 v46, vcc, v45, v10, v45
	v_rcp_f32_e32 v47, v42
	v_fma_f32 v48, -v42, v47, 1.0
	v_fmac_f32_e32 v47, v48, v47
	v_mul_f32_e32 v48, v46, v47
	v_fma_f32 v49, -v42, v48, v46
	v_fmac_f32_e32 v48, v49, v47
	v_fma_f32 v42, -v42, v48, v46
	v_div_fmas_f32 v42, v42, v47, v48
	v_div_fixup_f32 v45, v42, v10, v45
.LBB49_550:                             ;   in Loop: Header=BB49_418 Depth=1
	s_or_b64 exec, exec, s[10:11]
	v_cmp_ngt_f32_e32 vcc, 0, v9
	s_and_saveexec_b64 s[10:11], vcc
	s_xor_b64 s[10:11], exec, s[10:11]
	s_cbranch_execz .LBB49_554
; %bb.551:                              ;   in Loop: Header=BB49_418 Depth=1
	v_cmp_neq_f32_e32 vcc, 0, v9
	s_and_saveexec_b64 s[44:45], vcc
	s_cbranch_execz .LBB49_553
; %bb.552:                              ;   in Loop: Header=BB49_418 Depth=1
	v_mul_f32_e32 v10, v13, v13
	v_add_f32_e32 v9, v9, v11
	v_div_scale_f32 v11, s[68:69], v9, v9, v10
	v_div_scale_f32 v13, vcc, v10, v9, v10
	v_rcp_f32_e32 v41, v11
	v_fma_f32 v42, -v11, v41, 1.0
	v_fmac_f32_e32 v41, v42, v41
	v_mul_f32_e32 v42, v13, v41
	v_fma_f32 v46, -v11, v42, v13
	v_fmac_f32_e32 v42, v46, v41
	v_fma_f32 v11, -v11, v42, v13
	v_div_fmas_f32 v11, v11, v41, v42
	v_div_fixup_f32 v41, v11, v9, v10
.LBB49_553:                             ;   in Loop: Header=BB49_418 Depth=1
	s_or_b64 exec, exec, s[44:45]
                                        ; implicit-def: $vgpr11
                                        ; implicit-def: $vgpr9
.LBB49_554:                             ;   in Loop: Header=BB49_418 Depth=1
	s_andn2_saveexec_b64 s[10:11], s[10:11]
; %bb.555:                              ;   in Loop: Header=BB49_418 Depth=1
	v_sub_f32_e32 v41, v11, v9
; %bb.556:                              ;   in Loop: Header=BB49_418 Depth=1
	s_or_b64 exec, exec, s[10:11]
	v_mul_f32_e32 v9, 0.5, v41
	v_fmac_f32_e32 v9, 0.5, v45
	v_add_f32_e64 v8, |v12|, v8
	v_mul_f32_e32 v8, v8, v9
	v_mul_f32_e32 v9, 0x4f800000, v8
	v_cmp_gt_f32_e32 vcc, s49, v8
	v_cndmask_b32_e32 v8, v8, v9, vcc
	v_sqrt_f32_e32 v9, v8
	v_add_u32_e32 v10, -1, v9
	v_fma_f32 v11, -v10, v9, v8
	v_cmp_ge_f32_e64 s[10:11], 0, v11
	v_add_u32_e32 v11, 1, v9
	v_cndmask_b32_e64 v10, v9, v10, s[10:11]
	v_fma_f32 v9, -v11, v9, v8
	v_cmp_lt_f32_e64 s[10:11], 0, v9
	v_cndmask_b32_e64 v9, v10, v11, s[10:11]
	v_mul_f32_e32 v10, 0x37800000, v9
	v_cndmask_b32_e32 v9, v9, v10, vcc
	v_cmp_class_f32_e32 vcc, v8, v21
	v_cndmask_b32_e32 v45, v9, v8, vcc
                                        ; implicit-def: $vgpr10_vgpr11_vgpr12_vgpr13
                                        ; implicit-def: $vgpr10
                                        ; implicit-def: $vgpr9
.LBB49_557:                             ;   in Loop: Header=BB49_418 Depth=1
	s_andn2_saveexec_b64 s[42:43], s[42:43]
	s_cbranch_execz .LBB49_563
; %bb.558:                              ;   in Loop: Header=BB49_418 Depth=1
	v_cmp_ngt_f32_e64 s[10:11], |v12|, 1.0
                                        ; implicit-def: $vgpr45
	s_and_saveexec_b64 s[44:45], s[10:11]
	s_xor_b64 s[44:45], exec, s[44:45]
	s_cbranch_execz .LBB49_560
; %bb.559:                              ;   in Loop: Header=BB49_418 Depth=1
	v_sub_f32_e64 v8, 1.0, |v12|
	v_mul_f32_e32 v8, v8, v10
	v_mul_f32_e32 v9, 0x4f800000, v8
	v_cmp_gt_f32_e32 vcc, s49, v8
	v_cndmask_b32_e32 v8, v8, v9, vcc
	v_sqrt_f32_e32 v9, v8
	v_add_u32_e32 v10, -1, v9
	v_fma_f32 v12, -v10, v9, v8
	v_add_u32_e32 v11, 1, v9
	v_cmp_ge_f32_e64 s[10:11], 0, v12
	v_cndmask_b32_e64 v10, v9, v10, s[10:11]
	v_fma_f32 v9, -v11, v9, v8
	v_cmp_lt_f32_e64 s[10:11], 0, v9
	v_cndmask_b32_e64 v9, v10, v11, s[10:11]
	v_mul_f32_e32 v10, 0x37800000, v9
	v_cndmask_b32_e32 v9, v9, v10, vcc
	v_cmp_class_f32_e32 vcc, v8, v21
	v_cndmask_b32_e32 v45, v9, v8, vcc
                                        ; implicit-def: $vgpr10_vgpr11_vgpr12_vgpr13
                                        ; implicit-def: $vgpr10
                                        ; implicit-def: $vgpr9
.LBB49_560:                             ;   in Loop: Header=BB49_418 Depth=1
	s_andn2_saveexec_b64 s[44:45], s[44:45]
	s_cbranch_execz .LBB49_562
; %bb.561:                              ;   in Loop: Header=BB49_418 Depth=1
	v_mul_f32_e32 v8, v10, v9
	v_mul_f32_e32 v9, 0x4f800000, v8
	v_cmp_gt_f32_e32 vcc, s49, v8
	v_cndmask_b32_e32 v8, v8, v9, vcc
	v_sqrt_f32_e32 v9, v8
	v_mul_f32_e64 v10, |v13|, s61
	v_mul_f32_e64 v10, |v12|, v10
	;; [unrolled: 1-line block ×3, first 2 shown]
	v_add_u32_e32 v11, -1, v9
	v_fma_f32 v13, -v11, v9, v8
	v_cmp_ge_f32_e64 s[10:11], 0, v13
	v_add_u32_e32 v13, 1, v9
	v_cndmask_b32_e64 v11, v9, v11, s[10:11]
	v_fma_f32 v9, -v13, v9, v8
	v_cmp_lt_f32_e64 s[10:11], 0, v9
	v_cndmask_b32_e64 v9, v11, v13, s[10:11]
	v_mul_f32_e32 v11, 0x37800000, v9
	v_cndmask_b32_e32 v9, v9, v11, vcc
	v_cmp_class_f32_e32 vcc, v8, v21
	v_cndmask_b32_e32 v8, v9, v8, vcc
	v_div_scale_f32 v9, s[10:11], v8, v8, v10
	v_div_scale_f32 v11, vcc, v10, v8, v10
	v_rcp_f32_e32 v13, v9
	v_fma_f32 v41, -v9, v13, 1.0
	v_fmac_f32_e32 v13, v41, v13
	v_mul_f32_e32 v41, v11, v13
	v_fma_f32 v42, -v9, v41, v11
	v_fmac_f32_e32 v41, v42, v13
	v_fma_f32 v9, -v9, v41, v11
	v_div_fmas_f32 v9, v9, v13, v41
	v_div_fixup_f32 v45, v9, v8, v10
.LBB49_562:                             ;   in Loop: Header=BB49_418 Depth=1
	s_or_b64 exec, exec, s[44:45]
.LBB49_563:                             ;   in Loop: Header=BB49_418 Depth=1
	s_or_b64 exec, exec, s[42:43]
                                        ; implicit-def: $vgpr10_vgpr11_vgpr12_vgpr13
                                        ; implicit-def: $vgpr8
.LBB49_564:                             ;   in Loop: Header=BB49_418 Depth=1
	s_andn2_saveexec_b64 s[40:41], s[40:41]
	s_cbranch_execz .LBB49_566
; %bb.565:                              ;   in Loop: Header=BB49_418 Depth=1
	v_mul_f32_e64 v9, |v13|, s50
	v_cmp_lt_f32_e64 vcc, |v13|, s49
	v_cndmask_b32_e64 v9, |v13|, v9, vcc
	v_sqrt_f32_e32 v10, v9
	v_add_f32_e32 v8, 1.0, v8
	v_mul_f32_e32 v8, 0.5, v8
	v_mov_b32_e32 v44, 1.0
	v_add_u32_e32 v11, -1, v10
	v_fma_f32 v13, -v11, v10, v9
	v_add_u32_e32 v12, 1, v10
	v_cmp_ge_f32_e64 s[10:11], 0, v13
	v_cndmask_b32_e64 v11, v10, v11, s[10:11]
	v_fma_f32 v10, -v12, v10, v9
	v_cmp_lt_f32_e64 s[10:11], 0, v10
	v_cndmask_b32_e64 v10, v11, v12, s[10:11]
	v_mul_f32_e32 v11, 0x37800000, v10
	v_cndmask_b32_e32 v10, v10, v11, vcc
	v_mul_f32_e32 v11, 0x4f800000, v8
	v_cmp_gt_f32_e32 vcc, s49, v8
	v_cndmask_b32_e32 v8, v8, v11, vcc
	v_sqrt_f32_e32 v11, v8
	v_cmp_class_f32_e64 s[10:11], v9, v21
	v_cndmask_b32_e64 v9, v10, v9, s[10:11]
	v_add_u32_e32 v10, -1, v11
	v_fma_f32 v12, -v10, v11, v8
	v_cmp_ge_f32_e64 s[10:11], 0, v12
	v_add_u32_e32 v12, 1, v11
	v_cndmask_b32_e64 v10, v11, v10, s[10:11]
	v_fma_f32 v11, -v12, v11, v8
	v_cmp_lt_f32_e64 s[10:11], 0, v11
	v_cndmask_b32_e64 v10, v10, v12, s[10:11]
	v_mul_f32_e32 v11, 0x37800000, v10
	v_cndmask_b32_e32 v10, v10, v11, vcc
	v_cmp_class_f32_e32 vcc, v8, v21
	v_cndmask_b32_e32 v8, v10, v8, vcc
	v_mul_f32_e32 v45, v9, v8
.LBB49_566:                             ;   in Loop: Header=BB49_418 Depth=1
	s_or_b64 exec, exec, s[40:41]
	s_mov_b64 s[10:11], exec
.LBB49_567:                             ;   in Loop: Header=BB49_418 Depth=1
	s_or_b64 exec, exec, s[38:39]
                                        ; implicit-def: $vgpr8
                                        ; implicit-def: $vgpr10_vgpr11_vgpr12_vgpr13
.LBB49_568:                             ;   in Loop: Header=BB49_418 Depth=1
	s_andn2_saveexec_b64 s[36:37], s[36:37]
; %bb.569:                              ;   in Loop: Header=BB49_418 Depth=1
	v_mul_f32_e32 v45, 0x4b800000, v8
	v_mul_f32_e64 v44, |v12|, s62
	s_or_b64 s[10:11], s[10:11], exec
                                        ; implicit-def: $vgpr43
; %bb.570:                              ;   in Loop: Header=BB49_418 Depth=1
	s_or_b64 exec, exec, s[36:37]
	s_xor_b64 s[10:11], s[10:11], -1
	s_and_saveexec_b64 s[36:37], s[10:11]
	s_xor_b64 s[36:37], exec, s[36:37]
	s_cbranch_execz .LBB49_576
; %bb.571:                              ;   in Loop: Header=BB49_418 Depth=1
	s_and_saveexec_b64 s[10:11], s[8:9]
	s_xor_b64 s[10:11], exec, s[10:11]
	s_cbranch_execz .LBB49_573
; %bb.572:                              ;   in Loop: Header=BB49_418 Depth=1
	v_fma_f32 v8, |v43|, -0.5, 0.5
	v_mul_f32_e32 v9, v43, v43
	v_cmp_gt_f32_e64 vcc, |v43|, 0.5
	v_cndmask_b32_e32 v8, v9, v8, vcc
	v_mov_b32_e32 v9, 0x3c5fc5da
	v_fmac_f32_e32 v9, 0x3d1c21a7, v8
	v_fma_f32 v9, v8, v9, v23
	v_fma_f32 v9, v8, v9, v24
	v_sqrt_f32_e32 v10, v8
	v_fma_f32 v9, v8, v9, v25
	v_fma_f32 v9, v8, v9, v26
	v_mul_f32_e32 v8, v8, v9
	v_fmac_f32_e32 v10, v10, v8
	v_fmac_f32_e32 v43, v43, v8
	v_add_f32_e32 v9, v10, v10
	v_sub_f32_e32 v8, 0x3fc90fdb, v43
	v_cndmask_b32_e32 v8, v8, v9, vcc
                                        ; implicit-def: $vgpr43
.LBB49_573:                             ;   in Loop: Header=BB49_418 Depth=1
	s_andn2_saveexec_b64 s[38:39], s[10:11]
	s_cbranch_execz .LBB49_575
; %bb.574:                              ;   in Loop: Header=BB49_418 Depth=1
	v_fma_f32 v8, |v43|, -0.5, 0.5
	v_mul_f32_e32 v9, v43, v43
	v_cmp_gt_f32_e64 vcc, |v43|, 0.5
	v_cndmask_b32_e32 v8, v9, v8, vcc
	v_mov_b32_e32 v9, 0x3c5fc5da
	v_fmac_f32_e32 v9, 0x3d1c21a7, v8
	v_fma_f32 v9, v8, v9, v23
	v_fma_f32 v9, v8, v9, v24
	v_sqrt_f32_e32 v10, v8
	v_fma_f32 v9, v8, v9, v25
	v_fma_f32 v9, v8, v9, v26
	v_mul_f32_e32 v8, v8, v9
	v_fmac_f32_e32 v10, v10, v8
	v_add_f32_e32 v9, v10, v10
	v_sub_f32_e32 v10, 0x40490fdb, v9
	v_cmp_lt_f32_e64 s[10:11], 0, v43
	v_fma_f32 v8, -v43, v8, -v43
	v_cndmask_b32_e64 v9, v9, v10, s[10:11]
	v_sub_f32_e32 v8, 0x3fc90fdb, v8
	v_cndmask_b32_e32 v8, v8, v9, vcc
.LBB49_575:                             ;   in Loop: Header=BB49_418 Depth=1
	s_or_b64 exec, exec, s[38:39]
                                        ; implicit-def: $vgpr44
                                        ; implicit-def: $vgpr45
.LBB49_576:                             ;   in Loop: Header=BB49_418 Depth=1
	s_andn2_saveexec_b64 s[10:11], s[36:37]
	s_cbranch_execz .LBB49_582
; %bb.577:                              ;   in Loop: Header=BB49_418 Depth=1
	v_max_f32_e64 v8, |v45|, |v45|
	v_max_f32_e32 v9, v44, v44
	v_min_f32_e32 v10, v9, v8
	v_max_f32_e32 v8, v9, v8
	v_frexp_mant_f32_e32 v9, v8
	v_rcp_f32_e32 v9, v9
	v_frexp_exp_i32_f32_e32 v8, v8
	v_frexp_exp_i32_f32_e32 v11, v10
	v_frexp_mant_f32_e32 v10, v10
	v_mul_f32_e32 v9, v10, v9
	v_sub_u32_e32 v8, v11, v8
	v_ldexp_f32 v8, v9, v8
	v_mul_f32_e32 v9, v8, v8
	v_mov_b32_e32 v10, 0xbc7a590c
	v_fmac_f32_e32 v10, 0x3b2d2a58, v9
	v_fma_f32 v10, v9, v10, v27
	v_fma_f32 v10, v9, v10, v28
	v_fma_f32 v10, v9, v10, v29
	v_fma_f32 v10, v9, v10, v30
	v_fma_f32 v10, v9, v10, v31
	v_fma_f32 v10, v9, v10, v32
	v_mul_f32_e32 v9, v9, v10
	v_fmac_f32_e32 v8, v8, v9
	v_sub_f32_e32 v9, 0x3fc90fdb, v8
	v_cmp_gt_f32_e64 vcc, |v45|, v44
	v_cndmask_b32_e32 v9, v8, v9, vcc
	s_and_saveexec_b64 s[36:37], s[8:9]
	s_xor_b64 s[8:9], exec, s[36:37]
; %bb.578:                              ;   in Loop: Header=BB49_418 Depth=1
	v_cmp_neq_f32_e32 vcc, 0, v45
	v_cndmask_b32_e32 v8, 0, v9, vcc
	v_cmp_eq_f32_e32 vcc, s47, v44
	v_cmp_class_f32_e64 s[36:37], v45, s63
	s_and_b64 vcc, vcc, s[36:37]
	v_cndmask_b32_e32 v8, v8, v37, vcc
	v_cmp_o_f32_e32 vcc, v45, v45
	v_cndmask_b32_e32 v8, v35, v8, vcc
	v_bfi_b32 v8, s46, v8, v45
                                        ; implicit-def: $vgpr9
                                        ; implicit-def: $vgpr44
                                        ; implicit-def: $vgpr45
; %bb.579:                              ;   in Loop: Header=BB49_418 Depth=1
	s_andn2_saveexec_b64 s[8:9], s[8:9]
	s_cbranch_execz .LBB49_581
; %bb.580:                              ;   in Loop: Header=BB49_418 Depth=1
	v_sub_f32_e32 v8, 0x40490fdb, v9
	v_cmp_lt_f32_e32 vcc, 0, v44
	v_cndmask_b32_e32 v8, v9, v8, vcc
	v_cmp_neq_f32_e32 vcc, 0, v45
	v_cndmask_b32_e32 v8, v38, v8, vcc
	v_cmp_eq_f32_e32 vcc, s47, v44
	v_cmp_class_f32_e64 s[36:37], v45, s63
	s_and_b64 vcc, vcc, s[36:37]
	v_cndmask_b32_e32 v8, v8, v39, vcc
	v_cmp_o_f32_e32 vcc, v45, v45
	v_cndmask_b32_e32 v8, v35, v8, vcc
	v_bfi_b32 v8, s46, v8, v45
.LBB49_581:                             ;   in Loop: Header=BB49_418 Depth=1
	s_or_b64 exec, exec, s[8:9]
.LBB49_582:                             ;   in Loop: Header=BB49_418 Depth=1
	s_or_b64 exec, exec, s[10:11]
	v_cndmask_b32_e64 v9, -v40, v40, s[4:5]
                                        ; implicit-def: $vgpr10_vgpr11_vgpr12_vgpr13
.LBB49_583:                             ;   in Loop: Header=BB49_418 Depth=1
	s_andn2_saveexec_b64 s[8:9], s[34:35]
	s_cbranch_execz .LBB49_585
; %bb.584:                              ;   in Loop: Header=BB49_418 Depth=1
	v_mov_b32_e32 v10, s14
	v_mov_b32_e32 v11, s15
	s_waitcnt lgkmcnt(0)
	flat_load_dword v8, v[10:11] glc
	s_waitcnt vmcnt(0) lgkmcnt(0)
	v_sub_f32_e32 v8, v8, v12
	v_add_f32_e32 v8, 0x3fc90fdb, v8
.LBB49_585:                             ;   in Loop: Header=BB49_418 Depth=1
	s_or_b64 exec, exec, s[8:9]
.LBB49_586:                             ;   in Loop: Header=BB49_418 Depth=1
	s_andn2_saveexec_b64 s[8:9], s[30:31]
	s_cbranch_execz .LBB49_588
; %bb.587:                              ;   in Loop: Header=BB49_418 Depth=1
	s_waitcnt lgkmcnt(0)
	v_mov_b32_e32 v8, 0
.LBB49_588:                             ;   in Loop: Header=BB49_418 Depth=1
	s_or_b64 exec, exec, s[8:9]
                                        ; implicit-def: $vgpr10_vgpr11_vgpr12_vgpr13
                                        ; implicit-def: $vgpr40
                                        ; implicit-def: $vgpr11
                                        ; implicit-def: $vgpr10
.LBB49_589:                             ;   in Loop: Header=BB49_418 Depth=1
	s_andn2_saveexec_b64 s[28:29], s[28:29]
	s_cbranch_execz .LBB49_599
; %bb.590:                              ;   in Loop: Header=BB49_418 Depth=1
	v_cmp_lt_f32_e64 s[8:9], |v12|, |v13|
	v_cndmask_b32_e64 v41, |v12|, |v13|, s[8:9]
	v_cmp_nlt_f32_e32 vcc, s64, v41
                                        ; implicit-def: $vgpr9
                                        ; implicit-def: $vgpr8
	s_and_saveexec_b64 s[10:11], vcc
	s_xor_b64 s[30:31], exec, s[10:11]
	s_cbranch_execz .LBB49_596
; %bb.591:                              ;   in Loop: Header=BB49_418 Depth=1
	v_cndmask_b32_e64 v42, |v13|, |v12|, s[8:9]
	v_cmp_nlt_f32_e32 vcc, s65, v41
	v_cmp_ngt_f32_e64 s[10:11], s66, v42
	s_and_b64 s[10:11], vcc, s[10:11]
                                        ; implicit-def: $vgpr9
                                        ; implicit-def: $vgpr8
	s_and_saveexec_b64 s[34:35], s[10:11]
	s_xor_b64 s[10:11], exec, s[34:35]
	s_cbranch_execz .LBB49_593
; %bb.592:                              ;   in Loop: Header=BB49_418 Depth=1
	s_waitcnt lgkmcnt(0)
	v_mul_f32_e32 v8, v42, v42
	v_fmac_f32_e32 v8, v41, v41
	v_cmp_gt_f32_e32 vcc, s51, v8
	v_cndmask_b32_e64 v9, 0, 32, vcc
	v_ldexp_f32 v8, v8, v9
	v_log_f32_e32 v8, v8
	v_cndmask_b32_e32 v9, 0, v34, vcc
	v_mul_f32_e32 v41, 0x3f317217, v8
	v_fma_f32 v41, v8, s52, -v41
	v_fmac_f32_e32 v41, 0x3377d1cf, v8
	v_fmac_f32_e32 v41, 0x3f317217, v8
	v_cmp_lt_f32_e64 vcc, |v8|, s47
	v_cndmask_b32_e32 v8, v8, v41, vcc
	v_sub_f32_e32 v8, v8, v9
	v_mul_f32_e32 v9, 0.5, v8
	v_min_f32_e32 v8, v40, v11
	v_frexp_mant_f32_e32 v11, v10
	v_rcp_f32_e32 v11, v11
	v_frexp_exp_i32_f32_e32 v10, v10
	v_frexp_exp_i32_f32_e32 v40, v8
	v_frexp_mant_f32_e32 v8, v8
	v_mul_f32_e32 v8, v8, v11
	v_sub_u32_e32 v10, v40, v10
	v_ldexp_f32 v8, v8, v10
	v_mul_f32_e32 v10, v8, v8
	v_mov_b32_e32 v11, 0xbc7a590c
	v_fmac_f32_e32 v11, 0x3b2d2a58, v10
	v_fma_f32 v11, v10, v11, v27
	v_fma_f32 v11, v10, v11, v28
	;; [unrolled: 1-line block ×6, first 2 shown]
	v_mul_f32_e32 v10, v10, v11
	v_fmac_f32_e32 v8, v8, v10
                                        ; implicit-def: $vgpr10
                                        ; implicit-def: $vgpr40
                                        ; implicit-def: $vgpr11
.LBB49_593:                             ;   in Loop: Header=BB49_418 Depth=1
	s_andn2_saveexec_b64 s[10:11], s[10:11]
	s_cbranch_execz .LBB49_595
; %bb.594:                              ;   in Loop: Header=BB49_418 Depth=1
	s_waitcnt lgkmcnt(0)
	v_cvt_f64_f32_e32 v[8:9], v10
	v_cmp_neq_f32_e32 vcc, s47, v10
	v_mov_b32_e32 v41, 0xbc7a590c
	v_frexp_exp_i32_f64_e32 v8, v[8:9]
	v_min_f32_e32 v9, v40, v11
	v_frexp_exp_i32_f32_e32 v11, v10
	v_frexp_mant_f32_e32 v40, v10
	v_rcp_f32_e32 v40, v40
	v_frexp_exp_i32_f32_e32 v42, v9
	v_frexp_mant_f32_e32 v9, v9
	v_sub_u32_e32 v11, v42, v11
	v_sub_u32_e32 v43, 0, v8
	v_ldexp_f32 v44, |v12|, v43
	v_ldexp_f32 v43, |v13|, v43
	v_mul_f32_e32 v43, v43, v43
	v_fmac_f32_e32 v43, v44, v44
	v_sqrt_f32_e32 v43, v43
	v_mul_f32_e32 v9, v9, v40
	v_ldexp_f32 v8, v43, v8
	v_cndmask_b32_e32 v8, v33, v8, vcc
	v_cmp_gt_f32_e32 vcc, s51, v8
	v_cndmask_b32_e64 v10, 0, 32, vcc
	v_ldexp_f32 v8, v8, v10
	v_log_f32_e32 v10, v8
	v_ldexp_f32 v8, v9, v11
	v_mul_f32_e32 v11, v8, v8
	v_cndmask_b32_e32 v9, 0, v34, vcc
	v_mul_f32_e32 v40, 0x3f317217, v10
	v_fma_f32 v40, v10, s52, -v40
	v_fmac_f32_e32 v40, 0x3377d1cf, v10
	v_fmac_f32_e32 v40, 0x3f317217, v10
	v_cmp_lt_f32_e64 vcc, |v10|, s47
	v_cndmask_b32_e32 v10, v10, v40, vcc
	v_fmac_f32_e32 v41, 0x3b2d2a58, v11
	v_sub_f32_e32 v9, v10, v9
	v_fma_f32 v10, v11, v41, v27
	v_fma_f32 v10, v11, v10, v28
	;; [unrolled: 1-line block ×6, first 2 shown]
	v_mul_f32_e32 v10, v11, v10
	v_fmac_f32_e32 v8, v8, v10
.LBB49_595:                             ;   in Loop: Header=BB49_418 Depth=1
	s_or_b64 exec, exec, s[10:11]
                                        ; implicit-def: $vgpr40
                                        ; implicit-def: $vgpr11
                                        ; implicit-def: $vgpr10
.LBB49_596:                             ;   in Loop: Header=BB49_418 Depth=1
	s_andn2_saveexec_b64 s[30:31], s[30:31]
	s_cbranch_execz .LBB49_598
; %bb.597:                              ;   in Loop: Header=BB49_418 Depth=1
	s_waitcnt lgkmcnt(0)
	v_div_scale_f32 v8, s[10:11], s67, s67, v12
	v_div_scale_f32 v9, s[10:11], s67, s67, v13
	v_div_scale_f32 v41, vcc, v12, s67, v12
	v_div_scale_f32 v42, s[10:11], v13, s67, v13
	v_min_f32_e32 v11, v40, v11
	v_frexp_exp_i32_f32_e32 v40, v10
	v_frexp_mant_f32_e32 v10, v10
	v_rcp_f32_e32 v10, v10
	v_rcp_f32_e32 v43, v8
	;; [unrolled: 1-line block ×3, first 2 shown]
	v_fma_f32 v45, -v8, v43, 1.0
	v_fmac_f32_e32 v43, v45, v43
	v_fma_f32 v46, -v9, v44, 1.0
	v_fmac_f32_e32 v44, v46, v44
	v_mul_f32_e32 v45, v41, v43
	v_mul_f32_e32 v46, v42, v44
	v_fma_f32 v47, -v8, v45, v41
	v_fma_f32 v48, -v9, v46, v42
	v_fmac_f32_e32 v45, v47, v43
	v_fmac_f32_e32 v46, v48, v44
	v_fma_f32 v8, -v8, v45, v41
	v_fma_f32 v9, -v9, v46, v42
	v_div_fmas_f32 v8, v8, v43, v45
	s_mov_b64 vcc, s[10:11]
	v_div_fmas_f32 v9, v9, v44, v46
	v_frexp_exp_i32_f32_e32 v45, v11
	v_frexp_mant_f32_e32 v11, v11
	v_mul_f32_e32 v10, v11, v10
	v_mov_b32_e32 v41, 0xbc7a590c
	v_div_fixup_f32 v42, v8, s67, v12
	v_div_fixup_f32 v43, v9, s67, v13
	v_max_f32_e64 v44, |v42|, |v43|
	v_cvt_f64_f32_e32 v[8:9], v44
	v_cmp_neq_f32_e32 vcc, s47, v44
	v_frexp_exp_i32_f64_e32 v9, v[8:9]
	v_sub_u32_e32 v8, v45, v40
	v_ldexp_f32 v8, v10, v8
	v_mul_f32_e32 v10, v8, v8
	v_fmac_f32_e32 v41, 0x3b2d2a58, v10
	v_fma_f32 v11, v10, v41, v27
	v_fma_f32 v11, v10, v11, v28
	;; [unrolled: 1-line block ×3, first 2 shown]
	v_sub_u32_e32 v40, 0, v9
	v_ldexp_f32 v41, |v42|, v40
	v_ldexp_f32 v40, |v43|, v40
	v_mul_f32_e32 v40, v40, v40
	v_fmac_f32_e32 v40, v41, v41
	v_sqrt_f32_e32 v40, v40
	v_fma_f32 v11, v10, v11, v30
	v_fma_f32 v11, v10, v11, v31
	;; [unrolled: 1-line block ×3, first 2 shown]
	v_ldexp_f32 v9, v40, v9
	v_cndmask_b32_e32 v9, v33, v9, vcc
	v_cmp_gt_f32_e32 vcc, s51, v9
	v_cndmask_b32_e64 v40, 0, 32, vcc
	v_ldexp_f32 v9, v9, v40
	v_log_f32_e32 v9, v9
	v_mul_f32_e32 v10, v10, v11
	v_cndmask_b32_e32 v11, 0, v34, vcc
	v_fmac_f32_e32 v8, v8, v10
	v_mul_f32_e32 v40, 0x3f317217, v9
	v_fma_f32 v40, v9, s52, -v40
	v_fmac_f32_e32 v40, 0x3377d1cf, v9
	v_fmac_f32_e32 v40, 0x3f317217, v9
	v_cmp_lt_f32_e64 vcc, |v9|, s47
	v_cndmask_b32_e32 v9, v9, v40, vcc
	v_sub_f32_e32 v9, v9, v11
	v_add_f32_e32 v9, 1.0, v9
.LBB49_598:                             ;   in Loop: Header=BB49_418 Depth=1
	s_or_b64 exec, exec, s[30:31]
	s_waitcnt lgkmcnt(0)
	v_sub_f32_e32 v10, 0x3fc90fdb, v8
	v_cndmask_b32_e64 v8, v8, v10, s[8:9]
	v_sub_f32_e32 v10, 0x40490fdb, v8
	v_cmp_gt_f32_e32 vcc, 0, v12
	v_cndmask_b32_e32 v8, v8, v10, vcc
	v_cndmask_b32_e64 v10, 0, v38, s[6:7]
	v_cndmask_b32_e32 v11, v37, v39, vcc
	v_cmp_class_f32_e64 s[6:7], v12, s63
	v_cmp_class_f32_e64 s[8:9], v13, s63
	v_cmp_eq_f32_e32 vcc, 0, v13
	v_cndmask_b32_e64 v8, |v8|, v10, vcc
	s_and_b64 vcc, s[6:7], s[8:9]
	v_add_f32_e32 v9, 0x3f317218, v9
	v_cndmask_b32_e32 v8, v8, v11, vcc
	v_cndmask_b32_e64 v9, -v9, v9, s[4:5]
.LBB49_599:                             ;   in Loop: Header=BB49_418 Depth=1
	s_or_b64 exec, exec, s[28:29]
                                        ; implicit-def: $vgpr10_vgpr11_vgpr12_vgpr13
.LBB49_600:                             ;   in Loop: Header=BB49_418 Depth=1
	s_andn2_saveexec_b64 s[4:5], s[26:27]
	s_cbranch_execz .LBB49_614
; %bb.601:                              ;   in Loop: Header=BB49_418 Depth=1
	v_cmp_neq_f32_e64 s[6:7], |v12|, s47
	s_and_saveexec_b64 s[8:9], s[6:7]
	s_xor_b64 s[6:7], exec, s[8:9]
	s_cbranch_execz .LBB49_611
; %bb.602:                              ;   in Loop: Header=BB49_418 Depth=1
	v_cmp_neq_f32_e64 s[8:9], |v13|, s47
	v_xor_b32_e32 v9, 0x80000000, v13
	s_and_saveexec_b64 s[10:11], s[8:9]
	s_xor_b64 s[8:9], exec, s[10:11]
	s_cbranch_execz .LBB49_608
; %bb.603:                              ;   in Loop: Header=BB49_418 Depth=1
	v_cmp_neq_f32_e32 vcc, 0, v12
	s_and_saveexec_b64 s[10:11], vcc
	s_xor_b64 s[10:11], exec, s[10:11]
	s_cbranch_execz .LBB49_605
; %bb.604:                              ;   in Loop: Header=BB49_418 Depth=1
	s_waitcnt lgkmcnt(0)
	v_add_f32_e32 v8, 0, v13
	v_add_f32_e32 v9, v12, v8
                                        ; implicit-def: $vgpr10_vgpr11_vgpr12_vgpr13
.LBB49_605:                             ;   in Loop: Header=BB49_418 Depth=1
	s_or_saveexec_b64 s[10:11], s[10:11]
	s_waitcnt lgkmcnt(0)
	v_mov_b32_e32 v8, v9
	s_xor_b64 exec, exec, s[10:11]
	s_cbranch_execz .LBB49_607
; %bb.606:                              ;   in Loop: Header=BB49_418 Depth=1
	v_mov_b32_e32 v8, s14
	v_mov_b32_e32 v9, s15
	flat_load_dword v8, v[8:9] glc
	s_waitcnt vmcnt(0)
	v_add_f32_e32 v9, v13, v13
	s_waitcnt lgkmcnt(0)
	v_add_f32_e32 v8, 0x3fc90fdb, v8
.LBB49_607:                             ;   in Loop: Header=BB49_418 Depth=1
	s_or_b64 exec, exec, s[10:11]
                                        ; implicit-def: $vgpr10_vgpr11_vgpr12_vgpr13
.LBB49_608:                             ;   in Loop: Header=BB49_418 Depth=1
	s_andn2_saveexec_b64 s[8:9], s[8:9]
	s_cbranch_execz .LBB49_610
; %bb.609:                              ;   in Loop: Header=BB49_418 Depth=1
	s_waitcnt lgkmcnt(0)
	v_add_f32_e32 v8, v12, v12
.LBB49_610:                             ;   in Loop: Header=BB49_418 Depth=1
	s_or_b64 exec, exec, s[8:9]
                                        ; implicit-def: $vgpr10_vgpr11_vgpr12_vgpr13
.LBB49_611:                             ;   in Loop: Header=BB49_418 Depth=1
	s_andn2_saveexec_b64 s[6:7], s[6:7]
	s_cbranch_execz .LBB49_613
; %bb.612:                              ;   in Loop: Header=BB49_418 Depth=1
	s_waitcnt lgkmcnt(0)
	v_add_f32_e32 v8, v13, v13
	v_mov_b32_e32 v9, 0xff800000
.LBB49_613:                             ;   in Loop: Header=BB49_418 Depth=1
	s_or_b64 exec, exec, s[6:7]
.LBB49_614:                             ;   in Loop: Header=BB49_418 Depth=1
	s_or_b64 exec, exec, s[4:5]
	v_mov_b32_e32 v10, s14
	v_mov_b32_e32 v11, s15
	v_cmp_o_f32_e32 vcc, v2, v3
	flat_store_dword v[10:11], v19
	s_waitcnt vmcnt(0)
                                        ; implicit-def: $vgpr11
	s_and_saveexec_b64 s[4:5], vcc
	s_xor_b64 s[26:27], exec, s[4:5]
	s_cbranch_execz .LBB49_698
; %bb.615:                              ;   in Loop: Header=BB49_418 Depth=1
	v_max_f32_e64 v13, |v3|, |v3|
	v_max_f32_e64 v40, |v2|, |v2|
	v_max_f32_e32 v12, v40, v13
	v_cmp_gt_i32_e64 s[6:7], 0, v2
	v_cmp_lt_i32_e64 s[8:9], -1, v2
	v_cmp_gt_i32_e64 s[4:5], 0, v3
	v_cmp_nlt_f32_e32 vcc, s23, v12
                                        ; implicit-def: $vgpr11
	s_and_saveexec_b64 s[10:11], vcc
	s_xor_b64 s[28:29], exec, s[10:11]
	s_cbranch_execz .LBB49_687
; %bb.616:                              ;   in Loop: Header=BB49_418 Depth=1
	v_cmp_neq_f32_e32 vcc, 1.0, v2
	v_cmp_neq_f32_e64 s[10:11], 0, v3
	s_or_b64 s[10:11], vcc, s[10:11]
	v_xor_b32_e32 v11, 0x80000000, v3
	s_and_saveexec_b64 s[30:31], s[10:11]
	s_xor_b64 s[30:31], exec, s[30:31]
	s_cbranch_execz .LBB49_684
; %bb.617:                              ;   in Loop: Header=BB49_418 Depth=1
	v_mov_b32_e32 v10, s18
	v_mov_b32_e32 v11, s19
	flat_store_dword v[10:11], v20
	s_waitcnt vmcnt(0)
	flat_load_dword v10, v[10:11] glc
	s_waitcnt vmcnt(0)
	v_cmp_nlt_f32_e64 s[10:11], |v2|, s33
	v_cmp_nlt_f32_e64 s[34:35], |v3|, s33
	s_or_b64 s[10:11], s[10:11], s[34:35]
	s_waitcnt lgkmcnt(0)
	v_add_f32_e32 v12, 1.0, v10
	v_mov_b32_e32 v10, s20
	v_mov_b32_e32 v11, s21
	flat_store_dword v[10:11], v12
	s_waitcnt vmcnt(0)
	flat_load_dword v10, v[10:11] glc
	s_waitcnt vmcnt(0) lgkmcnt(0)
	v_xor_b32_e32 v11, 0x80000000, v3
	s_and_saveexec_b64 s[34:35], s[10:11]
	s_xor_b64 s[34:35], exec, s[34:35]
	s_cbranch_execz .LBB49_681
; %bb.618:                              ;   in Loop: Header=BB49_418 Depth=1
	v_add_f32_e64 v12, |v2|, 1.0
	v_max_f32_e32 v10, v13, v12
	v_add_f32_e64 v11, |v2|, -1.0
	v_cvt_f64_f32_e32 v[40:41], v10
	v_max_f32_e64 v13, v13, |v11|
	v_cvt_f64_f32_e32 v[42:43], v13
	v_cmp_neq_f32_e32 vcc, s47, v10
	v_frexp_exp_i32_f64_e32 v40, v[40:41]
	v_frexp_exp_i32_f64_e32 v41, v[42:43]
	v_sub_u32_e32 v42, 0, v40
	v_ldexp_f32 v44, |v3|, v42
	v_sub_u32_e32 v43, 0, v41
	v_ldexp_f32 v42, v12, v42
	v_ldexp_f32 v45, |v3|, v43
	v_ldexp_f32 v43, |v11|, v43
	v_mul_f32_e32 v42, v42, v42
	v_mul_f32_e32 v43, v43, v43
	v_fmac_f32_e32 v42, v44, v44
	v_fmac_f32_e32 v43, v45, v45
	v_sqrt_f32_e32 v42, v42
	v_sqrt_f32_e32 v43, v43
	v_ldexp_f32 v40, v42, v40
	v_ldexp_f32 v41, v43, v41
	v_cndmask_b32_e32 v42, v33, v40, vcc
	v_cmp_neq_f32_e32 vcc, s47, v13
	v_cndmask_b32_e32 v13, v33, v41, vcc
	v_add_f32_e32 v10, v42, v13
	v_mul_f32_e32 v10, 0.5, v10
	v_cmp_ngt_f32_e32 vcc, 1.0, v10
	v_cndmask_b32_e32 v10, 1.0, v10, vcc
	v_cmp_ngt_f32_e32 vcc, s48, v10
                                        ; implicit-def: $vgpr40
	s_and_saveexec_b64 s[10:11], vcc
	s_xor_b64 s[36:37], exec, s[10:11]
	s_cbranch_execz .LBB49_620
; %bb.619:                              ;   in Loop: Header=BB49_418 Depth=1
	v_fma_f32 v40, v10, v10, -1.0
	v_mul_f32_e32 v41, 0x4f800000, v40
	v_cmp_gt_f32_e32 vcc, s49, v40
	v_cndmask_b32_e32 v40, v40, v41, vcc
	v_sqrt_f32_e32 v41, v40
	v_add_u32_e32 v43, -1, v41
	v_fma_f32 v45, -v43, v41, v40
	v_add_u32_e32 v44, 1, v41
	v_cmp_ge_f32_e64 s[10:11], 0, v45
	v_cndmask_b32_e64 v43, v41, v43, s[10:11]
	v_fma_f32 v41, -v44, v41, v40
	v_cmp_lt_f32_e64 s[10:11], 0, v41
	v_cndmask_b32_e64 v41, v43, v44, s[10:11]
	v_mul_f32_e32 v43, 0x37800000, v41
	v_cndmask_b32_e32 v41, v41, v43, vcc
	v_cmp_class_f32_e32 vcc, v40, v21
	v_cndmask_b32_e32 v40, v41, v40, vcc
	v_add_f32_e32 v40, v10, v40
	v_cmp_gt_f32_e32 vcc, s51, v40
	v_cndmask_b32_e64 v41, 0, 32, vcc
	v_ldexp_f32 v40, v40, v41
	v_log_f32_e32 v40, v40
	v_mul_f32_e32 v41, 0x3f317217, v40
	v_fma_f32 v41, v40, s52, -v41
	v_fmac_f32_e32 v41, 0x3377d1cf, v40
	v_fmac_f32_e32 v41, 0x3f317217, v40
	v_cmp_lt_f32_e64 s[10:11], |v40|, s47
	v_cndmask_b32_e64 v40, v40, v41, s[10:11]
	v_cndmask_b32_e32 v41, 0, v34, vcc
	v_sub_f32_e32 v40, v40, v41
.LBB49_620:                             ;   in Loop: Header=BB49_418 Depth=1
	s_or_saveexec_b64 s[36:37], s[36:37]
	v_and_b32_e32 v41, 0x7fffffff, v3
	s_xor_b64 exec, exec, s[36:37]
	s_cbranch_execz .LBB49_642
; %bb.621:                              ;   in Loop: Header=BB49_418 Depth=1
	v_cmp_neq_f32_e64 s[10:11], |v2|, 1.0
	v_cmp_nlt_f32_e64 s[38:39], |v3|, s53
	s_or_b64 s[10:11], s[10:11], s[38:39]
                                        ; implicit-def: $vgpr40
	s_and_saveexec_b64 s[38:39], s[10:11]
	s_xor_b64 s[38:39], exec, s[38:39]
	s_cbranch_execz .LBB49_639
; %bb.622:                              ;   in Loop: Header=BB49_418 Depth=1
	v_mul_f32_e64 v40, |v11|, s54
	v_cmp_ge_f32_e64 s[10:11], |v3|, v40
                                        ; implicit-def: $vgpr40
	s_and_saveexec_b64 s[40:41], s[10:11]
	s_xor_b64 s[40:41], exec, s[40:41]
	s_cbranch_execz .LBB49_632
; %bb.623:                              ;   in Loop: Header=BB49_418 Depth=1
	v_cmp_neq_f32_e32 vcc, 0, v12
	v_mov_b32_e32 v40, v41
	s_and_saveexec_b64 s[10:11], vcc
	s_cbranch_execz .LBB49_625
; %bb.624:                              ;   in Loop: Header=BB49_418 Depth=1
	v_mul_f32_e32 v40, v3, v3
	v_add_f32_e32 v43, v12, v42
	v_div_scale_f32 v44, s[42:43], v43, v43, v40
	v_div_scale_f32 v45, vcc, v40, v43, v40
	v_rcp_f32_e32 v46, v44
	v_fma_f32 v47, -v44, v46, 1.0
	v_fmac_f32_e32 v46, v47, v46
	v_mul_f32_e32 v47, v45, v46
	v_fma_f32 v48, -v44, v47, v45
	v_fmac_f32_e32 v47, v48, v46
	v_fma_f32 v44, -v44, v47, v45
	v_div_fmas_f32 v44, v44, v46, v47
	v_div_fixup_f32 v40, v44, v43, v40
.LBB49_625:                             ;   in Loop: Header=BB49_418 Depth=1
	s_or_b64 exec, exec, s[10:11]
	v_sub_f32_e64 v44, 1.0, |v2|
	v_cmp_ngt_f32_e32 vcc, 0, v44
                                        ; implicit-def: $vgpr43
	s_and_saveexec_b64 s[10:11], vcc
	s_xor_b64 s[10:11], exec, s[10:11]
	s_cbranch_execz .LBB49_629
; %bb.626:                              ;   in Loop: Header=BB49_418 Depth=1
	v_cmp_neq_f32_e32 vcc, 0, v44
	v_mov_b32_e32 v43, v41
	s_and_saveexec_b64 s[42:43], vcc
	s_cbranch_execz .LBB49_628
; %bb.627:                              ;   in Loop: Header=BB49_418 Depth=1
	v_mul_f32_e32 v43, v3, v3
	v_add_f32_e32 v44, v44, v13
	v_div_scale_f32 v45, s[44:45], v44, v44, v43
	v_div_scale_f32 v46, vcc, v43, v44, v43
	v_rcp_f32_e32 v47, v45
	v_fma_f32 v48, -v45, v47, 1.0
	v_fmac_f32_e32 v47, v48, v47
	v_mul_f32_e32 v48, v46, v47
	v_fma_f32 v49, -v45, v48, v46
	v_fmac_f32_e32 v48, v49, v47
	v_fma_f32 v45, -v45, v48, v46
	v_div_fmas_f32 v45, v45, v47, v48
	v_div_fixup_f32 v43, v45, v44, v43
.LBB49_628:                             ;   in Loop: Header=BB49_418 Depth=1
	s_or_b64 exec, exec, s[42:43]
                                        ; implicit-def: $vgpr44
.LBB49_629:                             ;   in Loop: Header=BB49_418 Depth=1
	s_andn2_saveexec_b64 s[10:11], s[10:11]
; %bb.630:                              ;   in Loop: Header=BB49_418 Depth=1
	v_sub_f32_e32 v43, v13, v44
; %bb.631:                              ;   in Loop: Header=BB49_418 Depth=1
	s_or_b64 exec, exec, s[10:11]
	v_mul_f32_e32 v43, 0.5, v43
	v_fmac_f32_e32 v43, 0.5, v40
	v_add_f32_e32 v40, 1.0, v10
	v_mul_f32_e32 v40, v40, v43
	v_mul_f32_e32 v44, 0x4f800000, v40
	v_cmp_gt_f32_e32 vcc, s49, v40
	v_cndmask_b32_e32 v40, v40, v44, vcc
	v_sqrt_f32_e32 v44, v40
	v_add_u32_e32 v45, -1, v44
	v_fma_f32 v46, -v45, v44, v40
	v_cmp_ge_f32_e64 s[10:11], 0, v46
	v_add_u32_e32 v46, 1, v44
	v_cndmask_b32_e64 v45, v44, v45, s[10:11]
	v_fma_f32 v44, -v46, v44, v40
	v_cmp_lt_f32_e64 s[10:11], 0, v44
	v_cndmask_b32_e64 v44, v45, v46, s[10:11]
	v_mul_f32_e32 v45, 0x37800000, v44
	v_cndmask_b32_e32 v44, v44, v45, vcc
	v_cmp_class_f32_e32 vcc, v40, v21
	v_cndmask_b32_e32 v40, v44, v40, vcc
	v_add_f32_e32 v40, v43, v40
	v_add_f32_e32 v45, 1.0, v40
	v_cvt_f64_f32_e32 v[43:44], v45
	v_add_f32_e32 v46, -1.0, v45
	v_frexp_exp_i32_f64_e32 v43, v[43:44]
	v_sub_f32_e32 v44, v46, v45
	v_add_f32_e32 v44, 1.0, v44
	v_sub_f32_e32 v46, v40, v46
	v_add_f32_e32 v44, v46, v44
	v_frexp_mant_f32_e32 v46, v45
	v_cmp_gt_f32_e32 vcc, s55, v46
	v_subbrev_co_u32_e32 v43, vcc, 0, v43, vcc
	v_sub_u32_e32 v46, 0, v43
	v_ldexp_f32 v45, v45, v46
	v_ldexp_f32 v44, v44, v46
	v_add_f32_e32 v46, -1.0, v45
	v_add_f32_e32 v49, 1.0, v45
	v_add_f32_e32 v47, 1.0, v46
	v_add_f32_e32 v50, -1.0, v49
	v_sub_f32_e32 v47, v45, v47
	v_sub_f32_e32 v45, v45, v50
	v_add_f32_e32 v47, v44, v47
	v_add_f32_e32 v44, v44, v45
	;; [unrolled: 1-line block ×3, first 2 shown]
	v_rcp_f32_e32 v50, v45
	v_add_f32_e32 v48, v46, v47
	v_sub_f32_e32 v46, v48, v46
	v_sub_f32_e32 v46, v47, v46
	;; [unrolled: 1-line block ×4, first 2 shown]
	v_mul_f32_e32 v47, v48, v50
	v_mul_f32_e32 v49, v45, v47
	v_fma_f32 v51, v47, v45, -v49
	v_fmac_f32_e32 v51, v47, v44
	v_add_f32_e32 v52, v49, v51
	v_sub_f32_e32 v53, v48, v52
	v_sub_f32_e32 v48, v48, v53
	;; [unrolled: 1-line block ×4, first 2 shown]
	v_add_f32_e32 v46, v46, v48
	v_sub_f32_e32 v48, v49, v51
	v_add_f32_e32 v46, v48, v46
	v_add_f32_e32 v48, v53, v46
	v_mul_f32_e32 v49, v50, v48
	v_mul_f32_e32 v51, v45, v49
	v_fma_f32 v45, v49, v45, -v51
	v_fmac_f32_e32 v45, v49, v44
	v_sub_f32_e32 v44, v53, v48
	v_add_f32_e32 v44, v46, v44
	v_add_f32_e32 v46, v51, v45
	v_sub_f32_e32 v52, v48, v46
	v_sub_f32_e32 v48, v48, v52
	;; [unrolled: 1-line block ×4, first 2 shown]
	v_add_f32_e32 v44, v44, v46
	v_sub_f32_e32 v45, v51, v45
	v_cvt_f32_i32_e32 v43, v43
	v_add_f32_e32 v44, v45, v44
	v_add_f32_e32 v45, v47, v49
	;; [unrolled: 1-line block ×3, first 2 shown]
	v_sub_f32_e32 v46, v45, v47
	v_mul_f32_e32 v44, v50, v44
	v_sub_f32_e32 v46, v49, v46
	v_add_f32_e32 v44, v46, v44
	v_mul_f32_e32 v49, 0x3f317218, v43
	v_add_f32_e32 v46, v45, v44
	v_fma_f32 v50, v43, s56, -v49
	v_mul_f32_e32 v47, v46, v46
	v_mov_b32_e32 v48, 0x3ecc95a3
	v_fmac_f32_e32 v50, 0xb102e308, v43
	v_sub_f32_e32 v43, v46, v45
	v_fmac_f32_e32 v48, 0x3e9b6dac, v47
	v_sub_f32_e32 v43, v44, v43
	v_add_f32_e32 v44, v49, v50
	v_fma_f32 v48, v47, v48, v22
	v_sub_f32_e32 v45, v44, v49
	v_ldexp_f32 v49, v46, 1
	v_mul_f32_e32 v46, v46, v47
	v_mul_f32_e32 v46, v46, v48
	v_add_f32_e32 v47, v49, v46
	v_sub_f32_e32 v48, v47, v49
	v_ldexp_f32 v43, v43, 1
	v_sub_f32_e32 v46, v46, v48
	v_add_f32_e32 v43, v43, v46
	v_add_f32_e32 v46, v47, v43
	v_sub_f32_e32 v47, v46, v47
	v_sub_f32_e32 v43, v43, v47
	v_add_f32_e32 v47, v44, v46
	v_sub_f32_e32 v48, v47, v44
	v_sub_f32_e32 v49, v47, v48
	;; [unrolled: 1-line block ×5, first 2 shown]
	v_add_f32_e32 v44, v46, v44
	v_add_f32_e32 v46, v45, v43
	v_sub_f32_e32 v48, v46, v45
	v_sub_f32_e32 v49, v46, v48
	;; [unrolled: 1-line block ×4, first 2 shown]
	v_add_f32_e32 v44, v46, v44
	v_add_f32_e32 v43, v43, v45
	;; [unrolled: 1-line block ×3, first 2 shown]
	v_sub_f32_e32 v46, v45, v47
	v_sub_f32_e32 v44, v44, v46
	v_add_f32_e32 v43, v43, v44
	v_add_f32_e32 v43, v45, v43
	v_cmp_neq_f32_e32 vcc, s47, v40
	v_cndmask_b32_e32 v43, v33, v43, vcc
	v_cmp_ngt_f32_e32 vcc, -1.0, v40
	v_cndmask_b32_e32 v43, v35, v43, vcc
	v_cmp_neq_f32_e32 vcc, -1.0, v40
	v_cndmask_b32_e32 v43, v36, v43, vcc
	v_cmp_lt_f32_e64 vcc, |v40|, s57
	v_cndmask_b32_e32 v40, v43, v40, vcc
.LBB49_632:                             ;   in Loop: Header=BB49_418 Depth=1
	s_andn2_saveexec_b64 s[40:41], s[40:41]
	s_cbranch_execz .LBB49_638
; %bb.633:                              ;   in Loop: Header=BB49_418 Depth=1
	v_cmp_nlt_f32_e64 s[10:11], |v2|, 1.0
                                        ; implicit-def: $vgpr40
	s_and_saveexec_b64 s[42:43], s[10:11]
	s_xor_b64 s[42:43], exec, s[42:43]
	s_cbranch_execz .LBB49_635
; %bb.634:                              ;   in Loop: Header=BB49_418 Depth=1
	v_mul_f32_e32 v40, v11, v12
	v_mul_f32_e32 v43, 0x4f800000, v40
	v_cmp_gt_f32_e32 vcc, s49, v40
	v_cndmask_b32_e32 v40, v40, v43, vcc
	v_sqrt_f32_e32 v43, v40
	v_add_u32_e32 v44, -1, v43
	v_fma_f32 v46, -v44, v43, v40
	v_add_u32_e32 v45, 1, v43
	v_cmp_ge_f32_e64 s[10:11], 0, v46
	v_cndmask_b32_e64 v44, v43, v44, s[10:11]
	v_fma_f32 v43, -v45, v43, v40
	v_cmp_lt_f32_e64 s[10:11], 0, v43
	v_cndmask_b32_e64 v43, v44, v45, s[10:11]
	v_mul_f32_e32 v44, 0x37800000, v43
	v_cndmask_b32_e32 v43, v43, v44, vcc
	v_cmp_class_f32_e32 vcc, v40, v21
	v_cndmask_b32_e32 v40, v43, v40, vcc
	v_add_f32_e32 v40, v11, v40
	v_add_f32_e32 v45, 1.0, v40
	v_cvt_f64_f32_e32 v[43:44], v45
	v_add_f32_e32 v46, -1.0, v45
	v_frexp_exp_i32_f64_e32 v43, v[43:44]
	v_sub_f32_e32 v44, v46, v45
	v_add_f32_e32 v44, 1.0, v44
	v_sub_f32_e32 v46, v40, v46
	v_add_f32_e32 v44, v46, v44
	v_frexp_mant_f32_e32 v46, v45
	v_cmp_gt_f32_e32 vcc, s55, v46
	v_subbrev_co_u32_e32 v43, vcc, 0, v43, vcc
	v_sub_u32_e32 v46, 0, v43
	v_ldexp_f32 v45, v45, v46
	v_ldexp_f32 v44, v44, v46
	v_add_f32_e32 v46, -1.0, v45
	v_add_f32_e32 v49, 1.0, v45
	v_add_f32_e32 v47, 1.0, v46
	v_add_f32_e32 v50, -1.0, v49
	v_sub_f32_e32 v47, v45, v47
	v_sub_f32_e32 v45, v45, v50
	v_add_f32_e32 v47, v44, v47
	v_add_f32_e32 v44, v44, v45
	;; [unrolled: 1-line block ×3, first 2 shown]
	v_rcp_f32_e32 v50, v45
	v_add_f32_e32 v48, v46, v47
	v_sub_f32_e32 v46, v48, v46
	v_sub_f32_e32 v46, v47, v46
	;; [unrolled: 1-line block ×4, first 2 shown]
	v_mul_f32_e32 v47, v48, v50
	v_mul_f32_e32 v49, v45, v47
	v_fma_f32 v51, v47, v45, -v49
	v_fmac_f32_e32 v51, v47, v44
	v_add_f32_e32 v52, v49, v51
	v_sub_f32_e32 v53, v48, v52
	v_sub_f32_e32 v48, v48, v53
	;; [unrolled: 1-line block ×4, first 2 shown]
	v_add_f32_e32 v46, v46, v48
	v_sub_f32_e32 v48, v49, v51
	v_add_f32_e32 v46, v48, v46
	v_add_f32_e32 v48, v53, v46
	v_mul_f32_e32 v49, v50, v48
	v_mul_f32_e32 v51, v45, v49
	v_fma_f32 v45, v49, v45, -v51
	v_fmac_f32_e32 v45, v49, v44
	v_sub_f32_e32 v44, v53, v48
	v_add_f32_e32 v44, v46, v44
	v_add_f32_e32 v46, v51, v45
	v_sub_f32_e32 v52, v48, v46
	v_sub_f32_e32 v48, v48, v52
	;; [unrolled: 1-line block ×4, first 2 shown]
	v_add_f32_e32 v44, v44, v46
	v_sub_f32_e32 v45, v51, v45
	v_cvt_f32_i32_e32 v43, v43
	v_add_f32_e32 v44, v45, v44
	v_add_f32_e32 v45, v47, v49
	v_add_f32_e32 v44, v52, v44
	v_sub_f32_e32 v46, v45, v47
	v_mul_f32_e32 v44, v50, v44
	v_sub_f32_e32 v46, v49, v46
	v_add_f32_e32 v44, v46, v44
	v_mul_f32_e32 v49, 0x3f317218, v43
	v_add_f32_e32 v46, v45, v44
	v_fma_f32 v50, v43, s56, -v49
	v_mul_f32_e32 v47, v46, v46
	v_mov_b32_e32 v48, 0x3ecc95a3
	v_fmac_f32_e32 v50, 0xb102e308, v43
	v_sub_f32_e32 v43, v46, v45
	v_fmac_f32_e32 v48, 0x3e9b6dac, v47
	v_sub_f32_e32 v43, v44, v43
	v_add_f32_e32 v44, v49, v50
	v_fma_f32 v48, v47, v48, v22
	v_sub_f32_e32 v45, v44, v49
	v_ldexp_f32 v49, v46, 1
	v_mul_f32_e32 v46, v46, v47
	v_mul_f32_e32 v46, v46, v48
	v_add_f32_e32 v47, v49, v46
	v_sub_f32_e32 v48, v47, v49
	v_ldexp_f32 v43, v43, 1
	v_sub_f32_e32 v46, v46, v48
	v_add_f32_e32 v43, v43, v46
	v_add_f32_e32 v46, v47, v43
	v_sub_f32_e32 v47, v46, v47
	v_sub_f32_e32 v43, v43, v47
	v_add_f32_e32 v47, v44, v46
	v_sub_f32_e32 v48, v47, v44
	v_sub_f32_e32 v49, v47, v48
	;; [unrolled: 1-line block ×5, first 2 shown]
	v_add_f32_e32 v44, v46, v44
	v_add_f32_e32 v46, v45, v43
	v_sub_f32_e32 v48, v46, v45
	v_sub_f32_e32 v49, v46, v48
	;; [unrolled: 1-line block ×4, first 2 shown]
	v_add_f32_e32 v44, v46, v44
	v_add_f32_e32 v43, v43, v45
	;; [unrolled: 1-line block ×3, first 2 shown]
	v_sub_f32_e32 v46, v45, v47
	v_sub_f32_e32 v44, v44, v46
	v_add_f32_e32 v43, v43, v44
	v_add_f32_e32 v43, v45, v43
	v_cmp_neq_f32_e32 vcc, s47, v40
	v_cndmask_b32_e32 v43, v33, v43, vcc
	v_cmp_ngt_f32_e32 vcc, -1.0, v40
	v_cndmask_b32_e32 v43, v35, v43, vcc
	v_cmp_neq_f32_e32 vcc, -1.0, v40
	v_cndmask_b32_e32 v43, v36, v43, vcc
	v_cmp_lt_f32_e64 vcc, |v40|, s57
	v_cndmask_b32_e32 v40, v43, v40, vcc
.LBB49_635:                             ;   in Loop: Header=BB49_418 Depth=1
	s_andn2_saveexec_b64 s[42:43], s[42:43]
	s_cbranch_execz .LBB49_637
; %bb.636:                              ;   in Loop: Header=BB49_418 Depth=1
	v_sub_f32_e64 v40, 1.0, |v2|
	v_mul_f32_e32 v40, v40, v12
	v_mul_f32_e32 v43, 0x4f800000, v40
	v_cmp_gt_f32_e32 vcc, s49, v40
	v_cndmask_b32_e32 v40, v40, v43, vcc
	v_sqrt_f32_e32 v43, v40
	v_add_u32_e32 v44, -1, v43
	v_fma_f32 v46, -v44, v43, v40
	v_add_u32_e32 v45, 1, v43
	v_cmp_ge_f32_e64 s[10:11], 0, v46
	v_cndmask_b32_e64 v44, v43, v44, s[10:11]
	v_fma_f32 v43, -v45, v43, v40
	v_cmp_lt_f32_e64 s[10:11], 0, v43
	v_cndmask_b32_e64 v43, v44, v45, s[10:11]
	v_mul_f32_e32 v44, 0x37800000, v43
	v_cndmask_b32_e32 v43, v43, v44, vcc
	v_cmp_class_f32_e32 vcc, v40, v21
	v_cndmask_b32_e32 v40, v43, v40, vcc
	v_and_b32_e32 v43, 0x7fffffff, v3
	v_div_scale_f32 v44, s[10:11], v40, v40, v43
	v_div_scale_f32 v43, vcc, v43, v40, v43
	v_rcp_f32_e32 v45, v44
	v_fma_f32 v46, -v44, v45, 1.0
	v_fmac_f32_e32 v45, v46, v45
	v_mul_f32_e32 v46, v43, v45
	v_fma_f32 v47, -v44, v46, v43
	v_fmac_f32_e32 v46, v47, v45
	v_fma_f32 v43, -v44, v46, v43
	v_div_fmas_f32 v43, v43, v45, v46
	v_div_fixup_f32 v40, v43, v40, |v3|
.LBB49_637:                             ;   in Loop: Header=BB49_418 Depth=1
	s_or_b64 exec, exec, s[42:43]
.LBB49_638:                             ;   in Loop: Header=BB49_418 Depth=1
	s_or_b64 exec, exec, s[40:41]
.LBB49_639:                             ;   in Loop: Header=BB49_418 Depth=1
	s_andn2_saveexec_b64 s[38:39], s[38:39]
	s_cbranch_execz .LBB49_641
; %bb.640:                              ;   in Loop: Header=BB49_418 Depth=1
	v_mul_f32_e64 v40, |v3|, s50
	v_cmp_lt_f32_e64 vcc, |v3|, s49
	v_cndmask_b32_e64 v40, |v3|, v40, vcc
	v_sqrt_f32_e32 v43, v40
	v_add_u32_e32 v44, -1, v43
	v_fma_f32 v46, -v44, v43, v40
	v_add_u32_e32 v45, 1, v43
	v_cmp_ge_f32_e64 s[10:11], 0, v46
	v_cndmask_b32_e64 v44, v43, v44, s[10:11]
	v_fma_f32 v43, -v45, v43, v40
	v_cmp_lt_f32_e64 s[10:11], 0, v43
	v_cndmask_b32_e64 v43, v44, v45, s[10:11]
	v_mul_f32_e32 v44, 0x37800000, v43
	v_cndmask_b32_e32 v43, v43, v44, vcc
	v_cmp_class_f32_e32 vcc, v40, v21
	v_cndmask_b32_e32 v40, v43, v40, vcc
.LBB49_641:                             ;   in Loop: Header=BB49_418 Depth=1
	s_or_b64 exec, exec, s[38:39]
.LBB49_642:                             ;   in Loop: Header=BB49_418 Depth=1
	s_or_b64 exec, exec, s[36:37]
	v_cmp_nlt_f32_e64 s[36:37], |v2|, s58
                                        ; implicit-def: $sgpr10_sgpr11
                                        ; implicit-def: $vgpr43
                                        ; implicit-def: $vgpr45
                                        ; implicit-def: $vgpr44
	s_and_saveexec_b64 s[38:39], s[36:37]
	s_xor_b64 s[36:37], exec, s[38:39]
	s_cbranch_execz .LBB49_666
; %bb.643:                              ;   in Loop: Header=BB49_418 Depth=1
	v_and_b32_e32 v44, 0x7fffffff, v2
	v_div_scale_f32 v43, s[10:11], v10, v10, v44
	v_div_scale_f32 v45, vcc, v44, v10, v44
	s_mov_b64 s[10:11], 0
	v_rcp_f32_e32 v46, v43
	v_fma_f32 v47, -v43, v46, 1.0
	v_fmac_f32_e32 v46, v47, v46
	v_mul_f32_e32 v47, v45, v46
	v_fma_f32 v48, -v43, v47, v45
	v_fmac_f32_e32 v47, v48, v46
	v_fma_f32 v43, -v43, v47, v45
	v_div_fmas_f32 v43, v43, v46, v47
                                        ; implicit-def: $vgpr45
	v_div_fixup_f32 v43, v43, v10, |v2|
	v_cmp_lt_f32_e32 vcc, s59, v43
	s_and_saveexec_b64 s[38:39], vcc
	s_cbranch_execz .LBB49_665
; %bb.644:                              ;   in Loop: Header=BB49_418 Depth=1
	v_cmp_neq_f32_e64 s[10:11], |v2|, 1.0
	v_cmp_nlt_f32_e64 s[40:41], |v3|, s60
	s_or_b64 s[10:11], s[10:11], s[40:41]
                                        ; implicit-def: $vgpr45
	s_and_saveexec_b64 s[40:41], s[10:11]
	s_xor_b64 s[40:41], exec, s[40:41]
	s_cbranch_execz .LBB49_662
; %bb.645:                              ;   in Loop: Header=BB49_418 Depth=1
	v_mul_f32_e64 v45, |v11|, s54
	v_cmp_ge_f32_e64 s[10:11], |v3|, v45
                                        ; implicit-def: $vgpr45
	s_and_saveexec_b64 s[42:43], s[10:11]
	s_xor_b64 s[42:43], exec, s[42:43]
	s_cbranch_execz .LBB49_655
; %bb.646:                              ;   in Loop: Header=BB49_418 Depth=1
	v_cmp_neq_f32_e32 vcc, 0, v12
	v_mov_b32_e32 v45, v41
	s_and_saveexec_b64 s[10:11], vcc
	s_cbranch_execz .LBB49_648
; %bb.647:                              ;   in Loop: Header=BB49_418 Depth=1
	v_mul_f32_e32 v45, v3, v3
	v_add_f32_e32 v12, v12, v42
	v_div_scale_f32 v42, s[44:45], v12, v12, v45
	v_div_scale_f32 v46, vcc, v45, v12, v45
	v_rcp_f32_e32 v47, v42
	v_fma_f32 v48, -v42, v47, 1.0
	v_fmac_f32_e32 v47, v48, v47
	v_mul_f32_e32 v48, v46, v47
	v_fma_f32 v49, -v42, v48, v46
	v_fmac_f32_e32 v48, v49, v47
	v_fma_f32 v42, -v42, v48, v46
	v_div_fmas_f32 v42, v42, v47, v48
	v_div_fixup_f32 v45, v42, v12, v45
.LBB49_648:                             ;   in Loop: Header=BB49_418 Depth=1
	s_or_b64 exec, exec, s[10:11]
	v_cmp_ngt_f32_e32 vcc, 0, v11
	s_and_saveexec_b64 s[10:11], vcc
	s_xor_b64 s[10:11], exec, s[10:11]
	s_cbranch_execz .LBB49_652
; %bb.649:                              ;   in Loop: Header=BB49_418 Depth=1
	v_cmp_neq_f32_e32 vcc, 0, v11
	s_and_saveexec_b64 s[44:45], vcc
	s_cbranch_execz .LBB49_651
; %bb.650:                              ;   in Loop: Header=BB49_418 Depth=1
	v_mul_f32_e32 v12, v3, v3
	v_add_f32_e32 v11, v11, v13
	v_div_scale_f32 v13, s[68:69], v11, v11, v12
	v_div_scale_f32 v41, vcc, v12, v11, v12
	v_rcp_f32_e32 v42, v13
	v_fma_f32 v46, -v13, v42, 1.0
	v_fmac_f32_e32 v42, v46, v42
	v_mul_f32_e32 v46, v41, v42
	v_fma_f32 v47, -v13, v46, v41
	v_fmac_f32_e32 v46, v47, v42
	v_fma_f32 v13, -v13, v46, v41
	v_div_fmas_f32 v13, v13, v42, v46
	v_div_fixup_f32 v41, v13, v11, v12
.LBB49_651:                             ;   in Loop: Header=BB49_418 Depth=1
	s_or_b64 exec, exec, s[44:45]
                                        ; implicit-def: $vgpr13
                                        ; implicit-def: $vgpr11
.LBB49_652:                             ;   in Loop: Header=BB49_418 Depth=1
	s_andn2_saveexec_b64 s[10:11], s[10:11]
; %bb.653:                              ;   in Loop: Header=BB49_418 Depth=1
	v_sub_f32_e32 v41, v13, v11
; %bb.654:                              ;   in Loop: Header=BB49_418 Depth=1
	s_or_b64 exec, exec, s[10:11]
	v_mul_f32_e32 v11, 0.5, v41
	v_fmac_f32_e32 v11, 0.5, v45
	v_add_f32_e64 v10, |v2|, v10
	v_mul_f32_e32 v10, v10, v11
	v_mul_f32_e32 v11, 0x4f800000, v10
	v_cmp_gt_f32_e32 vcc, s49, v10
	v_cndmask_b32_e32 v10, v10, v11, vcc
	v_sqrt_f32_e32 v11, v10
	v_add_u32_e32 v12, -1, v11
	v_fma_f32 v13, -v12, v11, v10
	v_cmp_ge_f32_e64 s[10:11], 0, v13
	v_add_u32_e32 v13, 1, v11
	v_cndmask_b32_e64 v12, v11, v12, s[10:11]
	v_fma_f32 v11, -v13, v11, v10
	v_cmp_lt_f32_e64 s[10:11], 0, v11
	v_cndmask_b32_e64 v11, v12, v13, s[10:11]
	v_mul_f32_e32 v12, 0x37800000, v11
	v_cndmask_b32_e32 v11, v11, v12, vcc
	v_cmp_class_f32_e32 vcc, v10, v21
	v_cndmask_b32_e32 v45, v11, v10, vcc
                                        ; implicit-def: $vgpr12
                                        ; implicit-def: $vgpr11
.LBB49_655:                             ;   in Loop: Header=BB49_418 Depth=1
	s_andn2_saveexec_b64 s[42:43], s[42:43]
	s_cbranch_execz .LBB49_661
; %bb.656:                              ;   in Loop: Header=BB49_418 Depth=1
	v_cmp_ngt_f32_e64 s[10:11], |v2|, 1.0
                                        ; implicit-def: $vgpr45
	s_and_saveexec_b64 s[44:45], s[10:11]
	s_xor_b64 s[44:45], exec, s[44:45]
	s_cbranch_execz .LBB49_658
; %bb.657:                              ;   in Loop: Header=BB49_418 Depth=1
	v_sub_f32_e64 v10, 1.0, |v2|
	v_mul_f32_e32 v10, v10, v12
	v_mul_f32_e32 v11, 0x4f800000, v10
	v_cmp_gt_f32_e32 vcc, s49, v10
	v_cndmask_b32_e32 v10, v10, v11, vcc
	v_sqrt_f32_e32 v11, v10
	v_add_u32_e32 v12, -1, v11
	v_fma_f32 v41, -v12, v11, v10
	v_add_u32_e32 v13, 1, v11
	v_cmp_ge_f32_e64 s[10:11], 0, v41
	v_cndmask_b32_e64 v12, v11, v12, s[10:11]
	v_fma_f32 v11, -v13, v11, v10
	v_cmp_lt_f32_e64 s[10:11], 0, v11
	v_cndmask_b32_e64 v11, v12, v13, s[10:11]
	v_mul_f32_e32 v12, 0x37800000, v11
	v_cndmask_b32_e32 v11, v11, v12, vcc
	v_cmp_class_f32_e32 vcc, v10, v21
	v_cndmask_b32_e32 v45, v11, v10, vcc
                                        ; implicit-def: $vgpr12
                                        ; implicit-def: $vgpr11
.LBB49_658:                             ;   in Loop: Header=BB49_418 Depth=1
	s_andn2_saveexec_b64 s[44:45], s[44:45]
	s_cbranch_execz .LBB49_660
; %bb.659:                              ;   in Loop: Header=BB49_418 Depth=1
	v_mul_f32_e32 v10, v12, v11
	v_mul_f32_e32 v11, 0x4f800000, v10
	v_cmp_gt_f32_e32 vcc, s49, v10
	v_cndmask_b32_e32 v10, v10, v11, vcc
	v_sqrt_f32_e32 v11, v10
	v_mul_f32_e64 v12, |v3|, s61
	v_mul_f32_e64 v12, |v2|, v12
	v_add_u32_e32 v13, -1, v11
	v_fma_f32 v41, -v13, v11, v10
	v_cmp_ge_f32_e64 s[10:11], 0, v41
	v_add_u32_e32 v41, 1, v11
	v_cndmask_b32_e64 v13, v11, v13, s[10:11]
	v_fma_f32 v11, -v41, v11, v10
	v_cmp_lt_f32_e64 s[10:11], 0, v11
	v_cndmask_b32_e64 v11, v13, v41, s[10:11]
	v_mul_f32_e32 v13, 0x37800000, v11
	v_cndmask_b32_e32 v11, v11, v13, vcc
	v_cmp_class_f32_e32 vcc, v10, v21
	v_cndmask_b32_e32 v10, v11, v10, vcc
	v_div_scale_f32 v11, s[10:11], v10, v10, v12
	v_div_scale_f32 v13, vcc, v12, v10, v12
	v_rcp_f32_e32 v41, v11
	v_fma_f32 v42, -v11, v41, 1.0
	v_fmac_f32_e32 v41, v42, v41
	v_mul_f32_e32 v42, v13, v41
	v_fma_f32 v44, -v11, v42, v13
	v_fmac_f32_e32 v42, v44, v41
	v_fma_f32 v11, -v11, v42, v13
	v_div_fmas_f32 v11, v11, v41, v42
	v_mul_f32_e64 v44, |v2|, s61
	v_div_fixup_f32 v45, v11, v10, v12
.LBB49_660:                             ;   in Loop: Header=BB49_418 Depth=1
	s_or_b64 exec, exec, s[44:45]
.LBB49_661:                             ;   in Loop: Header=BB49_418 Depth=1
	s_or_b64 exec, exec, s[42:43]
                                        ; implicit-def: $vgpr10
.LBB49_662:                             ;   in Loop: Header=BB49_418 Depth=1
	s_andn2_saveexec_b64 s[40:41], s[40:41]
	s_cbranch_execz .LBB49_664
; %bb.663:                              ;   in Loop: Header=BB49_418 Depth=1
	v_mul_f32_e64 v11, |v3|, s50
	v_cmp_lt_f32_e64 vcc, |v3|, s49
	v_cndmask_b32_e64 v11, |v3|, v11, vcc
	v_sqrt_f32_e32 v12, v11
	v_add_f32_e32 v10, 1.0, v10
	v_mul_f32_e32 v10, 0.5, v10
	v_mov_b32_e32 v44, 1.0
	v_add_u32_e32 v13, -1, v12
	v_fma_f32 v42, -v13, v12, v11
	v_add_u32_e32 v41, 1, v12
	v_cmp_ge_f32_e64 s[10:11], 0, v42
	v_cndmask_b32_e64 v13, v12, v13, s[10:11]
	v_fma_f32 v12, -v41, v12, v11
	v_cmp_lt_f32_e64 s[10:11], 0, v12
	v_cndmask_b32_e64 v12, v13, v41, s[10:11]
	v_mul_f32_e32 v13, 0x37800000, v12
	v_cndmask_b32_e32 v12, v12, v13, vcc
	v_mul_f32_e32 v13, 0x4f800000, v10
	v_cmp_gt_f32_e32 vcc, s49, v10
	v_cndmask_b32_e32 v10, v10, v13, vcc
	v_sqrt_f32_e32 v13, v10
	v_cmp_class_f32_e64 s[10:11], v11, v21
	v_cndmask_b32_e64 v11, v12, v11, s[10:11]
	v_add_u32_e32 v12, -1, v13
	v_fma_f32 v41, -v12, v13, v10
	v_cmp_ge_f32_e64 s[10:11], 0, v41
	v_add_u32_e32 v41, 1, v13
	v_cndmask_b32_e64 v12, v13, v12, s[10:11]
	v_fma_f32 v13, -v41, v13, v10
	v_cmp_lt_f32_e64 s[10:11], 0, v13
	v_cndmask_b32_e64 v12, v12, v41, s[10:11]
	v_mul_f32_e32 v13, 0x37800000, v12
	v_cndmask_b32_e32 v12, v12, v13, vcc
	v_cmp_class_f32_e32 vcc, v10, v21
	v_cndmask_b32_e32 v10, v12, v10, vcc
	v_mul_f32_e32 v45, v11, v10
.LBB49_664:                             ;   in Loop: Header=BB49_418 Depth=1
	s_or_b64 exec, exec, s[40:41]
	s_mov_b64 s[10:11], exec
.LBB49_665:                             ;   in Loop: Header=BB49_418 Depth=1
	s_or_b64 exec, exec, s[38:39]
                                        ; implicit-def: $vgpr10
.LBB49_666:                             ;   in Loop: Header=BB49_418 Depth=1
	s_andn2_saveexec_b64 s[36:37], s[36:37]
; %bb.667:                              ;   in Loop: Header=BB49_418 Depth=1
	v_mul_f32_e32 v45, 0x4b800000, v10
	v_mul_f32_e64 v44, |v2|, s62
	s_or_b64 s[10:11], s[10:11], exec
                                        ; implicit-def: $vgpr43
; %bb.668:                              ;   in Loop: Header=BB49_418 Depth=1
	s_or_b64 exec, exec, s[36:37]
	s_xor_b64 s[10:11], s[10:11], -1
                                        ; implicit-def: $vgpr10
	s_and_saveexec_b64 s[36:37], s[10:11]
	s_xor_b64 s[36:37], exec, s[36:37]
	s_cbranch_execz .LBB49_674
; %bb.669:                              ;   in Loop: Header=BB49_418 Depth=1
                                        ; implicit-def: $vgpr10
	s_and_saveexec_b64 s[10:11], s[8:9]
	s_xor_b64 s[10:11], exec, s[10:11]
	s_cbranch_execz .LBB49_671
; %bb.670:                              ;   in Loop: Header=BB49_418 Depth=1
	v_fma_f32 v10, |v43|, -0.5, 0.5
	v_mul_f32_e32 v11, v43, v43
	v_cmp_gt_f32_e64 vcc, |v43|, 0.5
	v_cndmask_b32_e32 v10, v11, v10, vcc
	v_mov_b32_e32 v11, 0x3c5fc5da
	v_fmac_f32_e32 v11, 0x3d1c21a7, v10
	v_fma_f32 v11, v10, v11, v23
	v_fma_f32 v11, v10, v11, v24
	v_sqrt_f32_e32 v12, v10
	v_fma_f32 v11, v10, v11, v25
	v_fma_f32 v11, v10, v11, v26
	v_mul_f32_e32 v10, v10, v11
	v_fmac_f32_e32 v12, v12, v10
	v_fmac_f32_e32 v43, v43, v10
	v_add_f32_e32 v11, v12, v12
	v_sub_f32_e32 v10, 0x3fc90fdb, v43
	v_cndmask_b32_e32 v10, v10, v11, vcc
                                        ; implicit-def: $vgpr43
.LBB49_671:                             ;   in Loop: Header=BB49_418 Depth=1
	s_andn2_saveexec_b64 s[38:39], s[10:11]
	s_cbranch_execz .LBB49_673
; %bb.672:                              ;   in Loop: Header=BB49_418 Depth=1
	v_fma_f32 v10, |v43|, -0.5, 0.5
	v_mul_f32_e32 v11, v43, v43
	v_cmp_gt_f32_e64 vcc, |v43|, 0.5
	v_cndmask_b32_e32 v10, v11, v10, vcc
	v_mov_b32_e32 v11, 0x3c5fc5da
	v_fmac_f32_e32 v11, 0x3d1c21a7, v10
	v_fma_f32 v11, v10, v11, v23
	v_fma_f32 v11, v10, v11, v24
	v_sqrt_f32_e32 v12, v10
	v_fma_f32 v11, v10, v11, v25
	v_fma_f32 v11, v10, v11, v26
	v_mul_f32_e32 v10, v10, v11
	v_fmac_f32_e32 v12, v12, v10
	v_add_f32_e32 v11, v12, v12
	v_sub_f32_e32 v12, 0x40490fdb, v11
	v_cmp_lt_f32_e64 s[10:11], 0, v43
	v_fma_f32 v10, -v43, v10, -v43
	v_cndmask_b32_e64 v11, v11, v12, s[10:11]
	v_sub_f32_e32 v10, 0x3fc90fdb, v10
	v_cndmask_b32_e32 v10, v10, v11, vcc
.LBB49_673:                             ;   in Loop: Header=BB49_418 Depth=1
	s_or_b64 exec, exec, s[38:39]
                                        ; implicit-def: $vgpr44
                                        ; implicit-def: $vgpr45
.LBB49_674:                             ;   in Loop: Header=BB49_418 Depth=1
	s_andn2_saveexec_b64 s[10:11], s[36:37]
	s_cbranch_execz .LBB49_680
; %bb.675:                              ;   in Loop: Header=BB49_418 Depth=1
	v_max_f32_e64 v10, |v45|, |v45|
	v_max_f32_e32 v11, v44, v44
	v_min_f32_e32 v12, v11, v10
	v_max_f32_e32 v10, v11, v10
	v_frexp_mant_f32_e32 v11, v10
	v_rcp_f32_e32 v11, v11
	v_frexp_exp_i32_f32_e32 v10, v10
	v_frexp_exp_i32_f32_e32 v13, v12
	v_frexp_mant_f32_e32 v12, v12
	v_mul_f32_e32 v11, v12, v11
	v_sub_u32_e32 v10, v13, v10
	v_ldexp_f32 v10, v11, v10
	v_mul_f32_e32 v11, v10, v10
	v_mov_b32_e32 v12, 0xbc7a590c
	v_fmac_f32_e32 v12, 0x3b2d2a58, v11
	v_fma_f32 v12, v11, v12, v27
	v_fma_f32 v12, v11, v12, v28
	v_fma_f32 v12, v11, v12, v29
	v_fma_f32 v12, v11, v12, v30
	v_fma_f32 v12, v11, v12, v31
	v_fma_f32 v12, v11, v12, v32
	v_mul_f32_e32 v11, v11, v12
	v_fmac_f32_e32 v10, v10, v11
	v_sub_f32_e32 v11, 0x3fc90fdb, v10
	v_cmp_gt_f32_e64 vcc, |v45|, v44
	v_cndmask_b32_e32 v11, v10, v11, vcc
                                        ; implicit-def: $vgpr10
	s_and_saveexec_b64 s[36:37], s[8:9]
	s_xor_b64 s[8:9], exec, s[36:37]
; %bb.676:                              ;   in Loop: Header=BB49_418 Depth=1
	v_cmp_neq_f32_e32 vcc, 0, v45
	v_cndmask_b32_e32 v10, 0, v11, vcc
	v_cmp_eq_f32_e32 vcc, s47, v44
	v_cmp_class_f32_e64 s[36:37], v45, s63
	s_and_b64 vcc, vcc, s[36:37]
	v_cndmask_b32_e32 v10, v10, v37, vcc
	v_cmp_o_f32_e32 vcc, v45, v45
	v_cndmask_b32_e32 v10, v35, v10, vcc
	v_bfi_b32 v10, s46, v10, v45
                                        ; implicit-def: $vgpr11
                                        ; implicit-def: $vgpr44
                                        ; implicit-def: $vgpr45
; %bb.677:                              ;   in Loop: Header=BB49_418 Depth=1
	s_andn2_saveexec_b64 s[8:9], s[8:9]
	s_cbranch_execz .LBB49_679
; %bb.678:                              ;   in Loop: Header=BB49_418 Depth=1
	v_sub_f32_e32 v10, 0x40490fdb, v11
	v_cmp_lt_f32_e32 vcc, 0, v44
	v_cndmask_b32_e32 v10, v11, v10, vcc
	v_cmp_neq_f32_e32 vcc, 0, v45
	v_cndmask_b32_e32 v10, v38, v10, vcc
	v_cmp_eq_f32_e32 vcc, s47, v44
	v_cmp_class_f32_e64 s[36:37], v45, s63
	s_and_b64 vcc, vcc, s[36:37]
	v_cndmask_b32_e32 v10, v10, v39, vcc
	v_cmp_o_f32_e32 vcc, v45, v45
	v_cndmask_b32_e32 v10, v35, v10, vcc
	v_bfi_b32 v10, s46, v10, v45
.LBB49_679:                             ;   in Loop: Header=BB49_418 Depth=1
	s_or_b64 exec, exec, s[8:9]
.LBB49_680:                             ;   in Loop: Header=BB49_418 Depth=1
	s_or_b64 exec, exec, s[10:11]
	v_cndmask_b32_e64 v11, -v40, v40, s[4:5]
.LBB49_681:                             ;   in Loop: Header=BB49_418 Depth=1
	s_andn2_saveexec_b64 s[8:9], s[34:35]
	s_cbranch_execz .LBB49_683
; %bb.682:                              ;   in Loop: Header=BB49_418 Depth=1
	v_mov_b32_e32 v12, s14
	v_mov_b32_e32 v13, s15
	flat_load_dword v10, v[12:13] glc
	s_waitcnt vmcnt(0) lgkmcnt(0)
	v_sub_f32_e32 v10, v10, v2
	v_add_f32_e32 v10, 0x3fc90fdb, v10
.LBB49_683:                             ;   in Loop: Header=BB49_418 Depth=1
	s_or_b64 exec, exec, s[8:9]
.LBB49_684:                             ;   in Loop: Header=BB49_418 Depth=1
	s_andn2_saveexec_b64 s[8:9], s[30:31]
; %bb.685:                              ;   in Loop: Header=BB49_418 Depth=1
	v_mov_b32_e32 v10, 0
; %bb.686:                              ;   in Loop: Header=BB49_418 Depth=1
	s_or_b64 exec, exec, s[8:9]
                                        ; implicit-def: $vgpr40
                                        ; implicit-def: $vgpr13
                                        ; implicit-def: $vgpr12
.LBB49_687:                             ;   in Loop: Header=BB49_418 Depth=1
	s_andn2_saveexec_b64 s[28:29], s[28:29]
	s_cbranch_execz .LBB49_697
; %bb.688:                              ;   in Loop: Header=BB49_418 Depth=1
	v_cmp_lt_f32_e64 s[8:9], |v2|, |v3|
	v_cndmask_b32_e64 v41, |v2|, |v3|, s[8:9]
	v_cmp_nlt_f32_e32 vcc, s64, v41
                                        ; implicit-def: $vgpr11
                                        ; implicit-def: $vgpr10
	s_and_saveexec_b64 s[10:11], vcc
	s_xor_b64 s[30:31], exec, s[10:11]
	s_cbranch_execz .LBB49_694
; %bb.689:                              ;   in Loop: Header=BB49_418 Depth=1
	v_cndmask_b32_e64 v42, |v3|, |v2|, s[8:9]
	v_cmp_nlt_f32_e32 vcc, s65, v41
	v_cmp_ngt_f32_e64 s[10:11], s66, v42
	s_and_b64 s[10:11], vcc, s[10:11]
                                        ; implicit-def: $vgpr11
                                        ; implicit-def: $vgpr10
	s_and_saveexec_b64 s[34:35], s[10:11]
	s_xor_b64 s[10:11], exec, s[34:35]
	s_cbranch_execz .LBB49_691
; %bb.690:                              ;   in Loop: Header=BB49_418 Depth=1
	v_mul_f32_e32 v10, v42, v42
	v_fmac_f32_e32 v10, v41, v41
	v_cmp_gt_f32_e32 vcc, s51, v10
	v_cndmask_b32_e64 v11, 0, 32, vcc
	v_ldexp_f32 v10, v10, v11
	v_log_f32_e32 v10, v10
	v_cndmask_b32_e32 v11, 0, v34, vcc
	v_mul_f32_e32 v41, 0x3f317217, v10
	v_fma_f32 v41, v10, s52, -v41
	v_fmac_f32_e32 v41, 0x3377d1cf, v10
	v_fmac_f32_e32 v41, 0x3f317217, v10
	v_cmp_lt_f32_e64 vcc, |v10|, s47
	v_cndmask_b32_e32 v10, v10, v41, vcc
	v_sub_f32_e32 v10, v10, v11
	v_mul_f32_e32 v11, 0.5, v10
	v_min_f32_e32 v10, v40, v13
	v_frexp_mant_f32_e32 v13, v12
	v_rcp_f32_e32 v13, v13
	v_frexp_exp_i32_f32_e32 v12, v12
	v_frexp_exp_i32_f32_e32 v40, v10
	v_frexp_mant_f32_e32 v10, v10
	v_mul_f32_e32 v10, v10, v13
	v_sub_u32_e32 v12, v40, v12
	v_ldexp_f32 v10, v10, v12
	v_mul_f32_e32 v12, v10, v10
	v_mov_b32_e32 v13, 0xbc7a590c
	v_fmac_f32_e32 v13, 0x3b2d2a58, v12
	v_fma_f32 v13, v12, v13, v27
	v_fma_f32 v13, v12, v13, v28
	;; [unrolled: 1-line block ×6, first 2 shown]
	v_mul_f32_e32 v12, v12, v13
	v_fmac_f32_e32 v10, v10, v12
                                        ; implicit-def: $vgpr12
                                        ; implicit-def: $vgpr40
                                        ; implicit-def: $vgpr13
.LBB49_691:                             ;   in Loop: Header=BB49_418 Depth=1
	s_andn2_saveexec_b64 s[10:11], s[10:11]
	s_cbranch_execz .LBB49_693
; %bb.692:                              ;   in Loop: Header=BB49_418 Depth=1
	v_cvt_f64_f32_e32 v[10:11], v12
	v_cmp_neq_f32_e32 vcc, s47, v12
	v_mov_b32_e32 v41, 0xbc7a590c
	v_frexp_exp_i32_f64_e32 v10, v[10:11]
	v_min_f32_e32 v11, v40, v13
	v_frexp_exp_i32_f32_e32 v13, v12
	v_frexp_mant_f32_e32 v40, v12
	v_rcp_f32_e32 v40, v40
	v_frexp_exp_i32_f32_e32 v42, v11
	v_frexp_mant_f32_e32 v11, v11
	v_sub_u32_e32 v13, v42, v13
	v_sub_u32_e32 v43, 0, v10
	v_ldexp_f32 v44, |v2|, v43
	v_ldexp_f32 v43, |v3|, v43
	v_mul_f32_e32 v43, v43, v43
	v_fmac_f32_e32 v43, v44, v44
	v_sqrt_f32_e32 v43, v43
	v_mul_f32_e32 v11, v11, v40
	v_ldexp_f32 v10, v43, v10
	v_cndmask_b32_e32 v10, v33, v10, vcc
	v_cmp_gt_f32_e32 vcc, s51, v10
	v_cndmask_b32_e64 v12, 0, 32, vcc
	v_ldexp_f32 v10, v10, v12
	v_log_f32_e32 v12, v10
	v_ldexp_f32 v10, v11, v13
	v_mul_f32_e32 v13, v10, v10
	v_cndmask_b32_e32 v11, 0, v34, vcc
	v_mul_f32_e32 v40, 0x3f317217, v12
	v_fma_f32 v40, v12, s52, -v40
	v_fmac_f32_e32 v40, 0x3377d1cf, v12
	v_fmac_f32_e32 v40, 0x3f317217, v12
	v_cmp_lt_f32_e64 vcc, |v12|, s47
	v_cndmask_b32_e32 v12, v12, v40, vcc
	v_fmac_f32_e32 v41, 0x3b2d2a58, v13
	v_sub_f32_e32 v11, v12, v11
	v_fma_f32 v12, v13, v41, v27
	v_fma_f32 v12, v13, v12, v28
	;; [unrolled: 1-line block ×6, first 2 shown]
	v_mul_f32_e32 v12, v13, v12
	v_fmac_f32_e32 v10, v10, v12
.LBB49_693:                             ;   in Loop: Header=BB49_418 Depth=1
	s_or_b64 exec, exec, s[10:11]
                                        ; implicit-def: $vgpr40
                                        ; implicit-def: $vgpr13
                                        ; implicit-def: $vgpr12
.LBB49_694:                             ;   in Loop: Header=BB49_418 Depth=1
	s_andn2_saveexec_b64 s[30:31], s[30:31]
	s_cbranch_execz .LBB49_696
; %bb.695:                              ;   in Loop: Header=BB49_418 Depth=1
	v_div_scale_f32 v10, s[10:11], s67, s67, v2
	v_div_scale_f32 v11, s[10:11], s67, s67, v3
	v_div_scale_f32 v41, vcc, v2, s67, v2
	v_div_scale_f32 v42, s[10:11], v3, s67, v3
	v_min_f32_e32 v13, v40, v13
	v_frexp_exp_i32_f32_e32 v40, v12
	v_frexp_mant_f32_e32 v12, v12
	v_rcp_f32_e32 v12, v12
	v_rcp_f32_e32 v43, v10
	;; [unrolled: 1-line block ×3, first 2 shown]
	v_fma_f32 v45, -v10, v43, 1.0
	v_fmac_f32_e32 v43, v45, v43
	v_fma_f32 v46, -v11, v44, 1.0
	v_fmac_f32_e32 v44, v46, v44
	v_mul_f32_e32 v45, v41, v43
	v_mul_f32_e32 v46, v42, v44
	v_fma_f32 v47, -v10, v45, v41
	v_fma_f32 v48, -v11, v46, v42
	v_fmac_f32_e32 v45, v47, v43
	v_fmac_f32_e32 v46, v48, v44
	v_fma_f32 v10, -v10, v45, v41
	v_fma_f32 v11, -v11, v46, v42
	v_div_fmas_f32 v10, v10, v43, v45
	s_mov_b64 vcc, s[10:11]
	v_div_fmas_f32 v11, v11, v44, v46
	v_frexp_exp_i32_f32_e32 v45, v13
	v_frexp_mant_f32_e32 v13, v13
	v_mul_f32_e32 v12, v13, v12
	v_mov_b32_e32 v41, 0xbc7a590c
	v_div_fixup_f32 v42, v10, s67, v2
	v_div_fixup_f32 v43, v11, s67, v3
	v_max_f32_e64 v44, |v42|, |v43|
	v_cvt_f64_f32_e32 v[10:11], v44
	v_cmp_neq_f32_e32 vcc, s47, v44
	v_frexp_exp_i32_f64_e32 v11, v[10:11]
	v_sub_u32_e32 v10, v45, v40
	v_ldexp_f32 v10, v12, v10
	v_mul_f32_e32 v12, v10, v10
	v_fmac_f32_e32 v41, 0x3b2d2a58, v12
	v_fma_f32 v13, v12, v41, v27
	v_fma_f32 v13, v12, v13, v28
	;; [unrolled: 1-line block ×3, first 2 shown]
	v_sub_u32_e32 v40, 0, v11
	v_ldexp_f32 v41, |v42|, v40
	v_ldexp_f32 v40, |v43|, v40
	v_mul_f32_e32 v40, v40, v40
	v_fmac_f32_e32 v40, v41, v41
	v_sqrt_f32_e32 v40, v40
	v_fma_f32 v13, v12, v13, v30
	v_fma_f32 v13, v12, v13, v31
	;; [unrolled: 1-line block ×3, first 2 shown]
	v_ldexp_f32 v11, v40, v11
	v_cndmask_b32_e32 v11, v33, v11, vcc
	v_cmp_gt_f32_e32 vcc, s51, v11
	v_cndmask_b32_e64 v40, 0, 32, vcc
	v_ldexp_f32 v11, v11, v40
	v_log_f32_e32 v11, v11
	v_mul_f32_e32 v12, v12, v13
	v_cndmask_b32_e32 v13, 0, v34, vcc
	v_fmac_f32_e32 v10, v10, v12
	v_mul_f32_e32 v40, 0x3f317217, v11
	v_fma_f32 v40, v11, s52, -v40
	v_fmac_f32_e32 v40, 0x3377d1cf, v11
	v_fmac_f32_e32 v40, 0x3f317217, v11
	v_cmp_lt_f32_e64 vcc, |v11|, s47
	v_cndmask_b32_e32 v11, v11, v40, vcc
	v_sub_f32_e32 v11, v11, v13
	v_add_f32_e32 v11, 1.0, v11
.LBB49_696:                             ;   in Loop: Header=BB49_418 Depth=1
	s_or_b64 exec, exec, s[30:31]
	v_sub_f32_e32 v12, 0x3fc90fdb, v10
	v_cndmask_b32_e64 v10, v10, v12, s[8:9]
	v_sub_f32_e32 v12, 0x40490fdb, v10
	v_cmp_gt_f32_e32 vcc, 0, v2
	v_cndmask_b32_e32 v10, v10, v12, vcc
	v_cndmask_b32_e64 v12, 0, v38, s[6:7]
	v_cndmask_b32_e32 v13, v37, v39, vcc
	v_cmp_class_f32_e64 s[6:7], v2, s63
	v_cmp_class_f32_e64 s[8:9], v3, s63
	v_cmp_eq_f32_e32 vcc, 0, v3
	v_cndmask_b32_e64 v10, |v10|, v12, vcc
	s_and_b64 vcc, s[6:7], s[8:9]
	v_add_f32_e32 v11, 0x3f317218, v11
	v_cndmask_b32_e32 v10, v10, v13, vcc
	v_cndmask_b32_e64 v11, -v11, v11, s[4:5]
.LBB49_697:                             ;   in Loop: Header=BB49_418 Depth=1
	s_or_b64 exec, exec, s[28:29]
.LBB49_698:                             ;   in Loop: Header=BB49_418 Depth=1
	s_andn2_saveexec_b64 s[4:5], s[26:27]
	s_cbranch_execz .LBB49_712
; %bb.699:                              ;   in Loop: Header=BB49_418 Depth=1
	v_cmp_neq_f32_e64 s[6:7], |v2|, s47
                                        ; implicit-def: $vgpr11
	s_and_saveexec_b64 s[8:9], s[6:7]
	s_xor_b64 s[6:7], exec, s[8:9]
	s_cbranch_execz .LBB49_709
; %bb.700:                              ;   in Loop: Header=BB49_418 Depth=1
	v_cmp_neq_f32_e64 s[8:9], |v3|, s47
	v_xor_b32_e32 v11, 0x80000000, v3
	s_and_saveexec_b64 s[10:11], s[8:9]
	s_xor_b64 s[8:9], exec, s[10:11]
	s_cbranch_execz .LBB49_706
; %bb.701:                              ;   in Loop: Header=BB49_418 Depth=1
	v_cmp_neq_f32_e32 vcc, 0, v2
                                        ; implicit-def: $vgpr11
	s_and_saveexec_b64 s[10:11], vcc
	s_xor_b64 s[10:11], exec, s[10:11]
; %bb.702:                              ;   in Loop: Header=BB49_418 Depth=1
	v_add_f32_e32 v10, 0, v3
	v_add_f32_e32 v11, v2, v10
; %bb.703:                              ;   in Loop: Header=BB49_418 Depth=1
	s_or_saveexec_b64 s[10:11], s[10:11]
	v_mov_b32_e32 v10, v11
	s_xor_b64 exec, exec, s[10:11]
	s_cbranch_execz .LBB49_705
; %bb.704:                              ;   in Loop: Header=BB49_418 Depth=1
	v_mov_b32_e32 v10, s14
	v_mov_b32_e32 v11, s15
	flat_load_dword v10, v[10:11] glc
	s_waitcnt vmcnt(0)
	v_add_f32_e32 v11, v3, v3
	s_waitcnt lgkmcnt(0)
	v_add_f32_e32 v10, 0x3fc90fdb, v10
.LBB49_705:                             ;   in Loop: Header=BB49_418 Depth=1
	s_or_b64 exec, exec, s[10:11]
.LBB49_706:                             ;   in Loop: Header=BB49_418 Depth=1
	s_andn2_saveexec_b64 s[8:9], s[8:9]
; %bb.707:                              ;   in Loop: Header=BB49_418 Depth=1
	v_add_f32_e32 v10, v2, v2
; %bb.708:                              ;   in Loop: Header=BB49_418 Depth=1
	s_or_b64 exec, exec, s[8:9]
.LBB49_709:                             ;   in Loop: Header=BB49_418 Depth=1
	s_andn2_saveexec_b64 s[6:7], s[6:7]
; %bb.710:                              ;   in Loop: Header=BB49_418 Depth=1
	v_add_f32_e32 v10, v3, v3
	v_mov_b32_e32 v11, 0xff800000
; %bb.711:                              ;   in Loop: Header=BB49_418 Depth=1
	s_or_b64 exec, exec, s[6:7]
.LBB49_712:                             ;   in Loop: Header=BB49_418 Depth=1
	s_or_b64 exec, exec, s[4:5]
	v_mov_b32_e32 v2, s14
	v_mov_b32_e32 v3, s15
	v_cmp_o_f32_e32 vcc, v4, v5
	flat_store_dword v[2:3], v19
	s_waitcnt vmcnt(0)
	s_and_saveexec_b64 s[4:5], vcc
	s_xor_b64 s[26:27], exec, s[4:5]
	s_cbranch_execz .LBB49_796
; %bb.713:                              ;   in Loop: Header=BB49_418 Depth=1
	v_max_f32_e64 v40, |v5|, |v5|
	v_max_f32_e64 v3, |v4|, |v4|
	v_max_f32_e32 v2, v3, v40
	v_cmp_gt_i32_e64 s[6:7], 0, v4
	v_cmp_lt_i32_e64 s[8:9], -1, v4
	v_cmp_gt_i32_e64 s[4:5], 0, v5
	v_cmp_nlt_f32_e32 vcc, s23, v2
	s_and_saveexec_b64 s[10:11], vcc
	s_xor_b64 s[28:29], exec, s[10:11]
	s_cbranch_execz .LBB49_785
; %bb.714:                              ;   in Loop: Header=BB49_418 Depth=1
	v_cmp_neq_f32_e32 vcc, 1.0, v4
	v_cmp_neq_f32_e64 s[10:11], 0, v5
	s_or_b64 s[10:11], vcc, s[10:11]
	v_xor_b32_e32 v13, 0x80000000, v5
	s_and_saveexec_b64 s[30:31], s[10:11]
	s_xor_b64 s[30:31], exec, s[30:31]
	s_cbranch_execz .LBB49_782
; %bb.715:                              ;   in Loop: Header=BB49_418 Depth=1
	v_mov_b32_e32 v2, s18
	v_mov_b32_e32 v3, s19
	flat_store_dword v[2:3], v20
	s_waitcnt vmcnt(0)
	flat_load_dword v2, v[2:3] glc
	s_waitcnt vmcnt(0)
	v_cmp_nlt_f32_e64 s[10:11], |v4|, s33
	v_cmp_nlt_f32_e64 s[34:35], |v5|, s33
	s_or_b64 s[10:11], s[10:11], s[34:35]
	v_xor_b32_e32 v13, 0x80000000, v5
	s_waitcnt lgkmcnt(0)
	v_add_f32_e32 v12, 1.0, v2
	v_mov_b32_e32 v2, s20
	v_mov_b32_e32 v3, s21
	flat_store_dword v[2:3], v12
	s_waitcnt vmcnt(0)
	flat_load_dword v2, v[2:3] glc
	s_waitcnt vmcnt(0)
	s_and_saveexec_b64 s[34:35], s[10:11]
	s_xor_b64 s[34:35], exec, s[34:35]
	s_cbranch_execz .LBB49_779
; %bb.716:                              ;   in Loop: Header=BB49_418 Depth=1
	v_add_f32_e64 v3, |v4|, 1.0
	v_max_f32_e32 v42, v40, v3
	s_waitcnt lgkmcnt(0)
	v_add_f32_e64 v2, |v4|, -1.0
	v_cvt_f64_f32_e32 v[12:13], v42
	v_max_f32_e64 v43, v40, |v2|
	v_cvt_f64_f32_e32 v[40:41], v43
	v_cmp_neq_f32_e32 vcc, s47, v42
	v_frexp_exp_i32_f64_e32 v12, v[12:13]
	v_frexp_exp_i32_f64_e32 v13, v[40:41]
	v_sub_u32_e32 v40, 0, v12
	v_ldexp_f32 v44, |v5|, v40
	v_sub_u32_e32 v41, 0, v13
	v_ldexp_f32 v40, v3, v40
	v_ldexp_f32 v45, |v5|, v41
	v_ldexp_f32 v41, |v2|, v41
	v_mul_f32_e32 v40, v40, v40
	v_mul_f32_e32 v41, v41, v41
	v_fmac_f32_e32 v40, v44, v44
	v_fmac_f32_e32 v41, v45, v45
	v_sqrt_f32_e32 v40, v40
	v_sqrt_f32_e32 v41, v41
	v_ldexp_f32 v12, v40, v12
	v_ldexp_f32 v13, v41, v13
	v_cndmask_b32_e32 v42, v33, v12, vcc
	v_cmp_neq_f32_e32 vcc, s47, v43
	v_cndmask_b32_e32 v13, v33, v13, vcc
	v_add_f32_e32 v12, v42, v13
	v_mul_f32_e32 v12, 0.5, v12
	v_cmp_ngt_f32_e32 vcc, 1.0, v12
	v_cndmask_b32_e32 v12, 1.0, v12, vcc
	v_cmp_ngt_f32_e32 vcc, s48, v12
                                        ; implicit-def: $vgpr40
	s_and_saveexec_b64 s[10:11], vcc
	s_xor_b64 s[36:37], exec, s[10:11]
	s_cbranch_execz .LBB49_718
; %bb.717:                              ;   in Loop: Header=BB49_418 Depth=1
	v_fma_f32 v40, v12, v12, -1.0
	v_mul_f32_e32 v41, 0x4f800000, v40
	v_cmp_gt_f32_e32 vcc, s49, v40
	v_cndmask_b32_e32 v40, v40, v41, vcc
	v_sqrt_f32_e32 v41, v40
	v_add_u32_e32 v43, -1, v41
	v_fma_f32 v45, -v43, v41, v40
	v_add_u32_e32 v44, 1, v41
	v_cmp_ge_f32_e64 s[10:11], 0, v45
	v_cndmask_b32_e64 v43, v41, v43, s[10:11]
	v_fma_f32 v41, -v44, v41, v40
	v_cmp_lt_f32_e64 s[10:11], 0, v41
	v_cndmask_b32_e64 v41, v43, v44, s[10:11]
	v_mul_f32_e32 v43, 0x37800000, v41
	v_cndmask_b32_e32 v41, v41, v43, vcc
	v_cmp_class_f32_e32 vcc, v40, v21
	v_cndmask_b32_e32 v40, v41, v40, vcc
	v_add_f32_e32 v40, v12, v40
	v_cmp_gt_f32_e32 vcc, s51, v40
	v_cndmask_b32_e64 v41, 0, 32, vcc
	v_ldexp_f32 v40, v40, v41
	v_log_f32_e32 v40, v40
	v_mul_f32_e32 v41, 0x3f317217, v40
	v_fma_f32 v41, v40, s52, -v41
	v_fmac_f32_e32 v41, 0x3377d1cf, v40
	v_fmac_f32_e32 v41, 0x3f317217, v40
	v_cmp_lt_f32_e64 s[10:11], |v40|, s47
	v_cndmask_b32_e64 v40, v40, v41, s[10:11]
	v_cndmask_b32_e32 v41, 0, v34, vcc
	v_sub_f32_e32 v40, v40, v41
.LBB49_718:                             ;   in Loop: Header=BB49_418 Depth=1
	s_or_saveexec_b64 s[36:37], s[36:37]
	v_and_b32_e32 v41, 0x7fffffff, v5
	s_xor_b64 exec, exec, s[36:37]
	s_cbranch_execz .LBB49_740
; %bb.719:                              ;   in Loop: Header=BB49_418 Depth=1
	v_cmp_neq_f32_e64 s[10:11], |v4|, 1.0
	v_cmp_nlt_f32_e64 s[38:39], |v5|, s53
	s_or_b64 s[10:11], s[10:11], s[38:39]
                                        ; implicit-def: $vgpr40
	s_and_saveexec_b64 s[38:39], s[10:11]
	s_xor_b64 s[38:39], exec, s[38:39]
	s_cbranch_execz .LBB49_737
; %bb.720:                              ;   in Loop: Header=BB49_418 Depth=1
	v_mul_f32_e64 v40, |v2|, s54
	v_cmp_ge_f32_e64 s[10:11], |v5|, v40
                                        ; implicit-def: $vgpr40
	s_and_saveexec_b64 s[40:41], s[10:11]
	s_xor_b64 s[40:41], exec, s[40:41]
	s_cbranch_execz .LBB49_730
; %bb.721:                              ;   in Loop: Header=BB49_418 Depth=1
	v_cmp_neq_f32_e32 vcc, 0, v3
	v_mov_b32_e32 v40, v41
	s_and_saveexec_b64 s[10:11], vcc
	s_cbranch_execz .LBB49_723
; %bb.722:                              ;   in Loop: Header=BB49_418 Depth=1
	v_mul_f32_e32 v40, v5, v5
	v_add_f32_e32 v43, v3, v42
	v_div_scale_f32 v44, s[42:43], v43, v43, v40
	v_div_scale_f32 v45, vcc, v40, v43, v40
	v_rcp_f32_e32 v46, v44
	v_fma_f32 v47, -v44, v46, 1.0
	v_fmac_f32_e32 v46, v47, v46
	v_mul_f32_e32 v47, v45, v46
	v_fma_f32 v48, -v44, v47, v45
	v_fmac_f32_e32 v47, v48, v46
	v_fma_f32 v44, -v44, v47, v45
	v_div_fmas_f32 v44, v44, v46, v47
	v_div_fixup_f32 v40, v44, v43, v40
.LBB49_723:                             ;   in Loop: Header=BB49_418 Depth=1
	s_or_b64 exec, exec, s[10:11]
	v_sub_f32_e64 v44, 1.0, |v4|
	v_cmp_ngt_f32_e32 vcc, 0, v44
                                        ; implicit-def: $vgpr43
	s_and_saveexec_b64 s[10:11], vcc
	s_xor_b64 s[10:11], exec, s[10:11]
	s_cbranch_execz .LBB49_727
; %bb.724:                              ;   in Loop: Header=BB49_418 Depth=1
	v_cmp_neq_f32_e32 vcc, 0, v44
	v_mov_b32_e32 v43, v41
	s_and_saveexec_b64 s[42:43], vcc
	s_cbranch_execz .LBB49_726
; %bb.725:                              ;   in Loop: Header=BB49_418 Depth=1
	v_mul_f32_e32 v43, v5, v5
	v_add_f32_e32 v44, v44, v13
	v_div_scale_f32 v45, s[44:45], v44, v44, v43
	v_div_scale_f32 v46, vcc, v43, v44, v43
	v_rcp_f32_e32 v47, v45
	v_fma_f32 v48, -v45, v47, 1.0
	v_fmac_f32_e32 v47, v48, v47
	v_mul_f32_e32 v48, v46, v47
	v_fma_f32 v49, -v45, v48, v46
	v_fmac_f32_e32 v48, v49, v47
	v_fma_f32 v45, -v45, v48, v46
	v_div_fmas_f32 v45, v45, v47, v48
	v_div_fixup_f32 v43, v45, v44, v43
.LBB49_726:                             ;   in Loop: Header=BB49_418 Depth=1
	s_or_b64 exec, exec, s[42:43]
                                        ; implicit-def: $vgpr44
.LBB49_727:                             ;   in Loop: Header=BB49_418 Depth=1
	s_andn2_saveexec_b64 s[10:11], s[10:11]
; %bb.728:                              ;   in Loop: Header=BB49_418 Depth=1
	v_sub_f32_e32 v43, v13, v44
; %bb.729:                              ;   in Loop: Header=BB49_418 Depth=1
	s_or_b64 exec, exec, s[10:11]
	v_mul_f32_e32 v43, 0.5, v43
	v_fmac_f32_e32 v43, 0.5, v40
	v_add_f32_e32 v40, 1.0, v12
	v_mul_f32_e32 v40, v40, v43
	v_mul_f32_e32 v44, 0x4f800000, v40
	v_cmp_gt_f32_e32 vcc, s49, v40
	v_cndmask_b32_e32 v40, v40, v44, vcc
	v_sqrt_f32_e32 v44, v40
	v_add_u32_e32 v45, -1, v44
	v_fma_f32 v46, -v45, v44, v40
	v_cmp_ge_f32_e64 s[10:11], 0, v46
	v_add_u32_e32 v46, 1, v44
	v_cndmask_b32_e64 v45, v44, v45, s[10:11]
	v_fma_f32 v44, -v46, v44, v40
	v_cmp_lt_f32_e64 s[10:11], 0, v44
	v_cndmask_b32_e64 v44, v45, v46, s[10:11]
	v_mul_f32_e32 v45, 0x37800000, v44
	v_cndmask_b32_e32 v44, v44, v45, vcc
	v_cmp_class_f32_e32 vcc, v40, v21
	v_cndmask_b32_e32 v40, v44, v40, vcc
	v_add_f32_e32 v40, v43, v40
	v_add_f32_e32 v45, 1.0, v40
	v_cvt_f64_f32_e32 v[43:44], v45
	v_add_f32_e32 v46, -1.0, v45
	v_frexp_exp_i32_f64_e32 v43, v[43:44]
	v_sub_f32_e32 v44, v46, v45
	v_add_f32_e32 v44, 1.0, v44
	v_sub_f32_e32 v46, v40, v46
	v_add_f32_e32 v44, v46, v44
	v_frexp_mant_f32_e32 v46, v45
	v_cmp_gt_f32_e32 vcc, s55, v46
	v_subbrev_co_u32_e32 v43, vcc, 0, v43, vcc
	v_sub_u32_e32 v46, 0, v43
	v_ldexp_f32 v45, v45, v46
	v_ldexp_f32 v44, v44, v46
	v_add_f32_e32 v46, -1.0, v45
	v_add_f32_e32 v49, 1.0, v45
	v_add_f32_e32 v47, 1.0, v46
	v_add_f32_e32 v50, -1.0, v49
	v_sub_f32_e32 v47, v45, v47
	v_sub_f32_e32 v45, v45, v50
	v_add_f32_e32 v47, v44, v47
	v_add_f32_e32 v44, v44, v45
	;; [unrolled: 1-line block ×3, first 2 shown]
	v_rcp_f32_e32 v50, v45
	v_add_f32_e32 v48, v46, v47
	v_sub_f32_e32 v46, v48, v46
	v_sub_f32_e32 v46, v47, v46
	;; [unrolled: 1-line block ×4, first 2 shown]
	v_mul_f32_e32 v47, v48, v50
	v_mul_f32_e32 v49, v45, v47
	v_fma_f32 v51, v47, v45, -v49
	v_fmac_f32_e32 v51, v47, v44
	v_add_f32_e32 v52, v49, v51
	v_sub_f32_e32 v53, v48, v52
	v_sub_f32_e32 v48, v48, v53
	;; [unrolled: 1-line block ×4, first 2 shown]
	v_add_f32_e32 v46, v46, v48
	v_sub_f32_e32 v48, v49, v51
	v_add_f32_e32 v46, v48, v46
	v_add_f32_e32 v48, v53, v46
	v_mul_f32_e32 v49, v50, v48
	v_mul_f32_e32 v51, v45, v49
	v_fma_f32 v45, v49, v45, -v51
	v_fmac_f32_e32 v45, v49, v44
	v_sub_f32_e32 v44, v53, v48
	v_add_f32_e32 v44, v46, v44
	v_add_f32_e32 v46, v51, v45
	v_sub_f32_e32 v52, v48, v46
	v_sub_f32_e32 v48, v48, v52
	;; [unrolled: 1-line block ×4, first 2 shown]
	v_add_f32_e32 v44, v44, v46
	v_sub_f32_e32 v45, v51, v45
	v_cvt_f32_i32_e32 v43, v43
	v_add_f32_e32 v44, v45, v44
	v_add_f32_e32 v45, v47, v49
	v_add_f32_e32 v44, v52, v44
	v_sub_f32_e32 v46, v45, v47
	v_mul_f32_e32 v44, v50, v44
	v_sub_f32_e32 v46, v49, v46
	v_add_f32_e32 v44, v46, v44
	v_mul_f32_e32 v49, 0x3f317218, v43
	v_add_f32_e32 v46, v45, v44
	v_fma_f32 v50, v43, s56, -v49
	v_mul_f32_e32 v47, v46, v46
	v_mov_b32_e32 v48, 0x3ecc95a3
	v_fmac_f32_e32 v50, 0xb102e308, v43
	v_sub_f32_e32 v43, v46, v45
	v_fmac_f32_e32 v48, 0x3e9b6dac, v47
	v_sub_f32_e32 v43, v44, v43
	v_add_f32_e32 v44, v49, v50
	v_fma_f32 v48, v47, v48, v22
	v_sub_f32_e32 v45, v44, v49
	v_ldexp_f32 v49, v46, 1
	v_mul_f32_e32 v46, v46, v47
	v_mul_f32_e32 v46, v46, v48
	v_add_f32_e32 v47, v49, v46
	v_sub_f32_e32 v48, v47, v49
	v_ldexp_f32 v43, v43, 1
	v_sub_f32_e32 v46, v46, v48
	v_add_f32_e32 v43, v43, v46
	v_add_f32_e32 v46, v47, v43
	v_sub_f32_e32 v47, v46, v47
	v_sub_f32_e32 v43, v43, v47
	v_add_f32_e32 v47, v44, v46
	v_sub_f32_e32 v48, v47, v44
	v_sub_f32_e32 v49, v47, v48
	;; [unrolled: 1-line block ×5, first 2 shown]
	v_add_f32_e32 v44, v46, v44
	v_add_f32_e32 v46, v45, v43
	v_sub_f32_e32 v48, v46, v45
	v_sub_f32_e32 v49, v46, v48
	v_sub_f32_e32 v45, v45, v49
	v_sub_f32_e32 v43, v43, v48
	v_add_f32_e32 v44, v46, v44
	v_add_f32_e32 v43, v43, v45
	;; [unrolled: 1-line block ×3, first 2 shown]
	v_sub_f32_e32 v46, v45, v47
	v_sub_f32_e32 v44, v44, v46
	v_add_f32_e32 v43, v43, v44
	v_add_f32_e32 v43, v45, v43
	v_cmp_neq_f32_e32 vcc, s47, v40
	v_cndmask_b32_e32 v43, v33, v43, vcc
	v_cmp_ngt_f32_e32 vcc, -1.0, v40
	v_cndmask_b32_e32 v43, v35, v43, vcc
	v_cmp_neq_f32_e32 vcc, -1.0, v40
	v_cndmask_b32_e32 v43, v36, v43, vcc
	v_cmp_lt_f32_e64 vcc, |v40|, s57
	v_cndmask_b32_e32 v40, v43, v40, vcc
.LBB49_730:                             ;   in Loop: Header=BB49_418 Depth=1
	s_andn2_saveexec_b64 s[40:41], s[40:41]
	s_cbranch_execz .LBB49_736
; %bb.731:                              ;   in Loop: Header=BB49_418 Depth=1
	v_cmp_nlt_f32_e64 s[10:11], |v4|, 1.0
                                        ; implicit-def: $vgpr40
	s_and_saveexec_b64 s[42:43], s[10:11]
	s_xor_b64 s[42:43], exec, s[42:43]
	s_cbranch_execz .LBB49_733
; %bb.732:                              ;   in Loop: Header=BB49_418 Depth=1
	v_mul_f32_e32 v40, v2, v3
	v_mul_f32_e32 v43, 0x4f800000, v40
	v_cmp_gt_f32_e32 vcc, s49, v40
	v_cndmask_b32_e32 v40, v40, v43, vcc
	v_sqrt_f32_e32 v43, v40
	v_add_u32_e32 v44, -1, v43
	v_fma_f32 v46, -v44, v43, v40
	v_add_u32_e32 v45, 1, v43
	v_cmp_ge_f32_e64 s[10:11], 0, v46
	v_cndmask_b32_e64 v44, v43, v44, s[10:11]
	v_fma_f32 v43, -v45, v43, v40
	v_cmp_lt_f32_e64 s[10:11], 0, v43
	v_cndmask_b32_e64 v43, v44, v45, s[10:11]
	v_mul_f32_e32 v44, 0x37800000, v43
	v_cndmask_b32_e32 v43, v43, v44, vcc
	v_cmp_class_f32_e32 vcc, v40, v21
	v_cndmask_b32_e32 v40, v43, v40, vcc
	v_add_f32_e32 v40, v2, v40
	v_add_f32_e32 v45, 1.0, v40
	v_cvt_f64_f32_e32 v[43:44], v45
	v_add_f32_e32 v46, -1.0, v45
	v_frexp_exp_i32_f64_e32 v43, v[43:44]
	v_sub_f32_e32 v44, v46, v45
	v_add_f32_e32 v44, 1.0, v44
	v_sub_f32_e32 v46, v40, v46
	v_add_f32_e32 v44, v46, v44
	v_frexp_mant_f32_e32 v46, v45
	v_cmp_gt_f32_e32 vcc, s55, v46
	v_subbrev_co_u32_e32 v43, vcc, 0, v43, vcc
	v_sub_u32_e32 v46, 0, v43
	v_ldexp_f32 v45, v45, v46
	v_ldexp_f32 v44, v44, v46
	v_add_f32_e32 v46, -1.0, v45
	v_add_f32_e32 v49, 1.0, v45
	v_add_f32_e32 v47, 1.0, v46
	v_add_f32_e32 v50, -1.0, v49
	v_sub_f32_e32 v47, v45, v47
	v_sub_f32_e32 v45, v45, v50
	v_add_f32_e32 v47, v44, v47
	v_add_f32_e32 v44, v44, v45
	;; [unrolled: 1-line block ×3, first 2 shown]
	v_rcp_f32_e32 v50, v45
	v_add_f32_e32 v48, v46, v47
	v_sub_f32_e32 v46, v48, v46
	v_sub_f32_e32 v46, v47, v46
	;; [unrolled: 1-line block ×4, first 2 shown]
	v_mul_f32_e32 v47, v48, v50
	v_mul_f32_e32 v49, v45, v47
	v_fma_f32 v51, v47, v45, -v49
	v_fmac_f32_e32 v51, v47, v44
	v_add_f32_e32 v52, v49, v51
	v_sub_f32_e32 v53, v48, v52
	v_sub_f32_e32 v48, v48, v53
	;; [unrolled: 1-line block ×4, first 2 shown]
	v_add_f32_e32 v46, v46, v48
	v_sub_f32_e32 v48, v49, v51
	v_add_f32_e32 v46, v48, v46
	v_add_f32_e32 v48, v53, v46
	v_mul_f32_e32 v49, v50, v48
	v_mul_f32_e32 v51, v45, v49
	v_fma_f32 v45, v49, v45, -v51
	v_fmac_f32_e32 v45, v49, v44
	v_sub_f32_e32 v44, v53, v48
	v_add_f32_e32 v44, v46, v44
	v_add_f32_e32 v46, v51, v45
	v_sub_f32_e32 v52, v48, v46
	v_sub_f32_e32 v48, v48, v52
	;; [unrolled: 1-line block ×4, first 2 shown]
	v_add_f32_e32 v44, v44, v46
	v_sub_f32_e32 v45, v51, v45
	v_cvt_f32_i32_e32 v43, v43
	v_add_f32_e32 v44, v45, v44
	v_add_f32_e32 v45, v47, v49
	;; [unrolled: 1-line block ×3, first 2 shown]
	v_sub_f32_e32 v46, v45, v47
	v_mul_f32_e32 v44, v50, v44
	v_sub_f32_e32 v46, v49, v46
	v_add_f32_e32 v44, v46, v44
	v_mul_f32_e32 v49, 0x3f317218, v43
	v_add_f32_e32 v46, v45, v44
	v_fma_f32 v50, v43, s56, -v49
	v_mul_f32_e32 v47, v46, v46
	v_mov_b32_e32 v48, 0x3ecc95a3
	v_fmac_f32_e32 v50, 0xb102e308, v43
	v_sub_f32_e32 v43, v46, v45
	v_fmac_f32_e32 v48, 0x3e9b6dac, v47
	v_sub_f32_e32 v43, v44, v43
	v_add_f32_e32 v44, v49, v50
	v_fma_f32 v48, v47, v48, v22
	v_sub_f32_e32 v45, v44, v49
	v_ldexp_f32 v49, v46, 1
	v_mul_f32_e32 v46, v46, v47
	v_mul_f32_e32 v46, v46, v48
	v_add_f32_e32 v47, v49, v46
	v_sub_f32_e32 v48, v47, v49
	v_ldexp_f32 v43, v43, 1
	v_sub_f32_e32 v46, v46, v48
	v_add_f32_e32 v43, v43, v46
	v_add_f32_e32 v46, v47, v43
	v_sub_f32_e32 v47, v46, v47
	v_sub_f32_e32 v43, v43, v47
	v_add_f32_e32 v47, v44, v46
	v_sub_f32_e32 v48, v47, v44
	v_sub_f32_e32 v49, v47, v48
	;; [unrolled: 1-line block ×5, first 2 shown]
	v_add_f32_e32 v44, v46, v44
	v_add_f32_e32 v46, v45, v43
	v_sub_f32_e32 v48, v46, v45
	v_sub_f32_e32 v49, v46, v48
	;; [unrolled: 1-line block ×4, first 2 shown]
	v_add_f32_e32 v44, v46, v44
	v_add_f32_e32 v43, v43, v45
	;; [unrolled: 1-line block ×3, first 2 shown]
	v_sub_f32_e32 v46, v45, v47
	v_sub_f32_e32 v44, v44, v46
	v_add_f32_e32 v43, v43, v44
	v_add_f32_e32 v43, v45, v43
	v_cmp_neq_f32_e32 vcc, s47, v40
	v_cndmask_b32_e32 v43, v33, v43, vcc
	v_cmp_ngt_f32_e32 vcc, -1.0, v40
	v_cndmask_b32_e32 v43, v35, v43, vcc
	v_cmp_neq_f32_e32 vcc, -1.0, v40
	v_cndmask_b32_e32 v43, v36, v43, vcc
	v_cmp_lt_f32_e64 vcc, |v40|, s57
	v_cndmask_b32_e32 v40, v43, v40, vcc
.LBB49_733:                             ;   in Loop: Header=BB49_418 Depth=1
	s_andn2_saveexec_b64 s[42:43], s[42:43]
	s_cbranch_execz .LBB49_735
; %bb.734:                              ;   in Loop: Header=BB49_418 Depth=1
	v_sub_f32_e64 v40, 1.0, |v4|
	v_mul_f32_e32 v40, v40, v3
	v_mul_f32_e32 v43, 0x4f800000, v40
	v_cmp_gt_f32_e32 vcc, s49, v40
	v_cndmask_b32_e32 v40, v40, v43, vcc
	v_sqrt_f32_e32 v43, v40
	v_add_u32_e32 v44, -1, v43
	v_fma_f32 v46, -v44, v43, v40
	v_add_u32_e32 v45, 1, v43
	v_cmp_ge_f32_e64 s[10:11], 0, v46
	v_cndmask_b32_e64 v44, v43, v44, s[10:11]
	v_fma_f32 v43, -v45, v43, v40
	v_cmp_lt_f32_e64 s[10:11], 0, v43
	v_cndmask_b32_e64 v43, v44, v45, s[10:11]
	v_mul_f32_e32 v44, 0x37800000, v43
	v_cndmask_b32_e32 v43, v43, v44, vcc
	v_cmp_class_f32_e32 vcc, v40, v21
	v_cndmask_b32_e32 v40, v43, v40, vcc
	v_and_b32_e32 v43, 0x7fffffff, v5
	v_div_scale_f32 v44, s[10:11], v40, v40, v43
	v_div_scale_f32 v43, vcc, v43, v40, v43
	v_rcp_f32_e32 v45, v44
	v_fma_f32 v46, -v44, v45, 1.0
	v_fmac_f32_e32 v45, v46, v45
	v_mul_f32_e32 v46, v43, v45
	v_fma_f32 v47, -v44, v46, v43
	v_fmac_f32_e32 v46, v47, v45
	v_fma_f32 v43, -v44, v46, v43
	v_div_fmas_f32 v43, v43, v45, v46
	v_div_fixup_f32 v40, v43, v40, |v5|
.LBB49_735:                             ;   in Loop: Header=BB49_418 Depth=1
	s_or_b64 exec, exec, s[42:43]
.LBB49_736:                             ;   in Loop: Header=BB49_418 Depth=1
	s_or_b64 exec, exec, s[40:41]
.LBB49_737:                             ;   in Loop: Header=BB49_418 Depth=1
	s_andn2_saveexec_b64 s[38:39], s[38:39]
	s_cbranch_execz .LBB49_739
; %bb.738:                              ;   in Loop: Header=BB49_418 Depth=1
	v_mul_f32_e64 v40, |v5|, s50
	v_cmp_lt_f32_e64 vcc, |v5|, s49
	v_cndmask_b32_e64 v40, |v5|, v40, vcc
	v_sqrt_f32_e32 v43, v40
	v_add_u32_e32 v44, -1, v43
	v_fma_f32 v46, -v44, v43, v40
	v_add_u32_e32 v45, 1, v43
	v_cmp_ge_f32_e64 s[10:11], 0, v46
	v_cndmask_b32_e64 v44, v43, v44, s[10:11]
	v_fma_f32 v43, -v45, v43, v40
	v_cmp_lt_f32_e64 s[10:11], 0, v43
	v_cndmask_b32_e64 v43, v44, v45, s[10:11]
	v_mul_f32_e32 v44, 0x37800000, v43
	v_cndmask_b32_e32 v43, v43, v44, vcc
	v_cmp_class_f32_e32 vcc, v40, v21
	v_cndmask_b32_e32 v40, v43, v40, vcc
.LBB49_739:                             ;   in Loop: Header=BB49_418 Depth=1
	s_or_b64 exec, exec, s[38:39]
.LBB49_740:                             ;   in Loop: Header=BB49_418 Depth=1
	s_or_b64 exec, exec, s[36:37]
	v_cmp_nlt_f32_e64 s[36:37], |v4|, s58
                                        ; implicit-def: $sgpr10_sgpr11
                                        ; implicit-def: $vgpr43
                                        ; implicit-def: $vgpr45
                                        ; implicit-def: $vgpr44
	s_and_saveexec_b64 s[38:39], s[36:37]
	s_xor_b64 s[36:37], exec, s[38:39]
	s_cbranch_execz .LBB49_764
; %bb.741:                              ;   in Loop: Header=BB49_418 Depth=1
	v_and_b32_e32 v44, 0x7fffffff, v4
	v_div_scale_f32 v43, s[10:11], v12, v12, v44
	v_div_scale_f32 v45, vcc, v44, v12, v44
	s_mov_b64 s[10:11], 0
	v_rcp_f32_e32 v46, v43
	v_fma_f32 v47, -v43, v46, 1.0
	v_fmac_f32_e32 v46, v47, v46
	v_mul_f32_e32 v47, v45, v46
	v_fma_f32 v48, -v43, v47, v45
	v_fmac_f32_e32 v47, v48, v46
	v_fma_f32 v43, -v43, v47, v45
	v_div_fmas_f32 v43, v43, v46, v47
                                        ; implicit-def: $vgpr45
	v_div_fixup_f32 v43, v43, v12, |v4|
	v_cmp_lt_f32_e32 vcc, s59, v43
	s_and_saveexec_b64 s[38:39], vcc
	s_cbranch_execz .LBB49_763
; %bb.742:                              ;   in Loop: Header=BB49_418 Depth=1
	v_cmp_neq_f32_e64 s[10:11], |v4|, 1.0
	v_cmp_nlt_f32_e64 s[40:41], |v5|, s60
	s_or_b64 s[10:11], s[10:11], s[40:41]
                                        ; implicit-def: $vgpr45
	s_and_saveexec_b64 s[40:41], s[10:11]
	s_xor_b64 s[40:41], exec, s[40:41]
	s_cbranch_execz .LBB49_760
; %bb.743:                              ;   in Loop: Header=BB49_418 Depth=1
	v_mul_f32_e64 v45, |v2|, s54
	v_cmp_ge_f32_e64 s[10:11], |v5|, v45
                                        ; implicit-def: $vgpr45
	s_and_saveexec_b64 s[42:43], s[10:11]
	s_xor_b64 s[42:43], exec, s[42:43]
	s_cbranch_execz .LBB49_753
; %bb.744:                              ;   in Loop: Header=BB49_418 Depth=1
	v_cmp_neq_f32_e32 vcc, 0, v3
	v_mov_b32_e32 v45, v41
	s_and_saveexec_b64 s[10:11], vcc
	s_cbranch_execz .LBB49_746
; %bb.745:                              ;   in Loop: Header=BB49_418 Depth=1
	v_mul_f32_e32 v45, v5, v5
	v_add_f32_e32 v3, v3, v42
	v_div_scale_f32 v42, s[44:45], v3, v3, v45
	v_div_scale_f32 v46, vcc, v45, v3, v45
	v_rcp_f32_e32 v47, v42
	v_fma_f32 v48, -v42, v47, 1.0
	v_fmac_f32_e32 v47, v48, v47
	v_mul_f32_e32 v48, v46, v47
	v_fma_f32 v49, -v42, v48, v46
	v_fmac_f32_e32 v48, v49, v47
	v_fma_f32 v42, -v42, v48, v46
	v_div_fmas_f32 v42, v42, v47, v48
	v_div_fixup_f32 v45, v42, v3, v45
.LBB49_746:                             ;   in Loop: Header=BB49_418 Depth=1
	s_or_b64 exec, exec, s[10:11]
	v_cmp_ngt_f32_e32 vcc, 0, v2
	s_and_saveexec_b64 s[10:11], vcc
	s_xor_b64 s[10:11], exec, s[10:11]
	s_cbranch_execz .LBB49_750
; %bb.747:                              ;   in Loop: Header=BB49_418 Depth=1
	v_cmp_neq_f32_e32 vcc, 0, v2
	s_and_saveexec_b64 s[44:45], vcc
	s_cbranch_execz .LBB49_749
; %bb.748:                              ;   in Loop: Header=BB49_418 Depth=1
	v_mul_f32_e32 v3, v5, v5
	v_add_f32_e32 v2, v2, v13
	v_div_scale_f32 v5, s[68:69], v2, v2, v3
	v_div_scale_f32 v13, vcc, v3, v2, v3
	v_rcp_f32_e32 v41, v5
	v_fma_f32 v42, -v5, v41, 1.0
	v_fmac_f32_e32 v41, v42, v41
	v_mul_f32_e32 v42, v13, v41
	v_fma_f32 v46, -v5, v42, v13
	v_fmac_f32_e32 v42, v46, v41
	v_fma_f32 v5, -v5, v42, v13
	v_div_fmas_f32 v5, v5, v41, v42
	v_div_fixup_f32 v41, v5, v2, v3
.LBB49_749:                             ;   in Loop: Header=BB49_418 Depth=1
	s_or_b64 exec, exec, s[44:45]
                                        ; implicit-def: $vgpr13
                                        ; implicit-def: $vgpr2
.LBB49_750:                             ;   in Loop: Header=BB49_418 Depth=1
	s_andn2_saveexec_b64 s[10:11], s[10:11]
; %bb.751:                              ;   in Loop: Header=BB49_418 Depth=1
	v_sub_f32_e32 v41, v13, v2
; %bb.752:                              ;   in Loop: Header=BB49_418 Depth=1
	s_or_b64 exec, exec, s[10:11]
	v_mul_f32_e32 v2, 0.5, v41
	v_fmac_f32_e32 v2, 0.5, v45
	v_add_f32_e64 v3, |v4|, v12
	v_mul_f32_e32 v2, v3, v2
	v_mul_f32_e32 v3, 0x4f800000, v2
	v_cmp_gt_f32_e32 vcc, s49, v2
	v_cndmask_b32_e32 v2, v2, v3, vcc
	v_sqrt_f32_e32 v3, v2
	v_add_u32_e32 v4, -1, v3
	v_fma_f32 v5, -v4, v3, v2
	v_cmp_ge_f32_e64 s[10:11], 0, v5
	v_add_u32_e32 v5, 1, v3
	v_cndmask_b32_e64 v4, v3, v4, s[10:11]
	v_fma_f32 v3, -v5, v3, v2
	v_cmp_lt_f32_e64 s[10:11], 0, v3
	v_cndmask_b32_e64 v3, v4, v5, s[10:11]
	v_mul_f32_e32 v4, 0x37800000, v3
	v_cndmask_b32_e32 v3, v3, v4, vcc
	v_cmp_class_f32_e32 vcc, v2, v21
	v_cndmask_b32_e32 v45, v3, v2, vcc
                                        ; implicit-def: $vgpr2_vgpr3_vgpr4_vgpr5
                                        ; implicit-def: $vgpr3
                                        ; implicit-def: $vgpr2
.LBB49_753:                             ;   in Loop: Header=BB49_418 Depth=1
	s_andn2_saveexec_b64 s[42:43], s[42:43]
	s_cbranch_execz .LBB49_759
; %bb.754:                              ;   in Loop: Header=BB49_418 Depth=1
	v_cmp_ngt_f32_e64 s[10:11], |v4|, 1.0
                                        ; implicit-def: $vgpr45
	s_and_saveexec_b64 s[44:45], s[10:11]
	s_xor_b64 s[44:45], exec, s[44:45]
	s_cbranch_execz .LBB49_756
; %bb.755:                              ;   in Loop: Header=BB49_418 Depth=1
	v_sub_f32_e64 v2, 1.0, |v4|
	v_mul_f32_e32 v2, v2, v3
	v_mul_f32_e32 v3, 0x4f800000, v2
	v_cmp_gt_f32_e32 vcc, s49, v2
	v_cndmask_b32_e32 v2, v2, v3, vcc
	v_sqrt_f32_e32 v3, v2
	v_add_u32_e32 v4, -1, v3
	v_fma_f32 v12, -v4, v3, v2
	v_add_u32_e32 v5, 1, v3
	v_cmp_ge_f32_e64 s[10:11], 0, v12
	v_cndmask_b32_e64 v4, v3, v4, s[10:11]
	v_fma_f32 v3, -v5, v3, v2
	v_cmp_lt_f32_e64 s[10:11], 0, v3
	v_cndmask_b32_e64 v3, v4, v5, s[10:11]
	v_mul_f32_e32 v4, 0x37800000, v3
	v_cndmask_b32_e32 v3, v3, v4, vcc
	v_cmp_class_f32_e32 vcc, v2, v21
	v_cndmask_b32_e32 v45, v3, v2, vcc
                                        ; implicit-def: $vgpr2_vgpr3_vgpr4_vgpr5
                                        ; implicit-def: $vgpr3
                                        ; implicit-def: $vgpr2
.LBB49_756:                             ;   in Loop: Header=BB49_418 Depth=1
	s_andn2_saveexec_b64 s[44:45], s[44:45]
	s_cbranch_execz .LBB49_758
; %bb.757:                              ;   in Loop: Header=BB49_418 Depth=1
	v_mul_f32_e32 v2, v3, v2
	v_mul_f32_e32 v3, 0x4f800000, v2
	v_cmp_gt_f32_e32 vcc, s49, v2
	v_cndmask_b32_e32 v2, v2, v3, vcc
	v_sqrt_f32_e32 v3, v2
	v_mul_f32_e64 v5, |v5|, s61
	v_mul_f32_e64 v5, |v4|, v5
	;; [unrolled: 1-line block ×3, first 2 shown]
	v_add_u32_e32 v12, -1, v3
	v_fma_f32 v13, -v12, v3, v2
	v_cmp_ge_f32_e64 s[10:11], 0, v13
	v_add_u32_e32 v13, 1, v3
	v_cndmask_b32_e64 v12, v3, v12, s[10:11]
	v_fma_f32 v3, -v13, v3, v2
	v_cmp_lt_f32_e64 s[10:11], 0, v3
	v_cndmask_b32_e64 v3, v12, v13, s[10:11]
	v_mul_f32_e32 v12, 0x37800000, v3
	v_cndmask_b32_e32 v3, v3, v12, vcc
	v_cmp_class_f32_e32 vcc, v2, v21
	v_cndmask_b32_e32 v2, v3, v2, vcc
	v_div_scale_f32 v3, s[10:11], v2, v2, v5
	v_div_scale_f32 v12, vcc, v5, v2, v5
	v_rcp_f32_e32 v13, v3
	v_fma_f32 v41, -v3, v13, 1.0
	v_fmac_f32_e32 v13, v41, v13
	v_mul_f32_e32 v41, v12, v13
	v_fma_f32 v42, -v3, v41, v12
	v_fmac_f32_e32 v41, v42, v13
	v_fma_f32 v3, -v3, v41, v12
	v_div_fmas_f32 v3, v3, v13, v41
	v_div_fixup_f32 v45, v3, v2, v5
.LBB49_758:                             ;   in Loop: Header=BB49_418 Depth=1
	s_or_b64 exec, exec, s[44:45]
.LBB49_759:                             ;   in Loop: Header=BB49_418 Depth=1
	s_or_b64 exec, exec, s[42:43]
                                        ; implicit-def: $vgpr2_vgpr3_vgpr4_vgpr5
                                        ; implicit-def: $vgpr12
.LBB49_760:                             ;   in Loop: Header=BB49_418 Depth=1
	s_andn2_saveexec_b64 s[40:41], s[40:41]
	s_cbranch_execz .LBB49_762
; %bb.761:                              ;   in Loop: Header=BB49_418 Depth=1
	v_mul_f32_e64 v2, |v5|, s50
	v_cmp_lt_f32_e64 vcc, |v5|, s49
	v_cndmask_b32_e64 v2, |v5|, v2, vcc
	v_sqrt_f32_e32 v3, v2
	v_mov_b32_e32 v44, 1.0
	v_add_u32_e32 v4, -1, v3
	v_fma_f32 v13, -v4, v3, v2
	v_add_u32_e32 v5, 1, v3
	v_cmp_ge_f32_e64 s[10:11], 0, v13
	v_cndmask_b32_e64 v4, v3, v4, s[10:11]
	v_fma_f32 v3, -v5, v3, v2
	v_cmp_lt_f32_e64 s[10:11], 0, v3
	v_cndmask_b32_e64 v3, v4, v5, s[10:11]
	v_mul_f32_e32 v4, 0x37800000, v3
	v_cndmask_b32_e32 v3, v3, v4, vcc
	v_add_f32_e32 v4, 1.0, v12
	v_mul_f32_e32 v4, 0.5, v4
	v_mul_f32_e32 v5, 0x4f800000, v4
	v_cmp_gt_f32_e32 vcc, s49, v4
	v_cndmask_b32_e32 v4, v4, v5, vcc
	v_sqrt_f32_e32 v5, v4
	v_cmp_class_f32_e64 s[10:11], v2, v21
	v_cndmask_b32_e64 v2, v3, v2, s[10:11]
	v_add_u32_e32 v3, -1, v5
	v_fma_f32 v12, -v3, v5, v4
	v_cmp_ge_f32_e64 s[10:11], 0, v12
	v_add_u32_e32 v12, 1, v5
	v_cndmask_b32_e64 v3, v5, v3, s[10:11]
	v_fma_f32 v5, -v12, v5, v4
	v_cmp_lt_f32_e64 s[10:11], 0, v5
	v_cndmask_b32_e64 v3, v3, v12, s[10:11]
	v_mul_f32_e32 v5, 0x37800000, v3
	v_cndmask_b32_e32 v3, v3, v5, vcc
	v_cmp_class_f32_e32 vcc, v4, v21
	v_cndmask_b32_e32 v3, v3, v4, vcc
	v_mul_f32_e32 v45, v2, v3
.LBB49_762:                             ;   in Loop: Header=BB49_418 Depth=1
	s_or_b64 exec, exec, s[40:41]
	s_mov_b64 s[10:11], exec
.LBB49_763:                             ;   in Loop: Header=BB49_418 Depth=1
	s_or_b64 exec, exec, s[38:39]
                                        ; implicit-def: $vgpr12
                                        ; implicit-def: $vgpr2_vgpr3_vgpr4_vgpr5
.LBB49_764:                             ;   in Loop: Header=BB49_418 Depth=1
	s_andn2_saveexec_b64 s[36:37], s[36:37]
; %bb.765:                              ;   in Loop: Header=BB49_418 Depth=1
	v_mul_f32_e32 v45, 0x4b800000, v12
	v_mul_f32_e64 v44, |v4|, s62
	s_or_b64 s[10:11], s[10:11], exec
                                        ; implicit-def: $vgpr43
; %bb.766:                              ;   in Loop: Header=BB49_418 Depth=1
	s_or_b64 exec, exec, s[36:37]
	s_xor_b64 s[10:11], s[10:11], -1
	s_and_saveexec_b64 s[36:37], s[10:11]
	s_xor_b64 s[36:37], exec, s[36:37]
	s_cbranch_execz .LBB49_772
; %bb.767:                              ;   in Loop: Header=BB49_418 Depth=1
	s_and_saveexec_b64 s[10:11], s[8:9]
	s_xor_b64 s[10:11], exec, s[10:11]
	s_cbranch_execz .LBB49_769
; %bb.768:                              ;   in Loop: Header=BB49_418 Depth=1
	v_fma_f32 v2, |v43|, -0.5, 0.5
	v_mul_f32_e32 v3, v43, v43
	v_cmp_gt_f32_e64 vcc, |v43|, 0.5
	v_cndmask_b32_e32 v2, v3, v2, vcc
	v_mov_b32_e32 v3, 0x3c5fc5da
	v_fmac_f32_e32 v3, 0x3d1c21a7, v2
	v_fma_f32 v3, v2, v3, v23
	v_fma_f32 v3, v2, v3, v24
	v_sqrt_f32_e32 v4, v2
	v_fma_f32 v3, v2, v3, v25
	v_fma_f32 v3, v2, v3, v26
	v_mul_f32_e32 v2, v2, v3
	v_fmac_f32_e32 v4, v4, v2
	v_fmac_f32_e32 v43, v43, v2
	v_add_f32_e32 v3, v4, v4
	v_sub_f32_e32 v2, 0x3fc90fdb, v43
	v_cndmask_b32_e32 v12, v2, v3, vcc
                                        ; implicit-def: $vgpr43
.LBB49_769:                             ;   in Loop: Header=BB49_418 Depth=1
	s_andn2_saveexec_b64 s[38:39], s[10:11]
	s_cbranch_execz .LBB49_771
; %bb.770:                              ;   in Loop: Header=BB49_418 Depth=1
	v_fma_f32 v2, |v43|, -0.5, 0.5
	v_mul_f32_e32 v3, v43, v43
	v_cmp_gt_f32_e64 vcc, |v43|, 0.5
	v_cndmask_b32_e32 v2, v3, v2, vcc
	v_mov_b32_e32 v3, 0x3c5fc5da
	v_fmac_f32_e32 v3, 0x3d1c21a7, v2
	v_fma_f32 v3, v2, v3, v23
	v_fma_f32 v3, v2, v3, v24
	v_sqrt_f32_e32 v4, v2
	v_fma_f32 v3, v2, v3, v25
	v_fma_f32 v3, v2, v3, v26
	v_mul_f32_e32 v2, v2, v3
	v_fmac_f32_e32 v4, v4, v2
	v_add_f32_e32 v3, v4, v4
	v_sub_f32_e32 v4, 0x40490fdb, v3
	v_cmp_lt_f32_e64 s[10:11], 0, v43
	v_fma_f32 v2, -v43, v2, -v43
	v_cndmask_b32_e64 v3, v3, v4, s[10:11]
	v_sub_f32_e32 v2, 0x3fc90fdb, v2
	v_cndmask_b32_e32 v12, v2, v3, vcc
.LBB49_771:                             ;   in Loop: Header=BB49_418 Depth=1
	s_or_b64 exec, exec, s[38:39]
                                        ; implicit-def: $vgpr44
                                        ; implicit-def: $vgpr45
.LBB49_772:                             ;   in Loop: Header=BB49_418 Depth=1
	s_andn2_saveexec_b64 s[10:11], s[36:37]
	s_cbranch_execz .LBB49_778
; %bb.773:                              ;   in Loop: Header=BB49_418 Depth=1
	v_max_f32_e64 v2, |v45|, |v45|
	v_max_f32_e32 v3, v44, v44
	v_min_f32_e32 v4, v3, v2
	v_max_f32_e32 v2, v3, v2
	v_frexp_mant_f32_e32 v3, v2
	v_rcp_f32_e32 v3, v3
	v_frexp_exp_i32_f32_e32 v2, v2
	v_frexp_exp_i32_f32_e32 v5, v4
	v_frexp_mant_f32_e32 v4, v4
	v_mul_f32_e32 v3, v4, v3
	v_sub_u32_e32 v2, v5, v2
	v_ldexp_f32 v2, v3, v2
	v_mul_f32_e32 v3, v2, v2
	v_mov_b32_e32 v4, 0xbc7a590c
	v_fmac_f32_e32 v4, 0x3b2d2a58, v3
	v_fma_f32 v4, v3, v4, v27
	v_fma_f32 v4, v3, v4, v28
	;; [unrolled: 1-line block ×6, first 2 shown]
	v_mul_f32_e32 v3, v3, v4
	v_fmac_f32_e32 v2, v2, v3
	v_sub_f32_e32 v3, 0x3fc90fdb, v2
	v_cmp_gt_f32_e64 vcc, |v45|, v44
	v_cndmask_b32_e32 v2, v2, v3, vcc
	s_and_saveexec_b64 s[36:37], s[8:9]
	s_xor_b64 s[8:9], exec, s[36:37]
; %bb.774:                              ;   in Loop: Header=BB49_418 Depth=1
	v_cmp_neq_f32_e32 vcc, 0, v45
	v_cndmask_b32_e32 v2, 0, v2, vcc
	v_cmp_eq_f32_e32 vcc, s47, v44
	v_cmp_class_f32_e64 s[36:37], v45, s63
	s_and_b64 vcc, vcc, s[36:37]
	v_cndmask_b32_e32 v2, v2, v37, vcc
	v_cmp_o_f32_e32 vcc, v45, v45
	v_cndmask_b32_e32 v2, v35, v2, vcc
	v_bfi_b32 v12, s46, v2, v45
                                        ; implicit-def: $vgpr2
                                        ; implicit-def: $vgpr44
                                        ; implicit-def: $vgpr45
; %bb.775:                              ;   in Loop: Header=BB49_418 Depth=1
	s_andn2_saveexec_b64 s[8:9], s[8:9]
	s_cbranch_execz .LBB49_777
; %bb.776:                              ;   in Loop: Header=BB49_418 Depth=1
	v_sub_f32_e32 v3, 0x40490fdb, v2
	v_cmp_lt_f32_e32 vcc, 0, v44
	v_cndmask_b32_e32 v2, v2, v3, vcc
	v_cmp_neq_f32_e32 vcc, 0, v45
	v_cndmask_b32_e32 v2, v38, v2, vcc
	v_cmp_eq_f32_e32 vcc, s47, v44
	v_cmp_class_f32_e64 s[36:37], v45, s63
	s_and_b64 vcc, vcc, s[36:37]
	v_cndmask_b32_e32 v2, v2, v39, vcc
	v_cmp_o_f32_e32 vcc, v45, v45
	v_cndmask_b32_e32 v2, v35, v2, vcc
	v_bfi_b32 v12, s46, v2, v45
.LBB49_777:                             ;   in Loop: Header=BB49_418 Depth=1
	s_or_b64 exec, exec, s[8:9]
.LBB49_778:                             ;   in Loop: Header=BB49_418 Depth=1
	s_or_b64 exec, exec, s[10:11]
	v_cndmask_b32_e64 v13, -v40, v40, s[4:5]
                                        ; implicit-def: $vgpr2_vgpr3_vgpr4_vgpr5
.LBB49_779:                             ;   in Loop: Header=BB49_418 Depth=1
	s_andn2_saveexec_b64 s[8:9], s[34:35]
	s_cbranch_execz .LBB49_781
; %bb.780:                              ;   in Loop: Header=BB49_418 Depth=1
	s_waitcnt lgkmcnt(0)
	v_mov_b32_e32 v2, s14
	v_mov_b32_e32 v3, s15
	flat_load_dword v2, v[2:3] glc
	s_waitcnt vmcnt(0) lgkmcnt(0)
	v_sub_f32_e32 v2, v2, v4
	v_add_f32_e32 v12, 0x3fc90fdb, v2
.LBB49_781:                             ;   in Loop: Header=BB49_418 Depth=1
	s_or_b64 exec, exec, s[8:9]
.LBB49_782:                             ;   in Loop: Header=BB49_418 Depth=1
	s_andn2_saveexec_b64 s[8:9], s[30:31]
; %bb.783:                              ;   in Loop: Header=BB49_418 Depth=1
	v_mov_b32_e32 v12, 0
; %bb.784:                              ;   in Loop: Header=BB49_418 Depth=1
	s_or_b64 exec, exec, s[8:9]
                                        ; implicit-def: $vgpr2_vgpr3_vgpr4_vgpr5
                                        ; implicit-def: $vgpr40
                                        ; implicit-def: $vgpr3
                                        ; implicit-def: $vgpr2
.LBB49_785:                             ;   in Loop: Header=BB49_418 Depth=1
	s_andn2_saveexec_b64 s[28:29], s[28:29]
	s_cbranch_execz .LBB49_795
; %bb.786:                              ;   in Loop: Header=BB49_418 Depth=1
	v_cmp_lt_f32_e64 s[8:9], |v4|, |v5|
	v_cndmask_b32_e64 v41, |v4|, |v5|, s[8:9]
	v_cmp_nlt_f32_e32 vcc, s64, v41
                                        ; implicit-def: $vgpr13
                                        ; implicit-def: $vgpr12
	s_and_saveexec_b64 s[10:11], vcc
	s_xor_b64 s[30:31], exec, s[10:11]
	s_cbranch_execz .LBB49_792
; %bb.787:                              ;   in Loop: Header=BB49_418 Depth=1
	v_cndmask_b32_e64 v42, |v5|, |v4|, s[8:9]
	v_cmp_nlt_f32_e32 vcc, s65, v41
	v_cmp_ngt_f32_e64 s[10:11], s66, v42
	s_and_b64 s[10:11], vcc, s[10:11]
                                        ; implicit-def: $vgpr13
                                        ; implicit-def: $vgpr12
	s_and_saveexec_b64 s[34:35], s[10:11]
	s_xor_b64 s[10:11], exec, s[34:35]
	s_cbranch_execz .LBB49_789
; %bb.788:                              ;   in Loop: Header=BB49_418 Depth=1
	v_mul_f32_e32 v12, v42, v42
	v_fmac_f32_e32 v12, v41, v41
	v_cmp_gt_f32_e32 vcc, s51, v12
	v_cndmask_b32_e64 v13, 0, 32, vcc
	v_ldexp_f32 v12, v12, v13
	v_log_f32_e32 v12, v12
	v_cndmask_b32_e32 v13, 0, v34, vcc
	v_min_f32_e32 v3, v3, v40
	v_frexp_exp_i32_f32_e32 v40, v3
	v_mul_f32_e32 v41, 0x3f317217, v12
	v_fma_f32 v41, v12, s52, -v41
	v_fmac_f32_e32 v41, 0x3377d1cf, v12
	v_fmac_f32_e32 v41, 0x3f317217, v12
	v_cmp_lt_f32_e64 vcc, |v12|, s47
	v_cndmask_b32_e32 v12, v12, v41, vcc
	v_sub_f32_e32 v12, v12, v13
	v_mul_f32_e32 v13, 0.5, v12
	s_waitcnt lgkmcnt(0)
	v_frexp_mant_f32_e32 v12, v2
	v_rcp_f32_e32 v12, v12
	v_frexp_exp_i32_f32_e32 v2, v2
	v_frexp_mant_f32_e32 v3, v3
	v_sub_u32_e32 v2, v40, v2
	v_mul_f32_e32 v3, v3, v12
	v_ldexp_f32 v12, v3, v2
	v_mul_f32_e32 v2, v12, v12
	v_mov_b32_e32 v3, 0xbc7a590c
	v_fmac_f32_e32 v3, 0x3b2d2a58, v2
	v_fma_f32 v3, v2, v3, v27
	v_fma_f32 v3, v2, v3, v28
	;; [unrolled: 1-line block ×6, first 2 shown]
	v_mul_f32_e32 v2, v2, v3
	v_fmac_f32_e32 v12, v12, v2
                                        ; implicit-def: $vgpr2
                                        ; implicit-def: $vgpr3
                                        ; implicit-def: $vgpr40
.LBB49_789:                             ;   in Loop: Header=BB49_418 Depth=1
	s_andn2_saveexec_b64 s[10:11], s[10:11]
	s_cbranch_execz .LBB49_791
; %bb.790:                              ;   in Loop: Header=BB49_418 Depth=1
	s_waitcnt lgkmcnt(0)
	v_cvt_f64_f32_e32 v[12:13], v2
	v_cmp_neq_f32_e32 vcc, s47, v2
	v_min_f32_e32 v3, v3, v40
	v_frexp_mant_f32_e32 v40, v2
	v_frexp_exp_i32_f64_e32 v12, v[12:13]
	v_frexp_exp_i32_f32_e32 v13, v2
	v_rcp_f32_e32 v40, v40
	v_frexp_exp_i32_f32_e32 v42, v3
	v_frexp_mant_f32_e32 v3, v3
	v_sub_u32_e32 v13, v42, v13
	v_mul_f32_e32 v3, v3, v40
	v_mov_b32_e32 v41, 0xbc7a590c
	v_sub_u32_e32 v43, 0, v12
	v_ldexp_f32 v44, |v4|, v43
	v_ldexp_f32 v43, |v5|, v43
	v_mul_f32_e32 v43, v43, v43
	v_fmac_f32_e32 v43, v44, v44
	v_sqrt_f32_e32 v43, v43
	v_ldexp_f32 v12, v43, v12
	v_cndmask_b32_e32 v2, v33, v12, vcc
	v_cmp_gt_f32_e32 vcc, s51, v2
	v_cndmask_b32_e64 v12, 0, 32, vcc
	v_ldexp_f32 v2, v2, v12
	v_log_f32_e32 v2, v2
	v_ldexp_f32 v12, v3, v13
	v_mul_f32_e32 v3, v12, v12
	v_cndmask_b32_e32 v13, 0, v34, vcc
	v_mul_f32_e32 v40, 0x3f317217, v2
	v_fma_f32 v40, v2, s52, -v40
	v_fmac_f32_e32 v40, 0x3377d1cf, v2
	v_fmac_f32_e32 v40, 0x3f317217, v2
	v_cmp_lt_f32_e64 vcc, |v2|, s47
	v_cndmask_b32_e32 v2, v2, v40, vcc
	v_fmac_f32_e32 v41, 0x3b2d2a58, v3
	v_sub_f32_e32 v13, v2, v13
	v_fma_f32 v2, v3, v41, v27
	v_fma_f32 v2, v3, v2, v28
	;; [unrolled: 1-line block ×6, first 2 shown]
	v_mul_f32_e32 v2, v3, v2
	v_fmac_f32_e32 v12, v12, v2
.LBB49_791:                             ;   in Loop: Header=BB49_418 Depth=1
	s_or_b64 exec, exec, s[10:11]
                                        ; implicit-def: $vgpr3
                                        ; implicit-def: $vgpr40
                                        ; implicit-def: $vgpr2
.LBB49_792:                             ;   in Loop: Header=BB49_418 Depth=1
	s_andn2_saveexec_b64 s[30:31], s[30:31]
	s_cbranch_execz .LBB49_794
; %bb.793:                              ;   in Loop: Header=BB49_418 Depth=1
	v_div_scale_f32 v12, s[10:11], s67, s67, v4
	v_div_scale_f32 v13, s[10:11], s67, s67, v5
	v_div_scale_f32 v41, vcc, v4, s67, v4
	v_div_scale_f32 v42, s[10:11], v5, s67, v5
	v_min_f32_e32 v40, v3, v40
	v_rcp_f32_e32 v43, v12
	v_rcp_f32_e32 v44, v13
	v_fma_f32 v45, -v12, v43, 1.0
	v_fmac_f32_e32 v43, v45, v43
	v_fma_f32 v46, -v13, v44, 1.0
	v_fmac_f32_e32 v44, v46, v44
	v_mul_f32_e32 v45, v41, v43
	v_mul_f32_e32 v46, v42, v44
	v_fma_f32 v47, -v12, v45, v41
	v_fma_f32 v48, -v13, v46, v42
	v_fmac_f32_e32 v45, v47, v43
	v_fmac_f32_e32 v46, v48, v44
	v_fma_f32 v12, -v12, v45, v41
	v_fma_f32 v13, -v13, v46, v42
	v_div_fmas_f32 v12, v12, v43, v45
	s_mov_b64 vcc, s[10:11]
	v_div_fmas_f32 v13, v13, v44, v46
	s_waitcnt lgkmcnt(0)
	v_frexp_exp_i32_f32_e32 v41, v2
	v_frexp_mant_f32_e32 v42, v2
	v_mov_b32_e32 v43, 0xbc7a590c
	v_div_fixup_f32 v44, v12, s67, v4
	v_rcp_f32_e32 v12, v42
	v_div_fixup_f32 v13, v13, s67, v5
	v_max_f32_e64 v45, |v44|, |v13|
	v_cvt_f64_f32_e32 v[2:3], v45
	v_frexp_exp_i32_f32_e32 v42, v40
	v_frexp_mant_f32_e32 v40, v40
	v_mul_f32_e32 v12, v40, v12
	v_frexp_exp_i32_f64_e32 v2, v[2:3]
	v_sub_u32_e32 v3, v42, v41
	v_cmp_neq_f32_e32 vcc, s47, v45
	v_ldexp_f32 v12, v12, v3
	v_mul_f32_e32 v3, v12, v12
	v_fmac_f32_e32 v43, 0x3b2d2a58, v3
	v_fma_f32 v40, v3, v43, v27
	v_fma_f32 v40, v3, v40, v28
	v_sub_u32_e32 v41, 0, v2
	v_ldexp_f32 v13, |v13|, v41
	v_ldexp_f32 v42, |v44|, v41
	v_mul_f32_e32 v13, v13, v13
	v_fmac_f32_e32 v13, v42, v42
	v_sqrt_f32_e32 v13, v13
	v_fma_f32 v40, v3, v40, v29
	v_fma_f32 v40, v3, v40, v30
	;; [unrolled: 1-line block ×3, first 2 shown]
	v_ldexp_f32 v2, v13, v2
	v_cndmask_b32_e32 v2, v33, v2, vcc
	v_cmp_gt_f32_e32 vcc, s51, v2
	v_cndmask_b32_e64 v13, 0, 32, vcc
	v_ldexp_f32 v2, v2, v13
	v_log_f32_e32 v2, v2
	v_fma_f32 v13, v3, v40, v32
	v_mul_f32_e32 v3, v3, v13
	v_cndmask_b32_e32 v13, 0, v34, vcc
	v_mul_f32_e32 v40, 0x3f317217, v2
	v_fma_f32 v40, v2, s52, -v40
	v_fmac_f32_e32 v40, 0x3377d1cf, v2
	v_fmac_f32_e32 v40, 0x3f317217, v2
	v_cmp_lt_f32_e64 vcc, |v2|, s47
	v_cndmask_b32_e32 v2, v2, v40, vcc
	v_sub_f32_e32 v2, v2, v13
	v_add_f32_e32 v13, 1.0, v2
	v_fmac_f32_e32 v12, v12, v3
.LBB49_794:                             ;   in Loop: Header=BB49_418 Depth=1
	s_or_b64 exec, exec, s[30:31]
	s_waitcnt lgkmcnt(0)
	v_sub_f32_e32 v2, 0x3fc90fdb, v12
	v_cndmask_b32_e64 v2, v12, v2, s[8:9]
	v_sub_f32_e32 v3, 0x40490fdb, v2
	v_cmp_gt_f32_e32 vcc, 0, v4
	v_cndmask_b32_e32 v2, v2, v3, vcc
	v_cndmask_b32_e64 v3, 0, v38, s[6:7]
	v_cndmask_b32_e32 v12, v37, v39, vcc
	v_cmp_class_f32_e64 s[6:7], v4, s63
	v_cmp_class_f32_e64 s[8:9], v5, s63
	v_cmp_eq_f32_e32 vcc, 0, v5
	v_cndmask_b32_e64 v2, |v2|, v3, vcc
	s_and_b64 vcc, s[6:7], s[8:9]
	v_cndmask_b32_e32 v12, v2, v12, vcc
	v_add_f32_e32 v2, 0x3f317218, v13
	v_cndmask_b32_e64 v13, -v2, v2, s[4:5]
.LBB49_795:                             ;   in Loop: Header=BB49_418 Depth=1
	s_or_b64 exec, exec, s[28:29]
                                        ; implicit-def: $vgpr2_vgpr3_vgpr4_vgpr5
.LBB49_796:                             ;   in Loop: Header=BB49_418 Depth=1
	s_andn2_saveexec_b64 s[4:5], s[26:27]
	s_cbranch_execz .LBB49_417
; %bb.797:                              ;   in Loop: Header=BB49_418 Depth=1
	v_cmp_neq_f32_e64 s[6:7], |v4|, s47
	s_and_saveexec_b64 s[8:9], s[6:7]
	s_xor_b64 s[6:7], exec, s[8:9]
	s_cbranch_execz .LBB49_807
; %bb.798:                              ;   in Loop: Header=BB49_418 Depth=1
	v_cmp_neq_f32_e64 s[8:9], |v5|, s47
	v_xor_b32_e32 v13, 0x80000000, v5
	s_and_saveexec_b64 s[10:11], s[8:9]
	s_xor_b64 s[8:9], exec, s[10:11]
	s_cbranch_execz .LBB49_804
; %bb.799:                              ;   in Loop: Header=BB49_418 Depth=1
	v_cmp_neq_f32_e32 vcc, 0, v4
	s_and_saveexec_b64 s[10:11], vcc
	s_xor_b64 s[10:11], exec, s[10:11]
	s_cbranch_execz .LBB49_801
; %bb.800:                              ;   in Loop: Header=BB49_418 Depth=1
	s_waitcnt lgkmcnt(0)
	v_add_f32_e32 v2, 0, v5
	v_add_f32_e32 v13, v4, v2
                                        ; implicit-def: $vgpr2_vgpr3_vgpr4_vgpr5
.LBB49_801:                             ;   in Loop: Header=BB49_418 Depth=1
	s_or_saveexec_b64 s[10:11], s[10:11]
	v_mov_b32_e32 v12, v13
	s_xor_b64 exec, exec, s[10:11]
	s_cbranch_execz .LBB49_803
; %bb.802:                              ;   in Loop: Header=BB49_418 Depth=1
	s_waitcnt lgkmcnt(0)
	v_mov_b32_e32 v2, s14
	v_mov_b32_e32 v3, s15
	flat_load_dword v2, v[2:3] glc
	s_waitcnt vmcnt(0)
	v_add_f32_e32 v13, v5, v5
	s_waitcnt lgkmcnt(0)
	v_add_f32_e32 v12, 0x3fc90fdb, v2
.LBB49_803:                             ;   in Loop: Header=BB49_418 Depth=1
	s_or_b64 exec, exec, s[10:11]
                                        ; implicit-def: $vgpr2_vgpr3_vgpr4_vgpr5
.LBB49_804:                             ;   in Loop: Header=BB49_418 Depth=1
	s_andn2_saveexec_b64 s[8:9], s[8:9]
; %bb.805:                              ;   in Loop: Header=BB49_418 Depth=1
	v_add_f32_e32 v12, v4, v4
; %bb.806:                              ;   in Loop: Header=BB49_418 Depth=1
	s_or_b64 exec, exec, s[8:9]
                                        ; implicit-def: $vgpr2_vgpr3_vgpr4_vgpr5
.LBB49_807:                             ;   in Loop: Header=BB49_418 Depth=1
	s_andn2_saveexec_b64 s[6:7], s[6:7]
	s_cbranch_execz .LBB49_416
; %bb.808:                              ;   in Loop: Header=BB49_418 Depth=1
	v_add_f32_e32 v12, v5, v5
	v_mov_b32_e32 v13, 0xff800000
	s_branch .LBB49_416
.LBB49_809:
	s_endpgm
	.section	.rodata,"a",@progbits
	.p2align	6, 0x0
	.amdhsa_kernel _ZN2at6native12_GLOBAL__N_125multi_tensor_apply_kernelINS1_18TensorListMetadataILi1EEENS1_14UnaryOpFunctorIN3c107complexIfEELi1ELi1ELi0EEEJNS0_4AcosIS8_EEEEEvT_T0_DpT1_
		.amdhsa_group_segment_fixed_size 0
		.amdhsa_private_segment_fixed_size 16
		.amdhsa_kernarg_size 3632
		.amdhsa_user_sgpr_count 8
		.amdhsa_user_sgpr_private_segment_buffer 1
		.amdhsa_user_sgpr_dispatch_ptr 0
		.amdhsa_user_sgpr_queue_ptr 0
		.amdhsa_user_sgpr_kernarg_segment_ptr 1
		.amdhsa_user_sgpr_dispatch_id 0
		.amdhsa_user_sgpr_flat_scratch_init 1
		.amdhsa_user_sgpr_private_segment_size 0
		.amdhsa_uses_dynamic_stack 0
		.amdhsa_system_sgpr_private_segment_wavefront_offset 1
		.amdhsa_system_sgpr_workgroup_id_x 1
		.amdhsa_system_sgpr_workgroup_id_y 0
		.amdhsa_system_sgpr_workgroup_id_z 0
		.amdhsa_system_sgpr_workgroup_info 0
		.amdhsa_system_vgpr_workitem_id 0
		.amdhsa_next_free_vgpr 60
		.amdhsa_next_free_sgpr 88
		.amdhsa_reserve_vcc 1
		.amdhsa_reserve_flat_scratch 1
		.amdhsa_float_round_mode_32 0
		.amdhsa_float_round_mode_16_64 0
		.amdhsa_float_denorm_mode_32 3
		.amdhsa_float_denorm_mode_16_64 3
		.amdhsa_dx10_clamp 1
		.amdhsa_ieee_mode 1
		.amdhsa_fp16_overflow 0
		.amdhsa_exception_fp_ieee_invalid_op 0
		.amdhsa_exception_fp_denorm_src 0
		.amdhsa_exception_fp_ieee_div_zero 0
		.amdhsa_exception_fp_ieee_overflow 0
		.amdhsa_exception_fp_ieee_underflow 0
		.amdhsa_exception_fp_ieee_inexact 0
		.amdhsa_exception_int_div_zero 0
	.end_amdhsa_kernel
	.section	.text._ZN2at6native12_GLOBAL__N_125multi_tensor_apply_kernelINS1_18TensorListMetadataILi1EEENS1_14UnaryOpFunctorIN3c107complexIfEELi1ELi1ELi0EEEJNS0_4AcosIS8_EEEEEvT_T0_DpT1_,"axG",@progbits,_ZN2at6native12_GLOBAL__N_125multi_tensor_apply_kernelINS1_18TensorListMetadataILi1EEENS1_14UnaryOpFunctorIN3c107complexIfEELi1ELi1ELi0EEEJNS0_4AcosIS8_EEEEEvT_T0_DpT1_,comdat
.Lfunc_end49:
	.size	_ZN2at6native12_GLOBAL__N_125multi_tensor_apply_kernelINS1_18TensorListMetadataILi1EEENS1_14UnaryOpFunctorIN3c107complexIfEELi1ELi1ELi0EEEJNS0_4AcosIS8_EEEEEvT_T0_DpT1_, .Lfunc_end49-_ZN2at6native12_GLOBAL__N_125multi_tensor_apply_kernelINS1_18TensorListMetadataILi1EEENS1_14UnaryOpFunctorIN3c107complexIfEELi1ELi1ELi0EEEJNS0_4AcosIS8_EEEEEvT_T0_DpT1_
                                        ; -- End function
	.set _ZN2at6native12_GLOBAL__N_125multi_tensor_apply_kernelINS1_18TensorListMetadataILi1EEENS1_14UnaryOpFunctorIN3c107complexIfEELi1ELi1ELi0EEEJNS0_4AcosIS8_EEEEEvT_T0_DpT1_.num_vgpr, 60
	.set _ZN2at6native12_GLOBAL__N_125multi_tensor_apply_kernelINS1_18TensorListMetadataILi1EEENS1_14UnaryOpFunctorIN3c107complexIfEELi1ELi1ELi0EEEJNS0_4AcosIS8_EEEEEvT_T0_DpT1_.num_agpr, 0
	.set _ZN2at6native12_GLOBAL__N_125multi_tensor_apply_kernelINS1_18TensorListMetadataILi1EEENS1_14UnaryOpFunctorIN3c107complexIfEELi1ELi1ELi0EEEJNS0_4AcosIS8_EEEEEvT_T0_DpT1_.numbered_sgpr, 88
	.set _ZN2at6native12_GLOBAL__N_125multi_tensor_apply_kernelINS1_18TensorListMetadataILi1EEENS1_14UnaryOpFunctorIN3c107complexIfEELi1ELi1ELi0EEEJNS0_4AcosIS8_EEEEEvT_T0_DpT1_.num_named_barrier, 0
	.set _ZN2at6native12_GLOBAL__N_125multi_tensor_apply_kernelINS1_18TensorListMetadataILi1EEENS1_14UnaryOpFunctorIN3c107complexIfEELi1ELi1ELi0EEEJNS0_4AcosIS8_EEEEEvT_T0_DpT1_.private_seg_size, 16
	.set _ZN2at6native12_GLOBAL__N_125multi_tensor_apply_kernelINS1_18TensorListMetadataILi1EEENS1_14UnaryOpFunctorIN3c107complexIfEELi1ELi1ELi0EEEJNS0_4AcosIS8_EEEEEvT_T0_DpT1_.uses_vcc, 1
	.set _ZN2at6native12_GLOBAL__N_125multi_tensor_apply_kernelINS1_18TensorListMetadataILi1EEENS1_14UnaryOpFunctorIN3c107complexIfEELi1ELi1ELi0EEEJNS0_4AcosIS8_EEEEEvT_T0_DpT1_.uses_flat_scratch, 1
	.set _ZN2at6native12_GLOBAL__N_125multi_tensor_apply_kernelINS1_18TensorListMetadataILi1EEENS1_14UnaryOpFunctorIN3c107complexIfEELi1ELi1ELi0EEEJNS0_4AcosIS8_EEEEEvT_T0_DpT1_.has_dyn_sized_stack, 0
	.set _ZN2at6native12_GLOBAL__N_125multi_tensor_apply_kernelINS1_18TensorListMetadataILi1EEENS1_14UnaryOpFunctorIN3c107complexIfEELi1ELi1ELi0EEEJNS0_4AcosIS8_EEEEEvT_T0_DpT1_.has_recursion, 0
	.set _ZN2at6native12_GLOBAL__N_125multi_tensor_apply_kernelINS1_18TensorListMetadataILi1EEENS1_14UnaryOpFunctorIN3c107complexIfEELi1ELi1ELi0EEEJNS0_4AcosIS8_EEEEEvT_T0_DpT1_.has_indirect_call, 0
	.section	.AMDGPU.csdata,"",@progbits
; Kernel info:
; codeLenInByte = 45716
; TotalNumSgprs: 94
; NumVgprs: 60
; ScratchSize: 16
; MemoryBound: 0
; FloatMode: 240
; IeeeMode: 1
; LDSByteSize: 0 bytes/workgroup (compile time only)
; SGPRBlocks: 11
; VGPRBlocks: 14
; NumSGPRsForWavesPerEU: 94
; NumVGPRsForWavesPerEU: 60
; Occupancy: 4
; WaveLimiterHint : 0
; COMPUTE_PGM_RSRC2:SCRATCH_EN: 1
; COMPUTE_PGM_RSRC2:USER_SGPR: 8
; COMPUTE_PGM_RSRC2:TRAP_HANDLER: 0
; COMPUTE_PGM_RSRC2:TGID_X_EN: 1
; COMPUTE_PGM_RSRC2:TGID_Y_EN: 0
; COMPUTE_PGM_RSRC2:TGID_Z_EN: 0
; COMPUTE_PGM_RSRC2:TIDIG_COMP_CNT: 0
	.section	.text._ZN2at6native12_GLOBAL__N_125multi_tensor_apply_kernelINS1_18TensorListMetadataILi1EEENS1_14UnaryOpFunctorIN3c104HalfELi1ELi1ELi0EEEJNS0_4AcosIfEEEEEvT_T0_DpT1_,"axG",@progbits,_ZN2at6native12_GLOBAL__N_125multi_tensor_apply_kernelINS1_18TensorListMetadataILi1EEENS1_14UnaryOpFunctorIN3c104HalfELi1ELi1ELi0EEEJNS0_4AcosIfEEEEEvT_T0_DpT1_,comdat
	.globl	_ZN2at6native12_GLOBAL__N_125multi_tensor_apply_kernelINS1_18TensorListMetadataILi1EEENS1_14UnaryOpFunctorIN3c104HalfELi1ELi1ELi0EEEJNS0_4AcosIfEEEEEvT_T0_DpT1_ ; -- Begin function _ZN2at6native12_GLOBAL__N_125multi_tensor_apply_kernelINS1_18TensorListMetadataILi1EEENS1_14UnaryOpFunctorIN3c104HalfELi1ELi1ELi0EEEJNS0_4AcosIfEEEEEvT_T0_DpT1_
	.p2align	8
	.type	_ZN2at6native12_GLOBAL__N_125multi_tensor_apply_kernelINS1_18TensorListMetadataILi1EEENS1_14UnaryOpFunctorIN3c104HalfELi1ELi1ELi0EEEJNS0_4AcosIfEEEEEvT_T0_DpT1_,@function
_ZN2at6native12_GLOBAL__N_125multi_tensor_apply_kernelINS1_18TensorListMetadataILi1EEENS1_14UnaryOpFunctorIN3c104HalfELi1ELi1ELi0EEEJNS0_4AcosIfEEEEEvT_T0_DpT1_: ; @_ZN2at6native12_GLOBAL__N_125multi_tensor_apply_kernelINS1_18TensorListMetadataILi1EEENS1_14UnaryOpFunctorIN3c104HalfELi1ELi1ELi0EEEJNS0_4AcosIfEEEEEvT_T0_DpT1_
; %bb.0:
	v_mov_b32_e32 v1, s6
	global_load_ubyte v1, v1, s[4:5] offset:1760
	s_add_u32 s0, s4, s6
	s_mul_hi_u32 s1, s6, 3
	s_mul_i32 s6, s6, 3
	s_addc_u32 s2, s5, 0
	s_add_u32 s0, s0, s6
	s_addc_u32 s1, s2, s1
	s_load_dword s0, s[0:1], 0x820
	s_mov_b32 s7, 0
	s_waitcnt vmcnt(0)
	v_readfirstlane_b32 s1, v1
	s_lshl_b32 s1, s1, 3
	s_load_dwordx2 s[2:3], s[4:5], s1 offset:0x370
	s_load_dwordx2 s[10:11], s[4:5], s1 offset:0x0
	s_waitcnt lgkmcnt(0)
	s_ashr_i32 s1, s0, 31
	s_lshl_b64 s[12:13], s[0:1], 17
	s_lshl_b64 s[0:1], s[0:1], 16
	s_and_b32 s6, s10, 7
	s_sub_u32 s14, s2, s0
	s_subb_u32 s15, s3, s1
	s_and_b32 s0, s2, 3
	s_mov_b32 s1, s7
	s_or_b64 s[0:1], s[6:7], s[0:1]
	s_cmp_eq_u64 s[0:1], 0
	s_cbranch_scc1 .LBB50_21
; %bb.1:
	v_cmp_lt_i64_e64 s[0:1], s[14:15], 1
	s_and_b64 vcc, exec, s[0:1]
	s_cbranch_vccnz .LBB50_20
; %bb.2:
	v_mov_b32_e32 v1, 0x10000
	s_load_dword s2, s[4:5], 0xd3c
	v_mov_b32_e32 v2, 0
	v_cmp_lt_i64_e32 vcc, s[14:15], v[1:2]
	s_mov_b64 s[20:21], 0
	s_and_b64 s[0:1], vcc, exec
	v_cmp_lt_u64_e32 vcc, s[14:15], v[1:2]
	s_cselect_b32 s17, s15, 0
	s_cselect_b32 s16, s14, 0x10000
	s_waitcnt lgkmcnt(0)
	s_and_b32 s2, s2, 0xffff
	s_and_b64 s[0:1], vcc, exec
	s_cselect_b32 s19, s15, 0
	s_cselect_b32 s18, s14, 0x10000
	s_lshl_b32 s3, s2, 1
	s_lshl_b32 s24, s2, 2
	s_add_u32 s6, s10, s12
	v_lshlrev_b32_e32 v1, 1, v0
	s_addc_u32 s7, s11, s13
	v_mov_b32_e32 v2, s7
	v_add_co_u32_e32 v1, vcc, s6, v1
	s_mul_i32 s0, s2, 3
	v_addc_co_u32_e32 v2, vcc, 0, v2, vcc
	v_add_co_u32_e32 v5, vcc, s0, v0
	v_addc_co_u32_e64 v6, s[0:1], 0, 0, vcc
	v_add_co_u32_e32 v7, vcc, s3, v0
	v_addc_co_u32_e64 v8, s[0:1], 0, 0, vcc
	v_add_co_u32_e32 v9, vcc, s2, v0
	v_lshlrev_b32_e32 v3, 1, v9
	v_addc_co_u32_e64 v10, s[0:1], 0, 0, vcc
	v_mov_b32_e32 v4, s7
	v_add_co_u32_e32 v3, vcc, s6, v3
	s_lshl_b32 s25, s2, 3
	s_mul_i32 s26, s2, 6
	v_addc_co_u32_e32 v4, vcc, 0, v4, vcc
	s_mov_b32 s27, -0.5
	v_mov_b32_e32 v11, 0x3d034c3c
	v_mov_b32_e32 v12, 0x3d3641b1
	;; [unrolled: 1-line block ×4, first 2 shown]
	v_mov_b32_e32 v15, 0.5
	s_branch .LBB50_4
.LBB50_3:                               ;   in Loop: Header=BB50_4 Depth=1
	s_or_b64 exec, exec, s[2:3]
	s_add_u32 s20, s20, s24
	v_add_co_u32_e32 v1, vcc, s25, v1
	s_waitcnt vmcnt(0)
	v_mov_b32_e32 v16, s16
	s_addc_u32 s21, s21, 0
	v_addc_co_u32_e32 v2, vcc, 0, v2, vcc
	v_mov_b32_e32 v17, s17
	v_cmp_lt_i64_e32 vcc, s[20:21], v[16:17]
	v_add_co_u32_e64 v3, s[0:1], s25, v3
	v_addc_co_u32_e64 v4, s[0:1], 0, v4, s[0:1]
	s_cbranch_vccz .LBB50_20
.LBB50_4:                               ; =>This Inner Loop Header: Depth=1
	v_mov_b32_e32 v17, s21
	v_add_co_u32_e32 v16, vcc, s20, v0
	v_addc_co_u32_e32 v17, vcc, 0, v17, vcc
	v_cmp_gt_u64_e64 s[6:7], s[18:19], v[16:17]
	v_mov_b32_e32 v19, 0
	s_and_saveexec_b64 s[0:1], s[6:7]
	s_cbranch_execz .LBB50_6
; %bb.5:                                ;   in Loop: Header=BB50_4 Depth=1
	global_load_ushort v19, v[1:2], off
.LBB50_6:                               ;   in Loop: Header=BB50_4 Depth=1
	s_or_b64 exec, exec, s[0:1]
	v_mov_b32_e32 v17, s21
	v_add_co_u32_e32 v16, vcc, s20, v9
	v_addc_co_u32_e32 v17, vcc, v10, v17, vcc
	v_cmp_gt_u64_e64 s[2:3], s[18:19], v[16:17]
	v_mov_b32_e32 v16, 0
	v_mov_b32_e32 v18, 0
	s_and_saveexec_b64 s[0:1], s[2:3]
	s_cbranch_execz .LBB50_8
; %bb.7:                                ;   in Loop: Header=BB50_4 Depth=1
	global_load_ushort v18, v[3:4], off
.LBB50_8:                               ;   in Loop: Header=BB50_4 Depth=1
	s_or_b64 exec, exec, s[0:1]
	v_mov_b32_e32 v17, s21
	v_add_co_u32_e32 v20, vcc, s20, v7
	v_addc_co_u32_e32 v21, vcc, v8, v17, vcc
	v_cmp_gt_u64_e64 s[0:1], s[18:19], v[20:21]
	s_and_saveexec_b64 s[8:9], s[0:1]
	s_cbranch_execz .LBB50_10
; %bb.9:                                ;   in Loop: Header=BB50_4 Depth=1
	v_add_co_u32_e32 v16, vcc, s24, v1
	v_addc_co_u32_e32 v17, vcc, 0, v2, vcc
	global_load_ushort v16, v[16:17], off
.LBB50_10:                              ;   in Loop: Header=BB50_4 Depth=1
	s_or_b64 exec, exec, s[8:9]
	v_mov_b32_e32 v17, s21
	v_add_co_u32_e32 v20, vcc, s20, v5
	v_addc_co_u32_e32 v21, vcc, v6, v17, vcc
	v_cmp_gt_u64_e32 vcc, s[18:19], v[20:21]
	v_mov_b32_e32 v17, 0
	s_and_saveexec_b64 s[22:23], vcc
	s_cbranch_execnz .LBB50_15
; %bb.11:                               ;   in Loop: Header=BB50_4 Depth=1
	s_or_b64 exec, exec, s[22:23]
	s_and_saveexec_b64 s[22:23], s[6:7]
	s_cbranch_execnz .LBB50_16
.LBB50_12:                              ;   in Loop: Header=BB50_4 Depth=1
	s_or_b64 exec, exec, s[22:23]
	s_and_saveexec_b64 s[8:9], s[2:3]
	s_cbranch_execnz .LBB50_17
.LBB50_13:                              ;   in Loop: Header=BB50_4 Depth=1
	s_or_b64 exec, exec, s[8:9]
	s_and_saveexec_b64 s[6:7], s[0:1]
	s_cbranch_execnz .LBB50_18
.LBB50_14:                              ;   in Loop: Header=BB50_4 Depth=1
	s_or_b64 exec, exec, s[6:7]
	s_and_saveexec_b64 s[2:3], vcc
	s_cbranch_execz .LBB50_3
	s_branch .LBB50_19
.LBB50_15:                              ;   in Loop: Header=BB50_4 Depth=1
	v_add_co_u32_e64 v20, s[8:9], s26, v1
	v_addc_co_u32_e64 v21, s[8:9], 0, v2, s[8:9]
	global_load_ushort v17, v[20:21], off
	s_or_b64 exec, exec, s[22:23]
	s_and_saveexec_b64 s[22:23], s[6:7]
	s_cbranch_execz .LBB50_12
.LBB50_16:                              ;   in Loop: Header=BB50_4 Depth=1
	s_waitcnt vmcnt(0)
	v_cvt_f32_f16_e32 v20, v19
	v_fma_mix_f32 v21, |v19|, s27, v15 op_sel_hi:[1,0,0]
	v_mov_b32_e32 v22, 0x3c5fc5da
	v_cmp_gt_f16_e64 s[8:9], 0, v19
	v_mul_f32_e32 v23, v20, v20
	v_cmp_gt_f32_e64 s[6:7], |v20|, 0.5
	v_cndmask_b32_e64 v20, v23, v21, s[6:7]
	v_fmac_f32_e32 v22, 0x3d1c21a7, v20
	v_fma_f32 v22, v20, v22, v11
	v_sqrt_f32_e32 v21, v20
	v_fma_f32 v22, v20, v22, v12
	v_fma_f32 v22, v20, v22, v13
	;; [unrolled: 1-line block ×3, first 2 shown]
	v_mul_f32_e32 v20, v20, v22
	v_fmac_f32_e32 v21, v21, v20
	v_add_f32_e32 v21, v21, v21
	v_sub_f32_e32 v22, 0x40490fdb, v21
	v_fma_mix_f32 v19, v19, v20, v19 op_sel_hi:[1,0,1]
	v_cndmask_b32_e64 v21, v21, v22, s[8:9]
	v_sub_f32_e32 v19, 0x3fc90fdb, v19
	v_cndmask_b32_e64 v19, v19, v21, s[6:7]
	v_cvt_f16_f32_e32 v19, v19
	global_store_short v[1:2], v19, off
	s_or_b64 exec, exec, s[22:23]
	s_and_saveexec_b64 s[8:9], s[2:3]
	s_cbranch_execz .LBB50_13
.LBB50_17:                              ;   in Loop: Header=BB50_4 Depth=1
	s_waitcnt vmcnt(0)
	v_cvt_f32_f16_e32 v19, v18
	v_fma_mix_f32 v20, |v18|, s27, v15 op_sel_hi:[1,0,0]
	v_mov_b32_e32 v21, 0x3c5fc5da
	v_cmp_gt_f16_e64 s[6:7], 0, v18
	v_mul_f32_e32 v22, v19, v19
	v_cmp_gt_f32_e64 s[2:3], |v19|, 0.5
	v_cndmask_b32_e64 v19, v22, v20, s[2:3]
	v_fmac_f32_e32 v21, 0x3d1c21a7, v19
	v_fma_f32 v20, v19, v21, v11
	v_fma_f32 v20, v19, v20, v12
	v_sqrt_f32_e32 v21, v19
	v_fma_f32 v20, v19, v20, v13
	v_fma_f32 v20, v19, v20, v14
	v_mul_f32_e32 v19, v19, v20
	v_fmac_f32_e32 v21, v21, v19
	v_add_f32_e32 v20, v21, v21
	v_sub_f32_e32 v21, 0x40490fdb, v20
	v_fma_mix_f32 v18, v18, v19, v18 op_sel_hi:[1,0,1]
	v_cndmask_b32_e64 v20, v20, v21, s[6:7]
	v_sub_f32_e32 v18, 0x3fc90fdb, v18
	v_cndmask_b32_e64 v18, v18, v20, s[2:3]
	v_cvt_f16_f32_e32 v18, v18
	global_store_short v[3:4], v18, off
	s_or_b64 exec, exec, s[8:9]
	s_and_saveexec_b64 s[6:7], s[0:1]
	s_cbranch_execz .LBB50_14
.LBB50_18:                              ;   in Loop: Header=BB50_4 Depth=1
	s_waitcnt vmcnt(0)
	v_cvt_f32_f16_e32 v18, v16
	v_fma_mix_f32 v19, |v16|, s27, v15 op_sel_hi:[1,0,0]
	v_mov_b32_e32 v20, 0x3c5fc5da
	v_cmp_gt_f16_e64 s[2:3], 0, v16
	v_mul_f32_e32 v21, v18, v18
	v_cmp_gt_f32_e64 s[0:1], |v18|, 0.5
	v_cndmask_b32_e64 v18, v21, v19, s[0:1]
	v_fmac_f32_e32 v20, 0x3d1c21a7, v18
	v_fma_f32 v19, v18, v20, v11
	v_fma_f32 v19, v18, v19, v12
	v_sqrt_f32_e32 v20, v18
	v_fma_f32 v19, v18, v19, v13
	v_fma_f32 v19, v18, v19, v14
	v_mul_f32_e32 v18, v18, v19
	v_fmac_f32_e32 v20, v20, v18
	v_add_f32_e32 v19, v20, v20
	v_sub_f32_e32 v20, 0x40490fdb, v19
	v_fma_mix_f32 v16, v16, v18, v16 op_sel_hi:[1,0,1]
	v_cndmask_b32_e64 v19, v19, v20, s[2:3]
	v_sub_f32_e32 v16, 0x3fc90fdb, v16
	v_cndmask_b32_e64 v16, v16, v19, s[0:1]
	v_cvt_f16_f32_e32 v16, v16
	v_add_co_u32_e64 v18, s[0:1], s24, v1
	v_addc_co_u32_e64 v19, s[0:1], 0, v2, s[0:1]
	global_store_short v[18:19], v16, off
	s_or_b64 exec, exec, s[6:7]
	s_and_saveexec_b64 s[2:3], vcc
	s_cbranch_execz .LBB50_3
.LBB50_19:                              ;   in Loop: Header=BB50_4 Depth=1
	s_waitcnt vmcnt(0)
	v_cvt_f32_f16_e32 v16, v17
	v_fma_mix_f32 v18, |v17|, s27, v15 op_sel_hi:[1,0,0]
	v_mov_b32_e32 v19, 0x3c5fc5da
	v_cmp_gt_f16_e64 s[0:1], 0, v17
	v_mul_f32_e32 v20, v16, v16
	v_cmp_gt_f32_e64 vcc, |v16|, 0.5
	v_cndmask_b32_e32 v16, v20, v18, vcc
	v_fmac_f32_e32 v19, 0x3d1c21a7, v16
	v_fma_f32 v18, v16, v19, v11
	v_fma_f32 v18, v16, v18, v12
	v_sqrt_f32_e32 v19, v16
	v_fma_f32 v18, v16, v18, v13
	v_fma_f32 v18, v16, v18, v14
	v_mul_f32_e32 v16, v16, v18
	v_fmac_f32_e32 v19, v19, v16
	v_add_f32_e32 v18, v19, v19
	v_sub_f32_e32 v19, 0x40490fdb, v18
	v_fma_mix_f32 v16, v17, v16, v17 op_sel_hi:[1,0,1]
	v_cndmask_b32_e64 v18, v18, v19, s[0:1]
	v_sub_f32_e32 v16, 0x3fc90fdb, v16
	v_cndmask_b32_e32 v16, v16, v18, vcc
	v_cvt_f16_f32_e32 v18, v16
	v_add_co_u32_e32 v16, vcc, s26, v1
	v_addc_co_u32_e32 v17, vcc, 0, v2, vcc
	global_store_short v[16:17], v18, off
	s_branch .LBB50_3
.LBB50_20:
	s_cbranch_execz .LBB50_22
	s_branch .LBB50_25
.LBB50_21:
.LBB50_22:
	v_mov_b32_e32 v1, 0x10000
	v_mov_b32_e32 v2, 0
	v_cmp_lt_i64_e32 vcc, s[14:15], v[1:2]
	v_mov_b32_e32 v2, 0
	s_and_b64 s[0:1], vcc, exec
	s_cselect_b32 s17, s15, 0
	s_cselect_b32 s16, s14, 0x10000
	v_lshlrev_b32_e32 v1, 2, v0
	v_cmp_gt_i64_e32 vcc, s[16:17], v[1:2]
	s_and_saveexec_b64 s[0:1], vcc
	s_cbranch_execz .LBB50_25
; %bb.23:
	s_load_dword s0, s[4:5], 0xd3c
	v_lshlrev_b32_e32 v3, 3, v0
	v_mov_b32_e32 v1, v2
	s_mov_b64 s[18:19], 0
	s_mov_b32 s22, -0.5
	s_waitcnt lgkmcnt(0)
	s_and_b32 s20, s0, 0xffff
	s_add_u32 s0, s10, s12
	s_addc_u32 s1, s11, s13
	v_mov_b32_e32 v4, s1
	v_add_co_u32_e32 v3, vcc, s0, v3
	v_addc_co_u32_e32 v4, vcc, 0, v4, vcc
	v_add_co_u32_e32 v3, vcc, 4, v3
	v_addc_co_u32_e32 v4, vcc, 0, v4, vcc
	s_lshl_b32 s21, s20, 3
	v_mov_b32_e32 v5, 0.5
	v_mov_b32_e32 v6, 0x3d034c3c
	v_mov_b32_e32 v7, 0x3d3641b1
	;; [unrolled: 1-line block ×4, first 2 shown]
.LBB50_24:                              ; =>This Inner Loop Header: Depth=1
	global_load_dwordx2 v[10:11], v[3:4], off offset:-4
	v_add_co_u32_e32 v0, vcc, s20, v0
	v_addc_co_u32_e32 v1, vcc, 0, v1, vcc
	v_lshlrev_b64 v[12:13], 2, v[0:1]
	v_cmp_le_i64_e32 vcc, s[16:17], v[12:13]
	s_or_b64 s[18:19], vcc, s[18:19]
	s_waitcnt vmcnt(0)
	v_cvt_f32_f16_e32 v12, v10
	v_cvt_f32_f16_e32 v14, v11
	v_cvt_f32_f16_sdwa v16, v11 dst_sel:DWORD dst_unused:UNUSED_PAD src0_sel:WORD_1
	v_fma_mix_f32 v13, |v10|, s22, v5 op_sel_hi:[1,0,0]
	v_mul_f32_e32 v18, v12, v12
	v_cmp_gt_f32_e64 s[0:1], |v12|, 0.5
	v_mul_f32_e32 v12, v14, v14
	v_cmp_gt_f32_e64 s[2:3], |v14|, 0.5
	v_mul_f32_e32 v14, v16, v16
	v_cmp_gt_f32_e64 s[4:5], |v16|, 0.5
	v_cvt_f32_f16_sdwa v16, v10 dst_sel:DWORD dst_unused:UNUSED_PAD src0_sel:WORD_1
	v_fma_mix_f32 v15, |v11|, s22, v5 op_sel_hi:[1,0,0]
	v_fma_mix_f32 v17, |v11|, s22, v5 op_sel:[1,0,0] op_sel_hi:[1,0,0]
	v_cndmask_b32_e64 v13, v18, v13, s[0:1]
	v_fma_mix_f32 v18, |v10|, s22, v5 op_sel:[1,0,0] op_sel_hi:[1,0,0]
	v_mul_f32_e32 v19, v16, v16
	v_cmp_gt_f32_e64 s[6:7], |v16|, 0.5
	v_cndmask_b32_e64 v16, v19, v18, s[6:7]
	v_mov_b32_e32 v18, 0x3c5fc5da
	v_cndmask_b32_e64 v12, v12, v15, s[2:3]
	v_mov_b32_e32 v15, 0x3c5fc5da
	;; [unrolled: 2-line block ×3, first 2 shown]
	v_mov_b32_e32 v19, 0x3c5fc5da
	v_fmac_f32_e32 v18, 0x3d1c21a7, v13
	v_fmac_f32_e32 v15, 0x3d1c21a7, v16
	;; [unrolled: 1-line block ×4, first 2 shown]
	v_fma_f32 v18, v13, v18, v6
	v_fma_f32 v15, v16, v15, v6
	;; [unrolled: 1-line block ×16, first 2 shown]
	v_mul_f32_e32 v18, v13, v18
	v_sqrt_f32_e32 v13, v13
	v_mul_f32_e32 v15, v16, v15
	v_sqrt_f32_e32 v16, v16
	;; [unrolled: 2-line block ×4, first 2 shown]
	v_fmac_f32_e32 v13, v13, v18
	v_fmac_f32_e32 v16, v16, v15
	;; [unrolled: 1-line block ×4, first 2 shown]
	v_add_f32_e32 v13, v13, v13
	v_add_f32_e32 v16, v16, v16
	;; [unrolled: 1-line block ×4, first 2 shown]
	v_fma_mix_f32 v18, v10, v18, v10 op_sel_hi:[1,0,1]
	v_fma_mix_f32 v15, v10, v15, v10 op_sel:[1,0,1] op_sel_hi:[1,0,1]
	v_fma_mix_f32 v17, v11, v17, v11 op_sel_hi:[1,0,1]
	v_fma_mix_f32 v19, v11, v19, v11 op_sel:[1,0,1] op_sel_hi:[1,0,1]
	v_sub_f32_e32 v20, 0x40490fdb, v16
	v_cmp_lt_f16_sdwa s[8:9], v10, v2 src0_sel:WORD_1 src1_sel:DWORD
	v_sub_f32_e32 v21, 0x40490fdb, v12
	v_cmp_gt_f16_e64 s[10:11], 0, v11
	v_sub_f32_e32 v22, 0x40490fdb, v14
	v_cmp_lt_f16_sdwa s[12:13], v11, v2 src0_sel:WORD_1 src1_sel:DWORD
	v_sub_f32_e32 v11, 0x40490fdb, v13
	v_cmp_gt_f16_e64 s[14:15], 0, v10
	v_cndmask_b32_e64 v10, v13, v11, s[14:15]
	v_cndmask_b32_e64 v11, v16, v20, s[8:9]
	;; [unrolled: 1-line block ×3, first 2 shown]
	v_sub_f32_e32 v13, 0x3fc90fdb, v18
	v_sub_f32_e32 v15, 0x3fc90fdb, v15
	;; [unrolled: 1-line block ×4, first 2 shown]
	v_cndmask_b32_e64 v14, v14, v22, s[12:13]
	v_cndmask_b32_e64 v10, v13, v10, s[0:1]
	;; [unrolled: 1-line block ×5, first 2 shown]
	v_cvt_f16_f32_e32 v10, v10
	v_cvt_f16_f32_e32 v12, v12
	;; [unrolled: 1-line block ×4, first 2 shown]
	v_pack_b32_f16 v11, v12, v13
	v_pack_b32_f16 v10, v10, v14
	global_store_dwordx2 v[3:4], v[10:11], off offset:-4
	v_add_co_u32_e32 v3, vcc, s21, v3
	v_addc_co_u32_e32 v4, vcc, 0, v4, vcc
	s_andn2_b64 exec, exec, s[18:19]
	s_cbranch_execnz .LBB50_24
.LBB50_25:
	s_endpgm
	.section	.rodata,"a",@progbits
	.p2align	6, 0x0
	.amdhsa_kernel _ZN2at6native12_GLOBAL__N_125multi_tensor_apply_kernelINS1_18TensorListMetadataILi1EEENS1_14UnaryOpFunctorIN3c104HalfELi1ELi1ELi0EEEJNS0_4AcosIfEEEEEvT_T0_DpT1_
		.amdhsa_group_segment_fixed_size 0
		.amdhsa_private_segment_fixed_size 0
		.amdhsa_kernarg_size 3632
		.amdhsa_user_sgpr_count 6
		.amdhsa_user_sgpr_private_segment_buffer 1
		.amdhsa_user_sgpr_dispatch_ptr 0
		.amdhsa_user_sgpr_queue_ptr 0
		.amdhsa_user_sgpr_kernarg_segment_ptr 1
		.amdhsa_user_sgpr_dispatch_id 0
		.amdhsa_user_sgpr_flat_scratch_init 0
		.amdhsa_user_sgpr_private_segment_size 0
		.amdhsa_uses_dynamic_stack 0
		.amdhsa_system_sgpr_private_segment_wavefront_offset 0
		.amdhsa_system_sgpr_workgroup_id_x 1
		.amdhsa_system_sgpr_workgroup_id_y 0
		.amdhsa_system_sgpr_workgroup_id_z 0
		.amdhsa_system_sgpr_workgroup_info 0
		.amdhsa_system_vgpr_workitem_id 0
		.amdhsa_next_free_vgpr 24
		.amdhsa_next_free_sgpr 28
		.amdhsa_reserve_vcc 1
		.amdhsa_reserve_flat_scratch 0
		.amdhsa_float_round_mode_32 0
		.amdhsa_float_round_mode_16_64 0
		.amdhsa_float_denorm_mode_32 3
		.amdhsa_float_denorm_mode_16_64 3
		.amdhsa_dx10_clamp 1
		.amdhsa_ieee_mode 1
		.amdhsa_fp16_overflow 0
		.amdhsa_exception_fp_ieee_invalid_op 0
		.amdhsa_exception_fp_denorm_src 0
		.amdhsa_exception_fp_ieee_div_zero 0
		.amdhsa_exception_fp_ieee_overflow 0
		.amdhsa_exception_fp_ieee_underflow 0
		.amdhsa_exception_fp_ieee_inexact 0
		.amdhsa_exception_int_div_zero 0
	.end_amdhsa_kernel
	.section	.text._ZN2at6native12_GLOBAL__N_125multi_tensor_apply_kernelINS1_18TensorListMetadataILi1EEENS1_14UnaryOpFunctorIN3c104HalfELi1ELi1ELi0EEEJNS0_4AcosIfEEEEEvT_T0_DpT1_,"axG",@progbits,_ZN2at6native12_GLOBAL__N_125multi_tensor_apply_kernelINS1_18TensorListMetadataILi1EEENS1_14UnaryOpFunctorIN3c104HalfELi1ELi1ELi0EEEJNS0_4AcosIfEEEEEvT_T0_DpT1_,comdat
.Lfunc_end50:
	.size	_ZN2at6native12_GLOBAL__N_125multi_tensor_apply_kernelINS1_18TensorListMetadataILi1EEENS1_14UnaryOpFunctorIN3c104HalfELi1ELi1ELi0EEEJNS0_4AcosIfEEEEEvT_T0_DpT1_, .Lfunc_end50-_ZN2at6native12_GLOBAL__N_125multi_tensor_apply_kernelINS1_18TensorListMetadataILi1EEENS1_14UnaryOpFunctorIN3c104HalfELi1ELi1ELi0EEEJNS0_4AcosIfEEEEEvT_T0_DpT1_
                                        ; -- End function
	.set _ZN2at6native12_GLOBAL__N_125multi_tensor_apply_kernelINS1_18TensorListMetadataILi1EEENS1_14UnaryOpFunctorIN3c104HalfELi1ELi1ELi0EEEJNS0_4AcosIfEEEEEvT_T0_DpT1_.num_vgpr, 24
	.set _ZN2at6native12_GLOBAL__N_125multi_tensor_apply_kernelINS1_18TensorListMetadataILi1EEENS1_14UnaryOpFunctorIN3c104HalfELi1ELi1ELi0EEEJNS0_4AcosIfEEEEEvT_T0_DpT1_.num_agpr, 0
	.set _ZN2at6native12_GLOBAL__N_125multi_tensor_apply_kernelINS1_18TensorListMetadataILi1EEENS1_14UnaryOpFunctorIN3c104HalfELi1ELi1ELi0EEEJNS0_4AcosIfEEEEEvT_T0_DpT1_.numbered_sgpr, 28
	.set _ZN2at6native12_GLOBAL__N_125multi_tensor_apply_kernelINS1_18TensorListMetadataILi1EEENS1_14UnaryOpFunctorIN3c104HalfELi1ELi1ELi0EEEJNS0_4AcosIfEEEEEvT_T0_DpT1_.num_named_barrier, 0
	.set _ZN2at6native12_GLOBAL__N_125multi_tensor_apply_kernelINS1_18TensorListMetadataILi1EEENS1_14UnaryOpFunctorIN3c104HalfELi1ELi1ELi0EEEJNS0_4AcosIfEEEEEvT_T0_DpT1_.private_seg_size, 0
	.set _ZN2at6native12_GLOBAL__N_125multi_tensor_apply_kernelINS1_18TensorListMetadataILi1EEENS1_14UnaryOpFunctorIN3c104HalfELi1ELi1ELi0EEEJNS0_4AcosIfEEEEEvT_T0_DpT1_.uses_vcc, 1
	.set _ZN2at6native12_GLOBAL__N_125multi_tensor_apply_kernelINS1_18TensorListMetadataILi1EEENS1_14UnaryOpFunctorIN3c104HalfELi1ELi1ELi0EEEJNS0_4AcosIfEEEEEvT_T0_DpT1_.uses_flat_scratch, 0
	.set _ZN2at6native12_GLOBAL__N_125multi_tensor_apply_kernelINS1_18TensorListMetadataILi1EEENS1_14UnaryOpFunctorIN3c104HalfELi1ELi1ELi0EEEJNS0_4AcosIfEEEEEvT_T0_DpT1_.has_dyn_sized_stack, 0
	.set _ZN2at6native12_GLOBAL__N_125multi_tensor_apply_kernelINS1_18TensorListMetadataILi1EEENS1_14UnaryOpFunctorIN3c104HalfELi1ELi1ELi0EEEJNS0_4AcosIfEEEEEvT_T0_DpT1_.has_recursion, 0
	.set _ZN2at6native12_GLOBAL__N_125multi_tensor_apply_kernelINS1_18TensorListMetadataILi1EEENS1_14UnaryOpFunctorIN3c104HalfELi1ELi1ELi0EEEJNS0_4AcosIfEEEEEvT_T0_DpT1_.has_indirect_call, 0
	.section	.AMDGPU.csdata,"",@progbits
; Kernel info:
; codeLenInByte = 2208
; TotalNumSgprs: 32
; NumVgprs: 24
; ScratchSize: 0
; MemoryBound: 0
; FloatMode: 240
; IeeeMode: 1
; LDSByteSize: 0 bytes/workgroup (compile time only)
; SGPRBlocks: 3
; VGPRBlocks: 5
; NumSGPRsForWavesPerEU: 32
; NumVGPRsForWavesPerEU: 24
; Occupancy: 10
; WaveLimiterHint : 0
; COMPUTE_PGM_RSRC2:SCRATCH_EN: 0
; COMPUTE_PGM_RSRC2:USER_SGPR: 6
; COMPUTE_PGM_RSRC2:TRAP_HANDLER: 0
; COMPUTE_PGM_RSRC2:TGID_X_EN: 1
; COMPUTE_PGM_RSRC2:TGID_Y_EN: 0
; COMPUTE_PGM_RSRC2:TGID_Z_EN: 0
; COMPUTE_PGM_RSRC2:TIDIG_COMP_CNT: 0
	.section	.text._ZN2at6native12_GLOBAL__N_125multi_tensor_apply_kernelINS1_18TensorListMetadataILi1EEENS1_14UnaryOpFunctorIN3c108BFloat16ELi1ELi1ELi0EEEJNS0_4AcosIfEEEEEvT_T0_DpT1_,"axG",@progbits,_ZN2at6native12_GLOBAL__N_125multi_tensor_apply_kernelINS1_18TensorListMetadataILi1EEENS1_14UnaryOpFunctorIN3c108BFloat16ELi1ELi1ELi0EEEJNS0_4AcosIfEEEEEvT_T0_DpT1_,comdat
	.globl	_ZN2at6native12_GLOBAL__N_125multi_tensor_apply_kernelINS1_18TensorListMetadataILi1EEENS1_14UnaryOpFunctorIN3c108BFloat16ELi1ELi1ELi0EEEJNS0_4AcosIfEEEEEvT_T0_DpT1_ ; -- Begin function _ZN2at6native12_GLOBAL__N_125multi_tensor_apply_kernelINS1_18TensorListMetadataILi1EEENS1_14UnaryOpFunctorIN3c108BFloat16ELi1ELi1ELi0EEEJNS0_4AcosIfEEEEEvT_T0_DpT1_
	.p2align	8
	.type	_ZN2at6native12_GLOBAL__N_125multi_tensor_apply_kernelINS1_18TensorListMetadataILi1EEENS1_14UnaryOpFunctorIN3c108BFloat16ELi1ELi1ELi0EEEJNS0_4AcosIfEEEEEvT_T0_DpT1_,@function
_ZN2at6native12_GLOBAL__N_125multi_tensor_apply_kernelINS1_18TensorListMetadataILi1EEENS1_14UnaryOpFunctorIN3c108BFloat16ELi1ELi1ELi0EEEJNS0_4AcosIfEEEEEvT_T0_DpT1_: ; @_ZN2at6native12_GLOBAL__N_125multi_tensor_apply_kernelINS1_18TensorListMetadataILi1EEENS1_14UnaryOpFunctorIN3c108BFloat16ELi1ELi1ELi0EEEJNS0_4AcosIfEEEEEvT_T0_DpT1_
; %bb.0:
	v_mov_b32_e32 v1, s6
	global_load_ubyte v1, v1, s[4:5] offset:1760
	s_add_u32 s0, s4, s6
	s_mul_hi_u32 s1, s6, 3
	s_mul_i32 s6, s6, 3
	s_addc_u32 s2, s5, 0
	s_add_u32 s0, s0, s6
	s_addc_u32 s1, s2, s1
	s_load_dword s0, s[0:1], 0x820
	s_mov_b32 s7, 0
	s_waitcnt vmcnt(0)
	v_readfirstlane_b32 s1, v1
	s_lshl_b32 s1, s1, 3
	s_load_dwordx2 s[2:3], s[4:5], s1 offset:0x370
	s_load_dwordx2 s[10:11], s[4:5], s1 offset:0x0
	s_waitcnt lgkmcnt(0)
	s_ashr_i32 s1, s0, 31
	s_lshl_b64 s[12:13], s[0:1], 17
	s_lshl_b64 s[0:1], s[0:1], 16
	s_and_b32 s6, s10, 7
	s_sub_u32 s14, s2, s0
	s_subb_u32 s15, s3, s1
	s_and_b32 s0, s2, 3
	s_mov_b32 s1, s7
	s_or_b64 s[0:1], s[6:7], s[0:1]
	s_cmp_eq_u64 s[0:1], 0
	s_cbranch_scc1 .LBB51_21
; %bb.1:
	v_cmp_lt_i64_e64 s[0:1], s[14:15], 1
	s_and_b64 vcc, exec, s[0:1]
	s_cbranch_vccnz .LBB51_20
; %bb.2:
	v_mov_b32_e32 v1, 0x10000
	s_load_dword s2, s[4:5], 0xd3c
	v_mov_b32_e32 v2, 0
	v_cmp_lt_i64_e32 vcc, s[14:15], v[1:2]
	s_mov_b64 s[20:21], 0
	s_and_b64 s[0:1], vcc, exec
	v_cmp_lt_u64_e32 vcc, s[14:15], v[1:2]
	s_cselect_b32 s17, s15, 0
	s_cselect_b32 s16, s14, 0x10000
	s_waitcnt lgkmcnt(0)
	s_and_b32 s2, s2, 0xffff
	s_and_b64 s[0:1], vcc, exec
	s_cselect_b32 s19, s15, 0
	s_cselect_b32 s18, s14, 0x10000
	s_lshl_b32 s3, s2, 1
	s_lshl_b32 s24, s2, 2
	s_add_u32 s6, s10, s12
	v_lshlrev_b32_e32 v1, 1, v0
	s_addc_u32 s7, s11, s13
	v_mov_b32_e32 v2, s7
	v_add_co_u32_e32 v1, vcc, s6, v1
	s_mul_i32 s0, s2, 3
	v_addc_co_u32_e32 v2, vcc, 0, v2, vcc
	v_add_co_u32_e32 v5, vcc, s0, v0
	v_addc_co_u32_e64 v6, s[0:1], 0, 0, vcc
	v_add_co_u32_e32 v7, vcc, s3, v0
	v_addc_co_u32_e64 v8, s[0:1], 0, 0, vcc
	v_add_co_u32_e32 v9, vcc, s2, v0
	v_lshlrev_b32_e32 v3, 1, v9
	v_addc_co_u32_e64 v10, s[0:1], 0, 0, vcc
	v_mov_b32_e32 v4, s7
	v_add_co_u32_e32 v3, vcc, s6, v3
	s_lshl_b32 s25, s2, 3
	s_mul_i32 s26, s2, 6
	v_addc_co_u32_e32 v4, vcc, 0, v4, vcc
	v_mov_b32_e32 v11, 0x3d034c3c
	v_mov_b32_e32 v12, 0x3d3641b1
	;; [unrolled: 1-line block ×4, first 2 shown]
	s_movk_i32 s27, 0x7fff
	v_mov_b32_e32 v15, 0x7fc0
	s_branch .LBB51_4
.LBB51_3:                               ;   in Loop: Header=BB51_4 Depth=1
	s_or_b64 exec, exec, s[2:3]
	s_add_u32 s20, s20, s24
	v_add_co_u32_e32 v1, vcc, s25, v1
	v_mov_b32_e32 v16, s16
	s_addc_u32 s21, s21, 0
	v_addc_co_u32_e32 v2, vcc, 0, v2, vcc
	v_mov_b32_e32 v17, s17
	v_cmp_lt_i64_e32 vcc, s[20:21], v[16:17]
	v_add_co_u32_e64 v3, s[0:1], s25, v3
	v_addc_co_u32_e64 v4, s[0:1], 0, v4, s[0:1]
	s_cbranch_vccz .LBB51_20
.LBB51_4:                               ; =>This Inner Loop Header: Depth=1
	v_mov_b32_e32 v17, s21
	v_add_co_u32_e32 v16, vcc, s20, v0
	v_addc_co_u32_e32 v17, vcc, 0, v17, vcc
	v_cmp_gt_u64_e32 vcc, s[18:19], v[16:17]
	v_mov_b32_e32 v19, 0
	s_and_saveexec_b64 s[0:1], vcc
	s_cbranch_execz .LBB51_6
; %bb.5:                                ;   in Loop: Header=BB51_4 Depth=1
	global_load_ushort v16, v[1:2], off
	s_waitcnt vmcnt(0)
	v_lshlrev_b32_e32 v19, 16, v16
.LBB51_6:                               ;   in Loop: Header=BB51_4 Depth=1
	s_or_b64 exec, exec, s[0:1]
	v_mov_b32_e32 v17, s21
	v_add_co_u32_e64 v16, s[0:1], s20, v9
	v_addc_co_u32_e64 v17, s[0:1], v10, v17, s[0:1]
	v_cmp_gt_u64_e64 s[6:7], s[18:19], v[16:17]
	v_mov_b32_e32 v16, 0
	v_mov_b32_e32 v18, 0
	s_and_saveexec_b64 s[0:1], s[6:7]
	s_cbranch_execz .LBB51_8
; %bb.7:                                ;   in Loop: Header=BB51_4 Depth=1
	global_load_ushort v17, v[3:4], off
	s_waitcnt vmcnt(0)
	v_lshlrev_b32_e32 v18, 16, v17
.LBB51_8:                               ;   in Loop: Header=BB51_4 Depth=1
	s_or_b64 exec, exec, s[0:1]
	v_mov_b32_e32 v17, s21
	v_add_co_u32_e64 v20, s[0:1], s20, v7
	v_addc_co_u32_e64 v21, s[0:1], v8, v17, s[0:1]
	v_cmp_gt_u64_e64 s[2:3], s[18:19], v[20:21]
	s_and_saveexec_b64 s[8:9], s[2:3]
	s_cbranch_execz .LBB51_10
; %bb.9:                                ;   in Loop: Header=BB51_4 Depth=1
	v_add_co_u32_e64 v16, s[0:1], s24, v1
	v_addc_co_u32_e64 v17, s[0:1], 0, v2, s[0:1]
	global_load_ushort v16, v[16:17], off
	s_waitcnt vmcnt(0)
	v_lshlrev_b32_e32 v16, 16, v16
.LBB51_10:                              ;   in Loop: Header=BB51_4 Depth=1
	s_or_b64 exec, exec, s[8:9]
	v_mov_b32_e32 v17, s21
	v_add_co_u32_e64 v20, s[0:1], s20, v5
	v_addc_co_u32_e64 v21, s[0:1], v6, v17, s[0:1]
	v_cmp_gt_u64_e64 s[0:1], s[18:19], v[20:21]
	v_mov_b32_e32 v17, 0
	s_and_saveexec_b64 s[22:23], s[0:1]
	s_cbranch_execnz .LBB51_15
; %bb.11:                               ;   in Loop: Header=BB51_4 Depth=1
	s_or_b64 exec, exec, s[22:23]
	s_and_saveexec_b64 s[22:23], vcc
	s_cbranch_execnz .LBB51_16
.LBB51_12:                              ;   in Loop: Header=BB51_4 Depth=1
	s_or_b64 exec, exec, s[22:23]
	s_and_saveexec_b64 s[8:9], s[6:7]
	s_cbranch_execnz .LBB51_17
.LBB51_13:                              ;   in Loop: Header=BB51_4 Depth=1
	s_or_b64 exec, exec, s[8:9]
	s_and_saveexec_b64 s[6:7], s[2:3]
	s_cbranch_execnz .LBB51_18
.LBB51_14:                              ;   in Loop: Header=BB51_4 Depth=1
	s_or_b64 exec, exec, s[6:7]
	s_and_saveexec_b64 s[2:3], s[0:1]
	s_cbranch_execz .LBB51_3
	s_branch .LBB51_19
.LBB51_15:                              ;   in Loop: Header=BB51_4 Depth=1
	v_add_co_u32_e64 v20, s[8:9], s26, v1
	v_addc_co_u32_e64 v21, s[8:9], 0, v2, s[8:9]
	global_load_ushort v17, v[20:21], off
	s_waitcnt vmcnt(0)
	v_lshlrev_b32_e32 v17, 16, v17
	s_or_b64 exec, exec, s[22:23]
	s_and_saveexec_b64 s[22:23], vcc
	s_cbranch_execz .LBB51_12
.LBB51_16:                              ;   in Loop: Header=BB51_4 Depth=1
	v_fma_f32 v20, |v19|, -0.5, 0.5
	v_mul_f32_e32 v21, v19, v19
	v_cmp_gt_f32_e64 vcc, |v19|, 0.5
	v_cndmask_b32_e32 v20, v21, v20, vcc
	v_mov_b32_e32 v22, 0x3c5fc5da
	v_fmac_f32_e32 v22, 0x3d1c21a7, v20
	v_fma_f32 v22, v20, v22, v11
	v_sqrt_f32_e32 v21, v20
	v_fma_f32 v22, v20, v22, v12
	v_fma_f32 v22, v20, v22, v13
	;; [unrolled: 1-line block ×3, first 2 shown]
	v_mul_f32_e32 v20, v20, v22
	v_fmac_f32_e32 v21, v21, v20
	v_add_f32_e32 v21, v21, v21
	v_sub_f32_e32 v22, 0x40490fdb, v21
	v_cmp_gt_f32_e64 s[8:9], 0, v19
	v_fmac_f32_e32 v19, v19, v20
	v_cndmask_b32_e64 v21, v21, v22, s[8:9]
	v_sub_f32_e32 v19, 0x3fc90fdb, v19
	v_cndmask_b32_e32 v19, v19, v21, vcc
	v_bfe_u32 v20, v19, 16, 1
	v_add3_u32 v20, v19, v20, s27
	v_cmp_o_f32_e32 vcc, v19, v19
	v_cndmask_b32_sdwa v19, v15, v20, vcc dst_sel:DWORD dst_unused:UNUSED_PAD src0_sel:DWORD src1_sel:WORD_1
	global_store_short v[1:2], v19, off
	s_or_b64 exec, exec, s[22:23]
	s_and_saveexec_b64 s[8:9], s[6:7]
	s_cbranch_execz .LBB51_13
.LBB51_17:                              ;   in Loop: Header=BB51_4 Depth=1
	v_fma_f32 v19, |v18|, -0.5, 0.5
	v_mul_f32_e32 v20, v18, v18
	v_cmp_gt_f32_e64 vcc, |v18|, 0.5
	v_cndmask_b32_e32 v19, v20, v19, vcc
	v_mov_b32_e32 v20, 0x3c5fc5da
	v_fmac_f32_e32 v20, 0x3d1c21a7, v19
	v_fma_f32 v20, v19, v20, v11
	v_fma_f32 v20, v19, v20, v12
	v_sqrt_f32_e32 v21, v19
	v_fma_f32 v20, v19, v20, v13
	v_fma_f32 v20, v19, v20, v14
	v_mul_f32_e32 v19, v19, v20
	v_fmac_f32_e32 v21, v21, v19
	v_add_f32_e32 v20, v21, v21
	v_sub_f32_e32 v21, 0x40490fdb, v20
	v_cmp_gt_f32_e64 s[6:7], 0, v18
	v_fmac_f32_e32 v18, v18, v19
	v_cndmask_b32_e64 v20, v20, v21, s[6:7]
	v_sub_f32_e32 v18, 0x3fc90fdb, v18
	v_cndmask_b32_e32 v18, v18, v20, vcc
	v_bfe_u32 v19, v18, 16, 1
	v_add3_u32 v19, v18, v19, s27
	v_cmp_o_f32_e32 vcc, v18, v18
	v_cndmask_b32_sdwa v18, v15, v19, vcc dst_sel:DWORD dst_unused:UNUSED_PAD src0_sel:DWORD src1_sel:WORD_1
	global_store_short v[3:4], v18, off
	s_or_b64 exec, exec, s[8:9]
	s_and_saveexec_b64 s[6:7], s[2:3]
	s_cbranch_execz .LBB51_14
.LBB51_18:                              ;   in Loop: Header=BB51_4 Depth=1
	v_fma_f32 v18, |v16|, -0.5, 0.5
	v_mul_f32_e32 v19, v16, v16
	v_cmp_gt_f32_e64 vcc, |v16|, 0.5
	v_cndmask_b32_e32 v18, v19, v18, vcc
	v_mov_b32_e32 v19, 0x3c5fc5da
	v_fmac_f32_e32 v19, 0x3d1c21a7, v18
	v_fma_f32 v19, v18, v19, v11
	v_fma_f32 v19, v18, v19, v12
	v_sqrt_f32_e32 v20, v18
	v_fma_f32 v19, v18, v19, v13
	v_fma_f32 v19, v18, v19, v14
	v_mul_f32_e32 v18, v18, v19
	v_fmac_f32_e32 v20, v20, v18
	v_add_f32_e32 v19, v20, v20
	v_sub_f32_e32 v20, 0x40490fdb, v19
	v_cmp_gt_f32_e64 s[2:3], 0, v16
	v_fmac_f32_e32 v16, v16, v18
	v_cndmask_b32_e64 v19, v19, v20, s[2:3]
	v_sub_f32_e32 v16, 0x3fc90fdb, v16
	v_cndmask_b32_e32 v16, v16, v19, vcc
	v_bfe_u32 v18, v16, 16, 1
	v_add3_u32 v18, v16, v18, s27
	v_cmp_o_f32_e32 vcc, v16, v16
	v_cndmask_b32_sdwa v16, v15, v18, vcc dst_sel:DWORD dst_unused:UNUSED_PAD src0_sel:DWORD src1_sel:WORD_1
	v_add_co_u32_e32 v18, vcc, s24, v1
	v_addc_co_u32_e32 v19, vcc, 0, v2, vcc
	global_store_short v[18:19], v16, off
	s_or_b64 exec, exec, s[6:7]
	s_and_saveexec_b64 s[2:3], s[0:1]
	s_cbranch_execz .LBB51_3
.LBB51_19:                              ;   in Loop: Header=BB51_4 Depth=1
	v_fma_f32 v16, |v17|, -0.5, 0.5
	v_mul_f32_e32 v18, v17, v17
	v_cmp_gt_f32_e64 vcc, |v17|, 0.5
	v_cndmask_b32_e32 v16, v18, v16, vcc
	v_mov_b32_e32 v18, 0x3c5fc5da
	v_fmac_f32_e32 v18, 0x3d1c21a7, v16
	v_fma_f32 v18, v16, v18, v11
	v_fma_f32 v18, v16, v18, v12
	v_sqrt_f32_e32 v19, v16
	v_fma_f32 v18, v16, v18, v13
	v_fma_f32 v18, v16, v18, v14
	v_mul_f32_e32 v16, v16, v18
	v_fmac_f32_e32 v19, v19, v16
	v_add_f32_e32 v18, v19, v19
	v_sub_f32_e32 v19, 0x40490fdb, v18
	v_cmp_gt_f32_e64 s[0:1], 0, v17
	v_fmac_f32_e32 v17, v17, v16
	v_cndmask_b32_e64 v18, v18, v19, s[0:1]
	v_sub_f32_e32 v16, 0x3fc90fdb, v17
	v_cndmask_b32_e32 v16, v16, v18, vcc
	v_bfe_u32 v17, v16, 16, 1
	v_add3_u32 v17, v16, v17, s27
	v_cmp_o_f32_e32 vcc, v16, v16
	v_cndmask_b32_sdwa v18, v15, v17, vcc dst_sel:DWORD dst_unused:UNUSED_PAD src0_sel:DWORD src1_sel:WORD_1
	v_add_co_u32_e32 v16, vcc, s26, v1
	v_addc_co_u32_e32 v17, vcc, 0, v2, vcc
	global_store_short v[16:17], v18, off
	s_branch .LBB51_3
.LBB51_20:
	s_cbranch_execz .LBB51_22
	s_branch .LBB51_25
.LBB51_21:
.LBB51_22:
	v_mov_b32_e32 v1, 0x10000
	v_mov_b32_e32 v2, 0
	v_cmp_lt_i64_e32 vcc, s[14:15], v[1:2]
	v_mov_b32_e32 v2, 0
	s_and_b64 s[0:1], vcc, exec
	s_cselect_b32 s15, s15, 0
	s_cselect_b32 s14, s14, 0x10000
	v_lshlrev_b32_e32 v1, 2, v0
	v_cmp_gt_i64_e32 vcc, s[14:15], v[1:2]
	s_and_saveexec_b64 s[0:1], vcc
	s_cbranch_execz .LBB51_25
; %bb.23:
	s_load_dword s0, s[4:5], 0xd3c
	v_mov_b32_e32 v1, v2
	v_lshlrev_b32_e32 v2, 3, v0
	v_mov_b32_e32 v4, 0x3d034c3c
	v_mov_b32_e32 v5, 0x3d3641b1
	s_waitcnt lgkmcnt(0)
	s_and_b32 s16, s0, 0xffff
	s_add_u32 s0, s10, s12
	s_addc_u32 s1, s11, s13
	v_mov_b32_e32 v3, s1
	v_add_co_u32_e32 v2, vcc, s0, v2
	v_addc_co_u32_e32 v3, vcc, 0, v3, vcc
	s_lshl_b32 s17, s16, 3
	s_mov_b64 s[12:13], 0
	v_mov_b32_e32 v6, 0x3d999bc8
	v_mov_b32_e32 v7, 0x3e2aaaac
	s_movk_i32 s18, 0x7fff
	v_mov_b32_e32 v8, 0x7fc00000
	v_mov_b32_e32 v9, 0x7fc0
.LBB51_24:                              ; =>This Inner Loop Header: Depth=1
	global_load_dwordx2 v[10:11], v[2:3], off
	v_mov_b32_e32 v12, 0x3c5fc5da
	s_waitcnt vmcnt(0)
	v_lshlrev_b32_e32 v14, 16, v10
	v_fma_f32 v15, |v14|, -0.5, 0.5
	v_mul_f32_e32 v16, v14, v14
	v_cmp_gt_f32_e64 vcc, |v14|, 0.5
	v_and_b32_e32 v13, 0xffff0000, v10
	v_alignbit_b32 v10, v11, v10, 16
	v_and_b32_e32 v11, 0xffff0000, v11
	v_cndmask_b32_e32 v15, v16, v15, vcc
	v_fma_f32 v17, |v13|, -0.5, 0.5
	v_mul_f32_e32 v18, v13, v13
	v_and_b32_e32 v10, 0xffff0000, v10
	v_fma_f32 v19, |v11|, -0.5, 0.5
	v_mul_f32_e32 v16, v11, v11
	v_cmp_gt_f32_e64 s[0:1], |v13|, 0.5
	v_cmp_gt_f32_e64 s[2:3], |v11|, 0.5
	v_fmac_f32_e32 v12, 0x3d1c21a7, v15
	v_cndmask_b32_e64 v17, v18, v17, s[0:1]
	v_fma_f32 v18, |v10|, -0.5, 0.5
	v_cndmask_b32_e64 v16, v16, v19, s[2:3]
	v_mul_f32_e32 v19, v10, v10
	v_cmp_gt_f32_e64 s[4:5], |v10|, 0.5
	v_fma_f32 v12, v15, v12, v4
	v_cndmask_b32_e64 v18, v19, v18, s[4:5]
	v_sqrt_f32_e32 v19, v15
	v_fma_f32 v12, v15, v12, v5
	v_fma_f32 v12, v15, v12, v6
	;; [unrolled: 1-line block ×3, first 2 shown]
	v_mul_f32_e32 v12, v15, v12
	v_fmac_f32_e32 v19, v19, v12
	v_cmp_gt_f32_e64 s[6:7], 0, v14
	v_fmac_f32_e32 v14, v14, v12
	v_mov_b32_e32 v12, 0x3c5fc5da
	v_fmac_f32_e32 v12, 0x3d1c21a7, v17
	v_fma_f32 v12, v17, v12, v4
	v_fma_f32 v12, v17, v12, v5
	;; [unrolled: 1-line block ×4, first 2 shown]
	v_mul_f32_e32 v12, v17, v12
	v_sqrt_f32_e32 v17, v17
	v_cmp_gt_f32_e64 s[8:9], 0, v13
	v_fmac_f32_e32 v13, v13, v12
	v_add_f32_e32 v15, v19, v19
	v_fmac_f32_e32 v17, v17, v12
	v_mov_b32_e32 v12, 0x3c5fc5da
	v_fmac_f32_e32 v12, 0x3d1c21a7, v16
	v_fma_f32 v12, v16, v12, v4
	v_fma_f32 v12, v16, v12, v5
	;; [unrolled: 1-line block ×4, first 2 shown]
	v_mul_f32_e32 v12, v16, v12
	v_sqrt_f32_e32 v16, v16
	v_add_f32_e32 v17, v17, v17
	v_sub_f32_e32 v19, 0x40490fdb, v15
	v_sub_f32_e32 v20, 0x40490fdb, v17
	v_fmac_f32_e32 v16, v16, v12
	v_cmp_gt_f32_e64 s[10:11], 0, v11
	v_fmac_f32_e32 v11, v11, v12
	v_cndmask_b32_e64 v12, v15, v19, s[6:7]
	v_cndmask_b32_e64 v15, v17, v20, s[8:9]
	v_mov_b32_e32 v17, 0x3c5fc5da
	v_fmac_f32_e32 v17, 0x3d1c21a7, v18
	v_fma_f32 v17, v18, v17, v4
	v_fma_f32 v17, v18, v17, v5
	;; [unrolled: 1-line block ×4, first 2 shown]
	v_mul_f32_e32 v17, v18, v17
	v_sqrt_f32_e32 v18, v18
	v_add_f32_e32 v16, v16, v16
	v_sub_f32_e32 v21, 0x40490fdb, v16
	v_cmp_gt_f32_e64 s[6:7], 0, v10
	v_fmac_f32_e32 v18, v18, v17
	v_add_f32_e32 v18, v18, v18
	v_sub_f32_e32 v19, 0x40490fdb, v18
	v_fmac_f32_e32 v10, v10, v17
	v_sub_f32_e32 v14, 0x3fc90fdb, v14
	v_cndmask_b32_e64 v16, v16, v21, s[10:11]
	v_sub_f32_e32 v11, 0x3fc90fdb, v11
	v_cndmask_b32_e32 v12, v14, v12, vcc
	v_cndmask_b32_e64 v14, v18, v19, s[6:7]
	v_sub_f32_e32 v10, 0x3fc90fdb, v10
	v_cndmask_b32_e64 v11, v11, v16, s[2:3]
	v_sub_f32_e32 v13, 0x3fc90fdb, v13
	v_cndmask_b32_e64 v10, v10, v14, s[4:5]
	v_bfe_u32 v14, v11, 16, 1
	v_cndmask_b32_e64 v13, v13, v15, s[0:1]
	v_bfe_u32 v17, v10, 16, 1
	v_add3_u32 v14, v11, v14, s18
	v_bfe_u32 v16, v13, 16, 1
	v_add3_u32 v17, v10, v17, s18
	v_and_b32_e32 v14, 0xffff0000, v14
	v_cmp_o_f32_e32 vcc, v11, v11
	v_bfe_u32 v15, v12, 16, 1
	v_add3_u32 v16, v13, v16, s18
	v_lshrrev_b32_e32 v17, 16, v17
	v_cndmask_b32_e32 v11, v8, v14, vcc
	v_cmp_o_f32_e32 vcc, v10, v10
	v_add3_u32 v15, v12, v15, s18
	v_and_b32_e32 v16, 0xffff0000, v16
	v_cndmask_b32_e32 v10, v9, v17, vcc
	v_cmp_o_f32_e32 vcc, v13, v13
	v_lshrrev_b32_e32 v15, 16, v15
	v_cndmask_b32_e32 v13, v8, v16, vcc
	v_cmp_o_f32_e32 vcc, v12, v12
	v_cndmask_b32_e32 v12, v9, v15, vcc
	v_add_co_u32_e32 v0, vcc, s16, v0
	v_addc_co_u32_e32 v1, vcc, 0, v1, vcc
	v_or_b32_e32 v14, v12, v13
	v_lshlrev_b64 v[12:13], 2, v[0:1]
	v_or3_b32 v11, 0, v10, v11
	v_cmp_le_i64_e32 vcc, s[14:15], v[12:13]
	v_or3_b32 v10, v14, 0, 0
	global_store_dwordx2 v[2:3], v[10:11], off
	s_or_b64 s[12:13], vcc, s[12:13]
	v_add_co_u32_e32 v2, vcc, s17, v2
	v_addc_co_u32_e32 v3, vcc, 0, v3, vcc
	s_andn2_b64 exec, exec, s[12:13]
	s_cbranch_execnz .LBB51_24
.LBB51_25:
	s_endpgm
	.section	.rodata,"a",@progbits
	.p2align	6, 0x0
	.amdhsa_kernel _ZN2at6native12_GLOBAL__N_125multi_tensor_apply_kernelINS1_18TensorListMetadataILi1EEENS1_14UnaryOpFunctorIN3c108BFloat16ELi1ELi1ELi0EEEJNS0_4AcosIfEEEEEvT_T0_DpT1_
		.amdhsa_group_segment_fixed_size 0
		.amdhsa_private_segment_fixed_size 0
		.amdhsa_kernarg_size 3632
		.amdhsa_user_sgpr_count 6
		.amdhsa_user_sgpr_private_segment_buffer 1
		.amdhsa_user_sgpr_dispatch_ptr 0
		.amdhsa_user_sgpr_queue_ptr 0
		.amdhsa_user_sgpr_kernarg_segment_ptr 1
		.amdhsa_user_sgpr_dispatch_id 0
		.amdhsa_user_sgpr_flat_scratch_init 0
		.amdhsa_user_sgpr_private_segment_size 0
		.amdhsa_uses_dynamic_stack 0
		.amdhsa_system_sgpr_private_segment_wavefront_offset 0
		.amdhsa_system_sgpr_workgroup_id_x 1
		.amdhsa_system_sgpr_workgroup_id_y 0
		.amdhsa_system_sgpr_workgroup_id_z 0
		.amdhsa_system_sgpr_workgroup_info 0
		.amdhsa_system_vgpr_workitem_id 0
		.amdhsa_next_free_vgpr 23
		.amdhsa_next_free_sgpr 28
		.amdhsa_reserve_vcc 1
		.amdhsa_reserve_flat_scratch 0
		.amdhsa_float_round_mode_32 0
		.amdhsa_float_round_mode_16_64 0
		.amdhsa_float_denorm_mode_32 3
		.amdhsa_float_denorm_mode_16_64 3
		.amdhsa_dx10_clamp 1
		.amdhsa_ieee_mode 1
		.amdhsa_fp16_overflow 0
		.amdhsa_exception_fp_ieee_invalid_op 0
		.amdhsa_exception_fp_denorm_src 0
		.amdhsa_exception_fp_ieee_div_zero 0
		.amdhsa_exception_fp_ieee_overflow 0
		.amdhsa_exception_fp_ieee_underflow 0
		.amdhsa_exception_fp_ieee_inexact 0
		.amdhsa_exception_int_div_zero 0
	.end_amdhsa_kernel
	.section	.text._ZN2at6native12_GLOBAL__N_125multi_tensor_apply_kernelINS1_18TensorListMetadataILi1EEENS1_14UnaryOpFunctorIN3c108BFloat16ELi1ELi1ELi0EEEJNS0_4AcosIfEEEEEvT_T0_DpT1_,"axG",@progbits,_ZN2at6native12_GLOBAL__N_125multi_tensor_apply_kernelINS1_18TensorListMetadataILi1EEENS1_14UnaryOpFunctorIN3c108BFloat16ELi1ELi1ELi0EEEJNS0_4AcosIfEEEEEvT_T0_DpT1_,comdat
.Lfunc_end51:
	.size	_ZN2at6native12_GLOBAL__N_125multi_tensor_apply_kernelINS1_18TensorListMetadataILi1EEENS1_14UnaryOpFunctorIN3c108BFloat16ELi1ELi1ELi0EEEJNS0_4AcosIfEEEEEvT_T0_DpT1_, .Lfunc_end51-_ZN2at6native12_GLOBAL__N_125multi_tensor_apply_kernelINS1_18TensorListMetadataILi1EEENS1_14UnaryOpFunctorIN3c108BFloat16ELi1ELi1ELi0EEEJNS0_4AcosIfEEEEEvT_T0_DpT1_
                                        ; -- End function
	.set _ZN2at6native12_GLOBAL__N_125multi_tensor_apply_kernelINS1_18TensorListMetadataILi1EEENS1_14UnaryOpFunctorIN3c108BFloat16ELi1ELi1ELi0EEEJNS0_4AcosIfEEEEEvT_T0_DpT1_.num_vgpr, 23
	.set _ZN2at6native12_GLOBAL__N_125multi_tensor_apply_kernelINS1_18TensorListMetadataILi1EEENS1_14UnaryOpFunctorIN3c108BFloat16ELi1ELi1ELi0EEEJNS0_4AcosIfEEEEEvT_T0_DpT1_.num_agpr, 0
	.set _ZN2at6native12_GLOBAL__N_125multi_tensor_apply_kernelINS1_18TensorListMetadataILi1EEENS1_14UnaryOpFunctorIN3c108BFloat16ELi1ELi1ELi0EEEJNS0_4AcosIfEEEEEvT_T0_DpT1_.numbered_sgpr, 28
	.set _ZN2at6native12_GLOBAL__N_125multi_tensor_apply_kernelINS1_18TensorListMetadataILi1EEENS1_14UnaryOpFunctorIN3c108BFloat16ELi1ELi1ELi0EEEJNS0_4AcosIfEEEEEvT_T0_DpT1_.num_named_barrier, 0
	.set _ZN2at6native12_GLOBAL__N_125multi_tensor_apply_kernelINS1_18TensorListMetadataILi1EEENS1_14UnaryOpFunctorIN3c108BFloat16ELi1ELi1ELi0EEEJNS0_4AcosIfEEEEEvT_T0_DpT1_.private_seg_size, 0
	.set _ZN2at6native12_GLOBAL__N_125multi_tensor_apply_kernelINS1_18TensorListMetadataILi1EEENS1_14UnaryOpFunctorIN3c108BFloat16ELi1ELi1ELi0EEEJNS0_4AcosIfEEEEEvT_T0_DpT1_.uses_vcc, 1
	.set _ZN2at6native12_GLOBAL__N_125multi_tensor_apply_kernelINS1_18TensorListMetadataILi1EEENS1_14UnaryOpFunctorIN3c108BFloat16ELi1ELi1ELi0EEEJNS0_4AcosIfEEEEEvT_T0_DpT1_.uses_flat_scratch, 0
	.set _ZN2at6native12_GLOBAL__N_125multi_tensor_apply_kernelINS1_18TensorListMetadataILi1EEENS1_14UnaryOpFunctorIN3c108BFloat16ELi1ELi1ELi0EEEJNS0_4AcosIfEEEEEvT_T0_DpT1_.has_dyn_sized_stack, 0
	.set _ZN2at6native12_GLOBAL__N_125multi_tensor_apply_kernelINS1_18TensorListMetadataILi1EEENS1_14UnaryOpFunctorIN3c108BFloat16ELi1ELi1ELi0EEEJNS0_4AcosIfEEEEEvT_T0_DpT1_.has_recursion, 0
	.set _ZN2at6native12_GLOBAL__N_125multi_tensor_apply_kernelINS1_18TensorListMetadataILi1EEENS1_14UnaryOpFunctorIN3c108BFloat16ELi1ELi1ELi0EEEJNS0_4AcosIfEEEEEvT_T0_DpT1_.has_indirect_call, 0
	.section	.AMDGPU.csdata,"",@progbits
; Kernel info:
; codeLenInByte = 2388
; TotalNumSgprs: 32
; NumVgprs: 23
; ScratchSize: 0
; MemoryBound: 0
; FloatMode: 240
; IeeeMode: 1
; LDSByteSize: 0 bytes/workgroup (compile time only)
; SGPRBlocks: 3
; VGPRBlocks: 5
; NumSGPRsForWavesPerEU: 32
; NumVGPRsForWavesPerEU: 23
; Occupancy: 10
; WaveLimiterHint : 0
; COMPUTE_PGM_RSRC2:SCRATCH_EN: 0
; COMPUTE_PGM_RSRC2:USER_SGPR: 6
; COMPUTE_PGM_RSRC2:TRAP_HANDLER: 0
; COMPUTE_PGM_RSRC2:TGID_X_EN: 1
; COMPUTE_PGM_RSRC2:TGID_Y_EN: 0
; COMPUTE_PGM_RSRC2:TGID_Z_EN: 0
; COMPUTE_PGM_RSRC2:TIDIG_COMP_CNT: 0
	.section	.text._ZN2at6native12_GLOBAL__N_125multi_tensor_apply_kernelINS1_18TensorListMetadataILi2EEENS1_14UnaryOpFunctorIdLi2ELi1ELi1EEEJNS0_4AsinIdEEEEEvT_T0_DpT1_,"axG",@progbits,_ZN2at6native12_GLOBAL__N_125multi_tensor_apply_kernelINS1_18TensorListMetadataILi2EEENS1_14UnaryOpFunctorIdLi2ELi1ELi1EEEJNS0_4AsinIdEEEEEvT_T0_DpT1_,comdat
	.globl	_ZN2at6native12_GLOBAL__N_125multi_tensor_apply_kernelINS1_18TensorListMetadataILi2EEENS1_14UnaryOpFunctorIdLi2ELi1ELi1EEEJNS0_4AsinIdEEEEEvT_T0_DpT1_ ; -- Begin function _ZN2at6native12_GLOBAL__N_125multi_tensor_apply_kernelINS1_18TensorListMetadataILi2EEENS1_14UnaryOpFunctorIdLi2ELi1ELi1EEEJNS0_4AsinIdEEEEEvT_T0_DpT1_
	.p2align	8
	.type	_ZN2at6native12_GLOBAL__N_125multi_tensor_apply_kernelINS1_18TensorListMetadataILi2EEENS1_14UnaryOpFunctorIdLi2ELi1ELi1EEEJNS0_4AsinIdEEEEEvT_T0_DpT1_,@function
_ZN2at6native12_GLOBAL__N_125multi_tensor_apply_kernelINS1_18TensorListMetadataILi2EEENS1_14UnaryOpFunctorIdLi2ELi1ELi1EEEJNS0_4AsinIdEEEEEvT_T0_DpT1_: ; @_ZN2at6native12_GLOBAL__N_125multi_tensor_apply_kernelINS1_18TensorListMetadataILi2EEENS1_14UnaryOpFunctorIdLi2ELi1ELi1EEEJNS0_4AsinIdEEEEEvT_T0_DpT1_
; %bb.0:
	v_mov_b32_e32 v1, s6
	global_load_ubyte v1, v1, s[4:5] offset:1536
	s_add_u32 s0, s4, s6
	s_mul_hi_u32 s1, s6, 3
	s_mul_i32 s6, s6, 3
	s_addc_u32 s2, s5, 0
	s_add_u32 s0, s0, s6
	s_addc_u32 s1, s2, s1
	s_load_dword s6, s[0:1], 0x740
	s_mov_b32 s11, 0
	s_mov_b32 s13, s11
	s_waitcnt vmcnt(0)
	v_readfirstlane_b32 s0, v1
	s_lshl_b32 s7, s0, 3
	s_load_dwordx2 s[14:15], s[4:5], s7 offset:0x400
	s_load_dwordx2 s[2:3], s[4:5], s7 offset:0x0
	;; [unrolled: 1-line block ×3, first 2 shown]
	s_waitcnt lgkmcnt(0)
	s_ashr_i32 s7, s6, 31
	s_lshl_b64 s[8:9], s[6:7], 19
	s_lshl_b64 s[6:7], s[6:7], 16
	s_add_u32 s10, s2, s8
	s_and_b32 s12, s0, 31
	s_and_b32 s10, s10, 31
	s_sub_u32 s6, s14, s6
	s_subb_u32 s7, s15, s7
	s_and_b32 s14, s14, 3
	s_mov_b32 s15, s11
	s_or_b64 s[12:13], s[12:13], s[14:15]
	s_or_b64 s[10:11], s[12:13], s[10:11]
	s_cmp_eq_u64 s[10:11], 0
	s_mov_b64 s[10:11], -1
	s_cbranch_scc0 .LBB52_13
; %bb.1:
	v_mov_b32_e32 v1, 0x10000
	v_mov_b32_e32 v2, 0
	v_cmp_lt_i64_e32 vcc, s[6:7], v[1:2]
	v_mov_b32_e32 v2, 0
	s_and_b64 s[10:11], vcc, exec
	s_cselect_b32 s11, s7, 0
	s_cselect_b32 s10, s6, 0x10000
	v_lshlrev_b32_e32 v1, 2, v0
	v_cmp_gt_i64_e32 vcc, s[10:11], v[1:2]
	s_and_saveexec_b64 s[12:13], vcc
	s_cbranch_execz .LBB52_12
; %bb.2:
	s_load_dword s14, s[4:5], 0xc5c
	v_mov_b32_e32 v1, v2
	v_lshlrev_b32_e32 v2, 5, v0
	v_mov_b32_e32 v3, s9
	v_add_co_u32_e32 v25, vcc, s8, v2
	s_waitcnt lgkmcnt(0)
	s_and_b32 s33, s14, 0xffff
	s_mov_b32 s16, 0x9fea6a70
	s_mov_b32 s18, 0x37024d6a
	;; [unrolled: 1-line block ×13, first 2 shown]
	v_mov_b32_e32 v20, v1
	v_addc_co_u32_e32 v26, vcc, 0, v3, vcc
	s_lshl_b32 s46, s33, 5
	s_mov_b64 s[14:15], 0
	v_mov_b32_e32 v27, s3
	v_mov_b32_e32 v17, 0x78a05eaf
	;; [unrolled: 1-line block ×3, first 2 shown]
	s_mov_b32 s17, 0x3fa05985
	s_mov_b32 s19, 0x3f940521
	;; [unrolled: 1-line block ×13, first 2 shown]
	s_brev_b32 s47, -2
	v_mov_b32_e32 v28, 0x3ff921fb
	v_mov_b32_e32 v29, 0x54442d18
	;; [unrolled: 1-line block ×3, first 2 shown]
	s_branch .LBB52_4
.LBB52_3:                               ;   in Loop: Header=BB52_4 Depth=1
	s_or_b64 exec, exec, s[44:45]
	v_bfi_b32 v10, s47, v10, v2
	v_mov_b32_e32 v2, s1
	v_add_co_u32_e32 v1, vcc, s0, v25
	v_addc_co_u32_e32 v2, vcc, v2, v26, vcc
	v_add_co_u32_e32 v19, vcc, s33, v19
	v_addc_co_u32_e32 v20, vcc, 0, v20, vcc
	v_bfi_b32 v12, s47, v12, v4
	v_lshlrev_b64 v[3:4], 2, v[19:20]
	v_bfi_b32 v14, s47, v14, v6
	v_cmp_le_i64_e32 vcc, s[10:11], v[3:4]
	v_bfi_b32 v16, s47, v16, v8
	s_or_b64 s[14:15], vcc, s[14:15]
	v_add_co_u32_e32 v25, vcc, s46, v25
	v_addc_co_u32_e32 v26, vcc, 0, v26, vcc
	global_store_dwordx4 v[1:2], v[9:12], off
	global_store_dwordx4 v[1:2], v[13:16], off offset:16
	s_andn2_b64 exec, exec, s[14:15]
	s_cbranch_execz .LBB52_12
.LBB52_4:                               ; =>This Inner Loop Header: Depth=1
	v_add_co_u32_e32 v5, vcc, s2, v25
	v_addc_co_u32_e32 v6, vcc, v27, v26, vcc
	global_load_dwordx4 v[1:4], v[5:6], off
	s_waitcnt vmcnt(0)
	v_fma_f64 v[13:14], |v[1:2]|, -0.5, 0.5
	v_mul_f64 v[7:8], v[1:2], v[1:2]
	v_cmp_ge_f64_e64 vcc, |v[1:2]|, 0.5
	v_cndmask_b32_e32 v10, v8, v14, vcc
	v_cndmask_b32_e32 v9, v7, v13, vcc
	v_fma_f64 v[7:8], v[9:10], s[16:17], v[17:18]
	v_fma_f64 v[7:8], v[9:10], v[7:8], s[18:19]
	;; [unrolled: 1-line block ×3, first 2 shown]
	global_load_dwordx4 v[5:8], v[5:6], off offset:16
	v_fma_f64 v[11:12], v[9:10], v[11:12], s[22:23]
	v_fma_f64 v[11:12], v[9:10], v[11:12], s[24:25]
	;; [unrolled: 1-line block ×8, first 2 shown]
	v_mul_f64 v[11:12], v[9:10], v[11:12]
	v_fma_f64 v[9:10], |v[1:2]|, v[11:12], |v[1:2]|
	s_and_saveexec_b64 s[44:45], vcc
	s_cbranch_execz .LBB52_6
; %bb.5:                                ;   in Loop: Header=BB52_4 Depth=1
	v_rsq_f64_e32 v[9:10], v[13:14]
	v_cmp_eq_f64_e32 vcc, 0, v[13:14]
	v_mul_f64 v[15:16], v[13:14], v[9:10]
	v_mul_f64 v[9:10], v[9:10], 0.5
	v_fma_f64 v[21:22], -v[9:10], v[15:16], 0.5
	v_fma_f64 v[15:16], v[15:16], v[21:22], v[15:16]
	v_fma_f64 v[9:10], v[9:10], v[21:22], v[9:10]
	v_fma_f64 v[21:22], -v[15:16], v[15:16], v[13:14]
	v_fma_f64 v[9:10], v[21:22], v[9:10], v[15:16]
	v_cndmask_b32_e32 v10, v10, v14, vcc
	v_cndmask_b32_e32 v9, v9, v13, vcc
	v_mul_f64 v[15:16], v[9:10], v[9:10]
	v_add_f64 v[23:24], v[13:14], -v[15:16]
	v_fma_f64 v[21:22], v[9:10], v[9:10], -v[15:16]
	v_add_f64 v[13:14], v[13:14], -v[23:24]
	v_add_f64 v[13:14], v[13:14], -v[15:16]
	v_add_f64 v[15:16], v[9:10], v[9:10]
	v_add_f64 v[13:14], v[13:14], -v[21:22]
	v_rcp_f64_e32 v[21:22], v[15:16]
	v_add_f64 v[13:14], v[23:24], v[13:14]
	v_fma_f64 v[23:24], -v[15:16], v[21:22], 1.0
	v_fma_f64 v[21:22], v[23:24], v[21:22], v[21:22]
	v_fma_f64 v[23:24], -v[15:16], v[21:22], 1.0
	v_fma_f64 v[21:22], v[23:24], v[21:22], v[21:22]
	v_mul_f64 v[23:24], v[13:14], v[21:22]
	v_fma_f64 v[13:14], -v[15:16], v[23:24], v[13:14]
	v_fma_f64 v[13:14], v[13:14], v[21:22], v[23:24]
	v_cndmask_b32_e64 v14, v14, 0, vcc
	v_cndmask_b32_e64 v13, v13, 0, vcc
	v_add_f64 v[15:16], v[9:10], v[13:14]
	v_cmp_neq_f64_e64 vcc, |v[1:2]|, 1.0
	v_add_f64 v[9:10], v[15:16], -v[9:10]
	v_add_f64 v[9:10], v[13:14], -v[9:10]
	v_mul_f64 v[13:14], v[11:12], v[15:16]
	v_fma_f64 v[21:22], v[15:16], v[11:12], -v[13:14]
	v_fma_f64 v[11:12], v[9:10], v[11:12], v[21:22]
	v_add_f64 v[21:22], v[13:14], v[11:12]
	v_add_f64 v[13:14], v[21:22], -v[13:14]
	v_add_f64 v[11:12], v[11:12], -v[13:14]
	v_add_f64 v[13:14], v[15:16], v[21:22]
	v_add_f64 v[9:10], v[9:10], v[11:12]
	v_add_f64 v[15:16], v[13:14], -v[15:16]
	v_add_f64 v[15:16], v[21:22], -v[15:16]
	v_add_f64 v[9:10], v[9:10], v[15:16]
	v_add_f64 v[11:12], v[13:14], v[9:10]
	v_add_f64 v[15:16], -v[11:12], s[40:41]
	v_add_f64 v[13:14], v[11:12], -v[13:14]
	v_add_f64 v[21:22], -v[15:16], s[40:41]
	v_add_f64 v[9:10], v[13:14], -v[9:10]
	v_add_f64 v[11:12], v[21:22], -v[11:12]
	v_add_f64 v[11:12], v[11:12], s[42:43]
	v_add_f64 v[9:10], v[9:10], v[11:12]
	;; [unrolled: 1-line block ×4, first 2 shown]
	v_cndmask_b32_e32 v10, v28, v10, vcc
	v_cndmask_b32_e32 v9, v29, v9, vcc
.LBB52_6:                               ;   in Loop: Header=BB52_4 Depth=1
	s_or_b64 exec, exec, s[44:45]
	v_fma_f64 v[15:16], |v[3:4]|, -0.5, 0.5
	v_mul_f64 v[11:12], v[3:4], v[3:4]
	v_cmp_ge_f64_e64 vcc, |v[3:4]|, 0.5
	v_cndmask_b32_e32 v12, v12, v16, vcc
	v_cndmask_b32_e32 v11, v11, v15, vcc
	v_fma_f64 v[13:14], v[11:12], s[16:17], v[17:18]
	v_fma_f64 v[13:14], v[11:12], v[13:14], s[18:19]
	v_fma_f64 v[13:14], v[11:12], v[13:14], s[20:21]
	v_fma_f64 v[13:14], v[11:12], v[13:14], s[22:23]
	v_fma_f64 v[13:14], v[11:12], v[13:14], s[24:25]
	v_fma_f64 v[13:14], v[11:12], v[13:14], s[26:27]
	v_fma_f64 v[13:14], v[11:12], v[13:14], s[28:29]
	v_fma_f64 v[13:14], v[11:12], v[13:14], s[30:31]
	v_fma_f64 v[13:14], v[11:12], v[13:14], s[34:35]
	v_fma_f64 v[13:14], v[11:12], v[13:14], s[36:37]
	v_fma_f64 v[13:14], v[11:12], v[13:14], s[38:39]
	v_mul_f64 v[13:14], v[11:12], v[13:14]
	v_fma_f64 v[11:12], |v[3:4]|, v[13:14], |v[3:4]|
	s_and_saveexec_b64 s[44:45], vcc
	s_cbranch_execz .LBB52_8
; %bb.7:                                ;   in Loop: Header=BB52_4 Depth=1
	v_rsq_f64_e32 v[11:12], v[15:16]
	v_cmp_eq_f64_e32 vcc, 0, v[15:16]
	v_mul_f64 v[21:22], v[15:16], v[11:12]
	v_mul_f64 v[11:12], v[11:12], 0.5
	v_fma_f64 v[23:24], -v[11:12], v[21:22], 0.5
	v_fma_f64 v[21:22], v[21:22], v[23:24], v[21:22]
	v_fma_f64 v[11:12], v[11:12], v[23:24], v[11:12]
	v_fma_f64 v[23:24], -v[21:22], v[21:22], v[15:16]
	v_fma_f64 v[11:12], v[23:24], v[11:12], v[21:22]
	v_cndmask_b32_e32 v12, v12, v16, vcc
	v_cndmask_b32_e32 v11, v11, v15, vcc
	v_mul_f64 v[21:22], v[11:12], v[11:12]
	v_add_f64 v[30:31], v[15:16], -v[21:22]
	v_fma_f64 v[23:24], v[11:12], v[11:12], -v[21:22]
	v_add_f64 v[15:16], v[15:16], -v[30:31]
	v_add_f64 v[15:16], v[15:16], -v[21:22]
	v_add_f64 v[21:22], v[11:12], v[11:12]
	v_add_f64 v[15:16], v[15:16], -v[23:24]
	v_rcp_f64_e32 v[23:24], v[21:22]
	v_add_f64 v[15:16], v[30:31], v[15:16]
	v_fma_f64 v[30:31], -v[21:22], v[23:24], 1.0
	v_fma_f64 v[23:24], v[30:31], v[23:24], v[23:24]
	v_fma_f64 v[30:31], -v[21:22], v[23:24], 1.0
	v_fma_f64 v[23:24], v[30:31], v[23:24], v[23:24]
	v_mul_f64 v[30:31], v[15:16], v[23:24]
	v_fma_f64 v[15:16], -v[21:22], v[30:31], v[15:16]
	v_fma_f64 v[15:16], v[15:16], v[23:24], v[30:31]
	v_cndmask_b32_e64 v16, v16, 0, vcc
	v_cndmask_b32_e64 v15, v15, 0, vcc
	v_add_f64 v[21:22], v[11:12], v[15:16]
	v_cmp_neq_f64_e64 vcc, |v[3:4]|, 1.0
	v_add_f64 v[11:12], v[21:22], -v[11:12]
	v_add_f64 v[11:12], v[15:16], -v[11:12]
	v_mul_f64 v[15:16], v[13:14], v[21:22]
	v_fma_f64 v[23:24], v[21:22], v[13:14], -v[15:16]
	v_fma_f64 v[13:14], v[11:12], v[13:14], v[23:24]
	v_add_f64 v[23:24], v[15:16], v[13:14]
	v_add_f64 v[15:16], v[23:24], -v[15:16]
	v_add_f64 v[13:14], v[13:14], -v[15:16]
	v_add_f64 v[15:16], v[21:22], v[23:24]
	v_add_f64 v[11:12], v[11:12], v[13:14]
	v_add_f64 v[21:22], v[15:16], -v[21:22]
	v_add_f64 v[21:22], v[23:24], -v[21:22]
	v_add_f64 v[11:12], v[11:12], v[21:22]
	v_add_f64 v[13:14], v[15:16], v[11:12]
	v_add_f64 v[21:22], -v[13:14], s[40:41]
	v_add_f64 v[15:16], v[13:14], -v[15:16]
	v_add_f64 v[23:24], -v[21:22], s[40:41]
	v_add_f64 v[11:12], v[15:16], -v[11:12]
	v_add_f64 v[13:14], v[23:24], -v[13:14]
	v_add_f64 v[13:14], v[13:14], s[42:43]
	v_add_f64 v[11:12], v[11:12], v[13:14]
	;; [unrolled: 1-line block ×4, first 2 shown]
	v_cndmask_b32_e32 v12, v28, v12, vcc
	v_cndmask_b32_e32 v11, v29, v11, vcc
.LBB52_8:                               ;   in Loop: Header=BB52_4 Depth=1
	s_or_b64 exec, exec, s[44:45]
	s_waitcnt vmcnt(0)
	v_fma_f64 v[21:22], |v[5:6]|, -0.5, 0.5
	v_mul_f64 v[13:14], v[5:6], v[5:6]
	v_cmp_ge_f64_e64 vcc, |v[5:6]|, 0.5
	v_cndmask_b32_e32 v14, v14, v22, vcc
	v_cndmask_b32_e32 v13, v13, v21, vcc
	v_fma_f64 v[15:16], v[13:14], s[16:17], v[17:18]
	v_fma_f64 v[15:16], v[13:14], v[15:16], s[18:19]
	;; [unrolled: 1-line block ×11, first 2 shown]
	v_mul_f64 v[15:16], v[13:14], v[15:16]
	v_fma_f64 v[13:14], |v[5:6]|, v[15:16], |v[5:6]|
	s_and_saveexec_b64 s[44:45], vcc
	s_cbranch_execz .LBB52_10
; %bb.9:                                ;   in Loop: Header=BB52_4 Depth=1
	v_rsq_f64_e32 v[13:14], v[21:22]
	v_cmp_eq_f64_e32 vcc, 0, v[21:22]
	v_mul_f64 v[23:24], v[21:22], v[13:14]
	v_mul_f64 v[13:14], v[13:14], 0.5
	v_fma_f64 v[30:31], -v[13:14], v[23:24], 0.5
	v_fma_f64 v[23:24], v[23:24], v[30:31], v[23:24]
	v_fma_f64 v[13:14], v[13:14], v[30:31], v[13:14]
	v_fma_f64 v[30:31], -v[23:24], v[23:24], v[21:22]
	v_fma_f64 v[13:14], v[30:31], v[13:14], v[23:24]
	v_cndmask_b32_e32 v14, v14, v22, vcc
	v_cndmask_b32_e32 v13, v13, v21, vcc
	v_mul_f64 v[23:24], v[13:14], v[13:14]
	v_add_f64 v[32:33], v[21:22], -v[23:24]
	v_fma_f64 v[30:31], v[13:14], v[13:14], -v[23:24]
	v_add_f64 v[21:22], v[21:22], -v[32:33]
	v_add_f64 v[21:22], v[21:22], -v[23:24]
	v_add_f64 v[23:24], v[13:14], v[13:14]
	v_add_f64 v[21:22], v[21:22], -v[30:31]
	v_rcp_f64_e32 v[30:31], v[23:24]
	v_add_f64 v[21:22], v[32:33], v[21:22]
	v_fma_f64 v[32:33], -v[23:24], v[30:31], 1.0
	v_fma_f64 v[30:31], v[32:33], v[30:31], v[30:31]
	v_fma_f64 v[32:33], -v[23:24], v[30:31], 1.0
	v_fma_f64 v[30:31], v[32:33], v[30:31], v[30:31]
	v_mul_f64 v[32:33], v[21:22], v[30:31]
	v_fma_f64 v[21:22], -v[23:24], v[32:33], v[21:22]
	v_fma_f64 v[21:22], v[21:22], v[30:31], v[32:33]
	v_cndmask_b32_e64 v22, v22, 0, vcc
	v_cndmask_b32_e64 v21, v21, 0, vcc
	v_add_f64 v[23:24], v[13:14], v[21:22]
	v_cmp_neq_f64_e64 vcc, |v[5:6]|, 1.0
	v_add_f64 v[13:14], v[23:24], -v[13:14]
	v_add_f64 v[13:14], v[21:22], -v[13:14]
	v_mul_f64 v[21:22], v[15:16], v[23:24]
	v_fma_f64 v[30:31], v[23:24], v[15:16], -v[21:22]
	v_fma_f64 v[15:16], v[13:14], v[15:16], v[30:31]
	v_add_f64 v[30:31], v[21:22], v[15:16]
	v_add_f64 v[21:22], v[30:31], -v[21:22]
	v_add_f64 v[15:16], v[15:16], -v[21:22]
	v_add_f64 v[21:22], v[23:24], v[30:31]
	v_add_f64 v[13:14], v[13:14], v[15:16]
	v_add_f64 v[23:24], v[21:22], -v[23:24]
	v_add_f64 v[23:24], v[30:31], -v[23:24]
	v_add_f64 v[13:14], v[13:14], v[23:24]
	v_add_f64 v[15:16], v[21:22], v[13:14]
	v_add_f64 v[23:24], -v[15:16], s[40:41]
	v_add_f64 v[21:22], v[15:16], -v[21:22]
	v_add_f64 v[30:31], -v[23:24], s[40:41]
	v_add_f64 v[13:14], v[21:22], -v[13:14]
	v_add_f64 v[15:16], v[30:31], -v[15:16]
	v_add_f64 v[15:16], v[15:16], s[42:43]
	v_add_f64 v[13:14], v[13:14], v[15:16]
	;; [unrolled: 1-line block ×4, first 2 shown]
	v_cndmask_b32_e32 v14, v28, v14, vcc
	v_cndmask_b32_e32 v13, v29, v13, vcc
.LBB52_10:                              ;   in Loop: Header=BB52_4 Depth=1
	s_or_b64 exec, exec, s[44:45]
	v_fma_f64 v[23:24], |v[7:8]|, -0.5, 0.5
	v_mul_f64 v[15:16], v[7:8], v[7:8]
	v_cmp_ge_f64_e64 vcc, |v[7:8]|, 0.5
	v_cndmask_b32_e32 v16, v16, v24, vcc
	v_cndmask_b32_e32 v15, v15, v23, vcc
	v_fma_f64 v[21:22], v[15:16], s[16:17], v[17:18]
	v_fma_f64 v[21:22], v[15:16], v[21:22], s[18:19]
	v_fma_f64 v[21:22], v[15:16], v[21:22], s[20:21]
	v_fma_f64 v[21:22], v[15:16], v[21:22], s[22:23]
	v_fma_f64 v[21:22], v[15:16], v[21:22], s[24:25]
	v_fma_f64 v[21:22], v[15:16], v[21:22], s[26:27]
	v_fma_f64 v[21:22], v[15:16], v[21:22], s[28:29]
	v_fma_f64 v[21:22], v[15:16], v[21:22], s[30:31]
	v_fma_f64 v[21:22], v[15:16], v[21:22], s[34:35]
	v_fma_f64 v[21:22], v[15:16], v[21:22], s[36:37]
	v_fma_f64 v[21:22], v[15:16], v[21:22], s[38:39]
	v_mul_f64 v[21:22], v[15:16], v[21:22]
	v_fma_f64 v[15:16], |v[7:8]|, v[21:22], |v[7:8]|
	s_and_saveexec_b64 s[44:45], vcc
	s_cbranch_execz .LBB52_3
; %bb.11:                               ;   in Loop: Header=BB52_4 Depth=1
	v_rsq_f64_e32 v[15:16], v[23:24]
	v_cmp_eq_f64_e32 vcc, 0, v[23:24]
	v_mul_f64 v[30:31], v[23:24], v[15:16]
	v_mul_f64 v[15:16], v[15:16], 0.5
	v_fma_f64 v[32:33], -v[15:16], v[30:31], 0.5
	v_fma_f64 v[30:31], v[30:31], v[32:33], v[30:31]
	v_fma_f64 v[15:16], v[15:16], v[32:33], v[15:16]
	v_fma_f64 v[32:33], -v[30:31], v[30:31], v[23:24]
	v_fma_f64 v[15:16], v[32:33], v[15:16], v[30:31]
	v_cndmask_b32_e32 v16, v16, v24, vcc
	v_cndmask_b32_e32 v15, v15, v23, vcc
	v_mul_f64 v[30:31], v[15:16], v[15:16]
	v_add_f64 v[34:35], v[23:24], -v[30:31]
	v_fma_f64 v[32:33], v[15:16], v[15:16], -v[30:31]
	v_add_f64 v[23:24], v[23:24], -v[34:35]
	v_add_f64 v[23:24], v[23:24], -v[30:31]
	v_add_f64 v[30:31], v[15:16], v[15:16]
	v_add_f64 v[23:24], v[23:24], -v[32:33]
	v_rcp_f64_e32 v[32:33], v[30:31]
	v_add_f64 v[23:24], v[34:35], v[23:24]
	v_fma_f64 v[34:35], -v[30:31], v[32:33], 1.0
	v_fma_f64 v[32:33], v[34:35], v[32:33], v[32:33]
	v_fma_f64 v[34:35], -v[30:31], v[32:33], 1.0
	v_fma_f64 v[32:33], v[34:35], v[32:33], v[32:33]
	v_mul_f64 v[34:35], v[23:24], v[32:33]
	v_fma_f64 v[23:24], -v[30:31], v[34:35], v[23:24]
	v_fma_f64 v[23:24], v[23:24], v[32:33], v[34:35]
	v_cndmask_b32_e64 v24, v24, 0, vcc
	v_cndmask_b32_e64 v23, v23, 0, vcc
	v_add_f64 v[30:31], v[15:16], v[23:24]
	v_cmp_neq_f64_e64 vcc, |v[7:8]|, 1.0
	v_add_f64 v[15:16], v[30:31], -v[15:16]
	v_add_f64 v[15:16], v[23:24], -v[15:16]
	v_mul_f64 v[23:24], v[21:22], v[30:31]
	v_fma_f64 v[32:33], v[30:31], v[21:22], -v[23:24]
	v_fma_f64 v[21:22], v[15:16], v[21:22], v[32:33]
	v_add_f64 v[32:33], v[23:24], v[21:22]
	v_add_f64 v[23:24], v[32:33], -v[23:24]
	v_add_f64 v[21:22], v[21:22], -v[23:24]
	v_add_f64 v[23:24], v[30:31], v[32:33]
	v_add_f64 v[15:16], v[15:16], v[21:22]
	v_add_f64 v[30:31], v[23:24], -v[30:31]
	v_add_f64 v[30:31], v[32:33], -v[30:31]
	v_add_f64 v[15:16], v[15:16], v[30:31]
	v_add_f64 v[21:22], v[23:24], v[15:16]
	v_add_f64 v[30:31], -v[21:22], s[40:41]
	v_add_f64 v[23:24], v[21:22], -v[23:24]
	v_add_f64 v[32:33], -v[30:31], s[40:41]
	v_add_f64 v[15:16], v[23:24], -v[15:16]
	v_add_f64 v[21:22], v[32:33], -v[21:22]
	v_add_f64 v[21:22], v[21:22], s[42:43]
	v_add_f64 v[15:16], v[15:16], v[21:22]
	;; [unrolled: 1-line block ×4, first 2 shown]
	v_cndmask_b32_e32 v16, v28, v16, vcc
	v_cndmask_b32_e32 v15, v29, v15, vcc
	s_branch .LBB52_3
.LBB52_12:
	s_or_b64 exec, exec, s[12:13]
	s_mov_b64 s[10:11], 0
.LBB52_13:
	s_andn2_b64 vcc, exec, s[10:11]
	s_cbranch_vccnz .LBB52_41
; %bb.14:
	v_cmp_lt_i64_e64 s[10:11], s[6:7], 1
	s_and_b64 vcc, exec, s[10:11]
	s_cbranch_vccnz .LBB52_41
; %bb.15:
	v_mov_b32_e32 v1, 0x10000
	s_load_dword s12, s[4:5], 0xc5c
	v_mov_b32_e32 v2, 0
	v_cmp_lt_i64_e32 vcc, s[6:7], v[1:2]
	v_mov_b32_e32 v3, 0
	s_and_b64 s[4:5], vcc, exec
	v_cmp_lt_u64_e32 vcc, s[6:7], v[1:2]
	s_cselect_b32 s11, s7, 0
	s_cselect_b32 s10, s6, 0x10000
	s_waitcnt lgkmcnt(0)
	s_and_b32 s14, s12, 0xffff
	v_lshlrev_b32_e32 v2, 3, v0
	s_and_b64 s[4:5], vcc, exec
	v_mov_b32_e32 v1, s3
	v_add_co_u32_e32 v23, vcc, s2, v2
	v_mad_u64_u32 v[3:4], s[4:5], s14, 24, v[2:3]
	v_addc_co_u32_e32 v24, vcc, 0, v1, vcc
	v_mov_b32_e32 v1, s1
	v_add_co_u32_e32 v25, vcc, s0, v2
	v_addc_co_u32_e32 v26, vcc, 0, v1, vcc
	v_mov_b32_e32 v1, s3
	v_add_co_u32_e32 v27, vcc, s2, v3
	;; [unrolled: 3-line block ×3, first 2 shown]
	s_cselect_b32 s13, s7, 0
	s_cselect_b32 s12, s6, 0x10000
	v_addc_co_u32_e32 v30, vcc, v1, v4, vcc
	s_lshl_b32 s4, s14, 4
	v_add_co_u32_e32 v1, vcc, s4, v2
	v_addc_co_u32_e64 v2, s[4:5], 0, 0, vcc
	v_mov_b32_e32 v3, s3
	v_add_co_u32_e32 v31, vcc, s2, v1
	v_addc_co_u32_e32 v32, vcc, v3, v2, vcc
	v_mov_b32_e32 v3, s1
	v_add_co_u32_e32 v33, vcc, s0, v1
	v_addc_co_u32_e32 v34, vcc, v3, v2, vcc
	v_add_co_u32_e32 v35, vcc, s14, v0
	v_lshlrev_b32_e32 v1, 3, v35
	v_addc_co_u32_e64 v36, s[4:5], 0, 0, vcc
	v_mov_b32_e32 v2, s3
	v_add_co_u32_e32 v37, vcc, s2, v1
	v_addc_co_u32_e32 v38, vcc, 0, v2, vcc
	v_mov_b32_e32 v2, s1
	v_add_co_u32_e32 v39, vcc, s0, v1
	s_mul_i32 s7, s14, 3
	v_addc_co_u32_e32 v40, vcc, 0, v2, vcc
	s_lshl_b32 s6, s14, 1
	v_add_co_u32_e32 v41, vcc, s7, v0
	s_mov_b32 s16, 0x9fea6a70
	s_mov_b32 s18, 0x37024d6a
	;; [unrolled: 1-line block ×13, first 2 shown]
	v_addc_co_u32_e64 v42, s[0:1], 0, 0, vcc
	v_add_co_u32_e32 v43, vcc, s6, v0
	s_lshl_b32 s33, s14, 2
	s_lshl_b32 s46, s14, 5
	s_mov_b64 s[14:15], 0
	s_mov_b32 s17, 0x3fa05985
	s_mov_b32 s19, 0x3f940521
	;; [unrolled: 1-line block ×13, first 2 shown]
	s_brev_b32 s47, -2
	v_mov_b32_e32 v1, 0x78a05eaf
	v_mov_b32_e32 v2, 0xbf90a5a3
	v_addc_co_u32_e64 v44, s[0:1], 0, 0, vcc
	v_mov_b32_e32 v45, 0x3ff921fb
	v_mov_b32_e32 v46, 0x54442d18
	s_branch .LBB52_17
.LBB52_16:                              ;   in Loop: Header=BB52_17 Depth=1
	s_or_b64 exec, exec, s[0:1]
	v_add_co_u32_e32 v23, vcc, s46, v23
	v_addc_co_u32_e32 v24, vcc, 0, v24, vcc
	v_add_co_u32_e32 v25, vcc, s46, v25
	v_addc_co_u32_e32 v26, vcc, 0, v26, vcc
	;; [unrolled: 2-line block ×6, first 2 shown]
	s_add_u32 s14, s14, s33
	v_add_co_u32_e32 v37, vcc, s46, v37
	v_mov_b32_e32 v3, s10
	s_addc_u32 s15, s15, 0
	v_addc_co_u32_e32 v38, vcc, 0, v38, vcc
	v_mov_b32_e32 v4, s11
	v_cmp_ge_i64_e32 vcc, s[14:15], v[3:4]
	v_add_co_u32_e64 v39, s[0:1], s46, v39
	v_addc_co_u32_e64 v40, s[0:1], 0, v40, s[0:1]
	s_cbranch_vccnz .LBB52_41
.LBB52_17:                              ; =>This Inner Loop Header: Depth=1
	v_mov_b32_e32 v4, s15
	v_add_co_u32_e32 v3, vcc, s14, v0
	v_addc_co_u32_e32 v4, vcc, 0, v4, vcc
	v_cmp_gt_u64_e32 vcc, s[12:13], v[3:4]
	v_mov_b32_e32 v3, 0
	v_mov_b32_e32 v7, 0
	;; [unrolled: 1-line block ×4, first 2 shown]
	s_and_saveexec_b64 s[2:3], vcc
	s_cbranch_execz .LBB52_19
; %bb.18:                               ;   in Loop: Header=BB52_17 Depth=1
	v_mov_b32_e32 v6, s9
	v_add_co_u32_e64 v5, s[0:1], s8, v23
	v_addc_co_u32_e64 v6, s[0:1], v24, v6, s[0:1]
	global_load_dwordx2 v[7:8], v[5:6], off
.LBB52_19:                              ;   in Loop: Header=BB52_17 Depth=1
	s_or_b64 exec, exec, s[2:3]
	v_mov_b32_e32 v6, s15
	v_add_co_u32_e64 v5, s[0:1], s14, v35
	v_addc_co_u32_e64 v6, s[0:1], v36, v6, s[0:1]
	v_cmp_gt_u64_e64 s[0:1], s[12:13], v[5:6]
	s_and_saveexec_b64 s[4:5], s[0:1]
	s_cbranch_execz .LBB52_21
; %bb.20:                               ;   in Loop: Header=BB52_17 Depth=1
	v_mov_b32_e32 v4, s9
	v_add_co_u32_e64 v3, s[2:3], s8, v37
	v_addc_co_u32_e64 v4, s[2:3], v38, v4, s[2:3]
	global_load_dwordx2 v[3:4], v[3:4], off
.LBB52_21:                              ;   in Loop: Header=BB52_17 Depth=1
	s_or_b64 exec, exec, s[4:5]
	v_mov_b32_e32 v6, s15
	v_add_co_u32_e64 v5, s[2:3], s14, v43
	v_addc_co_u32_e64 v6, s[2:3], v44, v6, s[2:3]
	v_cmp_gt_u64_e64 s[2:3], s[12:13], v[5:6]
	v_mov_b32_e32 v5, 0
	v_mov_b32_e32 v9, 0
	;; [unrolled: 1-line block ×4, first 2 shown]
	s_and_saveexec_b64 s[6:7], s[2:3]
	s_cbranch_execz .LBB52_23
; %bb.22:                               ;   in Loop: Header=BB52_17 Depth=1
	v_mov_b32_e32 v10, s9
	v_add_co_u32_e64 v9, s[4:5], s8, v31
	v_addc_co_u32_e64 v10, s[4:5], v32, v10, s[4:5]
	global_load_dwordx2 v[9:10], v[9:10], off
.LBB52_23:                              ;   in Loop: Header=BB52_17 Depth=1
	s_or_b64 exec, exec, s[6:7]
	v_mov_b32_e32 v12, s15
	v_add_co_u32_e64 v11, s[4:5], s14, v41
	v_addc_co_u32_e64 v12, s[4:5], v42, v12, s[4:5]
	v_cmp_gt_u64_e64 s[4:5], s[12:13], v[11:12]
	s_and_saveexec_b64 s[44:45], s[4:5]
	s_cbranch_execz .LBB52_25
; %bb.24:                               ;   in Loop: Header=BB52_17 Depth=1
	v_mov_b32_e32 v6, s9
	v_add_co_u32_e64 v5, s[6:7], s8, v27
	v_addc_co_u32_e64 v6, s[6:7], v28, v6, s[6:7]
	global_load_dwordx2 v[5:6], v[5:6], off
.LBB52_25:                              ;   in Loop: Header=BB52_17 Depth=1
	s_or_b64 exec, exec, s[44:45]
	s_waitcnt vmcnt(0)
	v_fma_f64 v[15:16], |v[7:8]|, -0.5, 0.5
	v_mul_f64 v[11:12], v[7:8], v[7:8]
	v_cmp_ge_f64_e64 s[6:7], |v[7:8]|, 0.5
	v_cndmask_b32_e64 v12, v12, v16, s[6:7]
	v_cndmask_b32_e64 v11, v11, v15, s[6:7]
	v_fma_f64 v[13:14], v[11:12], s[16:17], v[1:2]
	v_fma_f64 v[13:14], v[11:12], v[13:14], s[18:19]
	;; [unrolled: 1-line block ×11, first 2 shown]
	v_mul_f64 v[13:14], v[11:12], v[13:14]
	v_fma_f64 v[11:12], |v[7:8]|, v[13:14], |v[7:8]|
	s_and_saveexec_b64 s[44:45], s[6:7]
	s_cbranch_execz .LBB52_27
; %bb.26:                               ;   in Loop: Header=BB52_17 Depth=1
	v_rsq_f64_e32 v[11:12], v[15:16]
	v_cmp_eq_f64_e64 s[6:7], 0, v[15:16]
	v_mul_f64 v[17:18], v[15:16], v[11:12]
	v_mul_f64 v[11:12], v[11:12], 0.5
	v_fma_f64 v[19:20], -v[11:12], v[17:18], 0.5
	v_fma_f64 v[17:18], v[17:18], v[19:20], v[17:18]
	v_fma_f64 v[11:12], v[11:12], v[19:20], v[11:12]
	v_fma_f64 v[19:20], -v[17:18], v[17:18], v[15:16]
	v_fma_f64 v[11:12], v[19:20], v[11:12], v[17:18]
	v_cndmask_b32_e64 v12, v12, v16, s[6:7]
	v_cndmask_b32_e64 v11, v11, v15, s[6:7]
	v_add_f64 v[17:18], v[11:12], v[11:12]
	v_mul_f64 v[19:20], v[11:12], v[11:12]
	v_rcp_f64_e32 v[21:22], v[17:18]
	v_add_f64 v[47:48], v[15:16], -v[19:20]
	v_fma_f64 v[51:52], v[11:12], v[11:12], -v[19:20]
	v_add_f64 v[15:16], v[15:16], -v[47:48]
	v_fma_f64 v[49:50], -v[17:18], v[21:22], 1.0
	v_add_f64 v[15:16], v[15:16], -v[19:20]
	v_fma_f64 v[19:20], v[49:50], v[21:22], v[21:22]
	v_add_f64 v[15:16], v[15:16], -v[51:52]
	v_fma_f64 v[21:22], -v[17:18], v[19:20], 1.0
	v_add_f64 v[15:16], v[47:48], v[15:16]
	v_fma_f64 v[19:20], v[21:22], v[19:20], v[19:20]
	v_mul_f64 v[21:22], v[15:16], v[19:20]
	v_fma_f64 v[15:16], -v[17:18], v[21:22], v[15:16]
	v_fma_f64 v[15:16], v[15:16], v[19:20], v[21:22]
	v_cndmask_b32_e64 v16, v16, 0, s[6:7]
	v_cndmask_b32_e64 v15, v15, 0, s[6:7]
	v_add_f64 v[17:18], v[11:12], v[15:16]
	v_cmp_neq_f64_e64 s[6:7], |v[7:8]|, 1.0
	v_add_f64 v[11:12], v[17:18], -v[11:12]
	v_mul_f64 v[19:20], v[13:14], v[17:18]
	v_add_f64 v[11:12], v[15:16], -v[11:12]
	v_fma_f64 v[15:16], v[17:18], v[13:14], -v[19:20]
	v_fma_f64 v[13:14], v[11:12], v[13:14], v[15:16]
	v_add_f64 v[15:16], v[19:20], v[13:14]
	v_add_f64 v[21:22], v[17:18], v[15:16]
	v_add_f64 v[19:20], v[15:16], -v[19:20]
	v_add_f64 v[17:18], v[21:22], -v[17:18]
	;; [unrolled: 1-line block ×4, first 2 shown]
	v_add_f64 v[11:12], v[11:12], v[13:14]
	v_add_f64 v[11:12], v[11:12], v[15:16]
	v_add_f64 v[13:14], v[21:22], v[11:12]
	v_add_f64 v[15:16], -v[13:14], s[40:41]
	v_add_f64 v[19:20], v[13:14], -v[21:22]
	v_add_f64 v[17:18], -v[15:16], s[40:41]
	v_add_f64 v[11:12], v[19:20], -v[11:12]
	v_add_f64 v[13:14], v[17:18], -v[13:14]
	v_add_f64 v[13:14], v[13:14], s[42:43]
	v_add_f64 v[11:12], v[11:12], v[13:14]
	v_add_f64 v[11:12], v[15:16], v[11:12]
	v_add_f64 v[11:12], v[11:12], v[11:12]
	v_cndmask_b32_e64 v12, v45, v12, s[6:7]
	v_cndmask_b32_e64 v11, v46, v11, s[6:7]
.LBB52_27:                              ;   in Loop: Header=BB52_17 Depth=1
	s_or_b64 exec, exec, s[44:45]
	v_fma_f64 v[17:18], |v[3:4]|, -0.5, 0.5
	v_mul_f64 v[13:14], v[3:4], v[3:4]
	v_cmp_ge_f64_e64 s[6:7], |v[3:4]|, 0.5
	v_cndmask_b32_e64 v14, v14, v18, s[6:7]
	v_cndmask_b32_e64 v13, v13, v17, s[6:7]
	v_fma_f64 v[15:16], v[13:14], s[16:17], v[1:2]
	v_fma_f64 v[15:16], v[13:14], v[15:16], s[18:19]
	;; [unrolled: 1-line block ×11, first 2 shown]
	v_mul_f64 v[15:16], v[13:14], v[15:16]
	v_fma_f64 v[13:14], |v[3:4]|, v[15:16], |v[3:4]|
	s_and_saveexec_b64 s[44:45], s[6:7]
	s_cbranch_execz .LBB52_29
; %bb.28:                               ;   in Loop: Header=BB52_17 Depth=1
	v_rsq_f64_e32 v[13:14], v[17:18]
	v_cmp_eq_f64_e64 s[6:7], 0, v[17:18]
	v_mul_f64 v[19:20], v[17:18], v[13:14]
	v_mul_f64 v[13:14], v[13:14], 0.5
	v_fma_f64 v[21:22], -v[13:14], v[19:20], 0.5
	v_fma_f64 v[19:20], v[19:20], v[21:22], v[19:20]
	v_fma_f64 v[13:14], v[13:14], v[21:22], v[13:14]
	v_fma_f64 v[21:22], -v[19:20], v[19:20], v[17:18]
	v_fma_f64 v[13:14], v[21:22], v[13:14], v[19:20]
	v_cndmask_b32_e64 v14, v14, v18, s[6:7]
	v_cndmask_b32_e64 v13, v13, v17, s[6:7]
	v_add_f64 v[19:20], v[13:14], v[13:14]
	v_mul_f64 v[21:22], v[13:14], v[13:14]
	v_rcp_f64_e32 v[47:48], v[19:20]
	v_add_f64 v[49:50], v[17:18], -v[21:22]
	v_fma_f64 v[53:54], v[13:14], v[13:14], -v[21:22]
	v_add_f64 v[17:18], v[17:18], -v[49:50]
	v_fma_f64 v[51:52], -v[19:20], v[47:48], 1.0
	v_add_f64 v[17:18], v[17:18], -v[21:22]
	v_fma_f64 v[21:22], v[51:52], v[47:48], v[47:48]
	v_add_f64 v[17:18], v[17:18], -v[53:54]
	v_fma_f64 v[47:48], -v[19:20], v[21:22], 1.0
	v_add_f64 v[17:18], v[49:50], v[17:18]
	v_fma_f64 v[21:22], v[47:48], v[21:22], v[21:22]
	v_mul_f64 v[47:48], v[17:18], v[21:22]
	v_fma_f64 v[17:18], -v[19:20], v[47:48], v[17:18]
	v_fma_f64 v[17:18], v[17:18], v[21:22], v[47:48]
	v_cndmask_b32_e64 v18, v18, 0, s[6:7]
	v_cndmask_b32_e64 v17, v17, 0, s[6:7]
	v_add_f64 v[19:20], v[13:14], v[17:18]
	v_cmp_neq_f64_e64 s[6:7], |v[3:4]|, 1.0
	v_add_f64 v[13:14], v[19:20], -v[13:14]
	v_mul_f64 v[21:22], v[15:16], v[19:20]
	v_add_f64 v[13:14], v[17:18], -v[13:14]
	v_fma_f64 v[17:18], v[19:20], v[15:16], -v[21:22]
	v_fma_f64 v[15:16], v[13:14], v[15:16], v[17:18]
	v_add_f64 v[17:18], v[21:22], v[15:16]
	v_add_f64 v[47:48], v[19:20], v[17:18]
	v_add_f64 v[21:22], v[17:18], -v[21:22]
	v_add_f64 v[19:20], v[47:48], -v[19:20]
	;; [unrolled: 1-line block ×4, first 2 shown]
	v_add_f64 v[13:14], v[13:14], v[15:16]
	v_add_f64 v[13:14], v[13:14], v[17:18]
	;; [unrolled: 1-line block ×3, first 2 shown]
	v_add_f64 v[17:18], -v[15:16], s[40:41]
	v_add_f64 v[21:22], v[15:16], -v[47:48]
	v_add_f64 v[19:20], -v[17:18], s[40:41]
	v_add_f64 v[13:14], v[21:22], -v[13:14]
	v_add_f64 v[15:16], v[19:20], -v[15:16]
	v_add_f64 v[15:16], v[15:16], s[42:43]
	v_add_f64 v[13:14], v[13:14], v[15:16]
	;; [unrolled: 1-line block ×4, first 2 shown]
	v_cndmask_b32_e64 v14, v45, v14, s[6:7]
	v_cndmask_b32_e64 v13, v46, v13, s[6:7]
.LBB52_29:                              ;   in Loop: Header=BB52_17 Depth=1
	s_or_b64 exec, exec, s[44:45]
	v_fma_f64 v[19:20], |v[9:10]|, -0.5, 0.5
	v_mul_f64 v[15:16], v[9:10], v[9:10]
	v_cmp_ge_f64_e64 s[6:7], |v[9:10]|, 0.5
	v_cndmask_b32_e64 v16, v16, v20, s[6:7]
	v_cndmask_b32_e64 v15, v15, v19, s[6:7]
	v_fma_f64 v[17:18], v[15:16], s[16:17], v[1:2]
	v_fma_f64 v[17:18], v[15:16], v[17:18], s[18:19]
	;; [unrolled: 1-line block ×11, first 2 shown]
	v_mul_f64 v[17:18], v[15:16], v[17:18]
	v_fma_f64 v[15:16], |v[9:10]|, v[17:18], |v[9:10]|
	s_and_saveexec_b64 s[44:45], s[6:7]
	s_cbranch_execz .LBB52_31
; %bb.30:                               ;   in Loop: Header=BB52_17 Depth=1
	v_rsq_f64_e32 v[15:16], v[19:20]
	v_cmp_eq_f64_e64 s[6:7], 0, v[19:20]
	v_mul_f64 v[21:22], v[19:20], v[15:16]
	v_mul_f64 v[15:16], v[15:16], 0.5
	v_fma_f64 v[47:48], -v[15:16], v[21:22], 0.5
	v_fma_f64 v[21:22], v[21:22], v[47:48], v[21:22]
	v_fma_f64 v[15:16], v[15:16], v[47:48], v[15:16]
	v_fma_f64 v[47:48], -v[21:22], v[21:22], v[19:20]
	v_fma_f64 v[15:16], v[47:48], v[15:16], v[21:22]
	v_cndmask_b32_e64 v16, v16, v20, s[6:7]
	v_cndmask_b32_e64 v15, v15, v19, s[6:7]
	v_add_f64 v[21:22], v[15:16], v[15:16]
	v_mul_f64 v[47:48], v[15:16], v[15:16]
	v_rcp_f64_e32 v[49:50], v[21:22]
	v_add_f64 v[51:52], v[19:20], -v[47:48]
	v_fma_f64 v[55:56], v[15:16], v[15:16], -v[47:48]
	v_add_f64 v[19:20], v[19:20], -v[51:52]
	v_fma_f64 v[53:54], -v[21:22], v[49:50], 1.0
	v_add_f64 v[19:20], v[19:20], -v[47:48]
	v_fma_f64 v[47:48], v[53:54], v[49:50], v[49:50]
	v_add_f64 v[19:20], v[19:20], -v[55:56]
	v_fma_f64 v[49:50], -v[21:22], v[47:48], 1.0
	v_add_f64 v[19:20], v[51:52], v[19:20]
	v_fma_f64 v[47:48], v[49:50], v[47:48], v[47:48]
	v_mul_f64 v[49:50], v[19:20], v[47:48]
	v_fma_f64 v[19:20], -v[21:22], v[49:50], v[19:20]
	v_fma_f64 v[19:20], v[19:20], v[47:48], v[49:50]
	v_cndmask_b32_e64 v20, v20, 0, s[6:7]
	v_cndmask_b32_e64 v19, v19, 0, s[6:7]
	v_add_f64 v[21:22], v[15:16], v[19:20]
	v_cmp_neq_f64_e64 s[6:7], |v[9:10]|, 1.0
	v_add_f64 v[15:16], v[21:22], -v[15:16]
	v_mul_f64 v[47:48], v[17:18], v[21:22]
	v_add_f64 v[15:16], v[19:20], -v[15:16]
	v_fma_f64 v[19:20], v[21:22], v[17:18], -v[47:48]
	v_fma_f64 v[17:18], v[15:16], v[17:18], v[19:20]
	v_add_f64 v[19:20], v[47:48], v[17:18]
	v_add_f64 v[49:50], v[21:22], v[19:20]
	v_add_f64 v[47:48], v[19:20], -v[47:48]
	v_add_f64 v[21:22], v[49:50], -v[21:22]
	;; [unrolled: 1-line block ×4, first 2 shown]
	v_add_f64 v[15:16], v[15:16], v[17:18]
	v_add_f64 v[15:16], v[15:16], v[19:20]
	;; [unrolled: 1-line block ×3, first 2 shown]
	v_add_f64 v[19:20], -v[17:18], s[40:41]
	v_add_f64 v[47:48], v[17:18], -v[49:50]
	v_add_f64 v[21:22], -v[19:20], s[40:41]
	v_add_f64 v[15:16], v[47:48], -v[15:16]
	v_add_f64 v[17:18], v[21:22], -v[17:18]
	v_add_f64 v[17:18], v[17:18], s[42:43]
	v_add_f64 v[15:16], v[15:16], v[17:18]
	;; [unrolled: 1-line block ×4, first 2 shown]
	v_cndmask_b32_e64 v16, v45, v16, s[6:7]
	v_cndmask_b32_e64 v15, v46, v15, s[6:7]
.LBB52_31:                              ;   in Loop: Header=BB52_17 Depth=1
	s_or_b64 exec, exec, s[44:45]
	v_fma_f64 v[21:22], |v[5:6]|, -0.5, 0.5
	v_mul_f64 v[17:18], v[5:6], v[5:6]
	v_cmp_ge_f64_e64 s[6:7], |v[5:6]|, 0.5
	v_cndmask_b32_e64 v18, v18, v22, s[6:7]
	v_cndmask_b32_e64 v17, v17, v21, s[6:7]
	v_fma_f64 v[19:20], v[17:18], s[16:17], v[1:2]
	v_fma_f64 v[19:20], v[17:18], v[19:20], s[18:19]
	;; [unrolled: 1-line block ×11, first 2 shown]
	v_mul_f64 v[19:20], v[17:18], v[19:20]
	v_fma_f64 v[17:18], |v[5:6]|, v[19:20], |v[5:6]|
	s_and_saveexec_b64 s[44:45], s[6:7]
	s_cbranch_execnz .LBB52_36
; %bb.32:                               ;   in Loop: Header=BB52_17 Depth=1
	s_or_b64 exec, exec, s[44:45]
	s_and_saveexec_b64 s[6:7], vcc
	s_xor_b64 s[6:7], exec, s[6:7]
	s_cbranch_execnz .LBB52_37
.LBB52_33:                              ;   in Loop: Header=BB52_17 Depth=1
	s_or_b64 exec, exec, s[6:7]
	s_and_saveexec_b64 s[6:7], s[0:1]
	s_cbranch_execnz .LBB52_38
.LBB52_34:                              ;   in Loop: Header=BB52_17 Depth=1
	s_or_b64 exec, exec, s[6:7]
	s_and_saveexec_b64 s[0:1], s[2:3]
	s_cbranch_execnz .LBB52_39
.LBB52_35:                              ;   in Loop: Header=BB52_17 Depth=1
	s_or_b64 exec, exec, s[0:1]
	s_and_saveexec_b64 s[0:1], s[4:5]
	s_cbranch_execz .LBB52_16
	s_branch .LBB52_40
.LBB52_36:                              ;   in Loop: Header=BB52_17 Depth=1
	v_rsq_f64_e32 v[17:18], v[21:22]
	v_cmp_eq_f64_e64 s[6:7], 0, v[21:22]
	v_mul_f64 v[47:48], v[21:22], v[17:18]
	v_mul_f64 v[17:18], v[17:18], 0.5
	v_fma_f64 v[49:50], -v[17:18], v[47:48], 0.5
	v_fma_f64 v[47:48], v[47:48], v[49:50], v[47:48]
	v_fma_f64 v[17:18], v[17:18], v[49:50], v[17:18]
	v_fma_f64 v[49:50], -v[47:48], v[47:48], v[21:22]
	v_fma_f64 v[17:18], v[49:50], v[17:18], v[47:48]
	v_cndmask_b32_e64 v18, v18, v22, s[6:7]
	v_cndmask_b32_e64 v17, v17, v21, s[6:7]
	v_add_f64 v[47:48], v[17:18], v[17:18]
	v_mul_f64 v[49:50], v[17:18], v[17:18]
	v_rcp_f64_e32 v[51:52], v[47:48]
	v_add_f64 v[53:54], v[21:22], -v[49:50]
	v_fma_f64 v[57:58], v[17:18], v[17:18], -v[49:50]
	v_add_f64 v[21:22], v[21:22], -v[53:54]
	v_fma_f64 v[55:56], -v[47:48], v[51:52], 1.0
	v_add_f64 v[21:22], v[21:22], -v[49:50]
	v_fma_f64 v[49:50], v[55:56], v[51:52], v[51:52]
	v_add_f64 v[21:22], v[21:22], -v[57:58]
	v_fma_f64 v[51:52], -v[47:48], v[49:50], 1.0
	v_add_f64 v[21:22], v[53:54], v[21:22]
	v_fma_f64 v[49:50], v[51:52], v[49:50], v[49:50]
	v_mul_f64 v[51:52], v[21:22], v[49:50]
	v_fma_f64 v[21:22], -v[47:48], v[51:52], v[21:22]
	v_fma_f64 v[21:22], v[21:22], v[49:50], v[51:52]
	v_cndmask_b32_e64 v22, v22, 0, s[6:7]
	v_cndmask_b32_e64 v21, v21, 0, s[6:7]
	v_add_f64 v[47:48], v[17:18], v[21:22]
	v_cmp_neq_f64_e64 s[6:7], |v[5:6]|, 1.0
	v_add_f64 v[17:18], v[47:48], -v[17:18]
	v_mul_f64 v[49:50], v[19:20], v[47:48]
	v_add_f64 v[17:18], v[21:22], -v[17:18]
	v_fma_f64 v[21:22], v[47:48], v[19:20], -v[49:50]
	v_fma_f64 v[19:20], v[17:18], v[19:20], v[21:22]
	v_add_f64 v[21:22], v[49:50], v[19:20]
	v_add_f64 v[51:52], v[47:48], v[21:22]
	v_add_f64 v[49:50], v[21:22], -v[49:50]
	v_add_f64 v[47:48], v[51:52], -v[47:48]
	;; [unrolled: 1-line block ×4, first 2 shown]
	v_add_f64 v[17:18], v[17:18], v[19:20]
	v_add_f64 v[17:18], v[17:18], v[21:22]
	;; [unrolled: 1-line block ×3, first 2 shown]
	v_add_f64 v[21:22], -v[19:20], s[40:41]
	v_add_f64 v[49:50], v[19:20], -v[51:52]
	v_add_f64 v[47:48], -v[21:22], s[40:41]
	v_add_f64 v[17:18], v[49:50], -v[17:18]
	v_add_f64 v[19:20], v[47:48], -v[19:20]
	v_add_f64 v[19:20], v[19:20], s[42:43]
	v_add_f64 v[17:18], v[17:18], v[19:20]
	;; [unrolled: 1-line block ×4, first 2 shown]
	v_cndmask_b32_e64 v18, v45, v18, s[6:7]
	v_cndmask_b32_e64 v17, v46, v17, s[6:7]
	s_or_b64 exec, exec, s[44:45]
	s_and_saveexec_b64 s[6:7], vcc
	s_xor_b64 s[6:7], exec, s[6:7]
	s_cbranch_execz .LBB52_33
.LBB52_37:                              ;   in Loop: Header=BB52_17 Depth=1
	v_mov_b32_e32 v3, s9
	v_add_co_u32_e32 v7, vcc, s8, v25
	v_bfi_b32 v12, s47, v12, v8
	v_addc_co_u32_e32 v8, vcc, v26, v3, vcc
	global_store_dwordx2 v[7:8], v[11:12], off
	s_or_b64 exec, exec, s[6:7]
	s_and_saveexec_b64 s[6:7], s[0:1]
	s_cbranch_execz .LBB52_34
.LBB52_38:                              ;   in Loop: Header=BB52_17 Depth=1
	v_bfi_b32 v14, s47, v14, v4
	v_mov_b32_e32 v4, s9
	v_add_co_u32_e32 v3, vcc, s8, v39
	v_addc_co_u32_e32 v4, vcc, v40, v4, vcc
	global_store_dwordx2 v[3:4], v[13:14], off
	s_or_b64 exec, exec, s[6:7]
	s_and_saveexec_b64 s[0:1], s[2:3]
	s_cbranch_execz .LBB52_35
.LBB52_39:                              ;   in Loop: Header=BB52_17 Depth=1
	v_mov_b32_e32 v4, s9
	v_add_co_u32_e32 v3, vcc, s8, v33
	v_bfi_b32 v16, s47, v16, v10
	v_addc_co_u32_e32 v4, vcc, v34, v4, vcc
	global_store_dwordx2 v[3:4], v[15:16], off
	s_or_b64 exec, exec, s[0:1]
	s_and_saveexec_b64 s[0:1], s[4:5]
	s_cbranch_execz .LBB52_16
.LBB52_40:                              ;   in Loop: Header=BB52_17 Depth=1
	v_mov_b32_e32 v4, s9
	v_add_co_u32_e32 v3, vcc, s8, v29
	v_bfi_b32 v18, s47, v18, v6
	v_addc_co_u32_e32 v4, vcc, v30, v4, vcc
	global_store_dwordx2 v[3:4], v[17:18], off
	s_branch .LBB52_16
.LBB52_41:
	s_endpgm
	.section	.rodata,"a",@progbits
	.p2align	6, 0x0
	.amdhsa_kernel _ZN2at6native12_GLOBAL__N_125multi_tensor_apply_kernelINS1_18TensorListMetadataILi2EEENS1_14UnaryOpFunctorIdLi2ELi1ELi1EEEJNS0_4AsinIdEEEEEvT_T0_DpT1_
		.amdhsa_group_segment_fixed_size 0
		.amdhsa_private_segment_fixed_size 0
		.amdhsa_kernarg_size 3408
		.amdhsa_user_sgpr_count 6
		.amdhsa_user_sgpr_private_segment_buffer 1
		.amdhsa_user_sgpr_dispatch_ptr 0
		.amdhsa_user_sgpr_queue_ptr 0
		.amdhsa_user_sgpr_kernarg_segment_ptr 1
		.amdhsa_user_sgpr_dispatch_id 0
		.amdhsa_user_sgpr_flat_scratch_init 0
		.amdhsa_user_sgpr_private_segment_size 0
		.amdhsa_uses_dynamic_stack 0
		.amdhsa_system_sgpr_private_segment_wavefront_offset 0
		.amdhsa_system_sgpr_workgroup_id_x 1
		.amdhsa_system_sgpr_workgroup_id_y 0
		.amdhsa_system_sgpr_workgroup_id_z 0
		.amdhsa_system_sgpr_workgroup_info 0
		.amdhsa_system_vgpr_workitem_id 0
		.amdhsa_next_free_vgpr 59
		.amdhsa_next_free_sgpr 48
		.amdhsa_reserve_vcc 1
		.amdhsa_reserve_flat_scratch 0
		.amdhsa_float_round_mode_32 0
		.amdhsa_float_round_mode_16_64 0
		.amdhsa_float_denorm_mode_32 3
		.amdhsa_float_denorm_mode_16_64 3
		.amdhsa_dx10_clamp 1
		.amdhsa_ieee_mode 1
		.amdhsa_fp16_overflow 0
		.amdhsa_exception_fp_ieee_invalid_op 0
		.amdhsa_exception_fp_denorm_src 0
		.amdhsa_exception_fp_ieee_div_zero 0
		.amdhsa_exception_fp_ieee_overflow 0
		.amdhsa_exception_fp_ieee_underflow 0
		.amdhsa_exception_fp_ieee_inexact 0
		.amdhsa_exception_int_div_zero 0
	.end_amdhsa_kernel
	.section	.text._ZN2at6native12_GLOBAL__N_125multi_tensor_apply_kernelINS1_18TensorListMetadataILi2EEENS1_14UnaryOpFunctorIdLi2ELi1ELi1EEEJNS0_4AsinIdEEEEEvT_T0_DpT1_,"axG",@progbits,_ZN2at6native12_GLOBAL__N_125multi_tensor_apply_kernelINS1_18TensorListMetadataILi2EEENS1_14UnaryOpFunctorIdLi2ELi1ELi1EEEJNS0_4AsinIdEEEEEvT_T0_DpT1_,comdat
.Lfunc_end52:
	.size	_ZN2at6native12_GLOBAL__N_125multi_tensor_apply_kernelINS1_18TensorListMetadataILi2EEENS1_14UnaryOpFunctorIdLi2ELi1ELi1EEEJNS0_4AsinIdEEEEEvT_T0_DpT1_, .Lfunc_end52-_ZN2at6native12_GLOBAL__N_125multi_tensor_apply_kernelINS1_18TensorListMetadataILi2EEENS1_14UnaryOpFunctorIdLi2ELi1ELi1EEEJNS0_4AsinIdEEEEEvT_T0_DpT1_
                                        ; -- End function
	.set _ZN2at6native12_GLOBAL__N_125multi_tensor_apply_kernelINS1_18TensorListMetadataILi2EEENS1_14UnaryOpFunctorIdLi2ELi1ELi1EEEJNS0_4AsinIdEEEEEvT_T0_DpT1_.num_vgpr, 59
	.set _ZN2at6native12_GLOBAL__N_125multi_tensor_apply_kernelINS1_18TensorListMetadataILi2EEENS1_14UnaryOpFunctorIdLi2ELi1ELi1EEEJNS0_4AsinIdEEEEEvT_T0_DpT1_.num_agpr, 0
	.set _ZN2at6native12_GLOBAL__N_125multi_tensor_apply_kernelINS1_18TensorListMetadataILi2EEENS1_14UnaryOpFunctorIdLi2ELi1ELi1EEEJNS0_4AsinIdEEEEEvT_T0_DpT1_.numbered_sgpr, 48
	.set _ZN2at6native12_GLOBAL__N_125multi_tensor_apply_kernelINS1_18TensorListMetadataILi2EEENS1_14UnaryOpFunctorIdLi2ELi1ELi1EEEJNS0_4AsinIdEEEEEvT_T0_DpT1_.num_named_barrier, 0
	.set _ZN2at6native12_GLOBAL__N_125multi_tensor_apply_kernelINS1_18TensorListMetadataILi2EEENS1_14UnaryOpFunctorIdLi2ELi1ELi1EEEJNS0_4AsinIdEEEEEvT_T0_DpT1_.private_seg_size, 0
	.set _ZN2at6native12_GLOBAL__N_125multi_tensor_apply_kernelINS1_18TensorListMetadataILi2EEENS1_14UnaryOpFunctorIdLi2ELi1ELi1EEEJNS0_4AsinIdEEEEEvT_T0_DpT1_.uses_vcc, 1
	.set _ZN2at6native12_GLOBAL__N_125multi_tensor_apply_kernelINS1_18TensorListMetadataILi2EEENS1_14UnaryOpFunctorIdLi2ELi1ELi1EEEJNS0_4AsinIdEEEEEvT_T0_DpT1_.uses_flat_scratch, 0
	.set _ZN2at6native12_GLOBAL__N_125multi_tensor_apply_kernelINS1_18TensorListMetadataILi2EEENS1_14UnaryOpFunctorIdLi2ELi1ELi1EEEJNS0_4AsinIdEEEEEvT_T0_DpT1_.has_dyn_sized_stack, 0
	.set _ZN2at6native12_GLOBAL__N_125multi_tensor_apply_kernelINS1_18TensorListMetadataILi2EEENS1_14UnaryOpFunctorIdLi2ELi1ELi1EEEJNS0_4AsinIdEEEEEvT_T0_DpT1_.has_recursion, 0
	.set _ZN2at6native12_GLOBAL__N_125multi_tensor_apply_kernelINS1_18TensorListMetadataILi2EEENS1_14UnaryOpFunctorIdLi2ELi1ELi1EEEJNS0_4AsinIdEEEEEvT_T0_DpT1_.has_indirect_call, 0
	.section	.AMDGPU.csdata,"",@progbits
; Kernel info:
; codeLenInByte = 6464
; TotalNumSgprs: 52
; NumVgprs: 59
; ScratchSize: 0
; MemoryBound: 0
; FloatMode: 240
; IeeeMode: 1
; LDSByteSize: 0 bytes/workgroup (compile time only)
; SGPRBlocks: 6
; VGPRBlocks: 14
; NumSGPRsForWavesPerEU: 52
; NumVGPRsForWavesPerEU: 59
; Occupancy: 4
; WaveLimiterHint : 0
; COMPUTE_PGM_RSRC2:SCRATCH_EN: 0
; COMPUTE_PGM_RSRC2:USER_SGPR: 6
; COMPUTE_PGM_RSRC2:TRAP_HANDLER: 0
; COMPUTE_PGM_RSRC2:TGID_X_EN: 1
; COMPUTE_PGM_RSRC2:TGID_Y_EN: 0
; COMPUTE_PGM_RSRC2:TGID_Z_EN: 0
; COMPUTE_PGM_RSRC2:TIDIG_COMP_CNT: 0
	.section	.text._ZN2at6native12_GLOBAL__N_125multi_tensor_apply_kernelINS1_18TensorListMetadataILi2EEENS1_14UnaryOpFunctorIfLi2ELi1ELi1EEEJNS0_4AsinIfEEEEEvT_T0_DpT1_,"axG",@progbits,_ZN2at6native12_GLOBAL__N_125multi_tensor_apply_kernelINS1_18TensorListMetadataILi2EEENS1_14UnaryOpFunctorIfLi2ELi1ELi1EEEJNS0_4AsinIfEEEEEvT_T0_DpT1_,comdat
	.globl	_ZN2at6native12_GLOBAL__N_125multi_tensor_apply_kernelINS1_18TensorListMetadataILi2EEENS1_14UnaryOpFunctorIfLi2ELi1ELi1EEEJNS0_4AsinIfEEEEEvT_T0_DpT1_ ; -- Begin function _ZN2at6native12_GLOBAL__N_125multi_tensor_apply_kernelINS1_18TensorListMetadataILi2EEENS1_14UnaryOpFunctorIfLi2ELi1ELi1EEEJNS0_4AsinIfEEEEEvT_T0_DpT1_
	.p2align	8
	.type	_ZN2at6native12_GLOBAL__N_125multi_tensor_apply_kernelINS1_18TensorListMetadataILi2EEENS1_14UnaryOpFunctorIfLi2ELi1ELi1EEEJNS0_4AsinIfEEEEEvT_T0_DpT1_,@function
_ZN2at6native12_GLOBAL__N_125multi_tensor_apply_kernelINS1_18TensorListMetadataILi2EEENS1_14UnaryOpFunctorIfLi2ELi1ELi1EEEJNS0_4AsinIfEEEEEvT_T0_DpT1_: ; @_ZN2at6native12_GLOBAL__N_125multi_tensor_apply_kernelINS1_18TensorListMetadataILi2EEENS1_14UnaryOpFunctorIfLi2ELi1ELi1EEEJNS0_4AsinIfEEEEEvT_T0_DpT1_
; %bb.0:
	v_mov_b32_e32 v1, s6
	global_load_ubyte v1, v1, s[4:5] offset:1536
	s_add_u32 s0, s4, s6
	s_mul_hi_u32 s2, s6, 3
	s_mul_i32 s6, s6, 3
	s_addc_u32 s7, s5, 0
	s_add_u32 s6, s0, s6
	s_addc_u32 s7, s7, s2
	s_load_dword s6, s[6:7], 0x740
	s_mov_b32 s1, 0
	s_mov_b32 s3, s1
	s_waitcnt lgkmcnt(0)
	s_ashr_i32 s7, s6, 31
	s_lshl_b64 s[8:9], s[6:7], 18
	s_lshl_b64 s[6:7], s[6:7], 16
	s_waitcnt vmcnt(0)
	v_readfirstlane_b32 s0, v1
	s_lshl_b32 s0, s0, 3
	s_load_dwordx2 s[10:11], s[4:5], s0 offset:0x400
	s_load_dwordx2 s[16:17], s[4:5], s0 offset:0x0
	;; [unrolled: 1-line block ×3, first 2 shown]
	s_waitcnt lgkmcnt(0)
	s_add_u32 s0, s16, s8
	s_and_b32 s2, s14, 15
	s_and_b32 s0, s0, 15
	s_sub_u32 s12, s10, s6
	s_subb_u32 s13, s11, s7
	s_and_b32 s6, s10, 3
	s_mov_b32 s7, s1
	s_or_b64 s[2:3], s[2:3], s[6:7]
	s_or_b64 s[0:1], s[2:3], s[0:1]
	s_cmp_eq_u64 s[0:1], 0
	s_mov_b64 s[0:1], -1
	s_cbranch_scc0 .LBB53_5
; %bb.1:
	v_mov_b32_e32 v1, 0x10000
	v_mov_b32_e32 v2, 0
	v_cmp_lt_i64_e32 vcc, s[12:13], v[1:2]
	v_mov_b32_e32 v2, 0
	s_and_b64 s[0:1], vcc, exec
	s_cselect_b32 s11, s13, 0
	s_cselect_b32 s10, s12, 0x10000
	v_lshlrev_b32_e32 v1, 2, v0
	v_cmp_gt_i64_e32 vcc, s[10:11], v[1:2]
	s_and_saveexec_b64 s[18:19], vcc
	s_cbranch_execz .LBB53_4
; %bb.2:
	s_load_dword s0, s[4:5], 0xc5c
	v_mov_b32_e32 v1, v2
	v_lshlrev_b32_e32 v2, 4, v0
	v_mov_b32_e32 v4, s9
	v_add_co_u32_e32 v3, vcc, s8, v2
	s_waitcnt lgkmcnt(0)
	s_and_b32 s22, s0, 0xffff
	v_mov_b32_e32 v2, v1
	v_addc_co_u32_e32 v4, vcc, 0, v4, vcc
	s_lshl_b32 s23, s22, 4
	s_mov_b64 s[20:21], 0
	v_mov_b32_e32 v5, s17
	v_mov_b32_e32 v6, 0x3d034c3c
	;; [unrolled: 1-line block ×5, first 2 shown]
	s_brev_b32 s24, -2
	v_mov_b32_e32 v10, s15
	v_mov_b32_e32 v1, v0
.LBB53_3:                               ; =>This Inner Loop Header: Depth=1
	v_add_co_u32_e32 v11, vcc, s16, v3
	v_addc_co_u32_e32 v12, vcc, v5, v4, vcc
	global_load_dwordx4 v[11:14], v[11:12], off
	v_add_co_u32_e32 v1, vcc, s22, v1
	v_addc_co_u32_e32 v2, vcc, 0, v2, vcc
	v_add_co_u32_e32 v15, vcc, s14, v3
	v_addc_co_u32_e32 v16, vcc, v10, v4, vcc
	v_add_co_u32_e32 v3, vcc, s23, v3
	v_lshlrev_b64 v[17:18], 2, v[1:2]
	v_addc_co_u32_e32 v4, vcc, 0, v4, vcc
	v_cmp_le_i64_e32 vcc, s[10:11], v[17:18]
	v_mov_b32_e32 v19, 0x3c5fc5da
	s_or_b64 s[20:21], vcc, s[20:21]
	v_mov_b32_e32 v20, 0x3c5fc5da
	v_mov_b32_e32 v21, 0x3c5fc5da
	;; [unrolled: 1-line block ×3, first 2 shown]
	s_waitcnt vmcnt(0)
	v_fma_f32 v17, |v11|, -0.5, 0.5
	v_mul_f32_e32 v18, v11, v11
	v_fma_f32 v23, |v12|, -0.5, 0.5
	v_mul_f32_e32 v24, v12, v12
	;; [unrolled: 2-line block ×3, first 2 shown]
	v_fma_f32 v27, |v14|, -0.5, 0.5
	v_cmp_ge_f32_e64 vcc, |v12|, 0.5
	v_mul_f32_e32 v28, v14, v14
	v_cmp_ge_f32_e64 s[0:1], |v14|, 0.5
	v_cmp_ge_f32_e64 s[2:3], |v13|, 0.5
	v_cmp_ge_f32_e64 s[6:7], |v11|, 0.5
	v_cndmask_b32_e64 v17, v18, v17, s[6:7]
	v_cndmask_b32_e32 v18, v24, v23, vcc
	v_cndmask_b32_e64 v23, v26, v25, s[2:3]
	v_cndmask_b32_e64 v24, v28, v27, s[0:1]
	v_fmac_f32_e32 v19, 0x3d1c21a7, v17
	v_fmac_f32_e32 v20, 0x3d1c21a7, v18
	;; [unrolled: 1-line block ×4, first 2 shown]
	v_fma_f32 v19, v17, v19, v6
	v_fma_f32 v20, v18, v20, v6
	;; [unrolled: 1-line block ×4, first 2 shown]
	v_sqrt_f32_e32 v25, v17
	v_sqrt_f32_e32 v26, v18
	;; [unrolled: 1-line block ×4, first 2 shown]
	v_fma_f32 v19, v17, v19, v7
	v_fma_f32 v20, v18, v20, v7
	v_fma_f32 v21, v23, v21, v7
	v_fma_f32 v22, v24, v22, v7
	v_fma_f32 v19, v17, v19, v8
	v_fma_f32 v20, v18, v20, v8
	v_fma_f32 v21, v23, v21, v8
	v_fma_f32 v22, v24, v22, v8
	v_fma_f32 v19, v17, v19, v9
	v_fma_f32 v20, v18, v20, v9
	v_fma_f32 v21, v23, v21, v9
	v_fma_f32 v22, v24, v22, v9
	v_mul_f32_e32 v17, v17, v19
	v_mul_f32_e32 v18, v18, v20
	;; [unrolled: 1-line block ×4, first 2 shown]
	v_fmac_f32_e32 v25, v25, v17
	v_fmac_f32_e32 v26, v26, v18
	;; [unrolled: 1-line block ×4, first 2 shown]
	v_add_f32_e32 v21, v25, v25
	v_add_f32_e32 v22, v26, v26
	;; [unrolled: 1-line block ×4, first 2 shown]
	v_fma_f32 v17, |v11|, v17, |v11|
	v_fma_f32 v18, |v12|, v18, |v12|
	;; [unrolled: 1-line block ×4, first 2 shown]
	v_sub_f32_e32 v21, 0x3fc90fdb, v21
	v_sub_f32_e32 v22, 0x3fc90fdb, v22
	v_cmp_lt_f32_e64 vcc, |v12|, 0.5
	v_sub_f32_e32 v23, 0x3fc90fdb, v23
	v_cmp_lt_f32_e64 s[0:1], |v13|, 0.5
	v_sub_f32_e32 v24, 0x3fc90fdb, v24
	v_cmp_lt_f32_e64 s[2:3], |v14|, 0.5
	v_cmp_lt_f32_e64 s[6:7], |v11|, 0.5
	v_cndmask_b32_e64 v17, v21, v17, s[6:7]
	v_cndmask_b32_e32 v18, v22, v18, vcc
	v_cndmask_b32_e64 v19, v23, v19, s[0:1]
	v_cndmask_b32_e64 v20, v24, v20, s[2:3]
	v_bfi_b32 v11, s24, v17, v11
	v_bfi_b32 v12, s24, v18, v12
	v_bfi_b32 v13, s24, v19, v13
	v_bfi_b32 v14, s24, v20, v14
	global_store_dwordx4 v[15:16], v[11:14], off
	s_andn2_b64 exec, exec, s[20:21]
	s_cbranch_execnz .LBB53_3
.LBB53_4:
	s_or_b64 exec, exec, s[18:19]
	s_mov_b64 s[0:1], 0
.LBB53_5:
	s_andn2_b64 vcc, exec, s[0:1]
	s_cbranch_vccnz .LBB53_25
; %bb.6:
	v_cmp_lt_i64_e64 s[0:1], s[12:13], 1
	s_and_b64 vcc, exec, s[0:1]
	s_cbranch_vccnz .LBB53_25
; %bb.7:
	v_mov_b32_e32 v1, 0x10000
	s_load_dword s2, s[4:5], 0xc5c
	v_mov_b32_e32 v2, 0
	v_cmp_lt_i64_e32 vcc, s[12:13], v[1:2]
	v_mov_b32_e32 v10, 0
	s_and_b64 s[0:1], vcc, exec
	v_cmp_lt_u64_e32 vcc, s[12:13], v[1:2]
	s_cselect_b32 s11, s13, 0
	s_cselect_b32 s10, s12, 0x10000
	s_waitcnt lgkmcnt(0)
	s_and_b32 s2, s2, 0xffff
	v_lshlrev_b32_e32 v9, 2, v0
	s_and_b64 s[0:1], vcc, exec
	v_mov_b32_e32 v2, s17
	v_add_co_u32_e32 v1, vcc, s16, v9
	v_mad_u64_u32 v[7:8], s[0:1], s2, 12, v[9:10]
	v_addc_co_u32_e32 v2, vcc, 0, v2, vcc
	v_mov_b32_e32 v4, s15
	v_add_co_u32_e32 v3, vcc, s14, v9
	v_addc_co_u32_e32 v4, vcc, 0, v4, vcc
	v_mov_b32_e32 v6, s17
	v_add_co_u32_e32 v5, vcc, s16, v7
	;; [unrolled: 3-line block ×3, first 2 shown]
	s_cselect_b32 s13, s13, 0
	s_cselect_b32 s12, s12, 0x10000
	v_addc_co_u32_e32 v8, vcc, v10, v8, vcc
	s_lshl_b32 s0, s2, 3
	v_add_co_u32_e32 v11, vcc, s0, v9
	v_addc_co_u32_e64 v12, s[0:1], 0, 0, vcc
	v_mov_b32_e32 v10, s17
	v_add_co_u32_e32 v9, vcc, s16, v11
	v_addc_co_u32_e32 v10, vcc, v10, v12, vcc
	v_mov_b32_e32 v13, s15
	v_add_co_u32_e32 v11, vcc, s14, v11
	v_addc_co_u32_e32 v12, vcc, v13, v12, vcc
	v_add_co_u32_e32 v13, vcc, s2, v0
	v_lshlrev_b32_e32 v17, 2, v13
	v_addc_co_u32_e64 v14, s[0:1], 0, 0, vcc
	v_mov_b32_e32 v16, s17
	v_add_co_u32_e32 v15, vcc, s16, v17
	v_addc_co_u32_e32 v16, vcc, 0, v16, vcc
	v_mov_b32_e32 v18, s15
	v_add_co_u32_e32 v17, vcc, s14, v17
	s_mul_i32 s4, s2, 3
	v_addc_co_u32_e32 v18, vcc, 0, v18, vcc
	s_lshl_b32 s3, s2, 1
	v_add_co_u32_e32 v19, vcc, s4, v0
	v_addc_co_u32_e64 v20, s[0:1], 0, 0, vcc
	v_add_co_u32_e32 v21, vcc, s3, v0
	s_lshl_b32 s18, s2, 2
	s_lshl_b32 s19, s2, 4
	s_mov_b64 s[14:15], 0
	s_brev_b32 s20, -2
	v_addc_co_u32_e64 v22, s[0:1], 0, 0, vcc
	v_mov_b32_e32 v23, 0x3d034c3c
	v_mov_b32_e32 v24, 0x3d3641b1
	;; [unrolled: 1-line block ×4, first 2 shown]
	s_branch .LBB53_9
.LBB53_8:                               ;   in Loop: Header=BB53_9 Depth=1
	s_or_b64 exec, exec, s[0:1]
	v_add_co_u32_e32 v1, vcc, s19, v1
	v_addc_co_u32_e32 v2, vcc, 0, v2, vcc
	v_add_co_u32_e32 v3, vcc, s19, v3
	v_addc_co_u32_e32 v4, vcc, 0, v4, vcc
	v_add_co_u32_e32 v5, vcc, s19, v5
	v_addc_co_u32_e32 v6, vcc, 0, v6, vcc
	v_add_co_u32_e32 v7, vcc, s19, v7
	v_addc_co_u32_e32 v8, vcc, 0, v8, vcc
	v_add_co_u32_e32 v9, vcc, s19, v9
	v_addc_co_u32_e32 v10, vcc, 0, v10, vcc
	v_add_co_u32_e32 v11, vcc, s19, v11
	v_addc_co_u32_e32 v12, vcc, 0, v12, vcc
	s_add_u32 s14, s14, s18
	v_add_co_u32_e32 v15, vcc, s19, v15
	s_waitcnt vmcnt(0)
	v_mov_b32_e32 v28, s11
	s_addc_u32 s15, s15, 0
	v_addc_co_u32_e32 v16, vcc, 0, v16, vcc
	v_mov_b32_e32 v27, s10
	v_cmp_ge_i64_e32 vcc, s[14:15], v[27:28]
	v_add_co_u32_e64 v17, s[0:1], s19, v17
	v_addc_co_u32_e64 v18, s[0:1], 0, v18, s[0:1]
	s_cbranch_vccnz .LBB53_25
.LBB53_9:                               ; =>This Inner Loop Header: Depth=1
	v_mov_b32_e32 v28, s15
	v_add_co_u32_e32 v27, vcc, s14, v0
	v_addc_co_u32_e32 v28, vcc, 0, v28, vcc
	v_cmp_gt_u64_e64 s[4:5], s[12:13], v[27:28]
	v_mov_b32_e32 v30, 0
	s_and_saveexec_b64 s[0:1], s[4:5]
	s_cbranch_execz .LBB53_11
; %bb.10:                               ;   in Loop: Header=BB53_9 Depth=1
	v_mov_b32_e32 v28, s9
	v_add_co_u32_e32 v27, vcc, s8, v1
	v_addc_co_u32_e32 v28, vcc, v2, v28, vcc
	global_load_dword v30, v[27:28], off
.LBB53_11:                              ;   in Loop: Header=BB53_9 Depth=1
	s_or_b64 exec, exec, s[0:1]
	v_mov_b32_e32 v28, s15
	v_add_co_u32_e32 v27, vcc, s14, v13
	v_addc_co_u32_e32 v28, vcc, v14, v28, vcc
	v_cmp_gt_u64_e64 s[2:3], s[12:13], v[27:28]
	v_mov_b32_e32 v27, 0
	v_mov_b32_e32 v29, 0
	s_and_saveexec_b64 s[0:1], s[2:3]
	s_cbranch_execz .LBB53_13
; %bb.12:                               ;   in Loop: Header=BB53_9 Depth=1
	v_mov_b32_e32 v29, s9
	v_add_co_u32_e32 v28, vcc, s8, v15
	v_addc_co_u32_e32 v29, vcc, v16, v29, vcc
	global_load_dword v29, v[28:29], off
.LBB53_13:                              ;   in Loop: Header=BB53_9 Depth=1
	s_or_b64 exec, exec, s[0:1]
	v_mov_b32_e32 v28, s15
	v_add_co_u32_e32 v31, vcc, s14, v21
	v_addc_co_u32_e32 v32, vcc, v22, v28, vcc
	v_cmp_gt_u64_e64 s[0:1], s[12:13], v[31:32]
	s_and_saveexec_b64 s[6:7], s[0:1]
	s_cbranch_execz .LBB53_15
; %bb.14:                               ;   in Loop: Header=BB53_9 Depth=1
	v_mov_b32_e32 v28, s9
	v_add_co_u32_e32 v27, vcc, s8, v9
	v_addc_co_u32_e32 v28, vcc, v10, v28, vcc
	global_load_dword v27, v[27:28], off
.LBB53_15:                              ;   in Loop: Header=BB53_9 Depth=1
	s_or_b64 exec, exec, s[6:7]
	v_mov_b32_e32 v28, s15
	v_add_co_u32_e32 v31, vcc, s14, v19
	v_addc_co_u32_e32 v32, vcc, v20, v28, vcc
	v_cmp_gt_u64_e32 vcc, s[12:13], v[31:32]
	v_mov_b32_e32 v28, 0
	s_and_saveexec_b64 s[16:17], vcc
	s_cbranch_execnz .LBB53_20
; %bb.16:                               ;   in Loop: Header=BB53_9 Depth=1
	s_or_b64 exec, exec, s[16:17]
	s_and_saveexec_b64 s[6:7], s[4:5]
	s_cbranch_execnz .LBB53_21
.LBB53_17:                              ;   in Loop: Header=BB53_9 Depth=1
	s_or_b64 exec, exec, s[6:7]
	s_and_saveexec_b64 s[4:5], s[2:3]
	s_cbranch_execnz .LBB53_22
.LBB53_18:                              ;   in Loop: Header=BB53_9 Depth=1
	s_or_b64 exec, exec, s[4:5]
	s_and_saveexec_b64 s[2:3], s[0:1]
	s_cbranch_execnz .LBB53_23
.LBB53_19:                              ;   in Loop: Header=BB53_9 Depth=1
	s_or_b64 exec, exec, s[2:3]
	s_and_saveexec_b64 s[0:1], vcc
	s_cbranch_execz .LBB53_8
	s_branch .LBB53_24
.LBB53_20:                              ;   in Loop: Header=BB53_9 Depth=1
	v_mov_b32_e32 v28, s9
	v_add_co_u32_e64 v31, s[6:7], s8, v5
	v_addc_co_u32_e64 v32, s[6:7], v6, v28, s[6:7]
	global_load_dword v28, v[31:32], off
	s_or_b64 exec, exec, s[16:17]
	s_and_saveexec_b64 s[6:7], s[4:5]
	s_cbranch_execz .LBB53_17
.LBB53_21:                              ;   in Loop: Header=BB53_9 Depth=1
	s_waitcnt vmcnt(0)
	v_fma_f32 v31, |v30|, -0.5, 0.5
	v_mul_f32_e32 v32, v30, v30
	v_cmp_ge_f32_e64 s[4:5], |v30|, 0.5
	v_cndmask_b32_e64 v31, v32, v31, s[4:5]
	v_mov_b32_e32 v32, 0x3c5fc5da
	v_fmac_f32_e32 v32, 0x3d1c21a7, v31
	v_fma_f32 v32, v31, v32, v23
	v_fma_f32 v32, v31, v32, v24
	v_sqrt_f32_e32 v33, v31
	v_fma_f32 v32, v31, v32, v25
	v_fma_f32 v32, v31, v32, v26
	v_mul_f32_e32 v31, v31, v32
	v_fmac_f32_e32 v33, v33, v31
	v_fma_f32 v32, |v30|, v31, |v30|
	v_add_f32_e32 v31, v33, v33
	v_sub_f32_e32 v31, 0x3fc90fdb, v31
	v_cmp_lt_f32_e64 s[4:5], |v30|, 0.5
	v_cndmask_b32_e64 v31, v31, v32, s[4:5]
	v_bfi_b32 v32, s20, v31, v30
	v_mov_b32_e32 v31, s9
	v_add_co_u32_e64 v30, s[4:5], s8, v3
	v_addc_co_u32_e64 v31, s[4:5], v4, v31, s[4:5]
	global_store_dword v[30:31], v32, off
	s_or_b64 exec, exec, s[6:7]
	s_and_saveexec_b64 s[4:5], s[2:3]
	s_cbranch_execz .LBB53_18
.LBB53_22:                              ;   in Loop: Header=BB53_9 Depth=1
	s_waitcnt vmcnt(0)
	v_fma_f32 v30, |v29|, -0.5, 0.5
	v_mul_f32_e32 v31, v29, v29
	v_cmp_ge_f32_e64 s[2:3], |v29|, 0.5
	v_cndmask_b32_e64 v30, v31, v30, s[2:3]
	v_mov_b32_e32 v31, 0x3c5fc5da
	v_fmac_f32_e32 v31, 0x3d1c21a7, v30
	v_fma_f32 v31, v30, v31, v23
	v_fma_f32 v31, v30, v31, v24
	v_sqrt_f32_e32 v32, v30
	v_fma_f32 v31, v30, v31, v25
	v_fma_f32 v31, v30, v31, v26
	v_mul_f32_e32 v30, v30, v31
	v_fmac_f32_e32 v32, v32, v30
	v_add_f32_e32 v31, v32, v32
	v_sub_f32_e32 v31, 0x3fc90fdb, v31
	v_fma_f32 v30, |v29|, v30, |v29|
	v_cmp_lt_f32_e64 s[2:3], |v29|, 0.5
	v_cndmask_b32_e64 v30, v31, v30, s[2:3]
	v_bfi_b32 v31, s20, v30, v29
	v_mov_b32_e32 v30, s9
	v_add_co_u32_e64 v29, s[2:3], s8, v17
	v_addc_co_u32_e64 v30, s[2:3], v18, v30, s[2:3]
	global_store_dword v[29:30], v31, off
	s_or_b64 exec, exec, s[4:5]
	s_and_saveexec_b64 s[2:3], s[0:1]
	s_cbranch_execz .LBB53_19
.LBB53_23:                              ;   in Loop: Header=BB53_9 Depth=1
	s_waitcnt vmcnt(0)
	v_fma_f32 v29, |v27|, -0.5, 0.5
	v_mul_f32_e32 v30, v27, v27
	v_cmp_ge_f32_e64 s[0:1], |v27|, 0.5
	v_cndmask_b32_e64 v29, v30, v29, s[0:1]
	v_mov_b32_e32 v30, 0x3c5fc5da
	v_fmac_f32_e32 v30, 0x3d1c21a7, v29
	v_fma_f32 v30, v29, v30, v23
	v_fma_f32 v30, v29, v30, v24
	v_sqrt_f32_e32 v31, v29
	v_fma_f32 v30, v29, v30, v25
	v_fma_f32 v30, v29, v30, v26
	v_mul_f32_e32 v29, v29, v30
	v_fmac_f32_e32 v31, v31, v29
	v_add_f32_e32 v30, v31, v31
	v_sub_f32_e32 v30, 0x3fc90fdb, v30
	v_fma_f32 v29, |v27|, v29, |v27|
	v_cmp_lt_f32_e64 s[0:1], |v27|, 0.5
	v_cndmask_b32_e64 v29, v30, v29, s[0:1]
	v_bfi_b32 v27, s20, v29, v27
	v_mov_b32_e32 v30, s9
	v_add_co_u32_e64 v29, s[0:1], s8, v11
	v_addc_co_u32_e64 v30, s[0:1], v12, v30, s[0:1]
	global_store_dword v[29:30], v27, off
	s_or_b64 exec, exec, s[2:3]
	s_and_saveexec_b64 s[0:1], vcc
	s_cbranch_execz .LBB53_8
.LBB53_24:                              ;   in Loop: Header=BB53_9 Depth=1
	s_waitcnt vmcnt(0)
	v_fma_f32 v27, |v28|, -0.5, 0.5
	v_mul_f32_e32 v29, v28, v28
	v_cmp_ge_f32_e64 vcc, |v28|, 0.5
	v_cndmask_b32_e32 v27, v29, v27, vcc
	v_mov_b32_e32 v29, 0x3c5fc5da
	v_fmac_f32_e32 v29, 0x3d1c21a7, v27
	v_fma_f32 v29, v27, v29, v23
	v_fma_f32 v29, v27, v29, v24
	v_sqrt_f32_e32 v30, v27
	v_fma_f32 v29, v27, v29, v25
	v_fma_f32 v29, v27, v29, v26
	v_mul_f32_e32 v27, v27, v29
	v_fmac_f32_e32 v30, v30, v27
	v_add_f32_e32 v29, v30, v30
	v_sub_f32_e32 v29, 0x3fc90fdb, v29
	v_fma_f32 v27, |v28|, v27, |v28|
	v_cmp_lt_f32_e64 vcc, |v28|, 0.5
	v_cndmask_b32_e32 v27, v29, v27, vcc
	v_bfi_b32 v29, s20, v27, v28
	v_mov_b32_e32 v28, s9
	v_add_co_u32_e32 v27, vcc, s8, v7
	v_addc_co_u32_e32 v28, vcc, v8, v28, vcc
	global_store_dword v[27:28], v29, off
	s_branch .LBB53_8
.LBB53_25:
	s_endpgm
	.section	.rodata,"a",@progbits
	.p2align	6, 0x0
	.amdhsa_kernel _ZN2at6native12_GLOBAL__N_125multi_tensor_apply_kernelINS1_18TensorListMetadataILi2EEENS1_14UnaryOpFunctorIfLi2ELi1ELi1EEEJNS0_4AsinIfEEEEEvT_T0_DpT1_
		.amdhsa_group_segment_fixed_size 0
		.amdhsa_private_segment_fixed_size 0
		.amdhsa_kernarg_size 3408
		.amdhsa_user_sgpr_count 6
		.amdhsa_user_sgpr_private_segment_buffer 1
		.amdhsa_user_sgpr_dispatch_ptr 0
		.amdhsa_user_sgpr_queue_ptr 0
		.amdhsa_user_sgpr_kernarg_segment_ptr 1
		.amdhsa_user_sgpr_dispatch_id 0
		.amdhsa_user_sgpr_flat_scratch_init 0
		.amdhsa_user_sgpr_private_segment_size 0
		.amdhsa_uses_dynamic_stack 0
		.amdhsa_system_sgpr_private_segment_wavefront_offset 0
		.amdhsa_system_sgpr_workgroup_id_x 1
		.amdhsa_system_sgpr_workgroup_id_y 0
		.amdhsa_system_sgpr_workgroup_id_z 0
		.amdhsa_system_sgpr_workgroup_info 0
		.amdhsa_system_vgpr_workitem_id 0
		.amdhsa_next_free_vgpr 34
		.amdhsa_next_free_sgpr 25
		.amdhsa_reserve_vcc 1
		.amdhsa_reserve_flat_scratch 0
		.amdhsa_float_round_mode_32 0
		.amdhsa_float_round_mode_16_64 0
		.amdhsa_float_denorm_mode_32 3
		.amdhsa_float_denorm_mode_16_64 3
		.amdhsa_dx10_clamp 1
		.amdhsa_ieee_mode 1
		.amdhsa_fp16_overflow 0
		.amdhsa_exception_fp_ieee_invalid_op 0
		.amdhsa_exception_fp_denorm_src 0
		.amdhsa_exception_fp_ieee_div_zero 0
		.amdhsa_exception_fp_ieee_overflow 0
		.amdhsa_exception_fp_ieee_underflow 0
		.amdhsa_exception_fp_ieee_inexact 0
		.amdhsa_exception_int_div_zero 0
	.end_amdhsa_kernel
	.section	.text._ZN2at6native12_GLOBAL__N_125multi_tensor_apply_kernelINS1_18TensorListMetadataILi2EEENS1_14UnaryOpFunctorIfLi2ELi1ELi1EEEJNS0_4AsinIfEEEEEvT_T0_DpT1_,"axG",@progbits,_ZN2at6native12_GLOBAL__N_125multi_tensor_apply_kernelINS1_18TensorListMetadataILi2EEENS1_14UnaryOpFunctorIfLi2ELi1ELi1EEEJNS0_4AsinIfEEEEEvT_T0_DpT1_,comdat
.Lfunc_end53:
	.size	_ZN2at6native12_GLOBAL__N_125multi_tensor_apply_kernelINS1_18TensorListMetadataILi2EEENS1_14UnaryOpFunctorIfLi2ELi1ELi1EEEJNS0_4AsinIfEEEEEvT_T0_DpT1_, .Lfunc_end53-_ZN2at6native12_GLOBAL__N_125multi_tensor_apply_kernelINS1_18TensorListMetadataILi2EEENS1_14UnaryOpFunctorIfLi2ELi1ELi1EEEJNS0_4AsinIfEEEEEvT_T0_DpT1_
                                        ; -- End function
	.set _ZN2at6native12_GLOBAL__N_125multi_tensor_apply_kernelINS1_18TensorListMetadataILi2EEENS1_14UnaryOpFunctorIfLi2ELi1ELi1EEEJNS0_4AsinIfEEEEEvT_T0_DpT1_.num_vgpr, 34
	.set _ZN2at6native12_GLOBAL__N_125multi_tensor_apply_kernelINS1_18TensorListMetadataILi2EEENS1_14UnaryOpFunctorIfLi2ELi1ELi1EEEJNS0_4AsinIfEEEEEvT_T0_DpT1_.num_agpr, 0
	.set _ZN2at6native12_GLOBAL__N_125multi_tensor_apply_kernelINS1_18TensorListMetadataILi2EEENS1_14UnaryOpFunctorIfLi2ELi1ELi1EEEJNS0_4AsinIfEEEEEvT_T0_DpT1_.numbered_sgpr, 25
	.set _ZN2at6native12_GLOBAL__N_125multi_tensor_apply_kernelINS1_18TensorListMetadataILi2EEENS1_14UnaryOpFunctorIfLi2ELi1ELi1EEEJNS0_4AsinIfEEEEEvT_T0_DpT1_.num_named_barrier, 0
	.set _ZN2at6native12_GLOBAL__N_125multi_tensor_apply_kernelINS1_18TensorListMetadataILi2EEENS1_14UnaryOpFunctorIfLi2ELi1ELi1EEEJNS0_4AsinIfEEEEEvT_T0_DpT1_.private_seg_size, 0
	.set _ZN2at6native12_GLOBAL__N_125multi_tensor_apply_kernelINS1_18TensorListMetadataILi2EEENS1_14UnaryOpFunctorIfLi2ELi1ELi1EEEJNS0_4AsinIfEEEEEvT_T0_DpT1_.uses_vcc, 1
	.set _ZN2at6native12_GLOBAL__N_125multi_tensor_apply_kernelINS1_18TensorListMetadataILi2EEENS1_14UnaryOpFunctorIfLi2ELi1ELi1EEEJNS0_4AsinIfEEEEEvT_T0_DpT1_.uses_flat_scratch, 0
	.set _ZN2at6native12_GLOBAL__N_125multi_tensor_apply_kernelINS1_18TensorListMetadataILi2EEENS1_14UnaryOpFunctorIfLi2ELi1ELi1EEEJNS0_4AsinIfEEEEEvT_T0_DpT1_.has_dyn_sized_stack, 0
	.set _ZN2at6native12_GLOBAL__N_125multi_tensor_apply_kernelINS1_18TensorListMetadataILi2EEENS1_14UnaryOpFunctorIfLi2ELi1ELi1EEEJNS0_4AsinIfEEEEEvT_T0_DpT1_.has_recursion, 0
	.set _ZN2at6native12_GLOBAL__N_125multi_tensor_apply_kernelINS1_18TensorListMetadataILi2EEENS1_14UnaryOpFunctorIfLi2ELi1ELi1EEEJNS0_4AsinIfEEEEEvT_T0_DpT1_.has_indirect_call, 0
	.section	.AMDGPU.csdata,"",@progbits
; Kernel info:
; codeLenInByte = 2312
; TotalNumSgprs: 29
; NumVgprs: 34
; ScratchSize: 0
; MemoryBound: 0
; FloatMode: 240
; IeeeMode: 1
; LDSByteSize: 0 bytes/workgroup (compile time only)
; SGPRBlocks: 3
; VGPRBlocks: 8
; NumSGPRsForWavesPerEU: 29
; NumVGPRsForWavesPerEU: 34
; Occupancy: 7
; WaveLimiterHint : 0
; COMPUTE_PGM_RSRC2:SCRATCH_EN: 0
; COMPUTE_PGM_RSRC2:USER_SGPR: 6
; COMPUTE_PGM_RSRC2:TRAP_HANDLER: 0
; COMPUTE_PGM_RSRC2:TGID_X_EN: 1
; COMPUTE_PGM_RSRC2:TGID_Y_EN: 0
; COMPUTE_PGM_RSRC2:TGID_Z_EN: 0
; COMPUTE_PGM_RSRC2:TIDIG_COMP_CNT: 0
	.text
	.p2align	2                               ; -- Begin function _ZNK2at6native4AsinIN3c107complexIdEEEclES4_
	.type	_ZNK2at6native4AsinIN3c107complexIdEEEclES4_,@function
_ZNK2at6native4AsinIN3c107complexIdEEEclES4_: ; @_ZNK2at6native4AsinIN3c107complexIdEEEclES4_
; %bb.0:
	s_waitcnt vmcnt(0) expcnt(0) lgkmcnt(0)
	v_cmp_o_f64_e32 vcc, v[2:3], v[0:1]
	s_and_saveexec_b64 s[4:5], vcc
	s_xor_b64 s[10:11], exec, s[4:5]
	s_cbranch_execnz .LBB54_3
; %bb.1:
	s_andn2_saveexec_b64 s[4:5], s[10:11]
	s_cbranch_execnz .LBB54_88
.LBB54_2:
	s_or_b64 exec, exec, s[4:5]
	s_waitcnt lgkmcnt(0)
	s_setpc_b64 s[30:31]
.LBB54_3:
	v_max_f64 v[8:9], |v[2:3]|, |v[2:3]|
	v_max_f64 v[4:5], |v[0:1]|, |v[0:1]|
	s_mov_b32 s4, 0
	s_mov_b32 s5, 0x43300000
	v_max_f64 v[6:7], v[4:5], v[8:9]
	v_cmp_nlt_f64_e32 vcc, s[4:5], v[6:7]
	s_and_saveexec_b64 s[4:5], vcc
	s_xor_b64 s[8:9], exec, s[4:5]
	s_cbranch_execz .LBB54_65
; %bb.4:
	v_cmp_neq_f64_e32 vcc, 0, v[2:3]
	v_cmp_neq_f64_e64 s[4:5], 0, v[0:1]
	s_or_b64 s[4:5], vcc, s[4:5]
	s_and_saveexec_b64 s[12:13], s[4:5]
	s_cbranch_execz .LBB54_64
; %bb.5:
	s_mov_b64 s[4:5], src_private_base
	s_lshr_b32 s4, s32, 6
	v_mov_b32_e32 v4, s4
	v_mov_b32_e32 v6, 0xd800000
	v_mov_b32_e32 v5, s5
	flat_store_dword v[4:5], v6
	s_waitcnt vmcnt(0)
	flat_load_dword v4, v[4:5] glc
	s_waitcnt vmcnt(0)
	s_lshr_b32 s4, s32, 6
	s_add_i32 s4, s4, 4
	s_waitcnt lgkmcnt(0)
	v_add_f32_e32 v6, 1.0, v4
	v_mov_b32_e32 v4, s4
	v_mov_b32_e32 v5, s5
	flat_store_dword v[4:5], v6
	s_waitcnt vmcnt(0)
	flat_load_dword v4, v[4:5] glc
	s_waitcnt vmcnt(0)
	s_mov_b32 s4, 0x1409212f
	s_mov_b32 s5, 0x3e43988e
	v_cmp_nlt_f64_e64 s[6:7], |v[2:3]|, s[4:5]
	v_cmp_nlt_f64_e64 s[4:5], |v[0:1]|, s[4:5]
	s_or_b64 s[4:5], s[4:5], s[6:7]
	s_and_saveexec_b64 s[14:15], s[4:5]
	s_cbranch_execz .LBB54_63
; %bb.6:
	v_add_f64 v[6:7], |v[0:1]|, 1.0
	s_waitcnt lgkmcnt(0)
	v_add_f64 v[4:5], |v[0:1]|, -1.0
	s_mov_b32 s6, 0
	s_mov_b32 s7, 0x7ff00000
	v_max_f64 v[10:11], v[8:9], v[6:7]
	v_max_f64 v[8:9], v[8:9], |v[4:5]|
	v_frexp_exp_i32_f64_e32 v24, v[10:11]
	v_frexp_exp_i32_f64_e32 v25, v[8:9]
	v_sub_u32_e32 v12, 0, v24
	v_sub_u32_e32 v14, 0, v25
	v_ldexp_f64 v[8:9], v[6:7], v12
	v_ldexp_f64 v[10:11], |v[4:5]|, v14
	v_ldexp_f64 v[12:13], |v[2:3]|, v12
	;; [unrolled: 1-line block ×3, first 2 shown]
	v_mul_f64 v[8:9], v[8:9], v[8:9]
	v_mul_f64 v[10:11], v[10:11], v[10:11]
	v_fma_f64 v[8:9], v[12:13], v[12:13], v[8:9]
	v_fma_f64 v[10:11], v[14:15], v[14:15], v[10:11]
	v_rsq_f64_e32 v[12:13], v[8:9]
	v_rsq_f64_e32 v[14:15], v[10:11]
	v_cmp_eq_f64_e32 vcc, 0, v[8:9]
	v_cmp_eq_f64_e64 s[4:5], 0, v[10:11]
	v_mul_f64 v[16:17], v[8:9], v[12:13]
	v_mul_f64 v[12:13], v[12:13], 0.5
	v_mul_f64 v[18:19], v[10:11], v[14:15]
	v_mul_f64 v[14:15], v[14:15], 0.5
	v_fma_f64 v[20:21], -v[12:13], v[16:17], 0.5
	v_fma_f64 v[22:23], -v[14:15], v[18:19], 0.5
	v_fma_f64 v[16:17], v[16:17], v[20:21], v[16:17]
	v_fma_f64 v[12:13], v[12:13], v[20:21], v[12:13]
	;; [unrolled: 1-line block ×4, first 2 shown]
	v_fma_f64 v[20:21], -v[16:17], v[16:17], v[8:9]
	v_fma_f64 v[22:23], -v[18:19], v[18:19], v[10:11]
	v_fma_f64 v[12:13], v[20:21], v[12:13], v[16:17]
	v_mov_b32_e32 v16, 0x7ff00000
	v_fma_f64 v[14:15], v[22:23], v[14:15], v[18:19]
	v_cndmask_b32_e32 v9, v13, v9, vcc
	v_cndmask_b32_e32 v8, v12, v8, vcc
	v_cndmask_b32_e64 v11, v15, v11, s[4:5]
	v_cndmask_b32_e64 v10, v14, v10, s[4:5]
	v_ldexp_f64 v[8:9], v[8:9], v24
	v_cmp_neq_f64_e32 vcc, s[6:7], v[6:7]
	v_ldexp_f64 v[10:11], v[10:11], v25
	v_cmp_neq_f64_e64 s[4:5], |v[4:5]|, s[6:7]
	v_mov_b32_e32 v12, 0x3ff00000
	v_and_b32_e32 v13, 0x7fffffff, v3
	v_cndmask_b32_e32 v15, v16, v9, vcc
	v_cndmask_b32_e32 v14, 0, v8, vcc
	v_cndmask_b32_e64 v11, v16, v11, s[4:5]
	v_cndmask_b32_e64 v10, 0, v10, s[4:5]
	v_add_f64 v[8:9], v[14:15], v[10:11]
	s_mov_b32 s4, 0
	s_mov_b32 s5, 0x40240000
                                        ; implicit-def: $vgpr16_vgpr17
	v_mul_f64 v[8:9], v[8:9], 0.5
	v_cmp_ngt_f64_e32 vcc, 1.0, v[8:9]
	v_cndmask_b32_e32 v9, v12, v9, vcc
	v_cndmask_b32_e32 v8, 0, v8, vcc
	v_cmp_ngt_f64_e32 vcc, s[4:5], v[8:9]
	s_and_saveexec_b64 s[4:5], vcc
	s_xor_b64 s[4:5], exec, s[4:5]
	s_cbranch_execz .LBB54_8
; %bb.7:
	v_fma_f64 v[16:17], v[8:9], v[8:9], -1.0
	s_mov_b32 s6, 0
	s_brev_b32 s7, 8
	v_mov_b32_e32 v12, 0x100
	s_mov_b32 s16, 0xbf559e2b
	s_mov_b32 s17, 0x3fc3ab76
	v_cmp_gt_f64_e32 vcc, s[6:7], v[16:17]
	s_mov_b32 s7, 0x3fe55555
	s_mov_b32 s6, 0x55555555
	v_cndmask_b32_e32 v12, 0, v12, vcc
	v_ldexp_f64 v[16:17], v[16:17], v12
	v_mov_b32_e32 v12, 0xffffff80
	v_cndmask_b32_e32 v12, 0, v12, vcc
	v_rsq_f64_e32 v[18:19], v[16:17]
	v_mul_f64 v[20:21], v[16:17], v[18:19]
	v_mul_f64 v[18:19], v[18:19], 0.5
	v_fma_f64 v[22:23], -v[18:19], v[20:21], 0.5
	v_fma_f64 v[20:21], v[20:21], v[22:23], v[20:21]
	v_fma_f64 v[18:19], v[18:19], v[22:23], v[18:19]
	v_fma_f64 v[22:23], -v[20:21], v[20:21], v[16:17]
	v_fma_f64 v[20:21], v[22:23], v[18:19], v[20:21]
	v_fma_f64 v[22:23], -v[20:21], v[20:21], v[16:17]
	v_fma_f64 v[18:19], v[22:23], v[18:19], v[20:21]
	v_mov_b32_e32 v20, 0x260
	v_cmp_class_f64_e32 vcc, v[16:17], v20
	v_ldexp_f64 v[18:19], v[18:19], v12
	v_cndmask_b32_e32 v17, v19, v17, vcc
	v_cndmask_b32_e32 v16, v18, v16, vcc
	v_add_f64 v[16:17], v[8:9], v[16:17]
	v_frexp_mant_f64_e32 v[18:19], v[16:17]
	v_cmp_gt_f64_e32 vcc, s[6:7], v[18:19]
	s_mov_b32 s6, 0x55555780
	v_cndmask_b32_e64 v12, 0, 1, vcc
	v_ldexp_f64 v[18:19], v[18:19], v12
	v_frexp_exp_i32_f64_e32 v12, v[16:17]
	v_add_f64 v[20:21], v[18:19], 1.0
	v_add_f64 v[26:27], v[18:19], -1.0
	v_subbrev_co_u32_e32 v12, vcc, 0, v12, vcc
	v_rcp_f64_e32 v[22:23], v[20:21]
	v_add_f64 v[28:29], v[20:21], -1.0
	v_add_f64 v[18:19], v[18:19], -v[28:29]
	v_fma_f64 v[24:25], -v[20:21], v[22:23], 1.0
	v_fma_f64 v[22:23], v[24:25], v[22:23], v[22:23]
	v_fma_f64 v[24:25], -v[20:21], v[22:23], 1.0
	v_fma_f64 v[22:23], v[24:25], v[22:23], v[22:23]
	v_mul_f64 v[24:25], v[26:27], v[22:23]
	v_mul_f64 v[30:31], v[20:21], v[24:25]
	v_fma_f64 v[20:21], v[24:25], v[20:21], -v[30:31]
	v_fma_f64 v[18:19], v[24:25], v[18:19], v[20:21]
	v_add_f64 v[20:21], v[30:31], v[18:19]
	v_add_f64 v[28:29], v[26:27], -v[20:21]
	v_add_f64 v[30:31], v[20:21], -v[30:31]
	;; [unrolled: 1-line block ×5, first 2 shown]
	v_mov_b32_e32 v26, 0x6b47b09a
	v_mov_b32_e32 v27, 0x3fc38538
	v_add_f64 v[18:19], v[18:19], v[20:21]
	v_add_f64 v[18:19], v[28:29], v[18:19]
	v_mul_f64 v[18:19], v[22:23], v[18:19]
	v_add_f64 v[20:21], v[24:25], v[18:19]
	v_mul_f64 v[22:23], v[20:21], v[20:21]
	v_fma_f64 v[26:27], v[22:23], s[16:17], v[26:27]
	s_mov_b32 s16, 0xd7f4df2e
	s_mov_b32 s17, 0x3fc7474d
	v_mul_f64 v[28:29], v[20:21], v[22:23]
	v_fma_f64 v[26:27], v[22:23], v[26:27], s[16:17]
	s_mov_b32 s16, 0x16291751
	s_mov_b32 s17, 0x3fcc71c0
	v_fma_f64 v[26:27], v[22:23], v[26:27], s[16:17]
	s_mov_b32 s16, 0x9b27acf1
	s_mov_b32 s17, 0x3fd24924
	;; [unrolled: 3-line block ×3, first 2 shown]
	v_fma_f64 v[26:27], v[22:23], v[26:27], s[16:17]
	v_fma_f64 v[22:23], v[22:23], v[26:27], s[6:7]
	v_ldexp_f64 v[26:27], v[20:21], 1
	v_add_f64 v[20:21], v[20:21], -v[24:25]
	s_mov_b32 s6, 0xfefa39ef
	s_mov_b32 s7, 0x3fe62e42
	v_mul_f64 v[22:23], v[28:29], v[22:23]
	v_cvt_f64_i32_e32 v[28:29], v12
	v_add_f64 v[18:19], v[18:19], -v[20:21]
	v_mov_b32_e32 v12, 0xfff00000
	v_mul_f64 v[30:31], v[28:29], s[6:7]
	v_add_f64 v[24:25], v[26:27], v[22:23]
	v_ldexp_f64 v[18:19], v[18:19], 1
	v_add_f64 v[20:21], v[24:25], -v[26:27]
	v_fma_f64 v[26:27], v[28:29], s[6:7], -v[30:31]
	s_mov_b32 s6, 0x3b39803f
	s_mov_b32 s7, 0x3c7abc9e
	v_add_f64 v[20:21], v[22:23], -v[20:21]
	v_fma_f64 v[22:23], v[28:29], s[6:7], v[26:27]
	s_movk_i32 s6, 0x204
	v_cmp_class_f64_e64 vcc, v[16:17], s6
	v_add_f64 v[18:19], v[18:19], v[20:21]
	v_add_f64 v[20:21], v[30:31], v[22:23]
	;; [unrolled: 1-line block ×3, first 2 shown]
	v_add_f64 v[30:31], v[20:21], -v[30:31]
	v_add_f64 v[28:29], v[20:21], v[26:27]
	v_add_f64 v[24:25], v[26:27], -v[24:25]
	v_add_f64 v[22:23], v[22:23], -v[30:31]
	;; [unrolled: 1-line block ×6, first 2 shown]
	v_add_f64 v[26:27], v[22:23], v[18:19]
	v_add_f64 v[20:21], v[20:21], -v[34:35]
	v_add_f64 v[20:21], v[24:25], v[20:21]
	v_add_f64 v[24:25], v[26:27], -v[22:23]
	;; [unrolled: 2-line block ×3, first 2 shown]
	v_add_f64 v[18:19], v[18:19], -v[24:25]
	v_add_f64 v[30:31], v[28:29], v[20:21]
	v_add_f64 v[22:23], v[22:23], -v[26:27]
	v_add_f64 v[24:25], v[30:31], -v[28:29]
	v_add_f64 v[18:19], v[18:19], v[22:23]
	v_add_f64 v[20:21], v[20:21], -v[24:25]
	v_add_f64 v[18:19], v[18:19], v[20:21]
	v_add_f64 v[18:19], v[30:31], v[18:19]
	v_cndmask_b32_e32 v18, v18, v16, vcc
	v_cndmask_b32_e32 v19, v19, v17, vcc
	v_cmp_neq_f64_e32 vcc, 0, v[16:17]
	v_cndmask_b32_e32 v17, v12, v19, vcc
	v_cndmask_b32_e32 v16, 0, v18, vcc
.LBB54_8:
	s_or_saveexec_b64 s[6:7], s[4:5]
	v_mov_b32_e32 v12, v2
	s_xor_b64 exec, exec, s[6:7]
	s_cbranch_execz .LBB54_30
; %bb.9:
	s_mov_b32 s16, 0
	s_mov_b32 s17, 0x39000000
	v_cmp_neq_f64_e64 s[4:5], |v[0:1]|, 1.0
	v_cmp_nlt_f64_e64 s[16:17], |v[2:3]|, s[16:17]
                                        ; implicit-def: $vgpr16_vgpr17
	s_or_b64 s[4:5], s[4:5], s[16:17]
	s_and_saveexec_b64 s[16:17], s[4:5]
	s_xor_b64 s[16:17], exec, s[16:17]
	s_cbranch_execz .LBB54_27
; %bb.10:
	s_movk_i32 s4, 0xffcc
	v_ldexp_f64 v[16:17], |v[4:5]|, s4
	v_cmp_ge_f64_e64 s[4:5], |v[2:3]|, v[16:17]
                                        ; implicit-def: $vgpr16_vgpr17
	s_and_saveexec_b64 s[18:19], s[4:5]
	s_xor_b64 s[18:19], exec, s[18:19]
	s_cbranch_execz .LBB54_20
; %bb.11:
	v_cmp_neq_f64_e32 vcc, 0, v[6:7]
	v_mov_b32_e32 v17, v13
	v_mov_b32_e32 v16, v12
	s_and_saveexec_b64 s[4:5], vcc
	s_cbranch_execz .LBB54_13
; %bb.12:
	v_mul_f64 v[16:17], v[2:3], v[2:3]
	v_add_f64 v[18:19], v[6:7], v[14:15]
	v_div_scale_f64 v[20:21], s[20:21], v[18:19], v[18:19], v[16:17]
	v_div_scale_f64 v[26:27], vcc, v[16:17], v[18:19], v[16:17]
	v_rcp_f64_e32 v[22:23], v[20:21]
	v_fma_f64 v[24:25], -v[20:21], v[22:23], 1.0
	v_fma_f64 v[22:23], v[22:23], v[24:25], v[22:23]
	v_fma_f64 v[24:25], -v[20:21], v[22:23], 1.0
	v_fma_f64 v[22:23], v[22:23], v[24:25], v[22:23]
	v_mul_f64 v[24:25], v[26:27], v[22:23]
	v_fma_f64 v[20:21], -v[20:21], v[24:25], v[26:27]
	v_div_fmas_f64 v[20:21], v[20:21], v[22:23], v[24:25]
	v_div_fixup_f64 v[16:17], v[20:21], v[18:19], v[16:17]
.LBB54_13:
	s_or_b64 exec, exec, s[4:5]
	v_add_f64 v[20:21], -|v[0:1]|, 1.0
                                        ; implicit-def: $vgpr18_vgpr19
	v_cmp_ngt_f64_e32 vcc, 0, v[20:21]
	s_and_saveexec_b64 s[4:5], vcc
	s_xor_b64 s[4:5], exec, s[4:5]
	s_cbranch_execz .LBB54_17
; %bb.14:
	v_cmp_neq_f64_e32 vcc, 0, v[20:21]
	v_mov_b32_e32 v19, v13
	v_mov_b32_e32 v18, v12
	s_and_saveexec_b64 s[20:21], vcc
	s_cbranch_execz .LBB54_16
; %bb.15:
	v_mul_f64 v[18:19], v[2:3], v[2:3]
	v_add_f64 v[20:21], v[20:21], v[10:11]
	v_div_scale_f64 v[22:23], s[22:23], v[20:21], v[20:21], v[18:19]
	v_div_scale_f64 v[28:29], vcc, v[18:19], v[20:21], v[18:19]
	v_rcp_f64_e32 v[24:25], v[22:23]
	v_fma_f64 v[26:27], -v[22:23], v[24:25], 1.0
	v_fma_f64 v[24:25], v[24:25], v[26:27], v[24:25]
	v_fma_f64 v[26:27], -v[22:23], v[24:25], 1.0
	v_fma_f64 v[24:25], v[24:25], v[26:27], v[24:25]
	v_mul_f64 v[26:27], v[28:29], v[24:25]
	v_fma_f64 v[22:23], -v[22:23], v[26:27], v[28:29]
	v_div_fmas_f64 v[22:23], v[22:23], v[24:25], v[26:27]
	v_div_fixup_f64 v[18:19], v[22:23], v[20:21], v[18:19]
.LBB54_16:
	s_or_b64 exec, exec, s[20:21]
                                        ; implicit-def: $vgpr20_vgpr21
.LBB54_17:
	s_andn2_saveexec_b64 s[4:5], s[4:5]
; %bb.18:
	v_add_f64 v[18:19], v[10:11], -v[20:21]
; %bb.19:
	s_or_b64 exec, exec, s[4:5]
	v_mul_f64 v[18:19], v[18:19], 0.5
	v_add_f64 v[20:21], v[8:9], 1.0
	s_mov_b32 s4, 0
	s_brev_b32 s5, 8
	s_mov_b32 s20, 0xbf559e2b
	s_mov_b32 s21, 0x3fc3ab76
	v_fma_f64 v[16:17], v[16:17], 0.5, v[18:19]
	v_mul_f64 v[18:19], v[20:21], v[16:17]
	v_mov_b32_e32 v20, 0x100
	v_cmp_gt_f64_e32 vcc, s[4:5], v[18:19]
	s_mov_b32 s5, 0x3fe55555
	s_mov_b32 s4, 0x55555555
	v_cndmask_b32_e32 v20, 0, v20, vcc
	v_ldexp_f64 v[18:19], v[18:19], v20
	v_rsq_f64_e32 v[20:21], v[18:19]
	v_mul_f64 v[22:23], v[18:19], v[20:21]
	v_mul_f64 v[20:21], v[20:21], 0.5
	v_fma_f64 v[24:25], -v[20:21], v[22:23], 0.5
	v_fma_f64 v[22:23], v[22:23], v[24:25], v[22:23]
	v_fma_f64 v[20:21], v[20:21], v[24:25], v[20:21]
	v_fma_f64 v[24:25], -v[22:23], v[22:23], v[18:19]
	v_fma_f64 v[22:23], v[24:25], v[20:21], v[22:23]
	v_fma_f64 v[24:25], -v[22:23], v[22:23], v[18:19]
	v_fma_f64 v[20:21], v[24:25], v[20:21], v[22:23]
	v_mov_b32_e32 v22, 0xffffff80
	v_mov_b32_e32 v23, 0x260
	v_cndmask_b32_e32 v22, 0, v22, vcc
	v_cmp_class_f64_e32 vcc, v[18:19], v23
	v_ldexp_f64 v[20:21], v[20:21], v22
	v_cndmask_b32_e32 v19, v21, v19, vcc
	v_cndmask_b32_e32 v18, v20, v18, vcc
	v_add_f64 v[17:18], v[16:17], v[18:19]
	v_add_f64 v[19:20], v[17:18], 1.0
	v_frexp_mant_f64_e32 v[23:24], v[19:20]
	v_frexp_exp_i32_f64_e32 v16, v[19:20]
	v_add_f64 v[21:22], v[19:20], -1.0
	v_cmp_gt_f64_e32 vcc, s[4:5], v[23:24]
	s_mov_b32 s4, 0x55555780
	v_add_f64 v[25:26], v[21:22], -v[19:20]
	v_add_f64 v[21:22], v[17:18], -v[21:22]
	v_subbrev_co_u32_e32 v16, vcc, 0, v16, vcc
	v_sub_u32_e32 v27, 0, v16
	v_ldexp_f64 v[19:20], v[19:20], v27
	v_add_f64 v[23:24], v[25:26], 1.0
	v_cmp_nge_f64_e32 vcc, -1.0, v[17:18]
	v_add_f64 v[25:26], v[19:20], 1.0
	v_add_f64 v[21:22], v[21:22], v[23:24]
	v_add_f64 v[31:32], v[19:20], -1.0
	v_add_f64 v[23:24], v[25:26], -1.0
	v_ldexp_f64 v[21:22], v[21:22], v27
	v_add_f64 v[33:34], v[31:32], 1.0
	v_add_f64 v[23:24], v[19:20], -v[23:24]
	v_add_f64 v[19:20], v[19:20], -v[33:34]
	v_add_f64 v[23:24], v[21:22], v[23:24]
	v_add_f64 v[19:20], v[21:22], v[19:20]
	v_add_f64 v[27:28], v[25:26], v[23:24]
	v_add_f64 v[33:34], v[31:32], v[19:20]
	v_rcp_f64_e32 v[29:30], v[27:28]
	v_add_f64 v[25:26], v[27:28], -v[25:26]
	v_add_f64 v[31:32], v[33:34], -v[31:32]
	;; [unrolled: 1-line block ×4, first 2 shown]
	v_fma_f64 v[35:36], -v[27:28], v[29:30], 1.0
	v_fma_f64 v[29:30], v[35:36], v[29:30], v[29:30]
	v_fma_f64 v[21:22], -v[27:28], v[29:30], 1.0
	v_fma_f64 v[21:22], v[21:22], v[29:30], v[29:30]
	v_mul_f64 v[29:30], v[33:34], v[21:22]
	v_mul_f64 v[35:36], v[27:28], v[29:30]
	v_fma_f64 v[25:26], v[29:30], v[27:28], -v[35:36]
	v_fma_f64 v[25:26], v[29:30], v[23:24], v[25:26]
	v_add_f64 v[37:38], v[35:36], v[25:26]
	v_add_f64 v[48:49], v[33:34], -v[37:38]
	v_add_f64 v[31:32], v[37:38], -v[35:36]
	;; [unrolled: 1-line block ×5, first 2 shown]
	v_add_f64 v[19:20], v[19:20], v[33:34]
	v_add_f64 v[19:20], v[25:26], v[19:20]
	v_add_f64 v[25:26], v[48:49], v[19:20]
	v_mul_f64 v[31:32], v[21:22], v[25:26]
	v_add_f64 v[37:38], v[48:49], -v[25:26]
	v_mul_f64 v[33:34], v[27:28], v[31:32]
	v_add_f64 v[19:20], v[19:20], v[37:38]
	v_fma_f64 v[27:28], v[31:32], v[27:28], -v[33:34]
	v_fma_f64 v[23:24], v[31:32], v[23:24], v[27:28]
	v_add_f64 v[27:28], v[33:34], v[23:24]
	v_add_f64 v[35:36], v[25:26], -v[27:28]
	v_add_f64 v[33:34], v[27:28], -v[33:34]
	;; [unrolled: 1-line block ×5, first 2 shown]
	v_mov_b32_e32 v27, 0x6b47b09a
	v_mov_b32_e32 v28, 0x3fc38538
	v_add_f64 v[19:20], v[19:20], v[25:26]
	v_add_f64 v[25:26], v[29:30], v[31:32]
	;; [unrolled: 1-line block ×3, first 2 shown]
	v_add_f64 v[23:24], v[25:26], -v[29:30]
	v_add_f64 v[19:20], v[35:36], v[19:20]
	v_add_f64 v[23:24], v[31:32], -v[23:24]
	v_mul_f64 v[19:20], v[21:22], v[19:20]
	v_add_f64 v[19:20], v[23:24], v[19:20]
	v_add_f64 v[21:22], v[25:26], v[19:20]
	v_mul_f64 v[23:24], v[21:22], v[21:22]
	v_fma_f64 v[27:28], v[23:24], s[20:21], v[27:28]
	s_mov_b32 s20, 0xd7f4df2e
	s_mov_b32 s21, 0x3fc7474d
	v_mul_f64 v[29:30], v[21:22], v[23:24]
	v_fma_f64 v[27:28], v[23:24], v[27:28], s[20:21]
	s_mov_b32 s20, 0x16291751
	s_mov_b32 s21, 0x3fcc71c0
	v_fma_f64 v[27:28], v[23:24], v[27:28], s[20:21]
	s_mov_b32 s20, 0x9b27acf1
	s_mov_b32 s21, 0x3fd24924
	;; [unrolled: 3-line block ×3, first 2 shown]
	v_fma_f64 v[27:28], v[23:24], v[27:28], s[20:21]
	v_fma_f64 v[23:24], v[23:24], v[27:28], s[4:5]
	v_ldexp_f64 v[27:28], v[21:22], 1
	v_add_f64 v[21:22], v[21:22], -v[25:26]
	s_mov_b32 s4, 0xfefa39ef
	s_mov_b32 s5, 0x3fe62e42
	v_mul_f64 v[23:24], v[29:30], v[23:24]
	v_cvt_f64_i32_e32 v[29:30], v16
	v_add_f64 v[19:20], v[19:20], -v[21:22]
	v_mov_b32_e32 v16, 0x7ff00000
	v_mul_f64 v[31:32], v[29:30], s[4:5]
	v_add_f64 v[25:26], v[27:28], v[23:24]
	v_ldexp_f64 v[19:20], v[19:20], 1
	v_add_f64 v[21:22], v[25:26], -v[27:28]
	v_fma_f64 v[27:28], v[29:30], s[4:5], -v[31:32]
	s_mov_b32 s4, 0x3b39803f
	s_mov_b32 s5, 0x3c7abc9e
	v_add_f64 v[21:22], v[23:24], -v[21:22]
	v_fma_f64 v[23:24], v[29:30], s[4:5], v[27:28]
	s_mov_b32 s4, 0
	s_mov_b32 s5, 0x7ff00000
	v_cmp_neq_f64_e64 s[4:5], s[4:5], v[17:18]
	v_add_f64 v[19:20], v[19:20], v[21:22]
	v_add_f64 v[21:22], v[31:32], v[23:24]
	s_and_b64 vcc, vcc, s[4:5]
	v_add_f64 v[27:28], v[25:26], v[19:20]
	v_add_f64 v[31:32], v[21:22], -v[31:32]
	v_add_f64 v[29:30], v[21:22], v[27:28]
	v_add_f64 v[25:26], v[27:28], -v[25:26]
	v_add_f64 v[23:24], v[23:24], -v[31:32]
	;; [unrolled: 1-line block ×6, first 2 shown]
	v_add_f64 v[27:28], v[23:24], v[19:20]
	v_add_f64 v[21:22], v[21:22], -v[35:36]
	v_add_f64 v[21:22], v[25:26], v[21:22]
	v_add_f64 v[25:26], v[27:28], -v[23:24]
	;; [unrolled: 2-line block ×3, first 2 shown]
	v_add_f64 v[19:20], v[19:20], -v[25:26]
	v_add_f64 v[31:32], v[29:30], v[21:22]
	v_add_f64 v[23:24], v[23:24], -v[27:28]
	v_add_f64 v[25:26], v[31:32], -v[29:30]
	v_add_f64 v[19:20], v[19:20], v[23:24]
	v_add_f64 v[21:22], v[21:22], -v[25:26]
	v_add_f64 v[19:20], v[19:20], v[21:22]
	v_mov_b32_e32 v21, 0x7ff80000
	v_mov_b32_e32 v22, 0xfff00000
	v_add_f64 v[19:20], v[31:32], v[19:20]
	v_cndmask_b32_e64 v20, v16, v20, s[4:5]
	v_cndmask_b32_e32 v16, 0, v19, vcc
	v_cmp_ngt_f64_e32 vcc, -1.0, v[17:18]
	v_cndmask_b32_e32 v19, v21, v20, vcc
	v_cmp_neq_f64_e32 vcc, -1.0, v[17:18]
	v_cndmask_b32_e32 v17, v22, v19, vcc
.LBB54_20:
	s_andn2_saveexec_b64 s[18:19], s[18:19]
	s_cbranch_execz .LBB54_26
; %bb.21:
	v_cmp_nlt_f64_e64 s[4:5], |v[0:1]|, 1.0
                                        ; implicit-def: $vgpr16_vgpr17
	s_and_saveexec_b64 s[20:21], s[4:5]
	s_xor_b64 s[20:21], exec, s[20:21]
	s_cbranch_execz .LBB54_23
; %bb.22:
	v_mul_f64 v[16:17], v[4:5], v[6:7]
	s_mov_b32 s4, 0
	s_brev_b32 s5, 8
	v_mov_b32_e32 v18, 0x100
	s_mov_b32 s22, 0xbf559e2b
	s_mov_b32 s23, 0x3fc3ab76
	v_cmp_gt_f64_e32 vcc, s[4:5], v[16:17]
	s_mov_b32 s5, 0x3fe55555
	s_mov_b32 s4, 0x55555555
	v_cndmask_b32_e32 v18, 0, v18, vcc
	v_ldexp_f64 v[16:17], v[16:17], v18
	v_rsq_f64_e32 v[18:19], v[16:17]
	v_mul_f64 v[20:21], v[16:17], v[18:19]
	v_mul_f64 v[18:19], v[18:19], 0.5
	v_fma_f64 v[22:23], -v[18:19], v[20:21], 0.5
	v_fma_f64 v[20:21], v[20:21], v[22:23], v[20:21]
	v_fma_f64 v[18:19], v[18:19], v[22:23], v[18:19]
	v_fma_f64 v[22:23], -v[20:21], v[20:21], v[16:17]
	v_fma_f64 v[20:21], v[22:23], v[18:19], v[20:21]
	v_fma_f64 v[22:23], -v[20:21], v[20:21], v[16:17]
	v_fma_f64 v[18:19], v[22:23], v[18:19], v[20:21]
	v_mov_b32_e32 v20, 0xffffff80
	v_mov_b32_e32 v21, 0x260
	v_cndmask_b32_e32 v20, 0, v20, vcc
	v_cmp_class_f64_e32 vcc, v[16:17], v21
	v_ldexp_f64 v[18:19], v[18:19], v20
	v_cndmask_b32_e32 v17, v19, v17, vcc
	v_cndmask_b32_e32 v16, v18, v16, vcc
	v_add_f64 v[17:18], v[4:5], v[16:17]
	v_add_f64 v[19:20], v[17:18], 1.0
	v_frexp_mant_f64_e32 v[23:24], v[19:20]
	v_frexp_exp_i32_f64_e32 v16, v[19:20]
	v_add_f64 v[21:22], v[19:20], -1.0
	v_cmp_gt_f64_e32 vcc, s[4:5], v[23:24]
	s_mov_b32 s4, 0x55555780
	v_add_f64 v[25:26], v[21:22], -v[19:20]
	v_add_f64 v[21:22], v[17:18], -v[21:22]
	v_subbrev_co_u32_e32 v16, vcc, 0, v16, vcc
	v_sub_u32_e32 v27, 0, v16
	v_ldexp_f64 v[19:20], v[19:20], v27
	v_add_f64 v[23:24], v[25:26], 1.0
	v_cmp_nge_f64_e32 vcc, -1.0, v[17:18]
	v_add_f64 v[25:26], v[19:20], 1.0
	v_add_f64 v[21:22], v[21:22], v[23:24]
	v_add_f64 v[31:32], v[19:20], -1.0
	v_add_f64 v[23:24], v[25:26], -1.0
	v_ldexp_f64 v[21:22], v[21:22], v27
	v_add_f64 v[33:34], v[31:32], 1.0
	v_add_f64 v[23:24], v[19:20], -v[23:24]
	v_add_f64 v[19:20], v[19:20], -v[33:34]
	v_add_f64 v[23:24], v[21:22], v[23:24]
	v_add_f64 v[19:20], v[21:22], v[19:20]
	;; [unrolled: 1-line block ×4, first 2 shown]
	v_rcp_f64_e32 v[29:30], v[27:28]
	v_add_f64 v[25:26], v[27:28], -v[25:26]
	v_add_f64 v[31:32], v[33:34], -v[31:32]
	;; [unrolled: 1-line block ×4, first 2 shown]
	v_fma_f64 v[35:36], -v[27:28], v[29:30], 1.0
	v_fma_f64 v[29:30], v[35:36], v[29:30], v[29:30]
	v_fma_f64 v[21:22], -v[27:28], v[29:30], 1.0
	v_fma_f64 v[21:22], v[21:22], v[29:30], v[29:30]
	v_mul_f64 v[29:30], v[33:34], v[21:22]
	v_mul_f64 v[35:36], v[27:28], v[29:30]
	v_fma_f64 v[25:26], v[29:30], v[27:28], -v[35:36]
	v_fma_f64 v[25:26], v[29:30], v[23:24], v[25:26]
	v_add_f64 v[37:38], v[35:36], v[25:26]
	v_add_f64 v[48:49], v[33:34], -v[37:38]
	v_add_f64 v[31:32], v[37:38], -v[35:36]
	v_add_f64 v[33:34], v[33:34], -v[48:49]
	v_add_f64 v[25:26], v[31:32], -v[25:26]
	v_add_f64 v[33:34], v[33:34], -v[37:38]
	v_add_f64 v[19:20], v[19:20], v[33:34]
	v_add_f64 v[19:20], v[25:26], v[19:20]
	;; [unrolled: 1-line block ×3, first 2 shown]
	v_mul_f64 v[31:32], v[21:22], v[25:26]
	v_add_f64 v[37:38], v[48:49], -v[25:26]
	v_mul_f64 v[33:34], v[27:28], v[31:32]
	v_add_f64 v[19:20], v[19:20], v[37:38]
	v_fma_f64 v[27:28], v[31:32], v[27:28], -v[33:34]
	v_fma_f64 v[23:24], v[31:32], v[23:24], v[27:28]
	v_add_f64 v[27:28], v[33:34], v[23:24]
	v_add_f64 v[35:36], v[25:26], -v[27:28]
	v_add_f64 v[33:34], v[27:28], -v[33:34]
	;; [unrolled: 1-line block ×5, first 2 shown]
	v_mov_b32_e32 v27, 0x6b47b09a
	v_mov_b32_e32 v28, 0x3fc38538
	v_add_f64 v[19:20], v[19:20], v[25:26]
	v_add_f64 v[25:26], v[29:30], v[31:32]
	;; [unrolled: 1-line block ×3, first 2 shown]
	v_add_f64 v[23:24], v[25:26], -v[29:30]
	v_add_f64 v[19:20], v[35:36], v[19:20]
	v_add_f64 v[23:24], v[31:32], -v[23:24]
	v_mul_f64 v[19:20], v[21:22], v[19:20]
	v_add_f64 v[19:20], v[23:24], v[19:20]
	v_add_f64 v[21:22], v[25:26], v[19:20]
	v_mul_f64 v[23:24], v[21:22], v[21:22]
	v_fma_f64 v[27:28], v[23:24], s[22:23], v[27:28]
	s_mov_b32 s22, 0xd7f4df2e
	s_mov_b32 s23, 0x3fc7474d
	v_mul_f64 v[29:30], v[21:22], v[23:24]
	v_fma_f64 v[27:28], v[23:24], v[27:28], s[22:23]
	s_mov_b32 s22, 0x16291751
	s_mov_b32 s23, 0x3fcc71c0
	v_fma_f64 v[27:28], v[23:24], v[27:28], s[22:23]
	s_mov_b32 s22, 0x9b27acf1
	s_mov_b32 s23, 0x3fd24924
	;; [unrolled: 3-line block ×3, first 2 shown]
	v_fma_f64 v[27:28], v[23:24], v[27:28], s[22:23]
	v_fma_f64 v[23:24], v[23:24], v[27:28], s[4:5]
	v_ldexp_f64 v[27:28], v[21:22], 1
	v_add_f64 v[21:22], v[21:22], -v[25:26]
	s_mov_b32 s4, 0xfefa39ef
	s_mov_b32 s5, 0x3fe62e42
	v_mul_f64 v[23:24], v[29:30], v[23:24]
	v_cvt_f64_i32_e32 v[29:30], v16
	v_add_f64 v[19:20], v[19:20], -v[21:22]
	v_mov_b32_e32 v16, 0x7ff00000
	v_mul_f64 v[31:32], v[29:30], s[4:5]
	v_add_f64 v[25:26], v[27:28], v[23:24]
	v_ldexp_f64 v[19:20], v[19:20], 1
	v_add_f64 v[21:22], v[25:26], -v[27:28]
	v_fma_f64 v[27:28], v[29:30], s[4:5], -v[31:32]
	s_mov_b32 s4, 0x3b39803f
	s_mov_b32 s5, 0x3c7abc9e
	v_add_f64 v[21:22], v[23:24], -v[21:22]
	v_fma_f64 v[23:24], v[29:30], s[4:5], v[27:28]
	s_mov_b32 s4, 0
	s_mov_b32 s5, 0x7ff00000
	v_cmp_neq_f64_e64 s[4:5], s[4:5], v[17:18]
	v_add_f64 v[19:20], v[19:20], v[21:22]
	v_add_f64 v[21:22], v[31:32], v[23:24]
	s_and_b64 vcc, vcc, s[4:5]
	v_add_f64 v[27:28], v[25:26], v[19:20]
	v_add_f64 v[31:32], v[21:22], -v[31:32]
	v_add_f64 v[29:30], v[21:22], v[27:28]
	v_add_f64 v[25:26], v[27:28], -v[25:26]
	v_add_f64 v[23:24], v[23:24], -v[31:32]
	;; [unrolled: 1-line block ×6, first 2 shown]
	v_add_f64 v[27:28], v[23:24], v[19:20]
	v_add_f64 v[21:22], v[21:22], -v[35:36]
	v_add_f64 v[21:22], v[25:26], v[21:22]
	v_add_f64 v[25:26], v[27:28], -v[23:24]
	;; [unrolled: 2-line block ×3, first 2 shown]
	v_add_f64 v[19:20], v[19:20], -v[25:26]
	v_add_f64 v[31:32], v[29:30], v[21:22]
	v_add_f64 v[23:24], v[23:24], -v[27:28]
	v_add_f64 v[25:26], v[31:32], -v[29:30]
	v_add_f64 v[19:20], v[19:20], v[23:24]
	v_add_f64 v[21:22], v[21:22], -v[25:26]
	v_add_f64 v[19:20], v[19:20], v[21:22]
	v_mov_b32_e32 v21, 0x7ff80000
	v_mov_b32_e32 v22, 0xfff00000
	v_add_f64 v[19:20], v[31:32], v[19:20]
	v_cndmask_b32_e64 v20, v16, v20, s[4:5]
	v_cndmask_b32_e32 v16, 0, v19, vcc
	v_cmp_ngt_f64_e32 vcc, -1.0, v[17:18]
	v_cndmask_b32_e32 v19, v21, v20, vcc
	v_cmp_neq_f64_e32 vcc, -1.0, v[17:18]
	v_cndmask_b32_e32 v17, v22, v19, vcc
.LBB54_23:
	s_andn2_saveexec_b64 s[4:5], s[20:21]
	s_cbranch_execz .LBB54_25
; %bb.24:
	v_add_f64 v[16:17], -|v[0:1]|, 1.0
	s_mov_b32 s20, 0
	s_brev_b32 s21, 8
	v_mov_b32_e32 v18, 0x100
	v_mul_f64 v[16:17], v[16:17], v[6:7]
	v_cmp_gt_f64_e32 vcc, s[20:21], v[16:17]
	v_cndmask_b32_e32 v18, 0, v18, vcc
	v_ldexp_f64 v[16:17], v[16:17], v18
	v_rsq_f64_e32 v[18:19], v[16:17]
	v_mul_f64 v[20:21], v[16:17], v[18:19]
	v_mul_f64 v[18:19], v[18:19], 0.5
	v_fma_f64 v[22:23], -v[18:19], v[20:21], 0.5
	v_fma_f64 v[20:21], v[20:21], v[22:23], v[20:21]
	v_fma_f64 v[18:19], v[18:19], v[22:23], v[18:19]
	v_fma_f64 v[22:23], -v[20:21], v[20:21], v[16:17]
	v_fma_f64 v[20:21], v[22:23], v[18:19], v[20:21]
	v_fma_f64 v[22:23], -v[20:21], v[20:21], v[16:17]
	v_fma_f64 v[18:19], v[22:23], v[18:19], v[20:21]
	v_mov_b32_e32 v20, 0xffffff80
	v_mov_b32_e32 v21, 0x260
	v_cndmask_b32_e32 v20, 0, v20, vcc
	v_cmp_class_f64_e32 vcc, v[16:17], v21
	v_and_b32_e32 v21, 0x7fffffff, v3
	v_ldexp_f64 v[18:19], v[18:19], v20
	v_mov_b32_e32 v20, v2
	v_cndmask_b32_e32 v17, v19, v17, vcc
	v_cndmask_b32_e32 v16, v18, v16, vcc
	v_div_scale_f64 v[18:19], s[20:21], v[16:17], v[16:17], v[20:21]
	v_div_scale_f64 v[20:21], vcc, v[20:21], v[16:17], v[20:21]
	v_rcp_f64_e32 v[22:23], v[18:19]
	v_fma_f64 v[24:25], -v[18:19], v[22:23], 1.0
	v_fma_f64 v[22:23], v[22:23], v[24:25], v[22:23]
	v_fma_f64 v[24:25], -v[18:19], v[22:23], 1.0
	v_fma_f64 v[22:23], v[22:23], v[24:25], v[22:23]
	v_mul_f64 v[24:25], v[20:21], v[22:23]
	v_fma_f64 v[18:19], -v[18:19], v[24:25], v[20:21]
	v_div_fmas_f64 v[18:19], v[18:19], v[22:23], v[24:25]
	v_div_fixup_f64 v[16:17], v[18:19], v[16:17], |v[2:3]|
.LBB54_25:
	s_or_b64 exec, exec, s[4:5]
.LBB54_26:
	s_or_b64 exec, exec, s[18:19]
.LBB54_27:
	s_andn2_saveexec_b64 s[4:5], s[16:17]
	s_cbranch_execz .LBB54_29
; %bb.28:
	s_mov_b32 s16, 0
	s_brev_b32 s17, 8
	v_cmp_lt_f64_e64 vcc, |v[2:3]|, s[16:17]
	v_mov_b32_e32 v16, 0x100
	v_cndmask_b32_e32 v16, 0, v16, vcc
	v_ldexp_f64 v[16:17], |v[2:3]|, v16
	v_rsq_f64_e32 v[18:19], v[16:17]
	v_mul_f64 v[20:21], v[16:17], v[18:19]
	v_mul_f64 v[18:19], v[18:19], 0.5
	v_fma_f64 v[22:23], -v[18:19], v[20:21], 0.5
	v_fma_f64 v[20:21], v[20:21], v[22:23], v[20:21]
	v_fma_f64 v[18:19], v[18:19], v[22:23], v[18:19]
	v_fma_f64 v[22:23], -v[20:21], v[20:21], v[16:17]
	v_fma_f64 v[20:21], v[22:23], v[18:19], v[20:21]
	v_fma_f64 v[22:23], -v[20:21], v[20:21], v[16:17]
	v_fma_f64 v[18:19], v[22:23], v[18:19], v[20:21]
	v_mov_b32_e32 v20, 0xffffff80
	v_mov_b32_e32 v21, 0x260
	v_cndmask_b32_e32 v20, 0, v20, vcc
	v_cmp_class_f64_e32 vcc, v[16:17], v21
	v_ldexp_f64 v[18:19], v[18:19], v20
	v_cndmask_b32_e32 v17, v19, v17, vcc
	v_cndmask_b32_e32 v16, v18, v16, vcc
.LBB54_29:
	s_or_b64 exec, exec, s[4:5]
.LBB54_30:
	s_or_b64 exec, exec, s[6:7]
	s_mov_b32 s4, 0
	s_mov_b32 s5, 0x20200000
	v_cmp_nlt_f64_e64 s[6:7], |v[0:1]|, s[4:5]
                                        ; implicit-def: $sgpr4_sgpr5
                                        ; implicit-def: $vgpr18_vgpr19
                                        ; implicit-def: $vgpr22_vgpr23
                                        ; implicit-def: $vgpr20_vgpr21
	s_and_saveexec_b64 s[16:17], s[6:7]
	s_xor_b64 s[6:7], exec, s[16:17]
	s_cbranch_execz .LBB54_54
; %bb.31:
	v_and_b32_e32 v21, 0x7fffffff, v1
	v_mov_b32_e32 v20, v0
	v_div_scale_f64 v[18:19], s[4:5], v[8:9], v[8:9], v[20:21]
	v_div_scale_f64 v[26:27], vcc, v[20:21], v[8:9], v[20:21]
	s_mov_b32 s4, 0x703afb7f
	s_mov_b32 s5, 0x3fe488ce
	v_rcp_f64_e32 v[22:23], v[18:19]
	v_fma_f64 v[24:25], -v[18:19], v[22:23], 1.0
	v_fma_f64 v[22:23], v[22:23], v[24:25], v[22:23]
	v_fma_f64 v[24:25], -v[18:19], v[22:23], 1.0
	v_fma_f64 v[22:23], v[22:23], v[24:25], v[22:23]
	v_mul_f64 v[24:25], v[26:27], v[22:23]
	v_fma_f64 v[18:19], -v[18:19], v[24:25], v[26:27]
	v_div_fmas_f64 v[18:19], v[18:19], v[22:23], v[24:25]
                                        ; implicit-def: $vgpr22_vgpr23
	v_div_fixup_f64 v[18:19], v[18:19], v[8:9], |v[0:1]|
	v_cmp_lt_f64_e32 vcc, s[4:5], v[18:19]
	s_mov_b64 s[4:5], 0
	s_and_saveexec_b64 s[16:17], vcc
	s_cbranch_execz .LBB54_53
; %bb.32:
	s_mov_b32 s18, 0
	s_mov_b32 s19, 0x3c400000
	v_cmp_neq_f64_e64 s[4:5], |v[0:1]|, 1.0
	v_cmp_nlt_f64_e64 s[18:19], |v[2:3]|, s[18:19]
                                        ; implicit-def: $vgpr22_vgpr23
	s_or_b64 s[4:5], s[4:5], s[18:19]
	s_and_saveexec_b64 s[18:19], s[4:5]
	s_xor_b64 s[4:5], exec, s[18:19]
	s_cbranch_execz .LBB54_50
; %bb.33:
	s_movk_i32 s18, 0xffcc
	v_ldexp_f64 v[22:23], |v[4:5]|, s18
	v_cmp_ge_f64_e64 s[18:19], |v[2:3]|, v[22:23]
                                        ; implicit-def: $vgpr22_vgpr23
	s_and_saveexec_b64 s[20:21], s[18:19]
	s_xor_b64 s[18:19], exec, s[20:21]
	s_cbranch_execz .LBB54_43
; %bb.34:
	v_cmp_neq_f64_e32 vcc, 0, v[6:7]
	v_mov_b32_e32 v23, v13
	v_mov_b32_e32 v22, v12
	s_and_saveexec_b64 s[20:21], vcc
	s_cbranch_execz .LBB54_36
; %bb.35:
	v_mul_f64 v[22:23], v[2:3], v[2:3]
	v_add_f64 v[6:7], v[6:7], v[14:15]
	v_div_scale_f64 v[14:15], s[22:23], v[6:7], v[6:7], v[22:23]
	v_div_scale_f64 v[28:29], vcc, v[22:23], v[6:7], v[22:23]
	v_rcp_f64_e32 v[24:25], v[14:15]
	v_fma_f64 v[26:27], -v[14:15], v[24:25], 1.0
	v_fma_f64 v[24:25], v[24:25], v[26:27], v[24:25]
	v_fma_f64 v[26:27], -v[14:15], v[24:25], 1.0
	v_fma_f64 v[24:25], v[24:25], v[26:27], v[24:25]
	v_mul_f64 v[26:27], v[28:29], v[24:25]
	v_fma_f64 v[14:15], -v[14:15], v[26:27], v[28:29]
	v_div_fmas_f64 v[14:15], v[14:15], v[24:25], v[26:27]
	v_div_fixup_f64 v[22:23], v[14:15], v[6:7], v[22:23]
.LBB54_36:
	s_or_b64 exec, exec, s[20:21]
	v_cmp_ngt_f64_e32 vcc, 0, v[4:5]
	s_and_saveexec_b64 s[20:21], vcc
	s_xor_b64 s[20:21], exec, s[20:21]
	s_cbranch_execz .LBB54_40
; %bb.37:
	v_cmp_neq_f64_e32 vcc, 0, v[4:5]
	s_and_saveexec_b64 s[22:23], vcc
	s_cbranch_execz .LBB54_39
; %bb.38:
	v_mul_f64 v[6:7], v[2:3], v[2:3]
	v_add_f64 v[4:5], v[4:5], v[10:11]
	v_div_scale_f64 v[10:11], s[24:25], v[4:5], v[4:5], v[6:7]
	v_div_scale_f64 v[24:25], vcc, v[6:7], v[4:5], v[6:7]
	v_rcp_f64_e32 v[12:13], v[10:11]
	v_fma_f64 v[14:15], -v[10:11], v[12:13], 1.0
	v_fma_f64 v[12:13], v[12:13], v[14:15], v[12:13]
	v_fma_f64 v[14:15], -v[10:11], v[12:13], 1.0
	v_fma_f64 v[12:13], v[12:13], v[14:15], v[12:13]
	v_mul_f64 v[14:15], v[24:25], v[12:13]
	v_fma_f64 v[10:11], -v[10:11], v[14:15], v[24:25]
	v_div_fmas_f64 v[10:11], v[10:11], v[12:13], v[14:15]
	v_div_fixup_f64 v[12:13], v[10:11], v[4:5], v[6:7]
.LBB54_39:
	s_or_b64 exec, exec, s[22:23]
                                        ; implicit-def: $vgpr10_vgpr11
                                        ; implicit-def: $vgpr4_vgpr5
.LBB54_40:
	s_andn2_saveexec_b64 s[20:21], s[20:21]
; %bb.41:
	v_add_f64 v[12:13], v[10:11], -v[4:5]
; %bb.42:
	s_or_b64 exec, exec, s[20:21]
	v_mul_f64 v[4:5], v[12:13], 0.5
	v_add_f64 v[6:7], |v[0:1]|, v[8:9]
	s_mov_b32 s20, 0
	s_brev_b32 s21, 8
	v_fma_f64 v[4:5], v[22:23], 0.5, v[4:5]
	v_mul_f64 v[4:5], v[6:7], v[4:5]
	v_mov_b32_e32 v6, 0x100
	v_cmp_gt_f64_e32 vcc, s[20:21], v[4:5]
	v_cndmask_b32_e32 v6, 0, v6, vcc
	v_ldexp_f64 v[4:5], v[4:5], v6
	v_rsq_f64_e32 v[6:7], v[4:5]
	v_mul_f64 v[8:9], v[4:5], v[6:7]
	v_mul_f64 v[6:7], v[6:7], 0.5
	v_fma_f64 v[10:11], -v[6:7], v[8:9], 0.5
	v_fma_f64 v[8:9], v[8:9], v[10:11], v[8:9]
	v_fma_f64 v[6:7], v[6:7], v[10:11], v[6:7]
	v_fma_f64 v[10:11], -v[8:9], v[8:9], v[4:5]
	v_fma_f64 v[8:9], v[10:11], v[6:7], v[8:9]
	v_fma_f64 v[10:11], -v[8:9], v[8:9], v[4:5]
	v_fma_f64 v[6:7], v[10:11], v[6:7], v[8:9]
	v_mov_b32_e32 v8, 0xffffff80
	v_mov_b32_e32 v9, 0x260
	v_cndmask_b32_e32 v8, 0, v8, vcc
	v_cmp_class_f64_e32 vcc, v[4:5], v9
	v_ldexp_f64 v[6:7], v[6:7], v8
	v_cndmask_b32_e32 v23, v7, v5, vcc
	v_cndmask_b32_e32 v22, v6, v4, vcc
                                        ; implicit-def: $vgpr6_vgpr7
                                        ; implicit-def: $vgpr4_vgpr5
.LBB54_43:
	s_andn2_saveexec_b64 s[18:19], s[18:19]
	s_cbranch_execz .LBB54_49
; %bb.44:
	v_cmp_ngt_f64_e64 s[20:21], |v[0:1]|, 1.0
                                        ; implicit-def: $vgpr22_vgpr23
	s_and_saveexec_b64 s[22:23], s[20:21]
	s_xor_b64 s[20:21], exec, s[22:23]
	s_cbranch_execz .LBB54_46
; %bb.45:
	v_add_f64 v[4:5], -|v[0:1]|, 1.0
	s_mov_b32 s22, 0
	s_brev_b32 s23, 8
	v_mul_f64 v[4:5], v[4:5], v[6:7]
	v_mov_b32_e32 v6, 0x100
	v_cmp_gt_f64_e32 vcc, s[22:23], v[4:5]
	v_cndmask_b32_e32 v6, 0, v6, vcc
	v_ldexp_f64 v[4:5], v[4:5], v6
	v_rsq_f64_e32 v[6:7], v[4:5]
	v_mul_f64 v[8:9], v[4:5], v[6:7]
	v_mul_f64 v[6:7], v[6:7], 0.5
	v_fma_f64 v[10:11], -v[6:7], v[8:9], 0.5
	v_fma_f64 v[8:9], v[8:9], v[10:11], v[8:9]
	v_fma_f64 v[6:7], v[6:7], v[10:11], v[6:7]
	v_fma_f64 v[10:11], -v[8:9], v[8:9], v[4:5]
	v_fma_f64 v[8:9], v[10:11], v[6:7], v[8:9]
	v_fma_f64 v[10:11], -v[8:9], v[8:9], v[4:5]
	v_fma_f64 v[6:7], v[10:11], v[6:7], v[8:9]
	v_mov_b32_e32 v8, 0xffffff80
	v_mov_b32_e32 v9, 0x260
	v_cndmask_b32_e32 v8, 0, v8, vcc
	v_cmp_class_f64_e32 vcc, v[4:5], v9
	v_ldexp_f64 v[6:7], v[6:7], v8
	v_cndmask_b32_e32 v23, v7, v5, vcc
	v_cndmask_b32_e32 v22, v6, v4, vcc
                                        ; implicit-def: $vgpr6_vgpr7
                                        ; implicit-def: $vgpr4_vgpr5
.LBB54_46:
	s_andn2_saveexec_b64 s[20:21], s[20:21]
	s_cbranch_execz .LBB54_48
; %bb.47:
	v_mul_f64 v[4:5], v[6:7], v[4:5]
	s_mov_b32 s22, 0
	s_brev_b32 s23, 8
	v_mov_b32_e32 v6, 0x100
	s_movk_i32 s24, 0x6a
	v_ldexp_f64 v[20:21], |v[0:1]|, s24
	v_cmp_gt_f64_e32 vcc, s[22:23], v[4:5]
	v_cndmask_b32_e32 v6, 0, v6, vcc
	v_ldexp_f64 v[4:5], v[4:5], v6
	v_rsq_f64_e32 v[6:7], v[4:5]
	v_mul_f64 v[8:9], v[4:5], v[6:7]
	v_mul_f64 v[6:7], v[6:7], 0.5
	v_fma_f64 v[10:11], -v[6:7], v[8:9], 0.5
	v_fma_f64 v[8:9], v[8:9], v[10:11], v[8:9]
	v_fma_f64 v[6:7], v[6:7], v[10:11], v[6:7]
	v_fma_f64 v[10:11], -v[8:9], v[8:9], v[4:5]
	v_fma_f64 v[8:9], v[10:11], v[6:7], v[8:9]
	v_fma_f64 v[10:11], -v[8:9], v[8:9], v[4:5]
	v_fma_f64 v[6:7], v[10:11], v[6:7], v[8:9]
	v_ldexp_f64 v[8:9], |v[2:3]|, s24
	v_mov_b32_e32 v10, 0xffffff80
	v_mov_b32_e32 v11, 0x260
	v_cndmask_b32_e32 v10, 0, v10, vcc
	v_cmp_class_f64_e32 vcc, v[4:5], v11
	v_ldexp_f64 v[6:7], v[6:7], v10
	v_mul_f64 v[8:9], |v[0:1]|, v[8:9]
	v_cndmask_b32_e32 v5, v7, v5, vcc
	v_cndmask_b32_e32 v4, v6, v4, vcc
	v_div_scale_f64 v[6:7], s[22:23], v[4:5], v[4:5], v[8:9]
	v_rcp_f64_e32 v[10:11], v[6:7]
	v_fma_f64 v[12:13], -v[6:7], v[10:11], 1.0
	v_fma_f64 v[10:11], v[10:11], v[12:13], v[10:11]
	v_div_scale_f64 v[12:13], vcc, v[8:9], v[4:5], v[8:9]
	v_fma_f64 v[14:15], -v[6:7], v[10:11], 1.0
	v_fma_f64 v[10:11], v[10:11], v[14:15], v[10:11]
	v_mul_f64 v[14:15], v[12:13], v[10:11]
	v_fma_f64 v[6:7], -v[6:7], v[14:15], v[12:13]
	v_div_fmas_f64 v[6:7], v[6:7], v[10:11], v[14:15]
	v_div_fixup_f64 v[22:23], v[6:7], v[4:5], v[8:9]
.LBB54_48:
	s_or_b64 exec, exec, s[20:21]
.LBB54_49:
	s_or_b64 exec, exec, s[18:19]
                                        ; implicit-def: $vgpr8_vgpr9
.LBB54_50:
	s_andn2_saveexec_b64 s[18:19], s[4:5]
	s_cbranch_execz .LBB54_52
; %bb.51:
	v_add_f64 v[4:5], v[8:9], 1.0
	s_mov_b32 s4, 0
	s_brev_b32 s5, 8
	v_cmp_lt_f64_e64 vcc, |v[2:3]|, s[4:5]
	v_mov_b32_e32 v8, 0x100
	v_mul_f64 v[4:5], v[4:5], 0.5
	v_cndmask_b32_e32 v6, 0, v8, vcc
	v_ldexp_f64 v[6:7], |v[2:3]|, v6
	v_cmp_gt_f64_e64 s[4:5], s[4:5], v[4:5]
	v_cndmask_b32_e64 v2, 0, v8, s[4:5]
	v_ldexp_f64 v[4:5], v[4:5], v2
	v_rsq_f64_e32 v[8:9], v[6:7]
	v_mov_b32_e32 v2, 0xffffff80
	v_rsq_f64_e32 v[10:11], v[4:5]
	v_mul_f64 v[12:13], v[6:7], v[8:9]
	v_mul_f64 v[8:9], v[8:9], 0.5
	v_mul_f64 v[14:15], v[4:5], v[10:11]
	v_mul_f64 v[10:11], v[10:11], 0.5
	v_fma_f64 v[20:21], -v[8:9], v[12:13], 0.5
	v_fma_f64 v[22:23], -v[10:11], v[14:15], 0.5
	v_fma_f64 v[12:13], v[12:13], v[20:21], v[12:13]
	v_fma_f64 v[8:9], v[8:9], v[20:21], v[8:9]
	;; [unrolled: 1-line block ×3, first 2 shown]
	v_fma_f64 v[20:21], -v[12:13], v[12:13], v[6:7]
	v_fma_f64 v[10:11], v[10:11], v[22:23], v[10:11]
	v_fma_f64 v[22:23], -v[14:15], v[14:15], v[4:5]
	v_fma_f64 v[12:13], v[20:21], v[8:9], v[12:13]
	v_fma_f64 v[14:15], v[22:23], v[10:11], v[14:15]
	v_fma_f64 v[20:21], -v[12:13], v[12:13], v[6:7]
	v_fma_f64 v[22:23], -v[14:15], v[14:15], v[4:5]
	v_fma_f64 v[8:9], v[20:21], v[8:9], v[12:13]
	v_mov_b32_e32 v12, 0x260
	v_cndmask_b32_e32 v13, 0, v2, vcc
	v_cndmask_b32_e64 v2, 0, v2, s[4:5]
	v_cmp_class_f64_e32 vcc, v[6:7], v12
	v_cmp_class_f64_e64 s[4:5], v[4:5], v12
	v_mov_b32_e32 v20, 0
	v_fma_f64 v[10:11], v[22:23], v[10:11], v[14:15]
	v_ldexp_f64 v[8:9], v[8:9], v13
	v_mov_b32_e32 v21, 0x3ff00000
	v_ldexp_f64 v[10:11], v[10:11], v2
	v_cndmask_b32_e32 v7, v9, v7, vcc
	v_cndmask_b32_e32 v6, v8, v6, vcc
	v_cndmask_b32_e64 v5, v11, v5, s[4:5]
	v_cndmask_b32_e64 v4, v10, v4, s[4:5]
	v_mul_f64 v[22:23], v[6:7], v[4:5]
.LBB54_52:
	s_or_b64 exec, exec, s[18:19]
	s_mov_b64 s[4:5], exec
.LBB54_53:
	s_or_b64 exec, exec, s[16:17]
                                        ; implicit-def: $vgpr8_vgpr9
.LBB54_54:
	s_andn2_saveexec_b64 s[6:7], s[6:7]
	s_cbranch_execz .LBB54_56
; %bb.55:
	v_ldexp_f64 v[22:23], v[8:9], 53
	v_ldexp_f64 v[20:21], |v[0:1]|, 53
	s_or_b64 s[4:5], s[4:5], exec
                                        ; implicit-def: $vgpr18_vgpr19
.LBB54_56:
	s_or_b64 exec, exec, s[6:7]
	s_xor_b64 s[4:5], s[4:5], -1
                                        ; implicit-def: $vgpr6_vgpr7
	s_and_saveexec_b64 s[6:7], s[4:5]
	s_xor_b64 s[4:5], exec, s[6:7]
	s_cbranch_execz .LBB54_60
; %bb.57:
	v_fma_f64 v[4:5], |v[18:19]|, -0.5, 0.5
	v_mul_f64 v[6:7], v[18:19], v[18:19]
	v_cmp_ge_f64_e64 vcc, |v[18:19]|, 0.5
	s_mov_b32 s6, 0x9fea6a70
	v_mov_b32_e32 v8, 0x78a05eaf
	v_mov_b32_e32 v9, 0xbf90a5a3
	s_mov_b32 s7, 0x3fa05985
	v_cndmask_b32_e32 v7, v7, v5, vcc
	v_cndmask_b32_e32 v6, v6, v4, vcc
	v_fma_f64 v[8:9], v[6:7], s[6:7], v[8:9]
	s_mov_b32 s6, 0x37024d6a
	s_mov_b32 s7, 0x3f940521
	v_fma_f64 v[8:9], v[6:7], v[8:9], s[6:7]
	s_mov_b32 s6, 0x98a70509
	s_mov_b32 s7, 0x3f7ab3a0
	;; [unrolled: 3-line block ×10, first 2 shown]
	v_fma_f64 v[8:9], v[6:7], v[8:9], s[6:7]
	v_mul_f64 v[8:9], v[6:7], v[8:9]
	v_fma_f64 v[6:7], |v[18:19]|, v[8:9], |v[18:19]|
	s_and_saveexec_b64 s[6:7], vcc
	s_cbranch_execz .LBB54_59
; %bb.58:
	v_rsq_f64_e32 v[6:7], v[4:5]
	v_cmp_eq_f64_e32 vcc, 0, v[4:5]
	s_mov_b32 s16, 0x54442d18
	s_mov_b32 s17, 0x3fe921fb
	v_mov_b32_e32 v0, 0x3ff921fb
	v_mov_b32_e32 v2, 0x54442d18
	v_mul_f64 v[10:11], v[4:5], v[6:7]
	v_mul_f64 v[6:7], v[6:7], 0.5
	v_fma_f64 v[12:13], -v[6:7], v[10:11], 0.5
	v_fma_f64 v[10:11], v[10:11], v[12:13], v[10:11]
	v_fma_f64 v[6:7], v[6:7], v[12:13], v[6:7]
	v_fma_f64 v[12:13], -v[10:11], v[10:11], v[4:5]
	v_fma_f64 v[6:7], v[12:13], v[6:7], v[10:11]
	v_cndmask_b32_e32 v7, v7, v5, vcc
	v_cndmask_b32_e32 v6, v6, v4, vcc
	v_add_f64 v[10:11], v[6:7], v[6:7]
	v_mul_f64 v[12:13], v[6:7], v[6:7]
	v_rcp_f64_e32 v[14:15], v[10:11]
	v_add_f64 v[20:21], v[4:5], -v[12:13]
	v_fma_f64 v[24:25], v[6:7], v[6:7], -v[12:13]
	v_add_f64 v[4:5], v[4:5], -v[20:21]
	v_fma_f64 v[22:23], -v[10:11], v[14:15], 1.0
	v_add_f64 v[4:5], v[4:5], -v[12:13]
	v_fma_f64 v[12:13], v[22:23], v[14:15], v[14:15]
	v_add_f64 v[4:5], v[4:5], -v[24:25]
	v_fma_f64 v[14:15], -v[10:11], v[12:13], 1.0
	v_add_f64 v[4:5], v[20:21], v[4:5]
	v_fma_f64 v[12:13], v[14:15], v[12:13], v[12:13]
	v_mul_f64 v[14:15], v[4:5], v[12:13]
	v_fma_f64 v[4:5], -v[10:11], v[14:15], v[4:5]
	v_fma_f64 v[4:5], v[4:5], v[12:13], v[14:15]
	v_cndmask_b32_e64 v5, v5, 0, vcc
	v_cndmask_b32_e64 v4, v4, 0, vcc
	v_add_f64 v[10:11], v[6:7], v[4:5]
	v_cmp_neq_f64_e64 vcc, |v[18:19]|, 1.0
	v_add_f64 v[6:7], v[10:11], -v[6:7]
	v_mul_f64 v[12:13], v[8:9], v[10:11]
	v_add_f64 v[4:5], v[4:5], -v[6:7]
	v_fma_f64 v[6:7], v[10:11], v[8:9], -v[12:13]
	v_fma_f64 v[6:7], v[4:5], v[8:9], v[6:7]
	v_add_f64 v[8:9], v[12:13], v[6:7]
	v_add_f64 v[14:15], v[10:11], v[8:9]
	v_add_f64 v[12:13], v[8:9], -v[12:13]
	v_add_f64 v[10:11], v[14:15], -v[10:11]
	;; [unrolled: 1-line block ×4, first 2 shown]
	v_add_f64 v[4:5], v[4:5], v[6:7]
	v_add_f64 v[4:5], v[4:5], v[8:9]
	;; [unrolled: 1-line block ×3, first 2 shown]
	v_add_f64 v[8:9], -v[6:7], s[16:17]
	v_add_f64 v[12:13], v[6:7], -v[14:15]
	v_add_f64 v[10:11], -v[8:9], s[16:17]
	s_mov_b32 s16, 0x33145c07
	s_mov_b32 s17, 0x3c81a626
	v_add_f64 v[4:5], v[12:13], -v[4:5]
	v_add_f64 v[6:7], v[10:11], -v[6:7]
	v_add_f64 v[6:7], v[6:7], s[16:17]
	v_add_f64 v[4:5], v[4:5], v[6:7]
	;; [unrolled: 1-line block ×4, first 2 shown]
	v_cndmask_b32_e32 v7, v0, v5, vcc
	v_cndmask_b32_e32 v6, v2, v4, vcc
.LBB54_59:
	s_or_b64 exec, exec, s[6:7]
	s_brev_b32 s6, -2
	v_bfi_b32 v7, s6, v7, v19
                                        ; implicit-def: $vgpr20_vgpr21
                                        ; implicit-def: $vgpr22_vgpr23
.LBB54_60:
	s_andn2_saveexec_b64 s[16:17], s[4:5]
	s_cbranch_execz .LBB54_62
; %bb.61:
	v_max_f64 v[4:5], v[20:21], v[20:21]
	v_max_f64 v[6:7], |v[22:23]|, |v[22:23]|
	s_mov_b32 s6, 0
	s_mov_b32 s7, 0x7ff00000
	s_movk_i32 s18, 0x204
	v_cmp_class_f64_e64 s[18:19], v[22:23], s18
	v_mov_b32_e32 v0, 0x3fe921fb
	v_mov_b32_e32 v2, 0x4002d97c
	v_max_f64 v[8:9], v[6:7], v[4:5]
	v_min_f64 v[4:5], v[6:7], v[4:5]
	v_div_scale_f64 v[6:7], s[4:5], v[8:9], v[8:9], v[4:5]
	s_mov_b32 s4, 0xb5e68a13
	s_mov_b32 s5, 0x3eeba404
	v_rcp_f64_e32 v[10:11], v[6:7]
	v_fma_f64 v[12:13], -v[6:7], v[10:11], 1.0
	v_fma_f64 v[10:11], v[10:11], v[12:13], v[10:11]
	v_div_scale_f64 v[12:13], vcc, v[4:5], v[8:9], v[4:5]
	v_fma_f64 v[14:15], -v[6:7], v[10:11], 1.0
	v_fma_f64 v[10:11], v[10:11], v[14:15], v[10:11]
	v_mul_f64 v[14:15], v[12:13], v[10:11]
	v_fma_f64 v[6:7], -v[6:7], v[14:15], v[12:13]
	v_div_fmas_f64 v[6:7], v[6:7], v[10:11], v[14:15]
	v_cmp_lt_f64_e64 vcc, |v[22:23]|, v[20:21]
	v_mov_b32_e32 v10, 0x7ff80000
	v_div_fixup_f64 v[4:5], v[6:7], v[8:9], v[4:5]
	v_mov_b32_e32 v8, 0xbd3237f4
	v_mov_b32_e32 v9, 0xbf23e260
	v_mul_f64 v[6:7], v[4:5], v[4:5]
	v_fma_f64 v[8:9], v[6:7], s[4:5], v[8:9]
	s_mov_b32 s4, 0x69efb384
	s_mov_b32 s5, 0x3f4b2bb0
	v_fma_f64 v[8:9], v[6:7], v[8:9], s[4:5]
	s_mov_b32 s4, 0xaf56de9b
	s_mov_b32 s5, 0xbf67952d
	;; [unrolled: 3-line block ×19, first 2 shown]
	v_mul_f64 v[6:7], v[6:7], v[8:9]
	v_mov_b32_e32 v8, 0x54442d18
	v_ashrrev_i32_e32 v9, 31, v23
	v_fma_f64 v[4:5], v[4:5], v[6:7], v[4:5]
	v_add_f64 v[6:7], -v[4:5], s[4:5]
	s_mov_b32 s5, 0x400921fb
	v_cndmask_b32_e32 v5, v5, v7, vcc
	v_cndmask_b32_e32 v4, v4, v6, vcc
	v_add_f64 v[6:7], -v[4:5], s[4:5]
	v_cmp_eq_f64_e32 vcc, s[6:7], v[20:21]
	v_cmp_eq_f64_e64 s[6:7], 0, v[20:21]
	v_cmp_gt_i32_e64 s[4:5], 0, v23
	v_cndmask_b32_e64 v0, v0, v2, s[4:5]
	v_and_b32_e32 v2, 0x400921fb, v9
	v_cndmask_b32_e64 v5, v5, v7, s[4:5]
	v_mov_b32_e32 v7, 0x7f3321d2
	v_and_b32_e32 v5, 0x7fffffff, v5
	v_cndmask_b32_e64 v7, v8, v7, s[4:5]
	v_and_b32_e32 v8, 0x54442d18, v9
	v_cndmask_b32_e64 v4, v4, v6, s[4:5]
	v_cndmask_b32_e64 v2, v5, v2, s[6:7]
	;; [unrolled: 1-line block ×3, first 2 shown]
	s_and_b64 vcc, vcc, s[18:19]
	v_cndmask_b32_e32 v4, v4, v7, vcc
	v_cndmask_b32_e32 v0, v2, v0, vcc
	v_cmp_o_f64_e32 vcc, v[22:23], v[22:23]
	v_cndmask_b32_e32 v7, v10, v0, vcc
	v_cndmask_b32_e32 v6, 0, v4, vcc
.LBB54_62:
	s_or_b64 exec, exec, s[16:17]
	s_brev_b32 s4, -2
	v_bfi_b32 v17, s4, v17, v3
	v_bfi_b32 v7, s4, v7, v1
	v_mov_b32_e32 v0, v6
	v_mov_b32_e32 v2, v16
	v_mov_b32_e32 v1, v7
	v_mov_b32_e32 v3, v17
.LBB54_63:
	s_or_b64 exec, exec, s[14:15]
.LBB54_64:
	s_or_b64 exec, exec, s[12:13]
                                        ; implicit-def: $vgpr4_vgpr5
                                        ; implicit-def: $vgpr8_vgpr9
                                        ; implicit-def: $vgpr6_vgpr7
.LBB54_65:
	s_andn2_saveexec_b64 s[12:13], s[8:9]
	s_cbranch_execz .LBB54_87
; %bb.66:
	v_cmp_lt_i64_e32 vcc, -1, v[2:3]
                                        ; implicit-def: $vgpr10_vgpr11
                                        ; implicit-def: $vgpr12_vgpr13
	s_and_saveexec_b64 s[4:5], vcc
	s_xor_b64 s[8:9], exec, s[4:5]
	s_cbranch_execz .LBB54_76
; %bb.67:
	v_cmp_lt_f64_e64 s[4:5], |v[2:3]|, |v[0:1]|
	v_and_b32_e32 v16, 0x7fffffff, v3
	v_and_b32_e32 v17, 0x7fffffff, v1
	s_mov_b32 s6, -1
	s_mov_b32 s7, 0x7fdfffff
                                        ; implicit-def: $sgpr14_sgpr15
                                        ; implicit-def: $vgpr12_vgpr13
                                        ; implicit-def: $vgpr14_vgpr15
	v_cndmask_b32_e64 v11, v16, v17, s[4:5]
	v_cndmask_b32_e64 v10, v2, v0, s[4:5]
	v_cmp_nlt_f64_e32 vcc, s[6:7], v[10:11]
	s_and_saveexec_b64 s[6:7], vcc
	s_xor_b64 s[16:17], exec, s[6:7]
	s_cbranch_execz .LBB54_73
; %bb.68:
	s_mov_b32 s6, 0
	s_mov_b32 s7, 0x20200000
	v_cmp_nlt_f64_e32 vcc, s[6:7], v[10:11]
	s_mov_b32 s6, 0
	v_cndmask_b32_e64 v17, v17, v16, s[4:5]
	v_cndmask_b32_e64 v16, v0, v2, s[4:5]
	s_brev_b32 s7, 4
	v_cmp_ngt_f64_e64 s[6:7], s[6:7], v[16:17]
                                        ; implicit-def: $sgpr14_sgpr15
                                        ; implicit-def: $vgpr12_vgpr13
                                        ; implicit-def: $vgpr14_vgpr15
	s_and_b64 s[6:7], vcc, s[6:7]
	s_and_saveexec_b64 s[18:19], s[6:7]
	s_xor_b64 s[18:19], exec, s[18:19]
	s_cbranch_execz .LBB54_70
; %bb.69:
	v_mul_f64 v[12:13], v[16:17], v[16:17]
	s_mov_b32 s15, 0x3fe55555
	s_mov_b32 s14, 0x55555555
	s_waitcnt lgkmcnt(0)
	v_min_f64 v[4:5], v[8:9], v[4:5]
	s_mov_b32 s22, 0xb5e68a13
	s_mov_b32 s23, 0x3eeba404
	v_fma_f64 v[10:11], v[10:11], v[10:11], v[12:13]
	v_frexp_mant_f64_e32 v[12:13], v[10:11]
	v_cmp_gt_f64_e64 s[6:7], s[14:15], v[12:13]
	s_mov_b32 s14, 0x55555780
	v_cndmask_b32_e64 v14, 0, 1, s[6:7]
	v_ldexp_f64 v[12:13], v[12:13], v14
	v_add_f64 v[14:15], v[12:13], 1.0
	v_add_f64 v[20:21], v[12:13], -1.0
	v_rcp_f64_e32 v[16:17], v[14:15]
	v_add_f64 v[22:23], v[14:15], -1.0
	v_add_f64 v[8:9], v[12:13], -v[22:23]
	v_fma_f64 v[18:19], -v[14:15], v[16:17], 1.0
	v_fma_f64 v[16:17], v[18:19], v[16:17], v[16:17]
	v_fma_f64 v[18:19], -v[14:15], v[16:17], 1.0
	v_fma_f64 v[16:17], v[18:19], v[16:17], v[16:17]
	v_mul_f64 v[18:19], v[20:21], v[16:17]
	v_mul_f64 v[24:25], v[14:15], v[18:19]
	v_fma_f64 v[12:13], v[18:19], v[14:15], -v[24:25]
	v_div_scale_f64 v[14:15], s[20:21], v[6:7], v[6:7], v[4:5]
	s_mov_b32 s20, 0xbf559e2b
	s_mov_b32 s21, 0x3fc3ab76
	v_fma_f64 v[8:9], v[18:19], v[8:9], v[12:13]
	v_add_f64 v[12:13], v[24:25], v[8:9]
	v_rcp_f64_e32 v[22:23], v[14:15]
	v_add_f64 v[26:27], v[20:21], -v[12:13]
	v_add_f64 v[24:25], v[12:13], -v[24:25]
	v_add_f64 v[20:21], v[20:21], -v[26:27]
	v_fma_f64 v[28:29], -v[14:15], v[22:23], 1.0
	v_add_f64 v[8:9], v[24:25], -v[8:9]
	v_mov_b32_e32 v24, 0x6b47b09a
	v_mov_b32_e32 v25, 0x3fc38538
	v_add_f64 v[12:13], v[20:21], -v[12:13]
	v_fma_f64 v[20:21], v[22:23], v[28:29], v[22:23]
	v_add_f64 v[8:9], v[8:9], v[12:13]
	v_div_scale_f64 v[12:13], vcc, v[4:5], v[6:7], v[4:5]
	v_fma_f64 v[22:23], -v[14:15], v[20:21], 1.0
	v_add_f64 v[8:9], v[26:27], v[8:9]
	v_fma_f64 v[20:21], v[20:21], v[22:23], v[20:21]
	v_mul_f64 v[8:9], v[16:17], v[8:9]
	v_mul_f64 v[16:17], v[12:13], v[20:21]
	v_add_f64 v[22:23], v[18:19], v[8:9]
	v_fma_f64 v[12:13], -v[14:15], v[16:17], v[12:13]
	v_mul_f64 v[14:15], v[22:23], v[22:23]
	v_add_f64 v[18:19], v[22:23], -v[18:19]
	v_div_fmas_f64 v[12:13], v[12:13], v[20:21], v[16:17]
	v_fma_f64 v[16:17], v[14:15], s[20:21], v[24:25]
	s_mov_b32 s20, 0xd7f4df2e
	s_mov_b32 s21, 0x3fc7474d
	v_mul_f64 v[20:21], v[22:23], v[14:15]
	v_frexp_exp_i32_f64_e32 v24, v[10:11]
	v_add_f64 v[8:9], v[8:9], -v[18:19]
	v_fma_f64 v[16:17], v[14:15], v[16:17], s[20:21]
	s_mov_b32 s20, 0x16291751
	s_mov_b32 s21, 0x3fcc71c0
	v_div_fixup_f64 v[4:5], v[12:13], v[6:7], v[4:5]
	v_ldexp_f64 v[8:9], v[8:9], 1
	v_fma_f64 v[6:7], v[14:15], v[16:17], s[20:21]
	s_mov_b32 s20, 0x9b27acf1
	s_mov_b32 s21, 0x3fd24924
	v_mul_f64 v[12:13], v[4:5], v[4:5]
	v_mov_b32_e32 v16, 0xbd3237f4
	v_mov_b32_e32 v17, 0xbf23e260
	v_fma_f64 v[6:7], v[14:15], v[6:7], s[20:21]
	s_mov_b32 s20, 0x998ef7b6
	s_mov_b32 s21, 0x3fd99999
	v_fma_f64 v[16:17], v[12:13], s[22:23], v[16:17]
	v_fma_f64 v[6:7], v[14:15], v[6:7], s[20:21]
	s_mov_b32 s20, 0x69efb384
	s_mov_b32 s21, 0x3f4b2bb0
	v_fma_f64 v[16:17], v[12:13], v[16:17], s[20:21]
	s_mov_b32 s20, 0xa595c56f
	s_mov_b32 s21, 0x3f7d6d43
	;; [unrolled: 3-line block ×3, first 2 shown]
	v_fma_f64 v[14:15], v[12:13], v[16:17], s[14:15]
	v_ldexp_f64 v[16:17], v[22:23], 1
	v_subbrev_co_u32_e64 v22, vcc, 0, v24, s[6:7]
	v_cvt_f64_i32_e32 v[22:23], v22
	v_mul_f64 v[6:7], v[20:21], v[6:7]
	s_mov_b32 s14, 0xfefa39ef
	s_mov_b32 s6, 0xa57d9582
	v_fma_f64 v[14:15], v[12:13], v[14:15], s[20:21]
	s_mov_b32 s15, 0x3fe62e42
	s_mov_b32 s7, 0xbf8c6ea4
	v_mul_f64 v[24:25], v[22:23], s[14:15]
	v_add_f64 v[20:21], v[16:17], v[6:7]
	v_fma_f64 v[14:15], v[12:13], v[14:15], s[6:7]
	s_mov_b32 s6, 0x5f08b19f
	s_mov_b32 s7, 0x3f967e29
	v_fma_f64 v[18:19], v[22:23], s[14:15], -v[24:25]
	s_mov_b32 s14, 0xfc27006a
	v_add_f64 v[16:17], v[20:21], -v[16:17]
	s_mov_b32 s15, 0xbf9e9ae6
	v_fma_f64 v[14:15], v[12:13], v[14:15], s[6:7]
	s_mov_b32 s6, 0x3b39803f
	s_mov_b32 s7, 0x3c7abc9e
	v_add_f64 v[6:7], v[6:7], -v[16:17]
	v_fma_f64 v[16:17], v[22:23], s[6:7], v[18:19]
	s_mov_b32 s6, 0x5711927a
	v_fma_f64 v[14:15], v[12:13], v[14:15], s[14:15]
	s_mov_b32 s7, 0x3fa2c15b
	s_movk_i32 s14, 0x204
	v_cmp_class_f64_e64 vcc, v[10:11], s14
	v_add_f64 v[6:7], v[8:9], v[6:7]
	v_fma_f64 v[8:9], v[12:13], v[14:15], s[6:7]
	v_add_f64 v[14:15], v[24:25], v[16:17]
	s_mov_b32 s6, 0xe82d3ff0
	s_mov_b32 s7, 0xbfa59976
	v_add_f64 v[18:19], v[20:21], v[6:7]
	v_fma_f64 v[8:9], v[12:13], v[8:9], s[6:7]
	s_mov_b32 s6, 0x6ef28734
	s_mov_b32 s7, 0x3fa82d5d
	v_add_f64 v[24:25], v[14:15], -v[24:25]
	v_add_f64 v[22:23], v[14:15], v[18:19]
	v_add_f64 v[20:21], v[18:19], -v[20:21]
	v_fma_f64 v[8:9], v[12:13], v[8:9], s[6:7]
	s_mov_b32 s6, 0x6a214619
	s_mov_b32 s7, 0xbfaae5ce
	v_add_f64 v[16:17], v[16:17], -v[24:25]
	v_add_f64 v[26:27], v[22:23], -v[14:15]
	;; [unrolled: 1-line block ×3, first 2 shown]
	v_fma_f64 v[8:9], v[12:13], v[8:9], s[6:7]
	s_mov_b32 s6, 0x8427b883
	s_mov_b32 s7, 0x3fae1bb4
	v_add_f64 v[28:29], v[22:23], -v[26:27]
	v_add_f64 v[18:19], v[18:19], -v[26:27]
	v_add_f64 v[20:21], v[16:17], v[6:7]
	v_fma_f64 v[8:9], v[12:13], v[8:9], s[6:7]
	s_mov_b32 s6, 0x8b207f05
	s_mov_b32 s7, 0xbfb110e4
	v_add_f64 v[14:15], v[14:15], -v[28:29]
	v_fma_f64 v[8:9], v[12:13], v[8:9], s[6:7]
	s_mov_b32 s6, 0x57b87036
	s_mov_b32 s7, 0x3fb3b136
	v_add_f64 v[14:15], v[18:19], v[14:15]
	v_add_f64 v[18:19], v[20:21], -v[16:17]
	v_fma_f64 v[8:9], v[12:13], v[8:9], s[6:7]
	s_mov_b32 s6, 0x19378e4f
	s_mov_b32 s7, 0xbfb745d1
	v_add_f64 v[14:15], v[20:21], v[14:15]
	v_add_f64 v[20:21], v[20:21], -v[18:19]
	v_add_f64 v[6:7], v[6:7], -v[18:19]
	v_fma_f64 v[8:9], v[12:13], v[8:9], s[6:7]
	s_mov_b32 s6, 0x17e1913c
	s_mov_b32 s7, 0x3fbc71c7
	v_add_f64 v[24:25], v[22:23], v[14:15]
	v_add_f64 v[16:17], v[16:17], -v[20:21]
	v_fma_f64 v[8:9], v[12:13], v[8:9], s[6:7]
	s_mov_b32 s6, 0x92376b7d
	s_mov_b32 s7, 0xbfc24924
	v_add_f64 v[18:19], v[24:25], -v[22:23]
	v_add_f64 v[6:7], v[6:7], v[16:17]
	v_fma_f64 v[8:9], v[12:13], v[8:9], s[6:7]
	s_mov_b32 s6, 0x999952cc
	s_mov_b32 s7, 0x3fc99999
	v_add_f64 v[14:15], v[14:15], -v[18:19]
	v_fma_f64 v[8:9], v[12:13], v[8:9], s[6:7]
	s_mov_b32 s6, 0x55555523
	s_mov_b32 s7, 0xbfd55555
	v_add_f64 v[6:7], v[6:7], v[14:15]
	v_fma_f64 v[8:9], v[12:13], v[8:9], s[6:7]
	v_cmp_class_f64_e64 s[6:7], v[0:1], s14
	v_cmp_class_f64_e64 s[14:15], v[2:3], s14
	v_add_f64 v[6:7], v[24:25], v[6:7]
	v_mul_f64 v[8:9], v[12:13], v[8:9]
	v_mov_b32_e32 v12, 0xfff00000
	s_and_b64 s[14:15], s[6:7], s[14:15]
	v_cndmask_b32_e32 v7, v7, v11, vcc
	v_cndmask_b32_e32 v6, v6, v10, vcc
	v_mul_f64 v[6:7], v[6:7], 0.5
	v_cmp_neq_f64_e32 vcc, 0, v[10:11]
	v_fma_f64 v[14:15], v[4:5], v[8:9], v[4:5]
                                        ; implicit-def: $vgpr8_vgpr9
                                        ; implicit-def: $vgpr4_vgpr5
	v_cndmask_b32_e32 v13, v12, v7, vcc
	v_cndmask_b32_e32 v12, 0, v6, vcc
                                        ; implicit-def: $vgpr6_vgpr7
.LBB54_70:
	s_andn2_saveexec_b64 s[18:19], s[18:19]
	s_cbranch_execz .LBB54_72
; %bb.71:
	v_frexp_exp_i32_f64_e32 v18, v[6:7]
	s_movk_i32 s26, 0x204
	v_cmp_class_f64_e64 s[20:21], v[2:3], s26
	v_cmp_class_f64_e64 s[22:23], v[0:1], s26
	s_mov_b32 s25, 0x3fe55555
	s_mov_b32 s24, 0x55555555
	s_waitcnt lgkmcnt(0)
	v_min_f64 v[4:5], v[8:9], v[4:5]
	s_mov_b32 s40, 0xb5e68a13
	v_sub_u32_e32 v12, 0, v18
	v_ldexp_f64 v[10:11], |v[0:1]|, v12
	v_ldexp_f64 v[12:13], |v[2:3]|, v12
	s_mov_b32 s41, 0x3eeba404
	v_div_scale_f64 v[24:25], s[28:29], v[6:7], v[6:7], v[4:5]
	s_mov_b32 s28, 0xbf559e2b
	v_mul_f64 v[10:11], v[10:11], v[10:11]
	s_mov_b32 s29, 0x3fc3ab76
	v_fma_f64 v[10:11], v[12:13], v[12:13], v[10:11]
	v_rsq_f64_e32 v[12:13], v[10:11]
	v_cmp_eq_f64_e32 vcc, 0, v[10:11]
	v_mul_f64 v[14:15], v[10:11], v[12:13]
	v_mul_f64 v[12:13], v[12:13], 0.5
	v_fma_f64 v[16:17], -v[12:13], v[14:15], 0.5
	v_fma_f64 v[14:15], v[14:15], v[16:17], v[14:15]
	v_fma_f64 v[12:13], v[12:13], v[16:17], v[12:13]
	v_fma_f64 v[16:17], -v[14:15], v[14:15], v[10:11]
	v_fma_f64 v[12:13], v[16:17], v[12:13], v[14:15]
	v_cndmask_b32_e32 v11, v13, v11, vcc
	v_cndmask_b32_e32 v10, v12, v10, vcc
	v_ldexp_f64 v[10:11], v[10:11], v18
	v_mov_b32_e32 v12, 0x7ff00000
	s_or_b64 vcc, s[22:23], s[20:21]
	v_cndmask_b32_e32 v11, v11, v12, vcc
	v_cndmask_b32_e64 v10, v10, 0, vcc
	v_frexp_mant_f64_e32 v[12:13], v[10:11]
	v_cmp_gt_f64_e64 s[6:7], s[24:25], v[12:13]
	s_mov_b32 s24, 0x55555780
	v_cndmask_b32_e64 v14, 0, 1, s[6:7]
	v_ldexp_f64 v[12:13], v[12:13], v14
	v_add_f64 v[14:15], v[12:13], 1.0
	v_add_f64 v[20:21], v[12:13], -1.0
	v_rcp_f64_e32 v[16:17], v[14:15]
	v_add_f64 v[8:9], v[14:15], -1.0
	v_add_f64 v[8:9], v[12:13], -v[8:9]
	v_fma_f64 v[18:19], -v[14:15], v[16:17], 1.0
	v_fma_f64 v[16:17], v[18:19], v[16:17], v[16:17]
	v_fma_f64 v[18:19], -v[14:15], v[16:17], 1.0
	v_fma_f64 v[16:17], v[18:19], v[16:17], v[16:17]
	v_mul_f64 v[18:19], v[20:21], v[16:17]
	v_mul_f64 v[22:23], v[14:15], v[18:19]
	v_fma_f64 v[12:13], v[18:19], v[14:15], -v[22:23]
	v_fma_f64 v[8:9], v[18:19], v[8:9], v[12:13]
	v_rcp_f64_e32 v[12:13], v[24:25]
	v_add_f64 v[14:15], v[22:23], v[8:9]
	v_add_f64 v[26:27], v[20:21], -v[14:15]
	v_fma_f64 v[28:29], -v[24:25], v[12:13], 1.0
	v_add_f64 v[22:23], v[14:15], -v[22:23]
	v_add_f64 v[20:21], v[20:21], -v[26:27]
	v_fma_f64 v[12:13], v[12:13], v[28:29], v[12:13]
	v_add_f64 v[8:9], v[22:23], -v[8:9]
	v_add_f64 v[14:15], v[20:21], -v[14:15]
	v_div_scale_f64 v[20:21], vcc, v[4:5], v[6:7], v[4:5]
	v_fma_f64 v[22:23], -v[24:25], v[12:13], 1.0
	v_add_f64 v[8:9], v[8:9], v[14:15]
	v_fma_f64 v[12:13], v[12:13], v[22:23], v[12:13]
	v_add_f64 v[8:9], v[26:27], v[8:9]
	v_mul_f64 v[14:15], v[20:21], v[12:13]
	v_mul_f64 v[8:9], v[16:17], v[8:9]
	v_fma_f64 v[16:17], -v[24:25], v[14:15], v[20:21]
	v_add_f64 v[20:21], v[18:19], v[8:9]
	v_div_fmas_f64 v[12:13], v[16:17], v[12:13], v[14:15]
	v_mov_b32_e32 v16, 0x6b47b09a
	v_mov_b32_e32 v17, 0x3fc38538
	v_mul_f64 v[14:15], v[20:21], v[20:21]
	v_add_f64 v[18:19], v[20:21], -v[18:19]
	v_fma_f64 v[16:17], v[14:15], s[28:29], v[16:17]
	s_mov_b32 s28, 0xd7f4df2e
	s_mov_b32 s29, 0x3fc7474d
	v_div_fixup_f64 v[4:5], v[12:13], v[6:7], v[4:5]
	v_mul_f64 v[22:23], v[20:21], v[14:15]
	v_add_f64 v[8:9], v[8:9], -v[18:19]
	v_fma_f64 v[6:7], v[14:15], v[16:17], s[28:29]
	s_mov_b32 s28, 0x16291751
	s_mov_b32 s29, 0x3fcc71c0
	v_mul_f64 v[12:13], v[4:5], v[4:5]
	v_mov_b32_e32 v16, 0xbd3237f4
	v_mov_b32_e32 v17, 0xbf23e260
	v_ldexp_f64 v[8:9], v[8:9], 1
	v_fma_f64 v[6:7], v[14:15], v[6:7], s[28:29]
	s_mov_b32 s28, 0x9b27acf1
	s_mov_b32 s29, 0x3fd24924
	v_fma_f64 v[16:17], v[12:13], s[40:41], v[16:17]
	s_mov_b32 s40, 0x69efb384
	s_mov_b32 s41, 0x3f4b2bb0
	;; [unrolled: 3-line block ×3, first 2 shown]
	v_fma_f64 v[16:17], v[12:13], v[16:17], s[40:41]
	v_fma_f64 v[6:7], v[14:15], v[6:7], s[28:29]
	s_mov_b32 s28, 0xaf56de9b
	s_mov_b32 s29, 0xbf67952d
	v_fma_f64 v[16:17], v[12:13], v[16:17], s[28:29]
	s_mov_b32 s28, 0xa57d9582
	s_mov_b32 s29, 0xbf8c6ea4
	;; [unrolled: 3-line block ×3, first 2 shown]
	v_fma_f64 v[14:15], v[12:13], v[16:17], s[24:25]
	v_ldexp_f64 v[16:17], v[20:21], 1
	s_mov_b32 s24, 0xfefa39ef
	s_mov_b32 s25, 0x3fe62e42
	v_mul_f64 v[6:7], v[22:23], v[6:7]
	v_frexp_exp_i32_f64_e32 v22, v[10:11]
	v_fma_f64 v[14:15], v[12:13], v[14:15], s[28:29]
	v_add_f64 v[20:21], v[16:17], v[6:7]
	v_subbrev_co_u32_e64 v22, vcc, 0, v22, s[6:7]
	v_cvt_f64_i32_e32 v[22:23], v22
	s_mov_b32 s6, 0x5f08b19f
	s_mov_b32 s7, 0x3f967e29
	v_fma_f64 v[14:15], v[12:13], v[14:15], s[6:7]
	v_mul_f64 v[24:25], v[22:23], s[24:25]
	v_add_f64 v[16:17], v[20:21], -v[16:17]
	s_mov_b32 s6, 0xfc27006a
	s_mov_b32 s7, 0xbf9e9ae6
	v_cmp_class_f64_e64 vcc, v[10:11], s26
	v_fma_f64 v[14:15], v[12:13], v[14:15], s[6:7]
	v_fma_f64 v[18:19], v[22:23], s[24:25], -v[24:25]
	v_add_f64 v[6:7], v[6:7], -v[16:17]
	s_mov_b32 s6, 0x3b39803f
	s_mov_b32 s24, 0x5711927a
	;; [unrolled: 1-line block ×4, first 2 shown]
	v_fma_f64 v[14:15], v[12:13], v[14:15], s[24:25]
	v_fma_f64 v[16:17], v[22:23], s[6:7], v[18:19]
	v_add_f64 v[6:7], v[8:9], v[6:7]
	s_mov_b32 s6, 0xe82d3ff0
	s_mov_b32 s7, 0xbfa59976
	v_fma_f64 v[8:9], v[12:13], v[14:15], s[6:7]
	v_add_f64 v[14:15], v[24:25], v[16:17]
	v_add_f64 v[18:19], v[20:21], v[6:7]
	s_mov_b32 s6, 0x6ef28734
	s_mov_b32 s7, 0x3fa82d5d
	v_fma_f64 v[8:9], v[12:13], v[8:9], s[6:7]
	s_mov_b32 s6, 0x6a214619
	v_add_f64 v[22:23], v[14:15], v[18:19]
	s_mov_b32 s7, 0xbfaae5ce
	v_add_f64 v[24:25], v[14:15], -v[24:25]
	v_add_f64 v[20:21], v[18:19], -v[20:21]
	v_fma_f64 v[8:9], v[12:13], v[8:9], s[6:7]
	s_mov_b32 s6, 0x8427b883
	v_add_f64 v[26:27], v[22:23], -v[14:15]
	s_mov_b32 s7, 0x3fae1bb4
	v_add_f64 v[16:17], v[16:17], -v[24:25]
	v_add_f64 v[6:7], v[6:7], -v[20:21]
	v_fma_f64 v[8:9], v[12:13], v[8:9], s[6:7]
	s_mov_b32 s6, 0x8b207f05
	v_add_f64 v[28:29], v[22:23], -v[26:27]
	s_mov_b32 s7, 0xbfb110e4
	v_add_f64 v[18:19], v[18:19], -v[26:27]
	v_add_f64 v[20:21], v[16:17], v[6:7]
	v_fma_f64 v[8:9], v[12:13], v[8:9], s[6:7]
	s_mov_b32 s6, 0x57b87036
	v_add_f64 v[14:15], v[14:15], -v[28:29]
	s_mov_b32 s7, 0x3fb3b136
	v_fma_f64 v[8:9], v[12:13], v[8:9], s[6:7]
	s_mov_b32 s6, 0x19378e4f
	v_add_f64 v[14:15], v[18:19], v[14:15]
	s_mov_b32 s7, 0xbfb745d1
	v_add_f64 v[18:19], v[20:21], -v[16:17]
	v_fma_f64 v[8:9], v[12:13], v[8:9], s[6:7]
	s_mov_b32 s6, 0x17e1913c
	v_add_f64 v[14:15], v[20:21], v[14:15]
	s_mov_b32 s7, 0x3fbc71c7
	v_add_f64 v[20:21], v[20:21], -v[18:19]
	v_add_f64 v[6:7], v[6:7], -v[18:19]
	v_fma_f64 v[8:9], v[12:13], v[8:9], s[6:7]
	s_mov_b32 s6, 0x92376b7d
	v_add_f64 v[24:25], v[22:23], v[14:15]
	s_mov_b32 s7, 0xbfc24924
	v_add_f64 v[16:17], v[16:17], -v[20:21]
	v_fma_f64 v[8:9], v[12:13], v[8:9], s[6:7]
	s_mov_b32 s6, 0x999952cc
	v_add_f64 v[18:19], v[24:25], -v[22:23]
	s_mov_b32 s7, 0x3fc99999
	v_add_f64 v[6:7], v[6:7], v[16:17]
	v_fma_f64 v[8:9], v[12:13], v[8:9], s[6:7]
	s_mov_b32 s6, 0x55555523
	v_add_f64 v[14:15], v[14:15], -v[18:19]
	s_mov_b32 s7, 0xbfd55555
	v_fma_f64 v[8:9], v[12:13], v[8:9], s[6:7]
	s_andn2_b64 s[6:7], s[14:15], exec
	v_add_f64 v[6:7], v[6:7], v[14:15]
	s_and_b64 s[14:15], s[22:23], s[20:21]
	s_and_b64 s[14:15], s[14:15], exec
	s_or_b64 s[14:15], s[6:7], s[14:15]
	v_mul_f64 v[8:9], v[12:13], v[8:9]
	v_mov_b32_e32 v12, 0x7ff80000
	v_add_f64 v[6:7], v[24:25], v[6:7]
	v_mov_b32_e32 v13, 0xfff00000
	v_fma_f64 v[14:15], v[4:5], v[8:9], v[4:5]
	v_cndmask_b32_e32 v4, v6, v10, vcc
	v_cndmask_b32_e32 v5, v7, v11, vcc
	v_cmp_ngt_f64_e32 vcc, 0, v[10:11]
	v_cndmask_b32_e32 v5, v12, v5, vcc
	v_cmp_nge_f64_e32 vcc, 0, v[10:11]
	v_cndmask_b32_e32 v12, 0, v4, vcc
	v_cmp_neq_f64_e32 vcc, 0, v[10:11]
	v_cndmask_b32_e32 v13, v13, v5, vcc
.LBB54_72:
	s_or_b64 exec, exec, s[18:19]
                                        ; implicit-def: $vgpr8_vgpr9
                                        ; implicit-def: $vgpr4_vgpr5
                                        ; implicit-def: $vgpr6_vgpr7
.LBB54_73:
	s_andn2_saveexec_b64 s[16:17], s[16:17]
	s_cbranch_execz .LBB54_75
; %bb.74:
	s_mov_b32 s18, 0x8b145769
	s_mov_b32 s19, 0x4005bf0a
	v_div_scale_f64 v[10:11], s[6:7], s[18:19], s[18:19], v[2:3]
	v_div_scale_f64 v[12:13], s[6:7], s[18:19], s[18:19], v[0:1]
	;; [unrolled: 1-line block ×3, first 2 shown]
	s_movk_i32 s20, 0x204
	s_waitcnt lgkmcnt(0)
	v_min_f64 v[4:5], v[8:9], v[4:5]
	s_andn2_b64 s[14:15], s[14:15], exec
	v_rcp_f64_e32 v[14:15], v[10:11]
	v_rcp_f64_e32 v[16:17], v[12:13]
	v_fma_f64 v[18:19], -v[10:11], v[14:15], 1.0
	v_fma_f64 v[20:21], -v[12:13], v[16:17], 1.0
	v_fma_f64 v[14:15], v[14:15], v[18:19], v[14:15]
	v_div_scale_f64 v[18:19], vcc, v[2:3], s[18:19], v[2:3]
	v_fma_f64 v[16:17], v[16:17], v[20:21], v[16:17]
	v_fma_f64 v[20:21], -v[10:11], v[14:15], 1.0
	v_fma_f64 v[24:25], -v[12:13], v[16:17], 1.0
	v_fma_f64 v[14:15], v[14:15], v[20:21], v[14:15]
	v_fma_f64 v[16:17], v[16:17], v[24:25], v[16:17]
	v_mul_f64 v[20:21], v[18:19], v[14:15]
	v_mul_f64 v[24:25], v[22:23], v[16:17]
	v_fma_f64 v[10:11], -v[10:11], v[20:21], v[18:19]
	v_fma_f64 v[12:13], -v[12:13], v[24:25], v[22:23]
	v_div_fmas_f64 v[10:11], v[10:11], v[14:15], v[20:21]
	s_mov_b64 vcc, s[6:7]
	s_mov_b32 s6, 0
	v_div_fmas_f64 v[12:13], v[12:13], v[16:17], v[24:25]
	s_mov_b32 s7, 0x7ff00000
	v_div_fixup_f64 v[10:11], v[10:11], s[18:19], v[2:3]
	v_div_fixup_f64 v[12:13], v[12:13], s[18:19], v[0:1]
	v_cmp_eq_f64_e64 s[6:7], s[6:7], v[10:11]
	v_max_f64 v[14:15], v[10:11], |v[12:13]|
	v_cmp_class_f64_e64 s[18:19], v[12:13], s20
	v_frexp_exp_i32_f64_e32 v22, v[14:15]
	v_sub_u32_e32 v16, 0, v22
	v_ldexp_f64 v[14:15], |v[12:13]|, v16
	v_ldexp_f64 v[16:17], v[10:11], v16
	v_mov_b32_e32 v12, 0x7ff00000
	v_mul_f64 v[14:15], v[14:15], v[14:15]
	v_fma_f64 v[14:15], v[16:17], v[16:17], v[14:15]
	v_rsq_f64_e32 v[16:17], v[14:15]
	v_cmp_eq_f64_e32 vcc, 0, v[14:15]
	v_mul_f64 v[18:19], v[14:15], v[16:17]
	v_mul_f64 v[16:17], v[16:17], 0.5
	v_fma_f64 v[20:21], -v[16:17], v[18:19], 0.5
	v_fma_f64 v[18:19], v[18:19], v[20:21], v[18:19]
	v_fma_f64 v[16:17], v[16:17], v[20:21], v[16:17]
	v_fma_f64 v[20:21], -v[18:19], v[18:19], v[14:15]
	v_fma_f64 v[16:17], v[20:21], v[16:17], v[18:19]
	v_cndmask_b32_e32 v11, v17, v15, vcc
	v_cndmask_b32_e32 v10, v16, v14, vcc
	v_ldexp_f64 v[10:11], v[10:11], v22
	s_or_b64 vcc, s[6:7], s[18:19]
	s_mov_b32 s19, 0x3fe55555
	s_mov_b32 s18, 0x55555555
	v_cndmask_b32_e32 v11, v11, v12, vcc
	v_cndmask_b32_e64 v10, v10, 0, vcc
	v_frexp_mant_f64_e32 v[12:13], v[10:11]
	v_cmp_gt_f64_e64 s[6:7], s[18:19], v[12:13]
	s_mov_b32 s18, 0x55555780
	v_cndmask_b32_e64 v14, 0, 1, s[6:7]
	v_ldexp_f64 v[12:13], v[12:13], v14
	v_add_f64 v[14:15], v[12:13], 1.0
	v_add_f64 v[20:21], v[12:13], -1.0
	v_rcp_f64_e32 v[16:17], v[14:15]
	v_add_f64 v[22:23], v[14:15], -1.0
	v_add_f64 v[8:9], v[12:13], -v[22:23]
	v_fma_f64 v[18:19], -v[14:15], v[16:17], 1.0
	v_fma_f64 v[16:17], v[18:19], v[16:17], v[16:17]
	v_fma_f64 v[18:19], -v[14:15], v[16:17], 1.0
	v_fma_f64 v[16:17], v[18:19], v[16:17], v[16:17]
	v_mul_f64 v[18:19], v[20:21], v[16:17]
	v_mul_f64 v[24:25], v[14:15], v[18:19]
	v_fma_f64 v[12:13], v[18:19], v[14:15], -v[24:25]
	v_div_scale_f64 v[14:15], s[22:23], v[6:7], v[6:7], v[4:5]
	s_mov_b32 s22, 0xbf559e2b
	s_mov_b32 s23, 0x3fc3ab76
	v_fma_f64 v[8:9], v[18:19], v[8:9], v[12:13]
	v_add_f64 v[12:13], v[24:25], v[8:9]
	v_rcp_f64_e32 v[22:23], v[14:15]
	v_add_f64 v[26:27], v[20:21], -v[12:13]
	v_add_f64 v[24:25], v[12:13], -v[24:25]
	;; [unrolled: 1-line block ×3, first 2 shown]
	v_fma_f64 v[28:29], -v[14:15], v[22:23], 1.0
	v_add_f64 v[8:9], v[24:25], -v[8:9]
	v_mov_b32_e32 v24, 0x6b47b09a
	v_mov_b32_e32 v25, 0x3fc38538
	v_add_f64 v[12:13], v[20:21], -v[12:13]
	v_fma_f64 v[20:21], v[22:23], v[28:29], v[22:23]
	v_add_f64 v[8:9], v[8:9], v[12:13]
	v_div_scale_f64 v[12:13], vcc, v[4:5], v[6:7], v[4:5]
	v_fma_f64 v[22:23], -v[14:15], v[20:21], 1.0
	v_add_f64 v[8:9], v[26:27], v[8:9]
	v_fma_f64 v[20:21], v[20:21], v[22:23], v[20:21]
	v_mul_f64 v[8:9], v[16:17], v[8:9]
	v_mul_f64 v[16:17], v[12:13], v[20:21]
	v_add_f64 v[22:23], v[18:19], v[8:9]
	v_fma_f64 v[12:13], -v[14:15], v[16:17], v[12:13]
	v_mul_f64 v[14:15], v[22:23], v[22:23]
	v_add_f64 v[18:19], v[22:23], -v[18:19]
	v_div_fmas_f64 v[12:13], v[12:13], v[20:21], v[16:17]
	v_fma_f64 v[16:17], v[14:15], s[22:23], v[24:25]
	s_mov_b32 s22, 0xd7f4df2e
	s_mov_b32 s23, 0x3fc7474d
	v_mul_f64 v[20:21], v[22:23], v[14:15]
	v_frexp_exp_i32_f64_e32 v24, v[10:11]
	v_add_f64 v[8:9], v[8:9], -v[18:19]
	v_fma_f64 v[16:17], v[14:15], v[16:17], s[22:23]
	s_mov_b32 s22, 0x16291751
	s_mov_b32 s23, 0x3fcc71c0
	v_div_fixup_f64 v[4:5], v[12:13], v[6:7], v[4:5]
	v_ldexp_f64 v[8:9], v[8:9], 1
	v_fma_f64 v[6:7], v[14:15], v[16:17], s[22:23]
	s_mov_b32 s22, 0x9b27acf1
	s_mov_b32 s23, 0x3fd24924
	v_mul_f64 v[12:13], v[4:5], v[4:5]
	v_mov_b32_e32 v16, 0xbd3237f4
	v_mov_b32_e32 v17, 0xbf23e260
	v_fma_f64 v[6:7], v[14:15], v[6:7], s[22:23]
	s_mov_b32 s22, 0xb5e68a13
	s_mov_b32 s23, 0x3eeba404
	v_fma_f64 v[16:17], v[12:13], s[22:23], v[16:17]
	s_mov_b32 s22, 0x998ef7b6
	s_mov_b32 s23, 0x3fd99999
	;; [unrolled: 3-line block ×5, first 2 shown]
	v_fma_f64 v[14:15], v[12:13], v[16:17], s[18:19]
	v_ldexp_f64 v[16:17], v[22:23], 1
	v_subbrev_co_u32_e64 v22, vcc, 0, v24, s[6:7]
	v_cvt_f64_i32_e32 v[22:23], v22
	v_mul_f64 v[6:7], v[20:21], v[6:7]
	s_mov_b32 s18, 0xfefa39ef
	s_mov_b32 s19, 0x3fe62e42
	v_fma_f64 v[14:15], v[12:13], v[14:15], s[22:23]
	s_mov_b32 s22, 0xa57d9582
	s_mov_b32 s23, 0xbf8c6ea4
	v_mul_f64 v[24:25], v[22:23], s[18:19]
	s_mov_b32 s6, 0x5f08b19f
	v_add_f64 v[20:21], v[16:17], v[6:7]
	s_mov_b32 s7, 0x3f967e29
	v_cmp_class_f64_e64 vcc, v[10:11], s20
	v_fma_f64 v[14:15], v[12:13], v[14:15], s[22:23]
	v_fma_f64 v[18:19], v[22:23], s[18:19], -v[24:25]
	v_cmp_class_f64_e64 s[18:19], v[2:3], s20
	v_add_f64 v[16:17], v[20:21], -v[16:17]
	v_fma_f64 v[14:15], v[12:13], v[14:15], s[6:7]
	s_mov_b32 s6, 0xfc27006a
	s_mov_b32 s7, 0xbf9e9ae6
	v_add_f64 v[6:7], v[6:7], -v[16:17]
	v_fma_f64 v[14:15], v[12:13], v[14:15], s[6:7]
	s_mov_b32 s6, 0x3b39803f
	s_mov_b32 s7, 0x3c7abc9e
	v_fma_f64 v[16:17], v[22:23], s[6:7], v[18:19]
	s_mov_b32 s6, 0x5711927a
	v_add_f64 v[6:7], v[8:9], v[6:7]
	s_mov_b32 s7, 0x3fa2c15b
	v_fma_f64 v[8:9], v[12:13], v[14:15], s[6:7]
	s_mov_b32 s6, 0xe82d3ff0
	s_mov_b32 s7, 0xbfa59976
	v_add_f64 v[14:15], v[24:25], v[16:17]
	v_add_f64 v[18:19], v[20:21], v[6:7]
	v_fma_f64 v[8:9], v[12:13], v[8:9], s[6:7]
	s_mov_b32 s6, 0x6ef28734
	s_mov_b32 s7, 0x3fa82d5d
	v_add_f64 v[24:25], v[14:15], -v[24:25]
	v_add_f64 v[22:23], v[14:15], v[18:19]
	v_add_f64 v[20:21], v[18:19], -v[20:21]
	v_fma_f64 v[8:9], v[12:13], v[8:9], s[6:7]
	s_mov_b32 s6, 0x6a214619
	s_mov_b32 s7, 0xbfaae5ce
	v_add_f64 v[16:17], v[16:17], -v[24:25]
	v_add_f64 v[26:27], v[22:23], -v[14:15]
	;; [unrolled: 1-line block ×3, first 2 shown]
	v_fma_f64 v[8:9], v[12:13], v[8:9], s[6:7]
	s_mov_b32 s6, 0x8427b883
	s_mov_b32 s7, 0x3fae1bb4
	v_add_f64 v[28:29], v[22:23], -v[26:27]
	v_add_f64 v[18:19], v[18:19], -v[26:27]
	v_add_f64 v[20:21], v[16:17], v[6:7]
	v_fma_f64 v[8:9], v[12:13], v[8:9], s[6:7]
	s_mov_b32 s6, 0x8b207f05
	s_mov_b32 s7, 0xbfb110e4
	v_add_f64 v[14:15], v[14:15], -v[28:29]
	v_fma_f64 v[8:9], v[12:13], v[8:9], s[6:7]
	s_mov_b32 s6, 0x57b87036
	s_mov_b32 s7, 0x3fb3b136
	v_add_f64 v[14:15], v[18:19], v[14:15]
	v_add_f64 v[18:19], v[20:21], -v[16:17]
	v_fma_f64 v[8:9], v[12:13], v[8:9], s[6:7]
	s_mov_b32 s6, 0x19378e4f
	s_mov_b32 s7, 0xbfb745d1
	v_add_f64 v[14:15], v[20:21], v[14:15]
	v_add_f64 v[20:21], v[20:21], -v[18:19]
	v_add_f64 v[6:7], v[6:7], -v[18:19]
	v_fma_f64 v[8:9], v[12:13], v[8:9], s[6:7]
	s_mov_b32 s6, 0x17e1913c
	s_mov_b32 s7, 0x3fbc71c7
	v_add_f64 v[24:25], v[22:23], v[14:15]
	v_add_f64 v[16:17], v[16:17], -v[20:21]
	v_fma_f64 v[8:9], v[12:13], v[8:9], s[6:7]
	s_mov_b32 s6, 0x92376b7d
	s_mov_b32 s7, 0xbfc24924
	v_add_f64 v[18:19], v[24:25], -v[22:23]
	v_add_f64 v[6:7], v[6:7], v[16:17]
	v_fma_f64 v[8:9], v[12:13], v[8:9], s[6:7]
	s_mov_b32 s6, 0x999952cc
	s_mov_b32 s7, 0x3fc99999
	v_add_f64 v[14:15], v[14:15], -v[18:19]
	v_fma_f64 v[8:9], v[12:13], v[8:9], s[6:7]
	s_mov_b32 s6, 0x55555523
	s_mov_b32 s7, 0xbfd55555
	v_add_f64 v[6:7], v[6:7], v[14:15]
	v_fma_f64 v[8:9], v[12:13], v[8:9], s[6:7]
	v_cmp_class_f64_e64 s[6:7], v[0:1], s20
	v_add_f64 v[6:7], v[24:25], v[6:7]
	v_mul_f64 v[8:9], v[12:13], v[8:9]
	v_mov_b32_e32 v12, 0x7ff80000
	s_and_b64 s[6:7], s[6:7], s[18:19]
	v_mov_b32_e32 v13, 0xfff00000
	s_and_b64 s[6:7], s[6:7], exec
	v_cndmask_b32_e32 v7, v7, v11, vcc
	v_cndmask_b32_e32 v6, v6, v10, vcc
	v_add_f64 v[6:7], v[6:7], 1.0
	v_cmp_ngt_f64_e32 vcc, 0, v[10:11]
	v_fma_f64 v[14:15], v[4:5], v[8:9], v[4:5]
	s_or_b64 s[14:15], s[14:15], s[6:7]
	v_cndmask_b32_e32 v4, v12, v7, vcc
	v_cmp_nge_f64_e32 vcc, 0, v[10:11]
	v_cndmask_b32_e32 v12, 0, v6, vcc
	v_cmp_neq_f64_e32 vcc, 0, v[10:11]
	v_cndmask_b32_e32 v13, v13, v4, vcc
.LBB54_75:
	s_or_b64 exec, exec, s[16:17]
	s_mov_b32 s6, 0x54442d18
	s_mov_b32 s7, 0x3ff921fb
	s_waitcnt lgkmcnt(0)
	v_add_f64 v[4:5], -v[14:15], s[6:7]
	s_mov_b32 s7, 0x400921fb
	v_mov_b32_e32 v8, 0x3fe921fb
	v_mov_b32_e32 v9, 0x4002d97c
	v_ashrrev_i32_e32 v11, 31, v3
	v_cmp_gt_i32_e32 vcc, 0, v3
	v_mov_b32_e32 v10, 0x54442d18
	v_cndmask_b32_e32 v8, v8, v9, vcc
	v_cndmask_b32_e64 v5, v15, v5, s[4:5]
	v_cndmask_b32_e64 v4, v14, v4, s[4:5]
	v_add_f64 v[6:7], -v[4:5], s[6:7]
	v_cmp_eq_f64_e64 s[4:5], 0, v[0:1]
	v_and_b32_e32 v9, 0x400921fb, v11
	s_brev_b32 s6, -2
	v_cndmask_b32_e32 v5, v5, v7, vcc
	v_mov_b32_e32 v7, 0x7f3321d2
	v_cndmask_b32_e32 v7, v10, v7, vcc
	v_and_b32_e32 v10, 0x54442d18, v11
	v_cndmask_b32_e32 v4, v4, v6, vcc
	v_cndmask_b32_e64 v5, v5, v9, s[4:5]
	v_cndmask_b32_e64 v5, v5, v8, s[14:15]
	;; [unrolled: 1-line block ×4, first 2 shown]
	v_bfi_b32 v11, s6, v5, v1
                                        ; implicit-def: $vgpr4_vgpr5
.LBB54_76:
	s_andn2_saveexec_b64 s[14:15], s[8:9]
	s_cbranch_execz .LBB54_86
; %bb.77:
	v_cmp_gt_f64_e64 s[4:5], |v[0:1]|, -v[2:3]
	v_and_b32_e32 v10, 0x7fffffff, v1
	v_xor_b32_e32 v14, 0x80000000, v3
	s_mov_b32 s6, -1
	s_mov_b32 s7, 0x7fdfffff
	v_mov_b32_e32 v15, v2
                                        ; implicit-def: $sgpr16_sgpr17
                                        ; implicit-def: $vgpr12_vgpr13
                                        ; implicit-def: $vgpr8_vgpr9
	v_cndmask_b32_e64 v7, v14, v10, s[4:5]
	v_cndmask_b32_e64 v6, v2, v0, s[4:5]
	v_cmp_nlt_f64_e32 vcc, s[6:7], v[6:7]
	s_and_saveexec_b64 s[6:7], vcc
	s_xor_b64 s[18:19], exec, s[6:7]
	s_cbranch_execz .LBB54_83
; %bb.78:
	s_mov_b32 s6, 0
	s_mov_b32 s7, 0x20200000
	v_cmp_nlt_f64_e32 vcc, s[6:7], v[6:7]
	s_mov_b32 s6, 0
	v_cndmask_b32_e64 v11, v10, v14, s[4:5]
	v_cndmask_b32_e64 v10, v0, v15, s[4:5]
	s_brev_b32 s7, 4
	v_cmp_ngt_f64_e64 s[6:7], s[6:7], v[10:11]
                                        ; implicit-def: $sgpr16_sgpr17
                                        ; implicit-def: $vgpr12_vgpr13
                                        ; implicit-def: $vgpr8_vgpr9
	s_and_b64 s[6:7], vcc, s[6:7]
	s_and_saveexec_b64 s[8:9], s[6:7]
	s_xor_b64 s[8:9], exec, s[8:9]
	s_cbranch_execz .LBB54_80
; %bb.79:
	v_mul_f64 v[8:9], v[10:11], v[10:11]
	s_mov_b32 s17, 0x3fe55555
	s_mov_b32 s16, 0x55555555
	v_max_f64 v[19:20], -v[2:3], -v[2:3]
	v_fma_f64 v[6:7], v[6:7], v[6:7], v[8:9]
	s_waitcnt lgkmcnt(0)
	v_max_f64 v[25:26], v[19:20], v[4:5]
	v_min_f64 v[4:5], v[19:20], v[4:5]
	v_frexp_mant_f64_e32 v[8:9], v[6:7]
	v_div_scale_f64 v[19:20], s[20:21], v[25:26], v[25:26], v[4:5]
	s_mov_b32 s20, 0xbf559e2b
	s_mov_b32 s21, 0x3fc3ab76
	v_cmp_gt_f64_e64 s[6:7], s[16:17], v[8:9]
	s_mov_b32 s16, 0x55555780
	v_cndmask_b32_e64 v10, 0, 1, s[6:7]
	v_ldexp_f64 v[8:9], v[8:9], v10
	v_add_f64 v[10:11], v[8:9], 1.0
	v_add_f64 v[17:18], v[8:9], -1.0
	v_rcp_f64_e32 v[12:13], v[10:11]
	v_add_f64 v[21:22], v[10:11], -1.0
	v_add_f64 v[8:9], v[8:9], -v[21:22]
	v_rcp_f64_e32 v[21:22], v[19:20]
	v_fma_f64 v[15:16], -v[10:11], v[12:13], 1.0
	v_fma_f64 v[12:13], v[15:16], v[12:13], v[12:13]
	v_fma_f64 v[29:30], -v[19:20], v[21:22], 1.0
	v_fma_f64 v[15:16], -v[10:11], v[12:13], 1.0
	v_fma_f64 v[12:13], v[15:16], v[12:13], v[12:13]
	v_mul_f64 v[15:16], v[17:18], v[12:13]
	v_mul_f64 v[23:24], v[10:11], v[15:16]
	v_fma_f64 v[10:11], v[15:16], v[10:11], -v[23:24]
	v_fma_f64 v[8:9], v[15:16], v[8:9], v[10:11]
	v_add_f64 v[10:11], v[23:24], v[8:9]
	v_add_f64 v[27:28], v[17:18], -v[10:11]
	v_add_f64 v[23:24], v[10:11], -v[23:24]
	;; [unrolled: 1-line block ×4, first 2 shown]
	v_mov_b32_e32 v23, 0x6b47b09a
	v_mov_b32_e32 v24, 0x3fc38538
	v_add_f64 v[10:11], v[17:18], -v[10:11]
	v_fma_f64 v[17:18], v[21:22], v[29:30], v[21:22]
	v_add_f64 v[8:9], v[8:9], v[10:11]
	v_div_scale_f64 v[10:11], vcc, v[4:5], v[25:26], v[4:5]
	v_fma_f64 v[21:22], -v[19:20], v[17:18], 1.0
	v_add_f64 v[8:9], v[27:28], v[8:9]
	v_fma_f64 v[17:18], v[17:18], v[21:22], v[17:18]
	v_mul_f64 v[8:9], v[12:13], v[8:9]
	v_mul_f64 v[12:13], v[10:11], v[17:18]
	v_add_f64 v[21:22], v[15:16], v[8:9]
	v_fma_f64 v[10:11], -v[19:20], v[12:13], v[10:11]
	v_mul_f64 v[19:20], v[21:22], v[21:22]
	v_add_f64 v[15:16], v[21:22], -v[15:16]
	v_div_fmas_f64 v[10:11], v[10:11], v[17:18], v[12:13]
	v_mov_b32_e32 v17, 0xbd3237f4
	v_mov_b32_e32 v18, 0xbf23e260
	v_fma_f64 v[12:13], v[19:20], s[20:21], v[23:24]
	s_mov_b32 s20, 0xd7f4df2e
	s_mov_b32 s21, 0x3fc7474d
	v_mul_f64 v[23:24], v[21:22], v[19:20]
	v_add_f64 v[8:9], v[8:9], -v[15:16]
	v_fma_f64 v[12:13], v[19:20], v[12:13], s[20:21]
	s_mov_b32 s20, 0x16291751
	s_mov_b32 s21, 0x3fcc71c0
	v_div_fixup_f64 v[4:5], v[10:11], v[25:26], v[4:5]
	v_ldexp_f64 v[8:9], v[8:9], 1
	v_fma_f64 v[10:11], v[19:20], v[12:13], s[20:21]
	s_mov_b32 s20, 0x9b27acf1
	s_mov_b32 s21, 0x3fd24924
	v_mul_f64 v[12:13], v[4:5], v[4:5]
	v_fma_f64 v[10:11], v[19:20], v[10:11], s[20:21]
	s_mov_b32 s20, 0xb5e68a13
	s_mov_b32 s21, 0x3eeba404
	v_fma_f64 v[17:18], v[12:13], s[20:21], v[17:18]
	s_mov_b32 s20, 0x998ef7b6
	s_mov_b32 s21, 0x3fd99999
	;; [unrolled: 3-line block ×5, first 2 shown]
	v_fma_f64 v[17:18], v[12:13], v[17:18], s[16:17]
	v_ldexp_f64 v[19:20], v[21:22], 1
	s_mov_b32 s16, 0xfefa39ef
	s_mov_b32 s17, 0x3fe62e42
	v_mul_f64 v[10:11], v[23:24], v[10:11]
	v_frexp_exp_i32_f64_e32 v23, v[6:7]
	v_fma_f64 v[17:18], v[12:13], v[17:18], s[20:21]
	s_mov_b32 s20, 0xa57d9582
	s_mov_b32 s21, 0xbf8c6ea4
	v_add_f64 v[21:22], v[19:20], v[10:11]
	v_subbrev_co_u32_e64 v23, vcc, 0, v23, s[6:7]
	v_cvt_f64_i32_e32 v[23:24], v23
	v_fma_f64 v[17:18], v[12:13], v[17:18], s[20:21]
	s_mov_b32 s6, 0x5f08b19f
	s_mov_b32 s7, 0x3f967e29
	v_mul_f64 v[25:26], v[23:24], s[16:17]
	v_add_f64 v[15:16], v[21:22], -v[19:20]
	v_fma_f64 v[17:18], v[12:13], v[17:18], s[6:7]
	s_mov_b32 s6, 0xfc27006a
	s_mov_b32 s7, 0xbf9e9ae6
	v_fma_f64 v[19:20], v[23:24], s[16:17], -v[25:26]
	v_add_f64 v[10:11], v[10:11], -v[15:16]
	s_movk_i32 s16, 0x204
	v_cmp_class_f64_e64 vcc, v[6:7], s16
	v_cmp_class_f64_e64 s[16:17], v[0:1], s16
	v_fma_f64 v[15:16], v[12:13], v[17:18], s[6:7]
	s_mov_b32 s6, 0x3b39803f
	s_mov_b32 s7, 0x3c7abc9e
	v_fma_f64 v[17:18], v[23:24], s[6:7], v[19:20]
	v_add_f64 v[8:9], v[8:9], v[10:11]
	s_mov_b32 s6, 0x5711927a
	s_mov_b32 s7, 0x3fa2c15b
	v_fma_f64 v[10:11], v[12:13], v[15:16], s[6:7]
	s_mov_b32 s6, 0xe82d3ff0
	s_mov_b32 s7, 0xbfa59976
	v_add_f64 v[15:16], v[25:26], v[17:18]
	v_add_f64 v[19:20], v[21:22], v[8:9]
	v_fma_f64 v[10:11], v[12:13], v[10:11], s[6:7]
	s_mov_b32 s6, 0x6ef28734
	s_mov_b32 s7, 0x3fa82d5d
	v_add_f64 v[25:26], v[15:16], -v[25:26]
	v_add_f64 v[23:24], v[15:16], v[19:20]
	v_add_f64 v[21:22], v[19:20], -v[21:22]
	v_fma_f64 v[10:11], v[12:13], v[10:11], s[6:7]
	s_mov_b32 s6, 0x6a214619
	s_mov_b32 s7, 0xbfaae5ce
	v_add_f64 v[17:18], v[17:18], -v[25:26]
	v_add_f64 v[27:28], v[23:24], -v[15:16]
	v_add_f64 v[8:9], v[8:9], -v[21:22]
	v_fma_f64 v[10:11], v[12:13], v[10:11], s[6:7]
	s_mov_b32 s6, 0x8427b883
	s_mov_b32 s7, 0x3fae1bb4
	v_add_f64 v[29:30], v[23:24], -v[27:28]
	v_add_f64 v[19:20], v[19:20], -v[27:28]
	v_add_f64 v[21:22], v[17:18], v[8:9]
	v_fma_f64 v[10:11], v[12:13], v[10:11], s[6:7]
	s_mov_b32 s6, 0x8b207f05
	s_mov_b32 s7, 0xbfb110e4
	v_add_f64 v[15:16], v[15:16], -v[29:30]
	v_fma_f64 v[10:11], v[12:13], v[10:11], s[6:7]
	s_mov_b32 s6, 0x57b87036
	s_mov_b32 s7, 0x3fb3b136
	v_add_f64 v[15:16], v[19:20], v[15:16]
	v_add_f64 v[19:20], v[21:22], -v[17:18]
	v_fma_f64 v[10:11], v[12:13], v[10:11], s[6:7]
	s_mov_b32 s6, 0x19378e4f
	s_mov_b32 s7, 0xbfb745d1
	v_add_f64 v[15:16], v[21:22], v[15:16]
	v_add_f64 v[21:22], v[21:22], -v[19:20]
	v_add_f64 v[8:9], v[8:9], -v[19:20]
	v_fma_f64 v[10:11], v[12:13], v[10:11], s[6:7]
	s_mov_b32 s6, 0x17e1913c
	s_mov_b32 s7, 0x3fbc71c7
	v_add_f64 v[25:26], v[23:24], v[15:16]
	v_add_f64 v[17:18], v[17:18], -v[21:22]
	v_fma_f64 v[10:11], v[12:13], v[10:11], s[6:7]
	s_mov_b32 s6, 0x92376b7d
	s_mov_b32 s7, 0xbfc24924
	v_add_f64 v[19:20], v[25:26], -v[23:24]
	v_add_f64 v[8:9], v[8:9], v[17:18]
	v_fma_f64 v[10:11], v[12:13], v[10:11], s[6:7]
	s_mov_b32 s6, 0x999952cc
	s_mov_b32 s7, 0x3fc99999
	v_add_f64 v[15:16], v[15:16], -v[19:20]
	v_fma_f64 v[10:11], v[12:13], v[10:11], s[6:7]
	s_mov_b32 s6, 0x55555523
	s_mov_b32 s7, 0xbfd55555
	v_add_f64 v[8:9], v[8:9], v[15:16]
	v_mov_b32_e32 v15, 0xfff00000
	v_fma_f64 v[10:11], v[12:13], v[10:11], s[6:7]
	s_mov_b32 s6, 0
	s_mov_b32 s7, 0xfff00000
	v_cmp_eq_f64_e64 s[6:7], s[6:7], v[2:3]
	v_add_f64 v[8:9], v[25:26], v[8:9]
	v_mul_f64 v[10:11], v[12:13], v[10:11]
	s_and_b64 s[16:17], s[6:7], s[16:17]
	v_cndmask_b32_e32 v9, v9, v7, vcc
	v_cndmask_b32_e32 v8, v8, v6, vcc
	v_mul_f64 v[12:13], v[8:9], 0.5
	v_cmp_neq_f64_e32 vcc, 0, v[6:7]
	v_fma_f64 v[8:9], v[4:5], v[10:11], v[4:5]
                                        ; implicit-def: $vgpr4_vgpr5
	v_cndmask_b32_e32 v13, v15, v13, vcc
	v_cndmask_b32_e32 v12, 0, v12, vcc
.LBB54_80:
	s_andn2_saveexec_b64 s[20:21], s[8:9]
	s_cbranch_execz .LBB54_82
; %bb.81:
	v_max_f64 v[8:9], -v[2:3], -v[2:3]
	s_mov_b32 s6, 0
	s_mov_b32 s7, 0xfff00000
	s_movk_i32 s26, 0x204
	v_cmp_eq_f64_e64 s[6:7], s[6:7], v[2:3]
	v_cmp_class_f64_e64 s[22:23], v[0:1], s26
	s_mov_b32 s25, 0x3fe55555
	s_mov_b32 s24, 0x55555555
	s_waitcnt lgkmcnt(0)
	v_max_f64 v[10:11], v[8:9], v[4:5]
	v_min_f64 v[4:5], v[8:9], v[4:5]
	s_mov_b32 s40, 0xb5e68a13
	s_mov_b32 s41, 0x3eeba404
	v_frexp_exp_i32_f64_e32 v19, v[10:11]
	v_div_scale_f64 v[25:26], s[28:29], v[10:11], v[10:11], v[4:5]
	s_mov_b32 s28, 0xbf559e2b
	s_mov_b32 s29, 0x3fc3ab76
	v_sub_u32_e32 v12, 0, v19
	v_ldexp_f64 v[6:7], |v[0:1]|, v12
	v_ldexp_f64 v[12:13], -v[2:3], v12
	v_mul_f64 v[6:7], v[6:7], v[6:7]
	v_fma_f64 v[6:7], v[12:13], v[12:13], v[6:7]
	v_rsq_f64_e32 v[12:13], v[6:7]
	v_cmp_eq_f64_e32 vcc, 0, v[6:7]
	v_mul_f64 v[15:16], v[6:7], v[12:13]
	v_mul_f64 v[12:13], v[12:13], 0.5
	v_fma_f64 v[17:18], -v[12:13], v[15:16], 0.5
	v_fma_f64 v[15:16], v[15:16], v[17:18], v[15:16]
	v_fma_f64 v[12:13], v[12:13], v[17:18], v[12:13]
	v_fma_f64 v[17:18], -v[15:16], v[15:16], v[6:7]
	v_fma_f64 v[12:13], v[17:18], v[12:13], v[15:16]
	v_cndmask_b32_e32 v7, v13, v7, vcc
	v_cndmask_b32_e32 v6, v12, v6, vcc
	v_ldexp_f64 v[6:7], v[6:7], v19
	v_mov_b32_e32 v12, 0x7ff00000
	s_or_b64 vcc, s[6:7], s[22:23]
	s_and_b64 s[6:7], s[6:7], s[22:23]
	s_and_b64 s[6:7], s[6:7], exec
	v_cndmask_b32_e32 v7, v7, v12, vcc
	v_cndmask_b32_e64 v6, v6, 0, vcc
	v_frexp_mant_f64_e32 v[12:13], v[6:7]
	v_cmp_gt_f64_e64 s[8:9], s[24:25], v[12:13]
	s_mov_b32 s24, 0x55555780
	v_cndmask_b32_e64 v15, 0, 1, s[8:9]
	v_ldexp_f64 v[12:13], v[12:13], v15
	v_add_f64 v[15:16], v[12:13], 1.0
	v_add_f64 v[21:22], v[12:13], -1.0
	v_rcp_f64_e32 v[17:18], v[15:16]
	v_add_f64 v[8:9], v[15:16], -1.0
	v_add_f64 v[8:9], v[12:13], -v[8:9]
	v_fma_f64 v[19:20], -v[15:16], v[17:18], 1.0
	v_fma_f64 v[17:18], v[19:20], v[17:18], v[17:18]
	v_fma_f64 v[19:20], -v[15:16], v[17:18], 1.0
	v_fma_f64 v[17:18], v[19:20], v[17:18], v[17:18]
	v_mul_f64 v[19:20], v[21:22], v[17:18]
	v_mul_f64 v[23:24], v[15:16], v[19:20]
	v_fma_f64 v[12:13], v[19:20], v[15:16], -v[23:24]
	v_fma_f64 v[8:9], v[19:20], v[8:9], v[12:13]
	v_rcp_f64_e32 v[12:13], v[25:26]
	v_add_f64 v[15:16], v[23:24], v[8:9]
	v_add_f64 v[27:28], v[21:22], -v[15:16]
	v_fma_f64 v[29:30], -v[25:26], v[12:13], 1.0
	v_add_f64 v[23:24], v[15:16], -v[23:24]
	v_add_f64 v[21:22], v[21:22], -v[27:28]
	v_fma_f64 v[12:13], v[12:13], v[29:30], v[12:13]
	v_add_f64 v[8:9], v[23:24], -v[8:9]
	v_add_f64 v[15:16], v[21:22], -v[15:16]
	v_div_scale_f64 v[21:22], vcc, v[4:5], v[10:11], v[4:5]
	v_fma_f64 v[23:24], -v[25:26], v[12:13], 1.0
	v_add_f64 v[8:9], v[8:9], v[15:16]
	v_fma_f64 v[12:13], v[12:13], v[23:24], v[12:13]
	v_add_f64 v[8:9], v[27:28], v[8:9]
	v_mul_f64 v[15:16], v[21:22], v[12:13]
	v_mul_f64 v[8:9], v[17:18], v[8:9]
	v_fma_f64 v[17:18], -v[25:26], v[15:16], v[21:22]
	v_add_f64 v[21:22], v[19:20], v[8:9]
	v_div_fmas_f64 v[12:13], v[17:18], v[12:13], v[15:16]
	v_mov_b32_e32 v17, 0x6b47b09a
	v_mov_b32_e32 v18, 0x3fc38538
	v_mul_f64 v[15:16], v[21:22], v[21:22]
	v_add_f64 v[19:20], v[21:22], -v[19:20]
	v_fma_f64 v[17:18], v[15:16], s[28:29], v[17:18]
	s_mov_b32 s28, 0xd7f4df2e
	s_mov_b32 s29, 0x3fc7474d
	v_div_fixup_f64 v[4:5], v[12:13], v[10:11], v[4:5]
	v_mul_f64 v[23:24], v[21:22], v[15:16]
	v_add_f64 v[8:9], v[8:9], -v[19:20]
	v_fma_f64 v[10:11], v[15:16], v[17:18], s[28:29]
	s_mov_b32 s28, 0x16291751
	s_mov_b32 s29, 0x3fcc71c0
	v_mul_f64 v[12:13], v[4:5], v[4:5]
	v_mov_b32_e32 v17, 0xbd3237f4
	v_mov_b32_e32 v18, 0xbf23e260
	v_ldexp_f64 v[8:9], v[8:9], 1
	v_fma_f64 v[10:11], v[15:16], v[10:11], s[28:29]
	s_mov_b32 s28, 0x9b27acf1
	s_mov_b32 s29, 0x3fd24924
	v_fma_f64 v[17:18], v[12:13], s[40:41], v[17:18]
	s_mov_b32 s40, 0x69efb384
	s_mov_b32 s41, 0x3f4b2bb0
	;; [unrolled: 3-line block ×3, first 2 shown]
	v_fma_f64 v[17:18], v[12:13], v[17:18], s[40:41]
	v_fma_f64 v[10:11], v[15:16], v[10:11], s[28:29]
	s_mov_b32 s28, 0xaf56de9b
	s_mov_b32 s29, 0xbf67952d
	v_fma_f64 v[17:18], v[12:13], v[17:18], s[28:29]
	s_mov_b32 s28, 0xa57d9582
	s_mov_b32 s29, 0xbf8c6ea4
	;; [unrolled: 3-line block ×3, first 2 shown]
	v_fma_f64 v[15:16], v[12:13], v[17:18], s[24:25]
	v_ldexp_f64 v[17:18], v[21:22], 1
	s_mov_b32 s24, 0xfefa39ef
	s_mov_b32 s25, 0x3fe62e42
	v_mul_f64 v[10:11], v[23:24], v[10:11]
	v_frexp_exp_i32_f64_e32 v23, v[6:7]
	v_fma_f64 v[15:16], v[12:13], v[15:16], s[28:29]
	v_add_f64 v[21:22], v[17:18], v[10:11]
	v_subbrev_co_u32_e64 v23, vcc, 0, v23, s[8:9]
	v_cvt_f64_i32_e32 v[23:24], v23
	s_mov_b32 s8, 0x5f08b19f
	s_mov_b32 s9, 0x3f967e29
	v_fma_f64 v[15:16], v[12:13], v[15:16], s[8:9]
	v_mul_f64 v[25:26], v[23:24], s[24:25]
	v_add_f64 v[17:18], v[21:22], -v[17:18]
	s_mov_b32 s8, 0xfc27006a
	s_mov_b32 s9, 0xbf9e9ae6
	v_cmp_class_f64_e64 vcc, v[6:7], s26
	v_fma_f64 v[15:16], v[12:13], v[15:16], s[8:9]
	v_fma_f64 v[19:20], v[23:24], s[24:25], -v[25:26]
	v_add_f64 v[10:11], v[10:11], -v[17:18]
	s_mov_b32 s8, 0x3b39803f
	s_mov_b32 s24, 0x5711927a
	;; [unrolled: 1-line block ×4, first 2 shown]
	v_fma_f64 v[15:16], v[12:13], v[15:16], s[24:25]
	v_fma_f64 v[17:18], v[23:24], s[8:9], v[19:20]
	v_add_f64 v[8:9], v[8:9], v[10:11]
	s_mov_b32 s8, 0xe82d3ff0
	s_mov_b32 s9, 0xbfa59976
	v_fma_f64 v[10:11], v[12:13], v[15:16], s[8:9]
	v_add_f64 v[15:16], v[25:26], v[17:18]
	v_add_f64 v[19:20], v[21:22], v[8:9]
	s_mov_b32 s8, 0x6ef28734
	s_mov_b32 s9, 0x3fa82d5d
	v_fma_f64 v[10:11], v[12:13], v[10:11], s[8:9]
	s_mov_b32 s8, 0x6a214619
	v_add_f64 v[23:24], v[15:16], v[19:20]
	s_mov_b32 s9, 0xbfaae5ce
	v_add_f64 v[25:26], v[15:16], -v[25:26]
	v_add_f64 v[21:22], v[19:20], -v[21:22]
	v_fma_f64 v[10:11], v[12:13], v[10:11], s[8:9]
	s_mov_b32 s8, 0x8427b883
	v_add_f64 v[27:28], v[23:24], -v[15:16]
	s_mov_b32 s9, 0x3fae1bb4
	v_add_f64 v[17:18], v[17:18], -v[25:26]
	v_add_f64 v[8:9], v[8:9], -v[21:22]
	v_fma_f64 v[10:11], v[12:13], v[10:11], s[8:9]
	s_mov_b32 s8, 0x8b207f05
	v_add_f64 v[29:30], v[23:24], -v[27:28]
	s_mov_b32 s9, 0xbfb110e4
	v_add_f64 v[19:20], v[19:20], -v[27:28]
	v_add_f64 v[21:22], v[17:18], v[8:9]
	v_fma_f64 v[10:11], v[12:13], v[10:11], s[8:9]
	s_mov_b32 s8, 0x57b87036
	v_add_f64 v[15:16], v[15:16], -v[29:30]
	s_mov_b32 s9, 0x3fb3b136
	v_fma_f64 v[10:11], v[12:13], v[10:11], s[8:9]
	s_mov_b32 s8, 0x19378e4f
	v_add_f64 v[15:16], v[19:20], v[15:16]
	s_mov_b32 s9, 0xbfb745d1
	v_add_f64 v[19:20], v[21:22], -v[17:18]
	v_fma_f64 v[10:11], v[12:13], v[10:11], s[8:9]
	s_mov_b32 s8, 0x17e1913c
	v_add_f64 v[15:16], v[21:22], v[15:16]
	s_mov_b32 s9, 0x3fbc71c7
	v_add_f64 v[21:22], v[21:22], -v[19:20]
	v_add_f64 v[8:9], v[8:9], -v[19:20]
	v_fma_f64 v[10:11], v[12:13], v[10:11], s[8:9]
	s_mov_b32 s8, 0x92376b7d
	v_add_f64 v[25:26], v[23:24], v[15:16]
	s_mov_b32 s9, 0xbfc24924
	v_add_f64 v[17:18], v[17:18], -v[21:22]
	v_fma_f64 v[10:11], v[12:13], v[10:11], s[8:9]
	s_mov_b32 s8, 0x999952cc
	v_add_f64 v[19:20], v[25:26], -v[23:24]
	s_mov_b32 s9, 0x3fc99999
	v_add_f64 v[8:9], v[8:9], v[17:18]
	v_fma_f64 v[10:11], v[12:13], v[10:11], s[8:9]
	s_mov_b32 s8, 0x55555523
	v_add_f64 v[15:16], v[15:16], -v[19:20]
	s_mov_b32 s9, 0xbfd55555
	v_fma_f64 v[10:11], v[12:13], v[10:11], s[8:9]
	s_andn2_b64 s[8:9], s[16:17], exec
	v_add_f64 v[8:9], v[8:9], v[15:16]
	v_mov_b32_e32 v15, 0x7ff80000
	v_mov_b32_e32 v16, 0xfff00000
	s_or_b64 s[16:17], s[8:9], s[6:7]
	v_mul_f64 v[10:11], v[12:13], v[10:11]
	v_add_f64 v[12:13], v[25:26], v[8:9]
	v_fma_f64 v[8:9], v[4:5], v[10:11], v[4:5]
	v_cndmask_b32_e32 v4, v12, v6, vcc
	v_cndmask_b32_e32 v5, v13, v7, vcc
	v_cmp_ngt_f64_e32 vcc, 0, v[6:7]
	v_cndmask_b32_e32 v5, v15, v5, vcc
	v_cmp_nge_f64_e32 vcc, 0, v[6:7]
	v_cndmask_b32_e32 v12, 0, v4, vcc
	v_cmp_neq_f64_e32 vcc, 0, v[6:7]
	v_cndmask_b32_e32 v13, v16, v5, vcc
.LBB54_82:
	s_or_b64 exec, exec, s[20:21]
                                        ; implicit-def: $vgpr4_vgpr5
.LBB54_83:
	s_andn2_saveexec_b64 s[8:9], s[18:19]
	s_cbranch_execz .LBB54_85
; %bb.84:
	s_mov_b32 s18, 0x8b145769
	s_mov_b32 s19, 0xc005bf0a
	v_div_scale_f64 v[6:7], s[6:7], s[18:19], s[18:19], v[2:3]
	v_div_scale_f64 v[8:9], s[6:7], s[18:19], s[18:19], v[0:1]
	;; [unrolled: 1-line block ×3, first 2 shown]
	s_movk_i32 s20, 0x204
	s_andn2_b64 s[16:17], s[16:17], exec
	v_rcp_f64_e32 v[10:11], v[6:7]
	v_rcp_f64_e32 v[12:13], v[8:9]
	v_fma_f64 v[15:16], -v[6:7], v[10:11], 1.0
	v_fma_f64 v[17:18], -v[8:9], v[12:13], 1.0
	v_fma_f64 v[10:11], v[10:11], v[15:16], v[10:11]
	v_div_scale_f64 v[15:16], vcc, v[2:3], s[18:19], v[2:3]
	v_fma_f64 v[12:13], v[12:13], v[17:18], v[12:13]
	v_fma_f64 v[17:18], -v[6:7], v[10:11], 1.0
	v_fma_f64 v[21:22], -v[8:9], v[12:13], 1.0
	v_fma_f64 v[10:11], v[10:11], v[17:18], v[10:11]
	v_fma_f64 v[12:13], v[12:13], v[21:22], v[12:13]
	v_mul_f64 v[17:18], v[15:16], v[10:11]
	v_mul_f64 v[21:22], v[19:20], v[12:13]
	v_fma_f64 v[6:7], -v[6:7], v[17:18], v[15:16]
	v_fma_f64 v[8:9], -v[8:9], v[21:22], v[19:20]
	v_div_fmas_f64 v[6:7], v[6:7], v[10:11], v[17:18]
	s_mov_b64 vcc, s[6:7]
	v_div_fmas_f64 v[8:9], v[8:9], v[12:13], v[21:22]
	v_div_fixup_f64 v[6:7], v[6:7], s[18:19], v[2:3]
	v_div_fixup_f64 v[8:9], v[8:9], s[18:19], v[0:1]
	v_cmp_class_f64_e64 s[6:7], v[6:7], s20
	v_max_f64 v[10:11], |v[6:7]|, |v[8:9]|
	v_cmp_class_f64_e64 s[18:19], v[8:9], s20
	v_frexp_exp_i32_f64_e32 v19, v[10:11]
	v_sub_u32_e32 v12, 0, v19
	v_ldexp_f64 v[10:11], |v[8:9]|, v12
	v_ldexp_f64 v[12:13], |v[6:7]|, v12
	v_mov_b32_e32 v8, 0x7ff00000
	v_mul_f64 v[10:11], v[10:11], v[10:11]
	v_fma_f64 v[10:11], v[12:13], v[12:13], v[10:11]
	v_rsq_f64_e32 v[12:13], v[10:11]
	v_cmp_eq_f64_e32 vcc, 0, v[10:11]
	v_mul_f64 v[15:16], v[10:11], v[12:13]
	v_mul_f64 v[12:13], v[12:13], 0.5
	v_fma_f64 v[17:18], -v[12:13], v[15:16], 0.5
	v_fma_f64 v[15:16], v[15:16], v[17:18], v[15:16]
	v_fma_f64 v[12:13], v[12:13], v[17:18], v[12:13]
	v_fma_f64 v[17:18], -v[15:16], v[15:16], v[10:11]
	v_fma_f64 v[12:13], v[17:18], v[12:13], v[15:16]
	v_cndmask_b32_e32 v7, v13, v11, vcc
	v_cndmask_b32_e32 v6, v12, v10, vcc
	v_ldexp_f64 v[6:7], v[6:7], v19
	s_or_b64 vcc, s[18:19], s[6:7]
	s_mov_b32 s19, 0x3fe55555
	s_mov_b32 s18, 0x55555555
	v_max_f64 v[19:20], -v[2:3], -v[2:3]
	v_cndmask_b32_e32 v7, v7, v8, vcc
	v_cndmask_b32_e64 v6, v6, 0, vcc
	v_frexp_mant_f64_e32 v[8:9], v[6:7]
	s_waitcnt lgkmcnt(0)
	v_max_f64 v[25:26], v[19:20], v[4:5]
	v_min_f64 v[4:5], v[19:20], v[4:5]
	v_cmp_gt_f64_e64 s[6:7], s[18:19], v[8:9]
	s_mov_b32 s18, 0x55555780
	v_div_scale_f64 v[19:20], s[22:23], v[25:26], v[25:26], v[4:5]
	s_mov_b32 s22, 0xbf559e2b
	s_mov_b32 s23, 0x3fc3ab76
	v_cndmask_b32_e64 v10, 0, 1, s[6:7]
	v_ldexp_f64 v[8:9], v[8:9], v10
	v_add_f64 v[10:11], v[8:9], 1.0
	v_add_f64 v[17:18], v[8:9], -1.0
	v_rcp_f64_e32 v[12:13], v[10:11]
	v_add_f64 v[21:22], v[10:11], -1.0
	v_add_f64 v[8:9], v[8:9], -v[21:22]
	v_rcp_f64_e32 v[21:22], v[19:20]
	v_fma_f64 v[15:16], -v[10:11], v[12:13], 1.0
	v_fma_f64 v[12:13], v[15:16], v[12:13], v[12:13]
	v_fma_f64 v[29:30], -v[19:20], v[21:22], 1.0
	v_fma_f64 v[15:16], -v[10:11], v[12:13], 1.0
	v_fma_f64 v[12:13], v[15:16], v[12:13], v[12:13]
	v_mul_f64 v[15:16], v[17:18], v[12:13]
	v_mul_f64 v[23:24], v[10:11], v[15:16]
	v_fma_f64 v[10:11], v[15:16], v[10:11], -v[23:24]
	v_fma_f64 v[8:9], v[15:16], v[8:9], v[10:11]
	v_add_f64 v[10:11], v[23:24], v[8:9]
	v_add_f64 v[27:28], v[17:18], -v[10:11]
	v_add_f64 v[23:24], v[10:11], -v[23:24]
	;; [unrolled: 1-line block ×4, first 2 shown]
	v_mov_b32_e32 v23, 0x6b47b09a
	v_mov_b32_e32 v24, 0x3fc38538
	v_add_f64 v[10:11], v[17:18], -v[10:11]
	v_fma_f64 v[17:18], v[21:22], v[29:30], v[21:22]
	v_add_f64 v[8:9], v[8:9], v[10:11]
	v_div_scale_f64 v[10:11], vcc, v[4:5], v[25:26], v[4:5]
	v_fma_f64 v[21:22], -v[19:20], v[17:18], 1.0
	v_add_f64 v[8:9], v[27:28], v[8:9]
	v_fma_f64 v[17:18], v[17:18], v[21:22], v[17:18]
	v_mul_f64 v[8:9], v[12:13], v[8:9]
	v_mul_f64 v[12:13], v[10:11], v[17:18]
	v_add_f64 v[21:22], v[15:16], v[8:9]
	v_fma_f64 v[10:11], -v[19:20], v[12:13], v[10:11]
	v_mul_f64 v[19:20], v[21:22], v[21:22]
	v_add_f64 v[15:16], v[21:22], -v[15:16]
	v_div_fmas_f64 v[10:11], v[10:11], v[17:18], v[12:13]
	v_mov_b32_e32 v17, 0xbd3237f4
	v_mov_b32_e32 v18, 0xbf23e260
	v_fma_f64 v[12:13], v[19:20], s[22:23], v[23:24]
	s_mov_b32 s22, 0xd7f4df2e
	s_mov_b32 s23, 0x3fc7474d
	v_mul_f64 v[23:24], v[21:22], v[19:20]
	v_add_f64 v[8:9], v[8:9], -v[15:16]
	v_fma_f64 v[12:13], v[19:20], v[12:13], s[22:23]
	s_mov_b32 s22, 0x16291751
	s_mov_b32 s23, 0x3fcc71c0
	v_div_fixup_f64 v[4:5], v[10:11], v[25:26], v[4:5]
	v_ldexp_f64 v[8:9], v[8:9], 1
	v_fma_f64 v[10:11], v[19:20], v[12:13], s[22:23]
	s_mov_b32 s22, 0x9b27acf1
	s_mov_b32 s23, 0x3fd24924
	v_mul_f64 v[12:13], v[4:5], v[4:5]
	v_fma_f64 v[10:11], v[19:20], v[10:11], s[22:23]
	s_mov_b32 s22, 0xb5e68a13
	s_mov_b32 s23, 0x3eeba404
	v_fma_f64 v[17:18], v[12:13], s[22:23], v[17:18]
	s_mov_b32 s22, 0x998ef7b6
	s_mov_b32 s23, 0x3fd99999
	;; [unrolled: 3-line block ×5, first 2 shown]
	v_fma_f64 v[17:18], v[12:13], v[17:18], s[18:19]
	v_ldexp_f64 v[19:20], v[21:22], 1
	s_mov_b32 s18, 0xfefa39ef
	s_mov_b32 s19, 0x3fe62e42
	v_mul_f64 v[10:11], v[23:24], v[10:11]
	v_frexp_exp_i32_f64_e32 v23, v[6:7]
	v_fma_f64 v[17:18], v[12:13], v[17:18], s[22:23]
	s_mov_b32 s22, 0xa57d9582
	s_mov_b32 s23, 0xbf8c6ea4
	v_add_f64 v[21:22], v[19:20], v[10:11]
	v_subbrev_co_u32_e64 v23, vcc, 0, v23, s[6:7]
	v_cvt_f64_i32_e32 v[23:24], v23
	v_fma_f64 v[17:18], v[12:13], v[17:18], s[22:23]
	s_mov_b32 s6, 0x5f08b19f
	s_mov_b32 s7, 0x3f967e29
	v_mul_f64 v[25:26], v[23:24], s[18:19]
	v_add_f64 v[15:16], v[21:22], -v[19:20]
	v_cmp_class_f64_e64 vcc, v[6:7], s20
	v_fma_f64 v[17:18], v[12:13], v[17:18], s[6:7]
	s_mov_b32 s6, 0xfc27006a
	s_mov_b32 s7, 0xbf9e9ae6
	v_fma_f64 v[19:20], v[23:24], s[18:19], -v[25:26]
	v_add_f64 v[10:11], v[10:11], -v[15:16]
	v_cmp_class_f64_e64 s[18:19], v[0:1], s20
	v_fma_f64 v[15:16], v[12:13], v[17:18], s[6:7]
	s_mov_b32 s6, 0x3b39803f
	s_mov_b32 s7, 0x3c7abc9e
	v_fma_f64 v[17:18], v[23:24], s[6:7], v[19:20]
	v_add_f64 v[8:9], v[8:9], v[10:11]
	s_mov_b32 s6, 0x5711927a
	s_mov_b32 s7, 0x3fa2c15b
	v_fma_f64 v[10:11], v[12:13], v[15:16], s[6:7]
	s_mov_b32 s6, 0xe82d3ff0
	s_mov_b32 s7, 0xbfa59976
	v_add_f64 v[15:16], v[25:26], v[17:18]
	v_add_f64 v[19:20], v[21:22], v[8:9]
	v_fma_f64 v[10:11], v[12:13], v[10:11], s[6:7]
	s_mov_b32 s6, 0x6ef28734
	s_mov_b32 s7, 0x3fa82d5d
	v_add_f64 v[25:26], v[15:16], -v[25:26]
	v_add_f64 v[23:24], v[15:16], v[19:20]
	v_add_f64 v[21:22], v[19:20], -v[21:22]
	v_fma_f64 v[10:11], v[12:13], v[10:11], s[6:7]
	s_mov_b32 s6, 0x6a214619
	s_mov_b32 s7, 0xbfaae5ce
	v_add_f64 v[17:18], v[17:18], -v[25:26]
	v_add_f64 v[27:28], v[23:24], -v[15:16]
	;; [unrolled: 1-line block ×3, first 2 shown]
	v_fma_f64 v[10:11], v[12:13], v[10:11], s[6:7]
	s_mov_b32 s6, 0x8427b883
	s_mov_b32 s7, 0x3fae1bb4
	v_add_f64 v[29:30], v[23:24], -v[27:28]
	v_add_f64 v[19:20], v[19:20], -v[27:28]
	v_add_f64 v[21:22], v[17:18], v[8:9]
	v_fma_f64 v[10:11], v[12:13], v[10:11], s[6:7]
	s_mov_b32 s6, 0x8b207f05
	s_mov_b32 s7, 0xbfb110e4
	v_add_f64 v[15:16], v[15:16], -v[29:30]
	v_fma_f64 v[10:11], v[12:13], v[10:11], s[6:7]
	s_mov_b32 s6, 0x57b87036
	s_mov_b32 s7, 0x3fb3b136
	v_add_f64 v[15:16], v[19:20], v[15:16]
	v_add_f64 v[19:20], v[21:22], -v[17:18]
	v_fma_f64 v[10:11], v[12:13], v[10:11], s[6:7]
	s_mov_b32 s6, 0x19378e4f
	s_mov_b32 s7, 0xbfb745d1
	v_add_f64 v[15:16], v[21:22], v[15:16]
	v_add_f64 v[21:22], v[21:22], -v[19:20]
	v_add_f64 v[8:9], v[8:9], -v[19:20]
	v_fma_f64 v[10:11], v[12:13], v[10:11], s[6:7]
	s_mov_b32 s6, 0x17e1913c
	s_mov_b32 s7, 0x3fbc71c7
	v_add_f64 v[25:26], v[23:24], v[15:16]
	v_add_f64 v[17:18], v[17:18], -v[21:22]
	v_fma_f64 v[10:11], v[12:13], v[10:11], s[6:7]
	s_mov_b32 s6, 0x92376b7d
	s_mov_b32 s7, 0xbfc24924
	v_add_f64 v[19:20], v[25:26], -v[23:24]
	v_add_f64 v[8:9], v[8:9], v[17:18]
	v_fma_f64 v[10:11], v[12:13], v[10:11], s[6:7]
	s_mov_b32 s6, 0x999952cc
	s_mov_b32 s7, 0x3fc99999
	v_add_f64 v[15:16], v[15:16], -v[19:20]
	v_fma_f64 v[10:11], v[12:13], v[10:11], s[6:7]
	s_mov_b32 s6, 0x55555523
	s_mov_b32 s7, 0xbfd55555
	v_add_f64 v[8:9], v[8:9], v[15:16]
	v_mov_b32_e32 v15, 0xfff00000
	v_fma_f64 v[10:11], v[12:13], v[10:11], s[6:7]
	s_mov_b32 s6, 0
	s_mov_b32 s7, 0xfff00000
	v_cmp_eq_f64_e64 s[6:7], s[6:7], v[2:3]
	v_add_f64 v[8:9], v[25:26], v[8:9]
	v_mov_b32_e32 v2, 0x7ff80000
	v_mul_f64 v[10:11], v[12:13], v[10:11]
	s_and_b64 s[6:7], s[6:7], s[18:19]
	v_cndmask_b32_e32 v9, v9, v7, vcc
	v_cndmask_b32_e32 v8, v8, v6, vcc
	v_add_f64 v[12:13], v[8:9], 1.0
	v_cmp_ngt_f64_e32 vcc, 0, v[6:7]
	v_fma_f64 v[8:9], v[4:5], v[10:11], v[4:5]
	s_and_b64 s[6:7], s[6:7], exec
	s_or_b64 s[16:17], s[16:17], s[6:7]
	v_cndmask_b32_e32 v2, v2, v13, vcc
	v_cmp_nge_f64_e32 vcc, 0, v[6:7]
	v_cndmask_b32_e32 v12, 0, v12, vcc
	v_cmp_neq_f64_e32 vcc, 0, v[6:7]
	v_cndmask_b32_e32 v13, v15, v2, vcc
.LBB54_85:
	s_or_b64 exec, exec, s[8:9]
	s_mov_b32 s6, 0x54442d18
	s_mov_b32 s7, 0x3ff921fb
	s_waitcnt lgkmcnt(0)
	v_add_f64 v[4:5], -v[8:9], s[6:7]
	s_mov_b32 s7, 0x400921fb
	v_mov_b32_e32 v2, 0x3fe921fb
	v_ashrrev_i32_e32 v11, 31, v14
	v_cmp_gt_i32_e32 vcc, 0, v14
	v_mov_b32_e32 v10, 0x7f3321d2
	v_cndmask_b32_e64 v5, v9, v5, s[4:5]
	v_cndmask_b32_e64 v4, v8, v4, s[4:5]
	v_add_f64 v[6:7], -v[4:5], s[6:7]
	v_cmp_eq_f64_e64 s[4:5], 0, v[0:1]
	v_mov_b32_e32 v8, 0x4002d97c
	v_mov_b32_e32 v9, 0x54442d18
	v_cndmask_b32_e32 v2, v2, v8, vcc
	v_and_b32_e32 v8, 0x400921fb, v11
	v_xor_b32_e32 v0, 0x80000000, v1
	s_brev_b32 s6, -2
	v_cndmask_b32_e32 v5, v5, v7, vcc
	v_cndmask_b32_e32 v7, v9, v10, vcc
	v_and_b32_e32 v9, 0x54442d18, v11
	v_cndmask_b32_e32 v4, v4, v6, vcc
	v_cndmask_b32_e64 v5, v5, v8, s[4:5]
	v_cndmask_b32_e64 v2, v5, v2, s[16:17]
	;; [unrolled: 1-line block ×4, first 2 shown]
	v_bfi_b32 v11, s6, v2, v0
.LBB54_86:
	s_or_b64 exec, exec, s[14:15]
	s_mov_b32 s4, 0xfefa39ef
	s_mov_b32 s5, 0x3fe62e42
	s_waitcnt lgkmcnt(0)
	v_add_f64 v[4:5], v[12:13], s[4:5]
	s_brev_b32 s4, -2
	v_bfi_b32 v11, s4, v11, v1
	v_mov_b32_e32 v0, v10
	v_mov_b32_e32 v1, v11
	v_bfi_b32 v5, s4, v5, v3
	v_mov_b32_e32 v2, v4
	v_mov_b32_e32 v3, v5
.LBB54_87:
	s_or_b64 exec, exec, s[12:13]
	s_andn2_saveexec_b64 s[4:5], s[10:11]
	s_cbranch_execz .LBB54_2
.LBB54_88:
	s_mov_b32 s8, 0
	s_mov_b32 s9, 0x7ff00000
	v_cmp_neq_f64_e64 s[6:7], |v[2:3]|, s[8:9]
                                        ; implicit-def: $vgpr4_vgpr5
                                        ; implicit-def: $vgpr6_vgpr7
	s_and_saveexec_b64 s[10:11], s[6:7]
	s_xor_b64 s[6:7], exec, s[10:11]
	s_cbranch_execz .LBB54_98
; %bb.89:
	v_cmp_neq_f64_e64 s[8:9], |v[0:1]|, s[8:9]
                                        ; implicit-def: $vgpr4_vgpr5
                                        ; implicit-def: $vgpr6_vgpr7
	s_and_saveexec_b64 s[10:11], s[8:9]
	s_xor_b64 s[8:9], exec, s[10:11]
	s_cbranch_execz .LBB54_95
; %bb.90:
	v_cmp_neq_f64_e32 vcc, 0, v[0:1]
                                        ; implicit-def: $vgpr4_vgpr5
	s_and_saveexec_b64 s[10:11], vcc
	s_xor_b64 s[10:11], exec, s[10:11]
	s_cbranch_execz .LBB54_92
; %bb.91:
	v_add_f64 v[2:3], v[2:3], 0
	s_waitcnt lgkmcnt(0)
	v_add_f64 v[4:5], v[0:1], v[2:3]
                                        ; implicit-def: $vgpr2_vgpr3
                                        ; implicit-def: $vgpr0_vgpr1
.LBB54_92:
	s_or_saveexec_b64 s[10:11], s[10:11]
	s_waitcnt lgkmcnt(0)
	v_mov_b32_e32 v7, v5
	v_mov_b32_e32 v6, v4
	s_xor_b64 exec, exec, s[10:11]
	s_cbranch_execz .LBB54_94
; %bb.93:
	v_add_f64 v[6:7], v[2:3], v[2:3]
	v_mov_b32_e32 v5, v1
	v_mov_b32_e32 v4, v0
.LBB54_94:
	s_or_b64 exec, exec, s[10:11]
                                        ; implicit-def: $vgpr2_vgpr3
                                        ; implicit-def: $vgpr0_vgpr1
.LBB54_95:
	s_andn2_saveexec_b64 s[8:9], s[8:9]
	s_cbranch_execz .LBB54_97
; %bb.96:
	s_waitcnt lgkmcnt(0)
	v_add_f64 v[4:5], v[2:3], v[2:3]
	v_mov_b32_e32 v7, v1
	v_mov_b32_e32 v6, v0
.LBB54_97:
	s_or_b64 exec, exec, s[8:9]
                                        ; implicit-def: $vgpr0_vgpr1
                                        ; implicit-def: $vgpr2_vgpr3
.LBB54_98:
	s_andn2_saveexec_b64 s[6:7], s[6:7]
	s_cbranch_execz .LBB54_100
; %bb.99:
	s_waitcnt lgkmcnt(0)
	v_add_f64 v[4:5], v[0:1], v[0:1]
	v_mov_b32_e32 v7, v3
	v_mov_b32_e32 v6, v2
.LBB54_100:
	s_or_b64 exec, exec, s[6:7]
	v_mov_b32_e32 v2, v6
	s_waitcnt lgkmcnt(0)
	v_mov_b32_e32 v0, v4
	v_mov_b32_e32 v3, v7
	;; [unrolled: 1-line block ×3, first 2 shown]
	s_or_b64 exec, exec, s[4:5]
	s_setpc_b64 s[30:31]
.Lfunc_end54:
	.size	_ZNK2at6native4AsinIN3c107complexIdEEEclES4_, .Lfunc_end54-_ZNK2at6native4AsinIN3c107complexIdEEEclES4_
                                        ; -- End function
	.set .L_ZNK2at6native4AsinIN3c107complexIdEEEclES4_.num_vgpr, 50
	.set .L_ZNK2at6native4AsinIN3c107complexIdEEEclES4_.num_agpr, 0
	.set .L_ZNK2at6native4AsinIN3c107complexIdEEEclES4_.numbered_sgpr, 42
	.set .L_ZNK2at6native4AsinIN3c107complexIdEEEclES4_.num_named_barrier, 0
	.set .L_ZNK2at6native4AsinIN3c107complexIdEEEclES4_.private_seg_size, 12
	.set .L_ZNK2at6native4AsinIN3c107complexIdEEEclES4_.uses_vcc, 1
	.set .L_ZNK2at6native4AsinIN3c107complexIdEEEclES4_.uses_flat_scratch, 0
	.set .L_ZNK2at6native4AsinIN3c107complexIdEEEclES4_.has_dyn_sized_stack, 0
	.set .L_ZNK2at6native4AsinIN3c107complexIdEEEclES4_.has_recursion, 0
	.set .L_ZNK2at6native4AsinIN3c107complexIdEEEclES4_.has_indirect_call, 0
	.section	.AMDGPU.csdata,"",@progbits
; Function info:
; codeLenInByte = 18868
; TotalNumSgprs: 46
; NumVgprs: 50
; ScratchSize: 12
; MemoryBound: 0
	.section	.text._ZN2at6native12_GLOBAL__N_125multi_tensor_apply_kernelINS1_18TensorListMetadataILi2EEENS1_14UnaryOpFunctorIN3c107complexIdEELi2ELi1ELi1EEEJNS0_4AsinIS8_EEEEEvT_T0_DpT1_,"axG",@progbits,_ZN2at6native12_GLOBAL__N_125multi_tensor_apply_kernelINS1_18TensorListMetadataILi2EEENS1_14UnaryOpFunctorIN3c107complexIdEELi2ELi1ELi1EEEJNS0_4AsinIS8_EEEEEvT_T0_DpT1_,comdat
	.globl	_ZN2at6native12_GLOBAL__N_125multi_tensor_apply_kernelINS1_18TensorListMetadataILi2EEENS1_14UnaryOpFunctorIN3c107complexIdEELi2ELi1ELi1EEEJNS0_4AsinIS8_EEEEEvT_T0_DpT1_ ; -- Begin function _ZN2at6native12_GLOBAL__N_125multi_tensor_apply_kernelINS1_18TensorListMetadataILi2EEENS1_14UnaryOpFunctorIN3c107complexIdEELi2ELi1ELi1EEEJNS0_4AsinIS8_EEEEEvT_T0_DpT1_
	.p2align	8
	.type	_ZN2at6native12_GLOBAL__N_125multi_tensor_apply_kernelINS1_18TensorListMetadataILi2EEENS1_14UnaryOpFunctorIN3c107complexIdEELi2ELi1ELi1EEEJNS0_4AsinIS8_EEEEEvT_T0_DpT1_,@function
_ZN2at6native12_GLOBAL__N_125multi_tensor_apply_kernelINS1_18TensorListMetadataILi2EEENS1_14UnaryOpFunctorIN3c107complexIdEELi2ELi1ELi1EEEJNS0_4AsinIS8_EEEEEvT_T0_DpT1_: ; @_ZN2at6native12_GLOBAL__N_125multi_tensor_apply_kernelINS1_18TensorListMetadataILi2EEENS1_14UnaryOpFunctorIN3c107complexIdEELi2ELi1ELi1EEEJNS0_4AsinIS8_EEEEEvT_T0_DpT1_
; %bb.0:
	v_mov_b32_e32 v58, v0
	v_mov_b32_e32 v0, s8
	global_load_ubyte v0, v0, s[4:5] offset:1536
	s_add_u32 flat_scratch_lo, s6, s9
	s_addc_u32 flat_scratch_hi, s7, 0
	s_add_u32 s0, s0, s9
	s_addc_u32 s1, s1, 0
	s_mov_b64 s[34:35], s[4:5]
	s_add_u32 s4, s34, s8
	s_mul_hi_u32 s6, s8, 3
	s_mul_i32 s8, s8, 3
	s_addc_u32 s9, s35, 0
	s_add_u32 s8, s4, s8
	s_addc_u32 s9, s9, s6
	s_load_dword s8, s[8:9], 0x740
	s_mov_b32 s5, 0
	s_mov_b32 s7, s5
	;; [unrolled: 1-line block ×3, first 2 shown]
	s_waitcnt lgkmcnt(0)
	s_ashr_i32 s9, s8, 31
	s_lshl_b64 s[16:17], s[8:9], 20
	s_waitcnt vmcnt(0)
	v_readfirstlane_b32 s4, v0
	s_lshl_b32 s4, s4, 3
	s_load_dwordx2 s[10:11], s[34:35], s4 offset:0x0
	s_load_dwordx2 s[12:13], s[34:35], s4 offset:0x400
	;; [unrolled: 1-line block ×3, first 2 shown]
	s_waitcnt lgkmcnt(0)
	s_add_u32 s27, s10, s16
	s_addc_u32 s33, s11, s17
	s_and_b32 s4, s27, 63
	s_add_u32 s50, s14, s16
	s_addc_u32 s51, s15, s17
	s_lshl_b64 s[8:9], s[8:9], 16
	s_and_b32 s6, s50, 63
	s_sub_u32 s36, s12, s8
	s_subb_u32 s37, s13, s9
	s_and_b32 s8, s12, 3
	s_mov_b32 s9, s5
	s_or_b64 s[6:7], s[6:7], s[8:9]
	s_or_b64 s[4:5], s[6:7], s[4:5]
	s_cmp_eq_u64 s[4:5], 0
	s_mov_b64 s[4:5], -1
	s_cbranch_scc0 .LBB55_5
; %bb.1:
	v_mov_b32_e32 v0, 0x10000
	v_mov_b32_e32 v1, 0
	v_cmp_lt_i64_e32 vcc, s[36:37], v[0:1]
	v_mov_b32_e32 v1, 0
	s_and_b64 s[4:5], vcc, exec
	s_cselect_b32 s39, s37, 0
	s_cselect_b32 s38, s36, 0x10000
	v_lshlrev_b32_e32 v0, 2, v58
	v_cmp_gt_i64_e32 vcc, s[38:39], v[0:1]
	s_and_saveexec_b64 s[42:43], vcc
	s_cbranch_execz .LBB55_4
; %bb.2:
	v_mov_b32_e32 v59, v1
	s_add_u32 s44, s34, 0xc50
	v_mov_b32_e32 v60, v59
	s_addc_u32 s45, s35, 0
	s_mov_b64 s[46:47], 0
	v_mov_b32_e32 v47, s33
	v_mov_b32_e32 v61, s51
	;; [unrolled: 1-line block ×3, first 2 shown]
.LBB55_3:                               ; =>This Inner Loop Header: Depth=1
	v_lshlrev_b64 v[62:63], 6, v[59:60]
	s_getpc_b64 s[48:49]
	s_add_u32 s48, s48, _ZNK2at6native4AsinIN3c107complexIdEEEclES4_@rel32@lo+4
	s_addc_u32 s49, s49, _ZNK2at6native4AsinIN3c107complexIdEEEclES4_@rel32@hi+12
	v_add_co_u32_e32 v4, vcc, s27, v62
	v_addc_co_u32_e32 v5, vcc, v47, v63, vcc
	global_load_dwordx4 v[0:3], v[4:5], off
	global_load_dwordx4 v[39:42], v[4:5], off offset:16
	global_load_dwordx4 v[43:46], v[4:5], off offset:48
	;; [unrolled: 1-line block ×3, first 2 shown]
	s_swappc_b64 s[30:31], s[48:49]
	v_mov_b32_e32 v54, v0
	v_mov_b32_e32 v55, v1
	v_mov_b32_e32 v56, v2
	v_mov_b32_e32 v57, v3
	v_mov_b32_e32 v0, v39
	v_mov_b32_e32 v1, v40
	v_mov_b32_e32 v2, v41
	v_mov_b32_e32 v3, v42
	s_swappc_b64 s[30:31], s[48:49]
	v_mov_b32_e32 v39, v0
	v_mov_b32_e32 v40, v1
	v_mov_b32_e32 v41, v2
	v_mov_b32_e32 v42, v3
	v_mov_b32_e32 v0, v50
	v_mov_b32_e32 v1, v51
	v_mov_b32_e32 v2, v52
	v_mov_b32_e32 v3, v53
	;; [unrolled: 9-line block ×3, first 2 shown]
	s_swappc_b64 s[30:31], s[48:49]
	v_add_co_u32_e32 v4, vcc, s50, v62
	v_addc_co_u32_e32 v5, vcc, v61, v63, vcc
	global_store_dwordx4 v[4:5], v[54:57], off
	global_store_dwordx4 v[4:5], v[39:42], off offset:16
	global_store_dwordx4 v[4:5], v[50:53], off offset:32
	;; [unrolled: 1-line block ×3, first 2 shown]
	s_load_dword s4, s[44:45], 0xc
	s_waitcnt lgkmcnt(0)
	s_and_b32 s4, s4, 0xffff
	v_add_co_u32_e32 v59, vcc, s4, v59
	v_addc_co_u32_e32 v60, vcc, 0, v60, vcc
	v_lshlrev_b64 v[0:1], 2, v[59:60]
	v_cmp_le_i64_e32 vcc, s[38:39], v[0:1]
	s_or_b64 s[46:47], vcc, s[46:47]
	s_andn2_b64 exec, exec, s[46:47]
	s_cbranch_execnz .LBB55_3
.LBB55_4:
	s_or_b64 exec, exec, s[42:43]
	s_mov_b64 s[4:5], 0
.LBB55_5:
	s_andn2_b64 vcc, exec, s[4:5]
	s_cbranch_vccnz .LBB55_25
; %bb.6:
	v_cmp_lt_i64_e64 s[4:5], s[36:37], 1
	s_and_b64 vcc, exec, s[4:5]
	s_cbranch_vccnz .LBB55_25
; %bb.7:
	v_mov_b32_e32 v0, 0x10000
	s_load_dword s6, s[34:35], 0xc5c
	v_mov_b32_e32 v1, 0
	v_cmp_lt_i64_e32 vcc, s[36:37], v[0:1]
	s_mov_b64 s[48:49], 0
	s_and_b64 s[4:5], vcc, exec
	v_cmp_lt_u64_e32 vcc, s[36:37], v[0:1]
	s_cselect_b32 s45, s37, 0
	s_cselect_b32 s44, s36, 0x10000
	s_waitcnt lgkmcnt(0)
	s_and_b32 s52, s6, 0xffff
	s_and_b64 s[4:5], vcc, exec
	s_cselect_b32 s47, s37, 0
	s_cselect_b32 s46, s36, 0x10000
	s_lshl_b32 s53, s52, 1
	s_mul_i32 s54, s52, 3
	s_lshl_b32 s55, s52, 2
	s_branch .LBB55_9
.LBB55_8:                               ;   in Loop: Header=BB55_9 Depth=1
	s_or_b64 exec, exec, s[4:5]
	s_add_u32 s48, s48, s55
	v_mov_b32_e32 v0, s44
	s_addc_u32 s49, s49, 0
	v_mov_b32_e32 v1, s45
	v_cmp_ge_i64_e32 vcc, s[48:49], v[0:1]
	s_cbranch_vccnz .LBB55_25
.LBB55_9:                               ; =>This Inner Loop Header: Depth=1
	v_mov_b32_e32 v0, s49
	v_add_co_u32_e32 v59, vcc, s48, v58
	v_addc_co_u32_e32 v60, vcc, 0, v0, vcc
	v_cmp_gt_u64_e64 s[34:35], s[46:47], v[59:60]
	v_mov_b32_e32 v6, 0
	v_mov_b32_e32 v2, 0
	;; [unrolled: 1-line block ×6, first 2 shown]
	s_and_saveexec_b64 s[4:5], s[34:35]
	s_cbranch_execz .LBB55_11
; %bb.10:                               ;   in Loop: Header=BB55_9 Depth=1
	v_lshlrev_b64 v[0:1], 4, v[59:60]
	v_mov_b32_e32 v2, s33
	v_add_co_u32_e32 v0, vcc, s27, v0
	v_addc_co_u32_e32 v1, vcc, v2, v1, vcc
	global_load_dwordx4 v[0:3], v[0:1], off
.LBB55_11:                              ;   in Loop: Header=BB55_9 Depth=1
	s_or_b64 exec, exec, s[4:5]
	v_add_co_u32_e32 v61, vcc, s52, v59
	v_addc_co_u32_e32 v62, vcc, 0, v60, vcc
	v_cmp_gt_u64_e64 s[36:37], s[46:47], v[61:62]
	v_mov_b32_e32 v4, 0
	v_mov_b32_e32 v5, 0
	s_and_saveexec_b64 s[4:5], s[36:37]
	s_cbranch_execz .LBB55_13
; %bb.12:                               ;   in Loop: Header=BB55_9 Depth=1
	v_lshlrev_b64 v[4:5], 4, v[61:62]
	v_mov_b32_e32 v6, s33
	v_add_co_u32_e32 v4, vcc, s27, v4
	v_addc_co_u32_e32 v5, vcc, v6, v5, vcc
	global_load_dwordx4 v[4:7], v[4:5], off
.LBB55_13:                              ;   in Loop: Header=BB55_9 Depth=1
	s_or_b64 exec, exec, s[4:5]
	v_add_co_u32_e32 v63, vcc, s53, v59
	v_addc_co_u32_e32 v64, vcc, 0, v60, vcc
	v_cmp_gt_u64_e64 s[38:39], s[46:47], v[63:64]
	v_mov_b32_e32 v41, 0
	v_mov_b32_e32 v45, 0
	v_mov_b32_e32 v43, 0
	v_mov_b32_e32 v42, 0
	v_mov_b32_e32 v46, 0
	v_mov_b32_e32 v44, 0
	s_and_saveexec_b64 s[4:5], s[38:39]
	s_cbranch_execz .LBB55_15
; %bb.14:                               ;   in Loop: Header=BB55_9 Depth=1
	v_lshlrev_b64 v[8:9], 4, v[63:64]
	v_mov_b32_e32 v10, s33
	v_add_co_u32_e32 v8, vcc, s27, v8
	v_addc_co_u32_e32 v9, vcc, v10, v9, vcc
	global_load_dwordx4 v[43:46], v[8:9], off
.LBB55_15:                              ;   in Loop: Header=BB55_9 Depth=1
	s_or_b64 exec, exec, s[4:5]
	v_add_co_u32_e32 v65, vcc, s54, v59
	v_addc_co_u32_e32 v66, vcc, 0, v60, vcc
	s_waitcnt vmcnt(0)
	v_mov_b32_e32 v53, v7
	v_cmp_gt_u64_e64 s[42:43], s[46:47], v[65:66]
	v_mov_b32_e32 v39, 0
	v_mov_b32_e32 v52, v6
	;; [unrolled: 1-line block ×5, first 2 shown]
	s_and_saveexec_b64 s[4:5], s[42:43]
	s_cbranch_execz .LBB55_17
; %bb.16:                               ;   in Loop: Header=BB55_9 Depth=1
	v_lshlrev_b64 v[4:5], 4, v[65:66]
	v_mov_b32_e32 v6, s33
	v_add_co_u32_e32 v4, vcc, s27, v4
	v_addc_co_u32_e32 v5, vcc, v6, v5, vcc
	global_load_dwordx4 v[39:42], v[4:5], off
.LBB55_17:                              ;   in Loop: Header=BB55_9 Depth=1
	s_or_b64 exec, exec, s[4:5]
	s_getpc_b64 s[56:57]
	s_add_u32 s56, s56, _ZNK2at6native4AsinIN3c107complexIdEEEclES4_@rel32@lo+4
	s_addc_u32 s57, s57, _ZNK2at6native4AsinIN3c107complexIdEEEclES4_@rel32@hi+12
	s_swappc_b64 s[30:31], s[56:57]
	v_mov_b32_e32 v54, v0
	v_mov_b32_e32 v55, v1
	v_mov_b32_e32 v56, v2
	v_mov_b32_e32 v57, v3
	v_mov_b32_e32 v0, v50
	v_mov_b32_e32 v1, v51
	v_mov_b32_e32 v2, v52
	v_mov_b32_e32 v3, v53
	s_swappc_b64 s[30:31], s[56:57]
	v_mov_b32_e32 v50, v0
	v_mov_b32_e32 v51, v1
	v_mov_b32_e32 v52, v2
	v_mov_b32_e32 v53, v3
	v_mov_b32_e32 v0, v43
	v_mov_b32_e32 v1, v44
	v_mov_b32_e32 v2, v45
	v_mov_b32_e32 v3, v46
	s_swappc_b64 s[30:31], s[56:57]
	v_mov_b32_e32 v43, v0
	v_mov_b32_e32 v44, v1
	v_mov_b32_e32 v45, v2
	v_mov_b32_e32 v46, v3
	v_mov_b32_e32 v0, v39
	v_mov_b32_e32 v1, v40
	v_mov_b32_e32 v2, v41
	v_mov_b32_e32 v3, v42
	s_swappc_b64 s[30:31], s[56:57]
	s_and_saveexec_b64 s[4:5], s[34:35]
	s_cbranch_execnz .LBB55_21
; %bb.18:                               ;   in Loop: Header=BB55_9 Depth=1
	s_or_b64 exec, exec, s[4:5]
	s_and_saveexec_b64 s[4:5], s[36:37]
	s_cbranch_execnz .LBB55_22
.LBB55_19:                              ;   in Loop: Header=BB55_9 Depth=1
	s_or_b64 exec, exec, s[4:5]
	s_and_saveexec_b64 s[4:5], s[38:39]
	s_cbranch_execnz .LBB55_23
.LBB55_20:                              ;   in Loop: Header=BB55_9 Depth=1
	s_or_b64 exec, exec, s[4:5]
	s_and_saveexec_b64 s[4:5], s[42:43]
	s_cbranch_execz .LBB55_8
	s_branch .LBB55_24
.LBB55_21:                              ;   in Loop: Header=BB55_9 Depth=1
	v_lshlrev_b64 v[4:5], 4, v[59:60]
	v_mov_b32_e32 v6, s51
	v_add_co_u32_e32 v4, vcc, s50, v4
	v_addc_co_u32_e32 v5, vcc, v6, v5, vcc
	global_store_dwordx4 v[4:5], v[54:57], off
	s_or_b64 exec, exec, s[4:5]
	s_and_saveexec_b64 s[4:5], s[36:37]
	s_cbranch_execz .LBB55_19
.LBB55_22:                              ;   in Loop: Header=BB55_9 Depth=1
	v_lshlrev_b64 v[4:5], 4, v[61:62]
	v_mov_b32_e32 v6, s51
	v_add_co_u32_e32 v4, vcc, s50, v4
	v_addc_co_u32_e32 v5, vcc, v6, v5, vcc
	global_store_dwordx4 v[4:5], v[50:53], off
	s_or_b64 exec, exec, s[4:5]
	s_and_saveexec_b64 s[4:5], s[38:39]
	s_cbranch_execz .LBB55_20
.LBB55_23:                              ;   in Loop: Header=BB55_9 Depth=1
	v_lshlrev_b64 v[4:5], 4, v[63:64]
	v_mov_b32_e32 v6, s51
	v_add_co_u32_e32 v4, vcc, s50, v4
	v_addc_co_u32_e32 v5, vcc, v6, v5, vcc
	global_store_dwordx4 v[4:5], v[43:46], off
	s_or_b64 exec, exec, s[4:5]
	s_and_saveexec_b64 s[4:5], s[42:43]
	s_cbranch_execz .LBB55_8
.LBB55_24:                              ;   in Loop: Header=BB55_9 Depth=1
	v_lshlrev_b64 v[4:5], 4, v[65:66]
	v_mov_b32_e32 v6, s51
	v_add_co_u32_e32 v4, vcc, s50, v4
	v_addc_co_u32_e32 v5, vcc, v6, v5, vcc
	global_store_dwordx4 v[4:5], v[0:3], off
	s_branch .LBB55_8
.LBB55_25:
	s_endpgm
	.section	.rodata,"a",@progbits
	.p2align	6, 0x0
	.amdhsa_kernel _ZN2at6native12_GLOBAL__N_125multi_tensor_apply_kernelINS1_18TensorListMetadataILi2EEENS1_14UnaryOpFunctorIN3c107complexIdEELi2ELi1ELi1EEEJNS0_4AsinIS8_EEEEEvT_T0_DpT1_
		.amdhsa_group_segment_fixed_size 0
		.amdhsa_private_segment_fixed_size 12
		.amdhsa_kernarg_size 3408
		.amdhsa_user_sgpr_count 8
		.amdhsa_user_sgpr_private_segment_buffer 1
		.amdhsa_user_sgpr_dispatch_ptr 0
		.amdhsa_user_sgpr_queue_ptr 0
		.amdhsa_user_sgpr_kernarg_segment_ptr 1
		.amdhsa_user_sgpr_dispatch_id 0
		.amdhsa_user_sgpr_flat_scratch_init 1
		.amdhsa_user_sgpr_private_segment_size 0
		.amdhsa_uses_dynamic_stack 0
		.amdhsa_system_sgpr_private_segment_wavefront_offset 1
		.amdhsa_system_sgpr_workgroup_id_x 1
		.amdhsa_system_sgpr_workgroup_id_y 0
		.amdhsa_system_sgpr_workgroup_id_z 0
		.amdhsa_system_sgpr_workgroup_info 0
		.amdhsa_system_vgpr_workitem_id 0
		.amdhsa_next_free_vgpr 67
		.amdhsa_next_free_sgpr 58
		.amdhsa_reserve_vcc 1
		.amdhsa_reserve_flat_scratch 1
		.amdhsa_float_round_mode_32 0
		.amdhsa_float_round_mode_16_64 0
		.amdhsa_float_denorm_mode_32 3
		.amdhsa_float_denorm_mode_16_64 3
		.amdhsa_dx10_clamp 1
		.amdhsa_ieee_mode 1
		.amdhsa_fp16_overflow 0
		.amdhsa_exception_fp_ieee_invalid_op 0
		.amdhsa_exception_fp_denorm_src 0
		.amdhsa_exception_fp_ieee_div_zero 0
		.amdhsa_exception_fp_ieee_overflow 0
		.amdhsa_exception_fp_ieee_underflow 0
		.amdhsa_exception_fp_ieee_inexact 0
		.amdhsa_exception_int_div_zero 0
	.end_amdhsa_kernel
	.section	.text._ZN2at6native12_GLOBAL__N_125multi_tensor_apply_kernelINS1_18TensorListMetadataILi2EEENS1_14UnaryOpFunctorIN3c107complexIdEELi2ELi1ELi1EEEJNS0_4AsinIS8_EEEEEvT_T0_DpT1_,"axG",@progbits,_ZN2at6native12_GLOBAL__N_125multi_tensor_apply_kernelINS1_18TensorListMetadataILi2EEENS1_14UnaryOpFunctorIN3c107complexIdEELi2ELi1ELi1EEEJNS0_4AsinIS8_EEEEEvT_T0_DpT1_,comdat
.Lfunc_end55:
	.size	_ZN2at6native12_GLOBAL__N_125multi_tensor_apply_kernelINS1_18TensorListMetadataILi2EEENS1_14UnaryOpFunctorIN3c107complexIdEELi2ELi1ELi1EEEJNS0_4AsinIS8_EEEEEvT_T0_DpT1_, .Lfunc_end55-_ZN2at6native12_GLOBAL__N_125multi_tensor_apply_kernelINS1_18TensorListMetadataILi2EEENS1_14UnaryOpFunctorIN3c107complexIdEELi2ELi1ELi1EEEJNS0_4AsinIS8_EEEEEvT_T0_DpT1_
                                        ; -- End function
	.set _ZN2at6native12_GLOBAL__N_125multi_tensor_apply_kernelINS1_18TensorListMetadataILi2EEENS1_14UnaryOpFunctorIN3c107complexIdEELi2ELi1ELi1EEEJNS0_4AsinIS8_EEEEEvT_T0_DpT1_.num_vgpr, max(67, .L_ZNK2at6native4AsinIN3c107complexIdEEEclES4_.num_vgpr)
	.set _ZN2at6native12_GLOBAL__N_125multi_tensor_apply_kernelINS1_18TensorListMetadataILi2EEENS1_14UnaryOpFunctorIN3c107complexIdEELi2ELi1ELi1EEEJNS0_4AsinIS8_EEEEEvT_T0_DpT1_.num_agpr, max(0, .L_ZNK2at6native4AsinIN3c107complexIdEEEclES4_.num_agpr)
	.set _ZN2at6native12_GLOBAL__N_125multi_tensor_apply_kernelINS1_18TensorListMetadataILi2EEENS1_14UnaryOpFunctorIN3c107complexIdEELi2ELi1ELi1EEEJNS0_4AsinIS8_EEEEEvT_T0_DpT1_.numbered_sgpr, max(58, .L_ZNK2at6native4AsinIN3c107complexIdEEEclES4_.numbered_sgpr)
	.set _ZN2at6native12_GLOBAL__N_125multi_tensor_apply_kernelINS1_18TensorListMetadataILi2EEENS1_14UnaryOpFunctorIN3c107complexIdEELi2ELi1ELi1EEEJNS0_4AsinIS8_EEEEEvT_T0_DpT1_.num_named_barrier, max(0, .L_ZNK2at6native4AsinIN3c107complexIdEEEclES4_.num_named_barrier)
	.set _ZN2at6native12_GLOBAL__N_125multi_tensor_apply_kernelINS1_18TensorListMetadataILi2EEENS1_14UnaryOpFunctorIN3c107complexIdEELi2ELi1ELi1EEEJNS0_4AsinIS8_EEEEEvT_T0_DpT1_.private_seg_size, 0+max(.L_ZNK2at6native4AsinIN3c107complexIdEEEclES4_.private_seg_size)
	.set _ZN2at6native12_GLOBAL__N_125multi_tensor_apply_kernelINS1_18TensorListMetadataILi2EEENS1_14UnaryOpFunctorIN3c107complexIdEELi2ELi1ELi1EEEJNS0_4AsinIS8_EEEEEvT_T0_DpT1_.uses_vcc, or(1, .L_ZNK2at6native4AsinIN3c107complexIdEEEclES4_.uses_vcc)
	.set _ZN2at6native12_GLOBAL__N_125multi_tensor_apply_kernelINS1_18TensorListMetadataILi2EEENS1_14UnaryOpFunctorIN3c107complexIdEELi2ELi1ELi1EEEJNS0_4AsinIS8_EEEEEvT_T0_DpT1_.uses_flat_scratch, or(1, .L_ZNK2at6native4AsinIN3c107complexIdEEEclES4_.uses_flat_scratch)
	.set _ZN2at6native12_GLOBAL__N_125multi_tensor_apply_kernelINS1_18TensorListMetadataILi2EEENS1_14UnaryOpFunctorIN3c107complexIdEELi2ELi1ELi1EEEJNS0_4AsinIS8_EEEEEvT_T0_DpT1_.has_dyn_sized_stack, or(0, .L_ZNK2at6native4AsinIN3c107complexIdEEEclES4_.has_dyn_sized_stack)
	.set _ZN2at6native12_GLOBAL__N_125multi_tensor_apply_kernelINS1_18TensorListMetadataILi2EEENS1_14UnaryOpFunctorIN3c107complexIdEELi2ELi1ELi1EEEJNS0_4AsinIS8_EEEEEvT_T0_DpT1_.has_recursion, or(0, .L_ZNK2at6native4AsinIN3c107complexIdEEEclES4_.has_recursion)
	.set _ZN2at6native12_GLOBAL__N_125multi_tensor_apply_kernelINS1_18TensorListMetadataILi2EEENS1_14UnaryOpFunctorIN3c107complexIdEELi2ELi1ELi1EEEJNS0_4AsinIS8_EEEEEvT_T0_DpT1_.has_indirect_call, or(0, .L_ZNK2at6native4AsinIN3c107complexIdEEEclES4_.has_indirect_call)
	.section	.AMDGPU.csdata,"",@progbits
; Kernel info:
; codeLenInByte = 1356
; TotalNumSgprs: 64
; NumVgprs: 67
; ScratchSize: 12
; MemoryBound: 1
; FloatMode: 240
; IeeeMode: 1
; LDSByteSize: 0 bytes/workgroup (compile time only)
; SGPRBlocks: 7
; VGPRBlocks: 16
; NumSGPRsForWavesPerEU: 64
; NumVGPRsForWavesPerEU: 67
; Occupancy: 3
; WaveLimiterHint : 0
; COMPUTE_PGM_RSRC2:SCRATCH_EN: 1
; COMPUTE_PGM_RSRC2:USER_SGPR: 8
; COMPUTE_PGM_RSRC2:TRAP_HANDLER: 0
; COMPUTE_PGM_RSRC2:TGID_X_EN: 1
; COMPUTE_PGM_RSRC2:TGID_Y_EN: 0
; COMPUTE_PGM_RSRC2:TGID_Z_EN: 0
; COMPUTE_PGM_RSRC2:TIDIG_COMP_CNT: 0
	.section	.text._ZN2at6native12_GLOBAL__N_125multi_tensor_apply_kernelINS1_18TensorListMetadataILi2EEENS1_14UnaryOpFunctorIN3c107complexIfEELi2ELi1ELi1EEEJNS0_4AsinIS8_EEEEEvT_T0_DpT1_,"axG",@progbits,_ZN2at6native12_GLOBAL__N_125multi_tensor_apply_kernelINS1_18TensorListMetadataILi2EEENS1_14UnaryOpFunctorIN3c107complexIfEELi2ELi1ELi1EEEJNS0_4AsinIS8_EEEEEvT_T0_DpT1_,comdat
	.globl	_ZN2at6native12_GLOBAL__N_125multi_tensor_apply_kernelINS1_18TensorListMetadataILi2EEENS1_14UnaryOpFunctorIN3c107complexIfEELi2ELi1ELi1EEEJNS0_4AsinIS8_EEEEEvT_T0_DpT1_ ; -- Begin function _ZN2at6native12_GLOBAL__N_125multi_tensor_apply_kernelINS1_18TensorListMetadataILi2EEENS1_14UnaryOpFunctorIN3c107complexIfEELi2ELi1ELi1EEEJNS0_4AsinIS8_EEEEEvT_T0_DpT1_
	.p2align	8
	.type	_ZN2at6native12_GLOBAL__N_125multi_tensor_apply_kernelINS1_18TensorListMetadataILi2EEENS1_14UnaryOpFunctorIN3c107complexIfEELi2ELi1ELi1EEEJNS0_4AsinIS8_EEEEEvT_T0_DpT1_,@function
_ZN2at6native12_GLOBAL__N_125multi_tensor_apply_kernelINS1_18TensorListMetadataILi2EEENS1_14UnaryOpFunctorIN3c107complexIfEELi2ELi1ELi1EEEJNS0_4AsinIS8_EEEEEvT_T0_DpT1_: ; @_ZN2at6native12_GLOBAL__N_125multi_tensor_apply_kernelINS1_18TensorListMetadataILi2EEENS1_14UnaryOpFunctorIN3c107complexIfEELi2ELi1ELi1EEEJNS0_4AsinIS8_EEEEEvT_T0_DpT1_
; %bb.0:
	v_mov_b32_e32 v1, s8
	global_load_ubyte v1, v1, s[4:5] offset:1536
	s_add_u32 flat_scratch_lo, s6, s9
	s_addc_u32 flat_scratch_hi, s7, 0
	s_add_u32 s0, s0, s9
	s_addc_u32 s1, s1, 0
	s_add_u32 s6, s4, s8
	s_mul_hi_u32 s11, s8, 3
	s_mul_i32 s8, s8, 3
	s_addc_u32 s12, s5, 0
	s_add_u32 s10, s6, s8
	s_addc_u32 s11, s12, s11
	s_load_dword s10, s[10:11], 0x740
	s_mov_b32 s7, 0
	s_mov_b32 s9, s7
	s_waitcnt lgkmcnt(0)
	s_ashr_i32 s11, s10, 31
	s_lshl_b64 s[18:19], s[10:11], 19
	s_waitcnt vmcnt(0)
	v_readfirstlane_b32 s6, v1
	s_lshl_b32 s6, s6, 3
	s_load_dwordx2 s[12:13], s[4:5], s6 offset:0x0
	s_load_dwordx2 s[14:15], s[4:5], s6 offset:0x400
	;; [unrolled: 1-line block ×3, first 2 shown]
	s_waitcnt lgkmcnt(0)
	s_add_u32 s33, s12, s18
	s_addc_u32 s44, s13, s19
	s_and_b32 s6, s33, 31
	s_add_u32 s45, s16, s18
	s_addc_u32 s46, s17, s19
	s_lshl_b64 s[10:11], s[10:11], 16
	s_and_b32 s8, s45, 31
	s_sub_u32 s10, s14, s10
	s_subb_u32 s11, s15, s11
	s_and_b32 s12, s14, 3
	s_mov_b32 s13, s7
	s_or_b64 s[8:9], s[8:9], s[12:13]
	s_or_b64 s[6:7], s[8:9], s[6:7]
	s_cmp_eq_u64 s[6:7], 0
	s_mov_b64 s[6:7], -1
	s_cbranch_scc0 .LBB56_397
; %bb.1:
	v_mov_b32_e32 v1, 0x10000
	v_mov_b32_e32 v2, 0
	v_cmp_lt_i64_e32 vcc, s[10:11], v[1:2]
	v_mov_b32_e32 v2, 0
	s_and_b64 s[6:7], vcc, exec
	s_cselect_b32 s13, s11, 0
	s_cselect_b32 s12, s10, 0x10000
	v_lshlrev_b32_e32 v1, 2, v0
	v_cmp_gt_i64_e32 vcc, s[12:13], v[1:2]
	s_and_saveexec_b64 s[14:15], vcc
	s_cbranch_execz .LBB56_396
; %bb.2:
	v_mov_b32_e32 v1, v2
	s_mov_b64 s[16:17], src_private_base
	s_add_u32 s18, s4, 0xc50
	v_mov_b32_e32 v14, v1
	s_addc_u32 s19, s5, 0
	s_mov_b32 s16, 0
	s_mov_b32 s20, 4
	;; [unrolled: 1-line block ×3, first 2 shown]
	s_mov_b64 s[22:23], 0
	v_mov_b32_e32 v17, s44
	s_mov_b32 s42, 0x4b000000
	v_mov_b32_e32 v18, 0xd800000
	s_mov_b32 s43, 0x395db3d7
	s_brev_b32 s47, -2
	s_mov_b32 s48, 0x7f800000
	s_mov_b32 s49, 0x41200000
	;; [unrolled: 1-line block ×4, first 2 shown]
	v_mov_b32_e32 v19, 0x260
	s_mov_b32 s52, 0x800000
	s_mov_b32 s53, 0x3f317217
	;; [unrolled: 1-line block ×3, first 2 shown]
	s_brev_b32 s55, 44
	s_mov_b32 s56, 0x3f2aaaab
	v_mov_b32_e32 v20, 0x3f2aaada
	s_mov_b32 s57, 0x3f317218
	s_mov_b32 s58, 0xff800000
	;; [unrolled: 1-line block ×8, first 2 shown]
	v_mov_b32_e32 v21, 0x3d034c3c
	v_mov_b32_e32 v22, 0x3d3641b1
	;; [unrolled: 1-line block ×10, first 2 shown]
	s_movk_i32 s65, 0x204
	s_mov_b32 s66, 0x7effffff
	s_mov_b32 s67, 0x5e000000
	s_brev_b32 s68, 4
	s_mov_b32 s69, 0x402df854
	s_mov_b32 s70, 0xc02df854
	v_mov_b32_e32 v31, 0x7f800000
	v_mov_b32_e32 v32, 0x41b17218
	;; [unrolled: 1-line block ×8, first 2 shown]
	s_branch .LBB56_5
.LBB56_3:                               ;   in Loop: Header=BB56_5 Depth=1
	s_or_b64 exec, exec, s[8:9]
.LBB56_4:                               ;   in Loop: Header=BB56_5 Depth=1
	s_or_b64 exec, exec, s[6:7]
	v_mov_b32_e32 v2, s46
	s_waitcnt lgkmcnt(0)
	v_add_co_u32_e32 v1, vcc, s45, v15
	v_addc_co_u32_e32 v2, vcc, v2, v16, vcc
	global_store_dwordx4 v[1:2], v[5:8], off
	global_store_dwordx4 v[1:2], v[9:12], off offset:16
	s_load_dword s6, s[18:19], 0xc
	s_waitcnt lgkmcnt(0)
	s_and_b32 s6, s6, 0xffff
	v_add_co_u32_e32 v13, vcc, s6, v13
	v_addc_co_u32_e32 v14, vcc, 0, v14, vcc
	v_lshlrev_b64 v[1:2], 2, v[13:14]
	v_cmp_le_i64_e32 vcc, s[12:13], v[1:2]
	s_or_b64 s[22:23], vcc, s[22:23]
	s_andn2_b64 exec, exec, s[22:23]
	s_cbranch_execz .LBB56_396
.LBB56_5:                               ; =>This Inner Loop Header: Depth=1
	v_lshlrev_b64 v[15:16], 5, v[13:14]
	v_add_co_u32_e32 v5, vcc, s33, v15
	v_addc_co_u32_e32 v6, vcc, v17, v16, vcc
	global_load_dwordx4 v[9:12], v[5:6], off
	global_load_dwordx4 v[1:4], v[5:6], off offset:16
                                        ; implicit-def: $vgpr5
	s_waitcnt vmcnt(1)
	v_cmp_o_f32_e32 vcc, v10, v9
	s_and_saveexec_b64 s[6:7], vcc
	s_xor_b64 s[24:25], exec, s[6:7]
	s_cbranch_execz .LBB56_89
; %bb.6:                                ;   in Loop: Header=BB56_5 Depth=1
	v_max_f32_e64 v8, |v10|, |v10|
	v_max_f32_e64 v7, |v9|, |v9|
	v_max_f32_e32 v38, v7, v8
	v_cmp_nlt_f32_e32 vcc, s42, v38
                                        ; implicit-def: $vgpr5
	s_and_saveexec_b64 s[6:7], vcc
	s_xor_b64 s[8:9], exec, s[6:7]
	s_cbranch_execz .LBB56_66
; %bb.7:                                ;   in Loop: Header=BB56_5 Depth=1
	v_cmp_neq_f32_e32 vcc, 0, v10
	v_cmp_neq_f32_e64 s[6:7], 0, v9
	s_or_b64 s[6:7], vcc, s[6:7]
	v_mov_b32_e32 v5, v9
	v_mov_b32_e32 v6, v10
	s_and_saveexec_b64 s[26:27], s[6:7]
	s_cbranch_execz .LBB56_65
; %bb.8:                                ;   in Loop: Header=BB56_5 Depth=1
	v_mov_b32_e32 v5, s16
	v_mov_b32_e32 v6, s17
	flat_store_dword v[5:6], v18
	s_waitcnt vmcnt(0)
	flat_load_dword v5, v[5:6] glc
	s_waitcnt vmcnt(0)
	v_cmp_nlt_f32_e64 s[6:7], |v10|, s43
	v_cmp_nlt_f32_e64 s[28:29], |v9|, s43
	s_or_b64 s[6:7], s[28:29], s[6:7]
	s_waitcnt lgkmcnt(0)
	v_add_f32_e32 v7, 1.0, v5
	v_mov_b32_e32 v5, s20
	v_mov_b32_e32 v6, s21
	flat_store_dword v[5:6], v7
	s_waitcnt vmcnt(0)
	flat_load_dword v5, v[5:6] glc
	s_waitcnt vmcnt(0) lgkmcnt(0)
	v_mov_b32_e32 v5, v9
	v_mov_b32_e32 v6, v10
	s_and_saveexec_b64 s[28:29], s[6:7]
	s_cbranch_execz .LBB56_64
; %bb.9:                                ;   in Loop: Header=BB56_5 Depth=1
	v_add_f32_e64 v7, |v9|, 1.0
	v_max_f32_e32 v5, v8, v7
	v_add_f32_e64 v6, |v9|, -1.0
	v_cvt_f64_f32_e32 v[38:39], v5
	v_max_f32_e64 v8, v8, |v6|
	v_cvt_f64_f32_e32 v[40:41], v8
	v_cmp_neq_f32_e32 vcc, s48, v5
	v_frexp_exp_i32_f64_e32 v38, v[38:39]
	v_frexp_exp_i32_f64_e32 v39, v[40:41]
	v_sub_u32_e32 v40, 0, v38
	v_ldexp_f32 v42, |v10|, v40
	v_sub_u32_e32 v41, 0, v39
	v_ldexp_f32 v40, v7, v40
	v_ldexp_f32 v43, |v10|, v41
	v_ldexp_f32 v41, |v6|, v41
	v_mul_f32_e32 v40, v40, v40
	v_mul_f32_e32 v41, v41, v41
	v_fmac_f32_e32 v40, v42, v42
	v_fmac_f32_e32 v41, v43, v43
	v_sqrt_f32_e32 v40, v40
	v_sqrt_f32_e32 v41, v41
	v_ldexp_f32 v38, v40, v38
	v_ldexp_f32 v40, v41, v39
	v_cndmask_b32_e32 v39, v31, v38, vcc
	v_cmp_neq_f32_e32 vcc, s48, v8
	v_cndmask_b32_e32 v8, v31, v40, vcc
	v_add_f32_e32 v5, v39, v8
	v_mul_f32_e32 v5, 0.5, v5
	v_cmp_ngt_f32_e32 vcc, 1.0, v5
	v_cndmask_b32_e32 v5, 1.0, v5, vcc
	v_cmp_ngt_f32_e32 vcc, s49, v5
                                        ; implicit-def: $vgpr40
	s_and_saveexec_b64 s[6:7], vcc
	s_xor_b64 s[30:31], exec, s[6:7]
	s_cbranch_execz .LBB56_11
; %bb.10:                               ;   in Loop: Header=BB56_5 Depth=1
	v_fma_f32 v38, v5, v5, -1.0
	v_mul_f32_e32 v40, 0x4f800000, v38
	v_cmp_gt_f32_e32 vcc, s50, v38
	v_cndmask_b32_e32 v38, v38, v40, vcc
	v_sqrt_f32_e32 v40, v38
	v_add_u32_e32 v41, -1, v40
	v_fma_f32 v43, -v41, v40, v38
	v_add_u32_e32 v42, 1, v40
	v_cmp_ge_f32_e64 s[6:7], 0, v43
	v_cndmask_b32_e64 v41, v40, v41, s[6:7]
	v_fma_f32 v40, -v42, v40, v38
	v_cmp_lt_f32_e64 s[6:7], 0, v40
	v_cndmask_b32_e64 v40, v41, v42, s[6:7]
	v_mul_f32_e32 v41, 0x37800000, v40
	v_cndmask_b32_e32 v40, v40, v41, vcc
	v_cmp_class_f32_e32 vcc, v38, v19
	v_cndmask_b32_e32 v38, v40, v38, vcc
	v_add_f32_e32 v38, v5, v38
	v_cmp_gt_f32_e32 vcc, s52, v38
	v_cndmask_b32_e64 v40, 0, 32, vcc
	v_ldexp_f32 v38, v38, v40
	v_log_f32_e32 v38, v38
	v_mul_f32_e32 v40, 0x3f317217, v38
	v_fma_f32 v40, v38, s53, -v40
	v_fmac_f32_e32 v40, 0x3377d1cf, v38
	v_fmac_f32_e32 v40, 0x3f317217, v38
	v_cmp_lt_f32_e64 s[6:7], |v38|, s48
	v_cndmask_b32_e64 v38, v38, v40, s[6:7]
	v_cndmask_b32_e32 v40, 0, v32, vcc
	v_sub_f32_e32 v40, v38, v40
.LBB56_11:                              ;   in Loop: Header=BB56_5 Depth=1
	s_or_saveexec_b64 s[30:31], s[30:31]
	v_and_b32_e32 v38, 0x7fffffff, v10
	s_xor_b64 exec, exec, s[30:31]
	s_cbranch_execz .LBB56_33
; %bb.12:                               ;   in Loop: Header=BB56_5 Depth=1
	v_cmp_neq_f32_e64 s[6:7], |v9|, 1.0
	v_cmp_nlt_f32_e64 s[34:35], |v10|, s54
	s_or_b64 s[6:7], s[6:7], s[34:35]
                                        ; implicit-def: $vgpr40
	s_and_saveexec_b64 s[34:35], s[6:7]
	s_xor_b64 s[34:35], exec, s[34:35]
	s_cbranch_execz .LBB56_30
; %bb.13:                               ;   in Loop: Header=BB56_5 Depth=1
	v_mul_f32_e64 v40, |v6|, s55
	v_cmp_ge_f32_e64 s[6:7], |v10|, v40
                                        ; implicit-def: $vgpr40
	s_and_saveexec_b64 s[36:37], s[6:7]
	s_xor_b64 s[36:37], exec, s[36:37]
	s_cbranch_execz .LBB56_23
; %bb.14:                               ;   in Loop: Header=BB56_5 Depth=1
	v_cmp_neq_f32_e32 vcc, 0, v7
	v_mov_b32_e32 v40, v38
	s_and_saveexec_b64 s[6:7], vcc
	s_cbranch_execz .LBB56_16
; %bb.15:                               ;   in Loop: Header=BB56_5 Depth=1
	v_mul_f32_e32 v40, v10, v10
	v_add_f32_e32 v41, v7, v39
	v_div_scale_f32 v42, s[38:39], v41, v41, v40
	v_div_scale_f32 v43, vcc, v40, v41, v40
	v_rcp_f32_e32 v44, v42
	v_fma_f32 v45, -v42, v44, 1.0
	v_fmac_f32_e32 v44, v45, v44
	v_mul_f32_e32 v45, v43, v44
	v_fma_f32 v46, -v42, v45, v43
	v_fmac_f32_e32 v45, v46, v44
	v_fma_f32 v42, -v42, v45, v43
	v_div_fmas_f32 v42, v42, v44, v45
	v_div_fixup_f32 v40, v42, v41, v40
.LBB56_16:                              ;   in Loop: Header=BB56_5 Depth=1
	s_or_b64 exec, exec, s[6:7]
	v_sub_f32_e64 v42, 1.0, |v9|
	v_cmp_ngt_f32_e32 vcc, 0, v42
                                        ; implicit-def: $vgpr41
	s_and_saveexec_b64 s[6:7], vcc
	s_xor_b64 s[6:7], exec, s[6:7]
	s_cbranch_execz .LBB56_20
; %bb.17:                               ;   in Loop: Header=BB56_5 Depth=1
	v_cmp_neq_f32_e32 vcc, 0, v42
	v_mov_b32_e32 v41, v38
	s_and_saveexec_b64 s[38:39], vcc
	s_cbranch_execz .LBB56_19
; %bb.18:                               ;   in Loop: Header=BB56_5 Depth=1
	v_mul_f32_e32 v41, v10, v10
	v_add_f32_e32 v42, v42, v8
	v_div_scale_f32 v43, s[40:41], v42, v42, v41
	v_div_scale_f32 v44, vcc, v41, v42, v41
	v_rcp_f32_e32 v45, v43
	v_fma_f32 v46, -v43, v45, 1.0
	v_fmac_f32_e32 v45, v46, v45
	v_mul_f32_e32 v46, v44, v45
	v_fma_f32 v47, -v43, v46, v44
	v_fmac_f32_e32 v46, v47, v45
	v_fma_f32 v43, -v43, v46, v44
	v_div_fmas_f32 v43, v43, v45, v46
	v_div_fixup_f32 v41, v43, v42, v41
.LBB56_19:                              ;   in Loop: Header=BB56_5 Depth=1
	s_or_b64 exec, exec, s[38:39]
                                        ; implicit-def: $vgpr42
.LBB56_20:                              ;   in Loop: Header=BB56_5 Depth=1
	s_andn2_saveexec_b64 s[6:7], s[6:7]
; %bb.21:                               ;   in Loop: Header=BB56_5 Depth=1
	v_sub_f32_e32 v41, v8, v42
; %bb.22:                               ;   in Loop: Header=BB56_5 Depth=1
	s_or_b64 exec, exec, s[6:7]
	v_mul_f32_e32 v41, 0.5, v41
	v_fmac_f32_e32 v41, 0.5, v40
	v_add_f32_e32 v40, 1.0, v5
	v_mul_f32_e32 v40, v40, v41
	v_mul_f32_e32 v42, 0x4f800000, v40
	v_cmp_gt_f32_e32 vcc, s50, v40
	v_cndmask_b32_e32 v40, v40, v42, vcc
	v_sqrt_f32_e32 v42, v40
	v_add_u32_e32 v43, -1, v42
	v_fma_f32 v45, -v43, v42, v40
	v_add_u32_e32 v44, 1, v42
	v_cmp_ge_f32_e64 s[6:7], 0, v45
	v_cndmask_b32_e64 v43, v42, v43, s[6:7]
	v_fma_f32 v42, -v44, v42, v40
	v_cmp_lt_f32_e64 s[6:7], 0, v42
	v_cndmask_b32_e64 v42, v43, v44, s[6:7]
	v_mul_f32_e32 v43, 0x37800000, v42
	v_cndmask_b32_e32 v42, v42, v43, vcc
	v_cmp_class_f32_e32 vcc, v40, v19
	v_cndmask_b32_e32 v40, v42, v40, vcc
	v_add_f32_e32 v42, v41, v40
	v_add_f32_e32 v43, 1.0, v42
	v_cvt_f64_f32_e32 v[40:41], v43
	v_add_f32_e32 v44, -1.0, v43
	v_frexp_exp_i32_f64_e32 v40, v[40:41]
	v_sub_f32_e32 v41, v44, v43
	v_add_f32_e32 v41, 1.0, v41
	v_sub_f32_e32 v44, v42, v44
	v_add_f32_e32 v41, v44, v41
	v_frexp_mant_f32_e32 v44, v43
	v_cmp_gt_f32_e32 vcc, s56, v44
	v_subbrev_co_u32_e32 v40, vcc, 0, v40, vcc
	v_sub_u32_e32 v44, 0, v40
	v_ldexp_f32 v43, v43, v44
	v_ldexp_f32 v41, v41, v44
	v_add_f32_e32 v44, -1.0, v43
	v_add_f32_e32 v47, 1.0, v43
	v_add_f32_e32 v45, 1.0, v44
	v_add_f32_e32 v48, -1.0, v47
	v_sub_f32_e32 v45, v43, v45
	v_sub_f32_e32 v43, v43, v48
	v_add_f32_e32 v45, v41, v45
	v_add_f32_e32 v41, v41, v43
	;; [unrolled: 1-line block ×3, first 2 shown]
	v_rcp_f32_e32 v48, v43
	v_add_f32_e32 v46, v44, v45
	v_sub_f32_e32 v44, v46, v44
	v_sub_f32_e32 v44, v45, v44
	;; [unrolled: 1-line block ×4, first 2 shown]
	v_mul_f32_e32 v45, v46, v48
	v_mul_f32_e32 v47, v43, v45
	v_fma_f32 v49, v45, v43, -v47
	v_fmac_f32_e32 v49, v45, v41
	v_add_f32_e32 v50, v47, v49
	v_sub_f32_e32 v51, v46, v50
	v_sub_f32_e32 v46, v46, v51
	;; [unrolled: 1-line block ×4, first 2 shown]
	v_add_f32_e32 v44, v44, v46
	v_sub_f32_e32 v46, v47, v49
	v_add_f32_e32 v44, v46, v44
	v_add_f32_e32 v46, v51, v44
	v_mul_f32_e32 v47, v48, v46
	v_mul_f32_e32 v49, v43, v47
	v_fma_f32 v43, v47, v43, -v49
	v_fmac_f32_e32 v43, v47, v41
	v_sub_f32_e32 v41, v51, v46
	v_add_f32_e32 v41, v44, v41
	v_add_f32_e32 v44, v49, v43
	v_sub_f32_e32 v50, v46, v44
	v_sub_f32_e32 v46, v46, v50
	;; [unrolled: 1-line block ×4, first 2 shown]
	v_add_f32_e32 v41, v41, v44
	v_sub_f32_e32 v43, v49, v43
	v_cvt_f32_i32_e32 v40, v40
	v_add_f32_e32 v41, v43, v41
	v_add_f32_e32 v43, v45, v47
	v_add_f32_e32 v41, v50, v41
	v_sub_f32_e32 v44, v43, v45
	v_mul_f32_e32 v41, v48, v41
	v_sub_f32_e32 v44, v47, v44
	v_add_f32_e32 v41, v44, v41
	v_mul_f32_e32 v47, 0x3f317218, v40
	v_add_f32_e32 v44, v43, v41
	v_fma_f32 v48, v40, s57, -v47
	v_mul_f32_e32 v45, v44, v44
	v_mov_b32_e32 v46, 0x3ecc95a3
	v_fmac_f32_e32 v48, 0xb102e308, v40
	v_sub_f32_e32 v40, v44, v43
	v_fmac_f32_e32 v46, 0x3e9b6dac, v45
	v_sub_f32_e32 v40, v41, v40
	v_add_f32_e32 v41, v47, v48
	v_fma_f32 v46, v45, v46, v20
	v_sub_f32_e32 v43, v41, v47
	v_ldexp_f32 v47, v44, 1
	v_mul_f32_e32 v44, v44, v45
	v_mul_f32_e32 v44, v44, v46
	v_add_f32_e32 v45, v47, v44
	v_sub_f32_e32 v46, v45, v47
	v_ldexp_f32 v40, v40, 1
	v_sub_f32_e32 v44, v44, v46
	v_add_f32_e32 v40, v40, v44
	v_add_f32_e32 v44, v45, v40
	v_sub_f32_e32 v45, v44, v45
	v_sub_f32_e32 v40, v40, v45
	v_add_f32_e32 v45, v41, v44
	v_sub_f32_e32 v46, v45, v41
	v_sub_f32_e32 v47, v45, v46
	;; [unrolled: 1-line block ×5, first 2 shown]
	v_add_f32_e32 v41, v44, v41
	v_add_f32_e32 v44, v43, v40
	v_sub_f32_e32 v46, v44, v43
	v_sub_f32_e32 v47, v44, v46
	;; [unrolled: 1-line block ×4, first 2 shown]
	v_add_f32_e32 v41, v44, v41
	v_add_f32_e32 v40, v40, v43
	;; [unrolled: 1-line block ×3, first 2 shown]
	v_sub_f32_e32 v44, v43, v45
	v_sub_f32_e32 v41, v41, v44
	v_add_f32_e32 v40, v40, v41
	v_add_f32_e32 v40, v43, v40
	v_cmp_neq_f32_e32 vcc, s48, v42
	v_cndmask_b32_e32 v40, v31, v40, vcc
	v_cmp_ngt_f32_e32 vcc, -1.0, v42
	v_cndmask_b32_e32 v40, v33, v40, vcc
	v_cmp_neq_f32_e32 vcc, -1.0, v42
	v_cndmask_b32_e32 v40, v34, v40, vcc
	v_cmp_lt_f32_e64 vcc, |v42|, s59
	v_cndmask_b32_e32 v40, v40, v42, vcc
.LBB56_23:                              ;   in Loop: Header=BB56_5 Depth=1
	s_andn2_saveexec_b64 s[36:37], s[36:37]
	s_cbranch_execz .LBB56_29
; %bb.24:                               ;   in Loop: Header=BB56_5 Depth=1
	v_cmp_nlt_f32_e64 s[6:7], |v9|, 1.0
                                        ; implicit-def: $vgpr40
	s_and_saveexec_b64 s[38:39], s[6:7]
	s_xor_b64 s[38:39], exec, s[38:39]
	s_cbranch_execz .LBB56_26
; %bb.25:                               ;   in Loop: Header=BB56_5 Depth=1
	v_mul_f32_e32 v40, v6, v7
	v_mul_f32_e32 v41, 0x4f800000, v40
	v_cmp_gt_f32_e32 vcc, s50, v40
	v_cndmask_b32_e32 v40, v40, v41, vcc
	v_sqrt_f32_e32 v41, v40
	v_add_u32_e32 v42, -1, v41
	v_fma_f32 v44, -v42, v41, v40
	v_add_u32_e32 v43, 1, v41
	v_cmp_ge_f32_e64 s[6:7], 0, v44
	v_cndmask_b32_e64 v42, v41, v42, s[6:7]
	v_fma_f32 v41, -v43, v41, v40
	v_cmp_lt_f32_e64 s[6:7], 0, v41
	v_cndmask_b32_e64 v41, v42, v43, s[6:7]
	v_mul_f32_e32 v42, 0x37800000, v41
	v_cndmask_b32_e32 v41, v41, v42, vcc
	v_cmp_class_f32_e32 vcc, v40, v19
	v_cndmask_b32_e32 v40, v41, v40, vcc
	v_add_f32_e32 v42, v6, v40
	v_add_f32_e32 v43, 1.0, v42
	v_cvt_f64_f32_e32 v[40:41], v43
	v_add_f32_e32 v44, -1.0, v43
	v_frexp_exp_i32_f64_e32 v40, v[40:41]
	v_sub_f32_e32 v41, v44, v43
	v_add_f32_e32 v41, 1.0, v41
	v_sub_f32_e32 v44, v42, v44
	v_add_f32_e32 v41, v44, v41
	v_frexp_mant_f32_e32 v44, v43
	v_cmp_gt_f32_e32 vcc, s56, v44
	v_subbrev_co_u32_e32 v40, vcc, 0, v40, vcc
	v_sub_u32_e32 v44, 0, v40
	v_ldexp_f32 v43, v43, v44
	v_ldexp_f32 v41, v41, v44
	v_add_f32_e32 v44, -1.0, v43
	v_add_f32_e32 v47, 1.0, v43
	v_add_f32_e32 v45, 1.0, v44
	v_add_f32_e32 v48, -1.0, v47
	v_sub_f32_e32 v45, v43, v45
	v_sub_f32_e32 v43, v43, v48
	v_add_f32_e32 v45, v41, v45
	v_add_f32_e32 v41, v41, v43
	v_add_f32_e32 v43, v47, v41
	v_rcp_f32_e32 v48, v43
	v_add_f32_e32 v46, v44, v45
	v_sub_f32_e32 v44, v46, v44
	v_sub_f32_e32 v44, v45, v44
	;; [unrolled: 1-line block ×4, first 2 shown]
	v_mul_f32_e32 v45, v46, v48
	v_mul_f32_e32 v47, v43, v45
	v_fma_f32 v49, v45, v43, -v47
	v_fmac_f32_e32 v49, v45, v41
	v_add_f32_e32 v50, v47, v49
	v_sub_f32_e32 v51, v46, v50
	v_sub_f32_e32 v46, v46, v51
	;; [unrolled: 1-line block ×4, first 2 shown]
	v_add_f32_e32 v44, v44, v46
	v_sub_f32_e32 v46, v47, v49
	v_add_f32_e32 v44, v46, v44
	v_add_f32_e32 v46, v51, v44
	v_mul_f32_e32 v47, v48, v46
	v_mul_f32_e32 v49, v43, v47
	v_fma_f32 v43, v47, v43, -v49
	v_fmac_f32_e32 v43, v47, v41
	v_sub_f32_e32 v41, v51, v46
	v_add_f32_e32 v41, v44, v41
	v_add_f32_e32 v44, v49, v43
	v_sub_f32_e32 v50, v46, v44
	v_sub_f32_e32 v46, v46, v50
	;; [unrolled: 1-line block ×4, first 2 shown]
	v_add_f32_e32 v41, v41, v44
	v_sub_f32_e32 v43, v49, v43
	v_cvt_f32_i32_e32 v40, v40
	v_add_f32_e32 v41, v43, v41
	v_add_f32_e32 v43, v45, v47
	v_add_f32_e32 v41, v50, v41
	v_sub_f32_e32 v44, v43, v45
	v_mul_f32_e32 v41, v48, v41
	v_sub_f32_e32 v44, v47, v44
	v_add_f32_e32 v41, v44, v41
	v_mul_f32_e32 v47, 0x3f317218, v40
	v_add_f32_e32 v44, v43, v41
	v_fma_f32 v48, v40, s57, -v47
	v_mul_f32_e32 v45, v44, v44
	v_mov_b32_e32 v46, 0x3ecc95a3
	v_fmac_f32_e32 v48, 0xb102e308, v40
	v_sub_f32_e32 v40, v44, v43
	v_fmac_f32_e32 v46, 0x3e9b6dac, v45
	v_sub_f32_e32 v40, v41, v40
	v_add_f32_e32 v41, v47, v48
	v_fma_f32 v46, v45, v46, v20
	v_sub_f32_e32 v43, v41, v47
	v_ldexp_f32 v47, v44, 1
	v_mul_f32_e32 v44, v44, v45
	v_mul_f32_e32 v44, v44, v46
	v_add_f32_e32 v45, v47, v44
	v_sub_f32_e32 v46, v45, v47
	v_ldexp_f32 v40, v40, 1
	v_sub_f32_e32 v44, v44, v46
	v_add_f32_e32 v40, v40, v44
	v_add_f32_e32 v44, v45, v40
	v_sub_f32_e32 v45, v44, v45
	v_sub_f32_e32 v40, v40, v45
	v_add_f32_e32 v45, v41, v44
	v_sub_f32_e32 v46, v45, v41
	v_sub_f32_e32 v47, v45, v46
	;; [unrolled: 1-line block ×5, first 2 shown]
	v_add_f32_e32 v41, v44, v41
	v_add_f32_e32 v44, v43, v40
	v_sub_f32_e32 v46, v44, v43
	v_sub_f32_e32 v47, v44, v46
	;; [unrolled: 1-line block ×4, first 2 shown]
	v_add_f32_e32 v41, v44, v41
	v_add_f32_e32 v40, v40, v43
	;; [unrolled: 1-line block ×3, first 2 shown]
	v_sub_f32_e32 v44, v43, v45
	v_sub_f32_e32 v41, v41, v44
	v_add_f32_e32 v40, v40, v41
	v_add_f32_e32 v40, v43, v40
	v_cmp_neq_f32_e32 vcc, s48, v42
	v_cndmask_b32_e32 v40, v31, v40, vcc
	v_cmp_ngt_f32_e32 vcc, -1.0, v42
	v_cndmask_b32_e32 v40, v33, v40, vcc
	v_cmp_neq_f32_e32 vcc, -1.0, v42
	v_cndmask_b32_e32 v40, v34, v40, vcc
	v_cmp_lt_f32_e64 vcc, |v42|, s59
	v_cndmask_b32_e32 v40, v40, v42, vcc
.LBB56_26:                              ;   in Loop: Header=BB56_5 Depth=1
	s_andn2_saveexec_b64 s[38:39], s[38:39]
	s_cbranch_execz .LBB56_28
; %bb.27:                               ;   in Loop: Header=BB56_5 Depth=1
	v_sub_f32_e64 v40, 1.0, |v9|
	v_mul_f32_e32 v40, v40, v7
	v_mul_f32_e32 v41, 0x4f800000, v40
	v_cmp_gt_f32_e32 vcc, s50, v40
	v_cndmask_b32_e32 v40, v40, v41, vcc
	v_sqrt_f32_e32 v41, v40
	v_add_u32_e32 v42, -1, v41
	v_fma_f32 v44, -v42, v41, v40
	v_add_u32_e32 v43, 1, v41
	v_cmp_ge_f32_e64 s[6:7], 0, v44
	v_cndmask_b32_e64 v42, v41, v42, s[6:7]
	v_fma_f32 v41, -v43, v41, v40
	v_cmp_lt_f32_e64 s[6:7], 0, v41
	v_cndmask_b32_e64 v41, v42, v43, s[6:7]
	v_mul_f32_e32 v42, 0x37800000, v41
	v_cndmask_b32_e32 v41, v41, v42, vcc
	v_cmp_class_f32_e32 vcc, v40, v19
	v_cndmask_b32_e32 v40, v41, v40, vcc
	v_and_b32_e32 v41, 0x7fffffff, v10
	v_div_scale_f32 v42, s[6:7], v40, v40, v41
	v_div_scale_f32 v41, vcc, v41, v40, v41
	v_rcp_f32_e32 v43, v42
	v_fma_f32 v44, -v42, v43, 1.0
	v_fmac_f32_e32 v43, v44, v43
	v_mul_f32_e32 v44, v41, v43
	v_fma_f32 v45, -v42, v44, v41
	v_fmac_f32_e32 v44, v45, v43
	v_fma_f32 v41, -v42, v44, v41
	v_div_fmas_f32 v41, v41, v43, v44
	v_div_fixup_f32 v40, v41, v40, |v10|
.LBB56_28:                              ;   in Loop: Header=BB56_5 Depth=1
	s_or_b64 exec, exec, s[38:39]
.LBB56_29:                              ;   in Loop: Header=BB56_5 Depth=1
	s_or_b64 exec, exec, s[36:37]
.LBB56_30:                              ;   in Loop: Header=BB56_5 Depth=1
	s_andn2_saveexec_b64 s[34:35], s[34:35]
	s_cbranch_execz .LBB56_32
; %bb.31:                               ;   in Loop: Header=BB56_5 Depth=1
	v_mul_f32_e64 v40, |v10|, s51
	v_cmp_lt_f32_e64 vcc, |v10|, s50
	v_cndmask_b32_e64 v40, |v10|, v40, vcc
	v_sqrt_f32_e32 v41, v40
	v_add_u32_e32 v42, -1, v41
	v_fma_f32 v44, -v42, v41, v40
	v_add_u32_e32 v43, 1, v41
	v_cmp_ge_f32_e64 s[6:7], 0, v44
	v_cndmask_b32_e64 v42, v41, v42, s[6:7]
	v_fma_f32 v41, -v43, v41, v40
	v_cmp_lt_f32_e64 s[6:7], 0, v41
	v_cndmask_b32_e64 v41, v42, v43, s[6:7]
	v_mul_f32_e32 v42, 0x37800000, v41
	v_cndmask_b32_e32 v41, v41, v42, vcc
	v_cmp_class_f32_e32 vcc, v40, v19
	v_cndmask_b32_e32 v40, v41, v40, vcc
.LBB56_32:                              ;   in Loop: Header=BB56_5 Depth=1
	s_or_b64 exec, exec, s[34:35]
.LBB56_33:                              ;   in Loop: Header=BB56_5 Depth=1
	s_or_b64 exec, exec, s[30:31]
	v_cmp_nlt_f32_e64 s[30:31], |v9|, s60
                                        ; implicit-def: $sgpr6_sgpr7
                                        ; implicit-def: $vgpr41
                                        ; implicit-def: $vgpr43
                                        ; implicit-def: $vgpr42
	s_and_saveexec_b64 s[34:35], s[30:31]
	s_xor_b64 s[30:31], exec, s[34:35]
	s_cbranch_execz .LBB56_57
; %bb.34:                               ;   in Loop: Header=BB56_5 Depth=1
	v_and_b32_e32 v42, 0x7fffffff, v9
	v_div_scale_f32 v41, s[6:7], v5, v5, v42
	v_div_scale_f32 v43, vcc, v42, v5, v42
	s_mov_b64 s[6:7], 0
	v_rcp_f32_e32 v44, v41
	v_fma_f32 v45, -v41, v44, 1.0
	v_fmac_f32_e32 v44, v45, v44
	v_mul_f32_e32 v45, v43, v44
	v_fma_f32 v46, -v41, v45, v43
	v_fmac_f32_e32 v45, v46, v44
	v_fma_f32 v41, -v41, v45, v43
	v_div_fmas_f32 v41, v41, v44, v45
                                        ; implicit-def: $vgpr43
	v_div_fixup_f32 v41, v41, v5, |v9|
	v_cmp_lt_f32_e32 vcc, s61, v41
	s_and_saveexec_b64 s[34:35], vcc
	s_cbranch_execz .LBB56_56
; %bb.35:                               ;   in Loop: Header=BB56_5 Depth=1
	v_cmp_neq_f32_e64 s[6:7], |v9|, 1.0
	v_cmp_nlt_f32_e64 s[36:37], |v10|, s62
	s_or_b64 s[6:7], s[6:7], s[36:37]
                                        ; implicit-def: $vgpr43
	s_and_saveexec_b64 s[36:37], s[6:7]
	s_xor_b64 s[36:37], exec, s[36:37]
	s_cbranch_execz .LBB56_53
; %bb.36:                               ;   in Loop: Header=BB56_5 Depth=1
	v_mul_f32_e64 v43, |v6|, s55
	v_cmp_ge_f32_e64 s[6:7], |v10|, v43
                                        ; implicit-def: $vgpr43
	s_and_saveexec_b64 s[38:39], s[6:7]
	s_xor_b64 s[38:39], exec, s[38:39]
	s_cbranch_execz .LBB56_46
; %bb.37:                               ;   in Loop: Header=BB56_5 Depth=1
	v_cmp_neq_f32_e32 vcc, 0, v7
	v_mov_b32_e32 v43, v38
	s_and_saveexec_b64 s[6:7], vcc
	s_cbranch_execz .LBB56_39
; %bb.38:                               ;   in Loop: Header=BB56_5 Depth=1
	v_mul_f32_e32 v43, v10, v10
	v_add_f32_e32 v7, v7, v39
	v_div_scale_f32 v39, s[40:41], v7, v7, v43
	v_div_scale_f32 v44, vcc, v43, v7, v43
	v_rcp_f32_e32 v45, v39
	v_fma_f32 v46, -v39, v45, 1.0
	v_fmac_f32_e32 v45, v46, v45
	v_mul_f32_e32 v46, v44, v45
	v_fma_f32 v47, -v39, v46, v44
	v_fmac_f32_e32 v46, v47, v45
	v_fma_f32 v39, -v39, v46, v44
	v_div_fmas_f32 v39, v39, v45, v46
	v_div_fixup_f32 v43, v39, v7, v43
.LBB56_39:                              ;   in Loop: Header=BB56_5 Depth=1
	s_or_b64 exec, exec, s[6:7]
	v_cmp_ngt_f32_e32 vcc, 0, v6
	s_and_saveexec_b64 s[6:7], vcc
	s_xor_b64 s[6:7], exec, s[6:7]
	s_cbranch_execz .LBB56_43
; %bb.40:                               ;   in Loop: Header=BB56_5 Depth=1
	v_cmp_neq_f32_e32 vcc, 0, v6
	s_and_saveexec_b64 s[40:41], vcc
	s_cbranch_execz .LBB56_42
; %bb.41:                               ;   in Loop: Header=BB56_5 Depth=1
	v_mul_f32_e32 v7, v10, v10
	v_add_f32_e32 v6, v6, v8
	v_div_scale_f32 v8, s[72:73], v6, v6, v7
	v_div_scale_f32 v38, vcc, v7, v6, v7
	v_rcp_f32_e32 v39, v8
	v_fma_f32 v44, -v8, v39, 1.0
	v_fmac_f32_e32 v39, v44, v39
	v_mul_f32_e32 v44, v38, v39
	v_fma_f32 v45, -v8, v44, v38
	v_fmac_f32_e32 v44, v45, v39
	v_fma_f32 v8, -v8, v44, v38
	v_div_fmas_f32 v8, v8, v39, v44
	v_div_fixup_f32 v38, v8, v6, v7
.LBB56_42:                              ;   in Loop: Header=BB56_5 Depth=1
	s_or_b64 exec, exec, s[40:41]
                                        ; implicit-def: $vgpr8
                                        ; implicit-def: $vgpr6
.LBB56_43:                              ;   in Loop: Header=BB56_5 Depth=1
	s_andn2_saveexec_b64 s[6:7], s[6:7]
; %bb.44:                               ;   in Loop: Header=BB56_5 Depth=1
	v_sub_f32_e32 v38, v8, v6
; %bb.45:                               ;   in Loop: Header=BB56_5 Depth=1
	s_or_b64 exec, exec, s[6:7]
	v_mul_f32_e32 v6, 0.5, v38
	v_fmac_f32_e32 v6, 0.5, v43
	v_add_f32_e64 v5, |v9|, v5
	v_mul_f32_e32 v5, v5, v6
	v_mul_f32_e32 v6, 0x4f800000, v5
	v_cmp_gt_f32_e32 vcc, s50, v5
	v_cndmask_b32_e32 v5, v5, v6, vcc
	v_sqrt_f32_e32 v6, v5
	v_add_u32_e32 v7, -1, v6
	v_fma_f32 v8, -v7, v6, v5
	v_cmp_ge_f32_e64 s[6:7], 0, v8
	v_add_u32_e32 v8, 1, v6
	v_cndmask_b32_e64 v7, v6, v7, s[6:7]
	v_fma_f32 v6, -v8, v6, v5
	v_cmp_lt_f32_e64 s[6:7], 0, v6
	v_cndmask_b32_e64 v6, v7, v8, s[6:7]
	v_mul_f32_e32 v7, 0x37800000, v6
	v_cndmask_b32_e32 v6, v6, v7, vcc
	v_cmp_class_f32_e32 vcc, v5, v19
	v_cndmask_b32_e32 v43, v6, v5, vcc
                                        ; implicit-def: $vgpr7
                                        ; implicit-def: $vgpr6
.LBB56_46:                              ;   in Loop: Header=BB56_5 Depth=1
	s_andn2_saveexec_b64 s[38:39], s[38:39]
	s_cbranch_execz .LBB56_52
; %bb.47:                               ;   in Loop: Header=BB56_5 Depth=1
	v_cmp_ngt_f32_e64 s[6:7], |v9|, 1.0
                                        ; implicit-def: $vgpr43
	s_and_saveexec_b64 s[40:41], s[6:7]
	s_xor_b64 s[40:41], exec, s[40:41]
	s_cbranch_execz .LBB56_49
; %bb.48:                               ;   in Loop: Header=BB56_5 Depth=1
	v_sub_f32_e64 v5, 1.0, |v9|
	v_mul_f32_e32 v5, v5, v7
	v_mul_f32_e32 v6, 0x4f800000, v5
	v_cmp_gt_f32_e32 vcc, s50, v5
	v_cndmask_b32_e32 v5, v5, v6, vcc
	v_sqrt_f32_e32 v6, v5
	v_add_u32_e32 v7, -1, v6
	v_fma_f32 v38, -v7, v6, v5
	v_add_u32_e32 v8, 1, v6
	v_cmp_ge_f32_e64 s[6:7], 0, v38
	v_cndmask_b32_e64 v7, v6, v7, s[6:7]
	v_fma_f32 v6, -v8, v6, v5
	v_cmp_lt_f32_e64 s[6:7], 0, v6
	v_cndmask_b32_e64 v6, v7, v8, s[6:7]
	v_mul_f32_e32 v7, 0x37800000, v6
	v_cndmask_b32_e32 v6, v6, v7, vcc
	v_cmp_class_f32_e32 vcc, v5, v19
	v_cndmask_b32_e32 v43, v6, v5, vcc
                                        ; implicit-def: $vgpr7
                                        ; implicit-def: $vgpr6
.LBB56_49:                              ;   in Loop: Header=BB56_5 Depth=1
	s_andn2_saveexec_b64 s[40:41], s[40:41]
	s_cbranch_execz .LBB56_51
; %bb.50:                               ;   in Loop: Header=BB56_5 Depth=1
	v_mul_f32_e32 v5, v7, v6
	v_mul_f32_e32 v6, 0x4f800000, v5
	v_cmp_gt_f32_e32 vcc, s50, v5
	v_cndmask_b32_e32 v5, v5, v6, vcc
	v_sqrt_f32_e32 v6, v5
	v_mul_f32_e64 v7, |v10|, s63
	v_mul_f32_e64 v7, |v9|, v7
	v_add_u32_e32 v8, -1, v6
	v_fma_f32 v38, -v8, v6, v5
	v_cmp_ge_f32_e64 s[6:7], 0, v38
	v_add_u32_e32 v38, 1, v6
	v_cndmask_b32_e64 v8, v6, v8, s[6:7]
	v_fma_f32 v6, -v38, v6, v5
	v_cmp_lt_f32_e64 s[6:7], 0, v6
	v_cndmask_b32_e64 v6, v8, v38, s[6:7]
	v_mul_f32_e32 v8, 0x37800000, v6
	v_cndmask_b32_e32 v6, v6, v8, vcc
	v_cmp_class_f32_e32 vcc, v5, v19
	v_cndmask_b32_e32 v5, v6, v5, vcc
	v_div_scale_f32 v6, s[6:7], v5, v5, v7
	v_div_scale_f32 v8, vcc, v7, v5, v7
	v_rcp_f32_e32 v38, v6
	v_fma_f32 v39, -v6, v38, 1.0
	v_fmac_f32_e32 v38, v39, v38
	v_mul_f32_e32 v39, v8, v38
	v_fma_f32 v42, -v6, v39, v8
	v_fmac_f32_e32 v39, v42, v38
	v_fma_f32 v6, -v6, v39, v8
	v_div_fmas_f32 v6, v6, v38, v39
	v_mul_f32_e64 v42, |v9|, s63
	v_div_fixup_f32 v43, v6, v5, v7
.LBB56_51:                              ;   in Loop: Header=BB56_5 Depth=1
	s_or_b64 exec, exec, s[40:41]
.LBB56_52:                              ;   in Loop: Header=BB56_5 Depth=1
	s_or_b64 exec, exec, s[38:39]
                                        ; implicit-def: $vgpr5
.LBB56_53:                              ;   in Loop: Header=BB56_5 Depth=1
	s_andn2_saveexec_b64 s[36:37], s[36:37]
	s_cbranch_execz .LBB56_55
; %bb.54:                               ;   in Loop: Header=BB56_5 Depth=1
	v_mul_f32_e64 v6, |v10|, s51
	v_cmp_lt_f32_e64 vcc, |v10|, s50
	v_cndmask_b32_e64 v6, |v10|, v6, vcc
	v_sqrt_f32_e32 v7, v6
	v_add_f32_e32 v5, 1.0, v5
	v_mul_f32_e32 v5, 0.5, v5
	v_mov_b32_e32 v42, 1.0
	v_add_u32_e32 v8, -1, v7
	v_fma_f32 v39, -v8, v7, v6
	v_add_u32_e32 v38, 1, v7
	v_cmp_ge_f32_e64 s[6:7], 0, v39
	v_cndmask_b32_e64 v8, v7, v8, s[6:7]
	v_fma_f32 v7, -v38, v7, v6
	v_cmp_lt_f32_e64 s[6:7], 0, v7
	v_cndmask_b32_e64 v7, v8, v38, s[6:7]
	v_mul_f32_e32 v8, 0x37800000, v7
	v_cndmask_b32_e32 v7, v7, v8, vcc
	v_mul_f32_e32 v8, 0x4f800000, v5
	v_cmp_gt_f32_e32 vcc, s50, v5
	v_cndmask_b32_e32 v5, v5, v8, vcc
	v_sqrt_f32_e32 v8, v5
	v_cmp_class_f32_e64 s[6:7], v6, v19
	v_cndmask_b32_e64 v6, v7, v6, s[6:7]
	v_add_u32_e32 v7, -1, v8
	v_fma_f32 v38, -v7, v8, v5
	v_cmp_ge_f32_e64 s[6:7], 0, v38
	v_add_u32_e32 v38, 1, v8
	v_cndmask_b32_e64 v7, v8, v7, s[6:7]
	v_fma_f32 v8, -v38, v8, v5
	v_cmp_lt_f32_e64 s[6:7], 0, v8
	v_cndmask_b32_e64 v7, v7, v38, s[6:7]
	v_mul_f32_e32 v8, 0x37800000, v7
	v_cndmask_b32_e32 v7, v7, v8, vcc
	v_cmp_class_f32_e32 vcc, v5, v19
	v_cndmask_b32_e32 v5, v7, v5, vcc
	v_mul_f32_e32 v43, v6, v5
.LBB56_55:                              ;   in Loop: Header=BB56_5 Depth=1
	s_or_b64 exec, exec, s[36:37]
	s_mov_b64 s[6:7], exec
.LBB56_56:                              ;   in Loop: Header=BB56_5 Depth=1
	s_or_b64 exec, exec, s[34:35]
                                        ; implicit-def: $vgpr5
.LBB56_57:                              ;   in Loop: Header=BB56_5 Depth=1
	s_andn2_saveexec_b64 s[30:31], s[30:31]
; %bb.58:                               ;   in Loop: Header=BB56_5 Depth=1
	v_mul_f32_e32 v43, 0x4b800000, v5
	v_mul_f32_e64 v42, |v9|, s64
	s_or_b64 s[6:7], s[6:7], exec
                                        ; implicit-def: $vgpr41
; %bb.59:                               ;   in Loop: Header=BB56_5 Depth=1
	s_or_b64 exec, exec, s[30:31]
	s_xor_b64 s[6:7], s[6:7], -1
                                        ; implicit-def: $vgpr5
	s_and_saveexec_b64 s[30:31], s[6:7]
	s_xor_b64 s[6:7], exec, s[30:31]
	s_cbranch_execz .LBB56_61
; %bb.60:                               ;   in Loop: Header=BB56_5 Depth=1
	v_fma_f32 v5, |v41|, -0.5, 0.5
	v_mul_f32_e32 v6, v41, v41
	v_cmp_ge_f32_e64 vcc, |v41|, 0.5
	v_cndmask_b32_e32 v5, v6, v5, vcc
	v_mov_b32_e32 v6, 0x3c5fc5da
	v_fmac_f32_e32 v6, 0x3d1c21a7, v5
	v_fma_f32 v6, v5, v6, v21
	v_fma_f32 v6, v5, v6, v22
	v_sqrt_f32_e32 v7, v5
	v_fma_f32 v6, v5, v6, v23
	v_fma_f32 v6, v5, v6, v24
	v_mul_f32_e32 v5, v5, v6
	v_fmac_f32_e32 v7, v7, v5
	v_add_f32_e32 v6, v7, v7
	v_sub_f32_e32 v6, 0x3fc90fdb, v6
	v_fma_f32 v5, |v41|, v5, |v41|
	v_cmp_lt_f32_e64 vcc, |v41|, 0.5
	v_cndmask_b32_e32 v5, v6, v5, vcc
	v_bfi_b32 v5, s47, v5, v41
                                        ; implicit-def: $vgpr42
                                        ; implicit-def: $vgpr43
.LBB56_61:                              ;   in Loop: Header=BB56_5 Depth=1
	s_andn2_saveexec_b64 s[30:31], s[6:7]
	s_cbranch_execz .LBB56_63
; %bb.62:                               ;   in Loop: Header=BB56_5 Depth=1
	v_max_f32_e32 v5, v42, v42
	v_max_f32_e64 v6, |v43|, |v43|
	v_min_f32_e32 v7, v6, v5
	v_max_f32_e32 v5, v6, v5
	v_frexp_mant_f32_e32 v6, v5
	v_rcp_f32_e32 v6, v6
	v_frexp_exp_i32_f32_e32 v5, v5
	v_frexp_exp_i32_f32_e32 v8, v7
	v_frexp_mant_f32_e32 v7, v7
	v_mul_f32_e32 v6, v7, v6
	v_sub_u32_e32 v5, v8, v5
	v_ldexp_f32 v5, v6, v5
	v_mul_f32_e32 v6, v5, v5
	v_mov_b32_e32 v7, 0xbc7a590c
	v_fmac_f32_e32 v7, 0x3b2d2a58, v6
	v_fma_f32 v7, v6, v7, v25
	v_fma_f32 v7, v6, v7, v26
	;; [unrolled: 1-line block ×6, first 2 shown]
	v_mul_f32_e32 v6, v6, v7
	v_fmac_f32_e32 v5, v5, v6
	v_sub_f32_e32 v6, 0x3fc90fdb, v5
	v_cmp_gt_f32_e64 vcc, v42, |v43|
	v_cndmask_b32_e32 v5, v5, v6, vcc
	v_sub_f32_e32 v6, 0x40490fdb, v5
	v_cmp_gt_f32_e32 vcc, 0, v43
	v_cmp_gt_i32_e64 s[6:7], 0, v43
	v_cndmask_b32_e32 v5, v5, v6, vcc
	v_cndmask_b32_e64 v6, 0, v35, s[6:7]
	v_cndmask_b32_e32 v7, v36, v37, vcc
	v_cmp_class_f32_e64 s[34:35], v43, s65
	v_cmp_eq_f32_e32 vcc, s48, v42
	v_cmp_eq_f32_e64 s[6:7], 0, v42
	v_cndmask_b32_e64 v5, |v5|, v6, s[6:7]
	s_and_b64 vcc, vcc, s[34:35]
	v_cndmask_b32_e32 v5, v5, v7, vcc
	v_cmp_o_f32_e32 vcc, v43, v43
	v_cndmask_b32_e32 v5, v33, v5, vcc
.LBB56_63:                              ;   in Loop: Header=BB56_5 Depth=1
	s_or_b64 exec, exec, s[30:31]
	v_bfi_b32 v6, s47, v40, v10
	v_bfi_b32 v5, s47, v5, v9
.LBB56_64:                              ;   in Loop: Header=BB56_5 Depth=1
	s_or_b64 exec, exec, s[28:29]
.LBB56_65:                              ;   in Loop: Header=BB56_5 Depth=1
	s_or_b64 exec, exec, s[26:27]
                                        ; implicit-def: $vgpr7
                                        ; implicit-def: $vgpr8
                                        ; implicit-def: $vgpr38
.LBB56_66:                              ;   in Loop: Header=BB56_5 Depth=1
	s_andn2_saveexec_b64 s[26:27], s[8:9]
	s_cbranch_execz .LBB56_88
; %bb.67:                               ;   in Loop: Header=BB56_5 Depth=1
	v_cmp_lt_i32_e32 vcc, -1, v10
                                        ; implicit-def: $sgpr28_sgpr29
                                        ; implicit-def: $vgpr5
                                        ; implicit-def: $vgpr6
	s_and_saveexec_b64 s[6:7], vcc
	s_xor_b64 s[30:31], exec, s[6:7]
	s_cbranch_execz .LBB56_77
; %bb.68:                               ;   in Loop: Header=BB56_5 Depth=1
	v_cmp_lt_f32_e64 s[6:7], |v10|, |v9|
	v_cndmask_b32_e64 v39, |v10|, |v9|, s[6:7]
	v_cmp_nlt_f32_e32 vcc, s66, v39
                                        ; implicit-def: $vgpr5
                                        ; implicit-def: $vgpr6
	s_and_saveexec_b64 s[8:9], vcc
	s_xor_b64 s[28:29], exec, s[8:9]
	s_cbranch_execz .LBB56_74
; %bb.69:                               ;   in Loop: Header=BB56_5 Depth=1
	v_cndmask_b32_e64 v40, |v9|, |v10|, s[6:7]
	v_cmp_nlt_f32_e32 vcc, s67, v39
	v_cmp_ngt_f32_e64 s[8:9], s68, v40
	s_and_b64 s[8:9], vcc, s[8:9]
                                        ; implicit-def: $vgpr5
                                        ; implicit-def: $vgpr6
	s_and_saveexec_b64 s[34:35], s[8:9]
	s_xor_b64 s[8:9], exec, s[34:35]
	s_cbranch_execz .LBB56_71
; %bb.70:                               ;   in Loop: Header=BB56_5 Depth=1
	v_mul_f32_e32 v5, v40, v40
	v_fmac_f32_e32 v5, v39, v39
	v_cmp_gt_f32_e32 vcc, s52, v5
	v_cndmask_b32_e64 v6, 0, 32, vcc
	v_ldexp_f32 v5, v5, v6
	v_log_f32_e32 v5, v5
	v_cndmask_b32_e32 v6, 0, v32, vcc
	v_mul_f32_e32 v39, 0x3f317217, v5
	v_fma_f32 v39, v5, s53, -v39
	v_fmac_f32_e32 v39, 0x3377d1cf, v5
	v_fmac_f32_e32 v39, 0x3f317217, v5
	v_cmp_lt_f32_e64 vcc, |v5|, s48
	v_cndmask_b32_e32 v5, v5, v39, vcc
	v_sub_f32_e32 v5, v5, v6
	v_min_f32_e32 v6, v8, v7
	v_frexp_mant_f32_e32 v7, v38
	v_rcp_f32_e32 v7, v7
	v_frexp_exp_i32_f32_e32 v8, v38
	v_frexp_exp_i32_f32_e32 v38, v6
	v_frexp_mant_f32_e32 v6, v6
	v_mul_f32_e32 v6, v6, v7
	v_sub_u32_e32 v7, v38, v8
	v_ldexp_f32 v6, v6, v7
	v_mul_f32_e32 v7, v6, v6
	v_mov_b32_e32 v8, 0xbc7a590c
	v_fmac_f32_e32 v8, 0x3b2d2a58, v7
	v_fma_f32 v8, v7, v8, v25
	v_fma_f32 v8, v7, v8, v26
	;; [unrolled: 1-line block ×6, first 2 shown]
	v_mul_f32_e32 v7, v7, v8
	v_mul_f32_e32 v5, 0.5, v5
	v_fmac_f32_e32 v6, v6, v7
                                        ; implicit-def: $vgpr38
                                        ; implicit-def: $vgpr8
                                        ; implicit-def: $vgpr7
.LBB56_71:                              ;   in Loop: Header=BB56_5 Depth=1
	s_andn2_saveexec_b64 s[8:9], s[8:9]
	s_cbranch_execz .LBB56_73
; %bb.72:                               ;   in Loop: Header=BB56_5 Depth=1
	v_cvt_f64_f32_e32 v[5:6], v38
	v_cmp_neq_f32_e32 vcc, s48, v38
	v_mov_b32_e32 v39, 0xbc7a590c
	v_frexp_exp_i32_f64_e32 v5, v[5:6]
	v_min_f32_e32 v6, v8, v7
	v_frexp_mant_f32_e32 v8, v38
	v_rcp_f32_e32 v8, v8
	v_frexp_exp_i32_f32_e32 v40, v6
	v_frexp_mant_f32_e32 v6, v6
	v_frexp_exp_i32_f32_e32 v7, v38
	v_mul_f32_e32 v6, v6, v8
	v_sub_u32_e32 v41, 0, v5
	v_ldexp_f32 v42, |v10|, v41
	v_ldexp_f32 v41, |v9|, v41
	v_mul_f32_e32 v41, v41, v41
	v_fmac_f32_e32 v41, v42, v42
	v_sqrt_f32_e32 v41, v41
	v_sub_u32_e32 v7, v40, v7
	v_ldexp_f32 v6, v6, v7
	v_mul_f32_e32 v7, v6, v6
	v_ldexp_f32 v5, v41, v5
	v_cndmask_b32_e32 v5, v31, v5, vcc
	v_cmp_gt_f32_e32 vcc, s52, v5
	v_cndmask_b32_e64 v8, 0, 32, vcc
	v_ldexp_f32 v5, v5, v8
	v_log_f32_e32 v5, v5
	v_cndmask_b32_e32 v8, 0, v32, vcc
	v_fmac_f32_e32 v39, 0x3b2d2a58, v7
	v_mul_f32_e32 v38, 0x3f317217, v5
	v_fma_f32 v38, v5, s53, -v38
	v_fmac_f32_e32 v38, 0x3377d1cf, v5
	v_fmac_f32_e32 v38, 0x3f317217, v5
	v_cmp_lt_f32_e64 vcc, |v5|, s48
	v_cndmask_b32_e32 v5, v5, v38, vcc
	v_sub_f32_e32 v5, v5, v8
	v_fma_f32 v8, v7, v39, v25
	v_fma_f32 v8, v7, v8, v26
	;; [unrolled: 1-line block ×6, first 2 shown]
	v_mul_f32_e32 v7, v7, v8
	v_fmac_f32_e32 v6, v6, v7
.LBB56_73:                              ;   in Loop: Header=BB56_5 Depth=1
	s_or_b64 exec, exec, s[8:9]
                                        ; implicit-def: $vgpr8
                                        ; implicit-def: $vgpr7
                                        ; implicit-def: $vgpr38
.LBB56_74:                              ;   in Loop: Header=BB56_5 Depth=1
	s_andn2_saveexec_b64 s[28:29], s[28:29]
	s_cbranch_execz .LBB56_76
; %bb.75:                               ;   in Loop: Header=BB56_5 Depth=1
	v_div_scale_f32 v5, s[8:9], s69, s69, v10
	v_div_scale_f32 v6, s[8:9], s69, s69, v9
	v_div_scale_f32 v39, vcc, v10, s69, v10
	v_div_scale_f32 v40, s[8:9], v9, s69, v9
	v_min_f32_e32 v7, v8, v7
	v_frexp_exp_i32_f32_e32 v8, v38
	v_frexp_mant_f32_e32 v38, v38
	v_rcp_f32_e32 v38, v38
	v_rcp_f32_e32 v41, v5
	;; [unrolled: 1-line block ×3, first 2 shown]
	v_fma_f32 v43, -v5, v41, 1.0
	v_fmac_f32_e32 v41, v43, v41
	v_fma_f32 v44, -v6, v42, 1.0
	v_fmac_f32_e32 v42, v44, v42
	v_mul_f32_e32 v43, v39, v41
	v_mul_f32_e32 v44, v40, v42
	v_fma_f32 v45, -v5, v43, v39
	v_fma_f32 v46, -v6, v44, v40
	v_fmac_f32_e32 v43, v45, v41
	v_fmac_f32_e32 v44, v46, v42
	v_fma_f32 v5, -v5, v43, v39
	v_fma_f32 v6, -v6, v44, v40
	v_div_fmas_f32 v5, v5, v41, v43
	s_mov_b64 vcc, s[8:9]
	v_div_fmas_f32 v6, v6, v42, v44
	v_frexp_exp_i32_f32_e32 v43, v7
	v_frexp_mant_f32_e32 v7, v7
	v_mul_f32_e32 v7, v7, v38
	v_mov_b32_e32 v39, 0xbc7a590c
	v_div_fixup_f32 v40, v5, s69, v10
	v_div_fixup_f32 v41, v6, s69, v9
	v_max_f32_e64 v42, v40, |v41|
	v_cvt_f64_f32_e32 v[5:6], v42
	v_cmp_neq_f32_e32 vcc, s48, v42
	v_frexp_exp_i32_f64_e32 v5, v[5:6]
	v_sub_u32_e32 v6, v43, v8
	v_ldexp_f32 v6, v7, v6
	v_mul_f32_e32 v7, v6, v6
	v_fmac_f32_e32 v39, 0x3b2d2a58, v7
	v_fma_f32 v8, v7, v39, v25
	v_fma_f32 v8, v7, v8, v26
	;; [unrolled: 1-line block ×3, first 2 shown]
	v_sub_u32_e32 v38, 0, v5
	v_ldexp_f32 v39, v40, v38
	v_ldexp_f32 v38, |v41|, v38
	v_mul_f32_e32 v38, v38, v38
	v_fmac_f32_e32 v38, v39, v39
	v_sqrt_f32_e32 v38, v38
	v_fma_f32 v8, v7, v8, v28
	v_fma_f32 v8, v7, v8, v29
	;; [unrolled: 1-line block ×3, first 2 shown]
	v_ldexp_f32 v5, v38, v5
	v_cndmask_b32_e32 v5, v31, v5, vcc
	v_cmp_gt_f32_e32 vcc, s52, v5
	v_cndmask_b32_e64 v38, 0, 32, vcc
	v_ldexp_f32 v5, v5, v38
	v_log_f32_e32 v5, v5
	v_mul_f32_e32 v7, v7, v8
	v_cndmask_b32_e32 v8, 0, v32, vcc
	v_fmac_f32_e32 v6, v6, v7
	v_mul_f32_e32 v38, 0x3f317217, v5
	v_fma_f32 v38, v5, s53, -v38
	v_fmac_f32_e32 v38, 0x3377d1cf, v5
	v_fmac_f32_e32 v38, 0x3f317217, v5
	v_cmp_lt_f32_e64 vcc, |v5|, s48
	v_cndmask_b32_e32 v5, v5, v38, vcc
	v_sub_f32_e32 v5, v5, v8
	v_add_f32_e32 v5, 1.0, v5
.LBB56_76:                              ;   in Loop: Header=BB56_5 Depth=1
	s_or_b64 exec, exec, s[28:29]
	v_sub_f32_e32 v7, 0x3fc90fdb, v6
	v_cndmask_b32_e64 v6, v6, v7, s[6:7]
	v_cmp_neq_f32_e32 vcc, 0, v9
	v_cndmask_b32_e32 v6, 0, v6, vcc
	v_cmp_class_f32_e64 s[28:29], v10, s65
                                        ; implicit-def: $vgpr7
.LBB56_77:                              ;   in Loop: Header=BB56_5 Depth=1
	s_andn2_saveexec_b64 s[30:31], s[30:31]
	s_cbranch_execz .LBB56_87
; %bb.78:                               ;   in Loop: Header=BB56_5 Depth=1
	v_cmp_gt_f32_e64 s[6:7], |v9|, -v10
	v_cndmask_b32_e64 v8, -v10, |v9|, s[6:7]
	v_cmp_nlt_f32_e32 vcc, s66, v8
                                        ; implicit-def: $vgpr5
                                        ; implicit-def: $vgpr6
	s_and_saveexec_b64 s[8:9], vcc
	s_xor_b64 s[34:35], exec, s[8:9]
	s_cbranch_execz .LBB56_84
; %bb.79:                               ;   in Loop: Header=BB56_5 Depth=1
	v_xor_b32_e32 v5, 0x80000000, v10
	v_cndmask_b32_e64 v38, |v9|, v5, s[6:7]
	v_cmp_nlt_f32_e32 vcc, s67, v8
	v_cmp_ngt_f32_e64 s[8:9], s68, v38
	s_and_b64 s[8:9], vcc, s[8:9]
                                        ; implicit-def: $vgpr5
                                        ; implicit-def: $vgpr6
	s_and_saveexec_b64 s[36:37], s[8:9]
	s_xor_b64 s[8:9], exec, s[36:37]
	s_cbranch_execz .LBB56_81
; %bb.80:                               ;   in Loop: Header=BB56_5 Depth=1
	v_mul_f32_e32 v5, v38, v38
	v_fmac_f32_e32 v5, v8, v8
	v_cmp_gt_f32_e32 vcc, s52, v5
	v_cndmask_b32_e64 v6, 0, 32, vcc
	v_ldexp_f32 v5, v5, v6
	v_log_f32_e32 v5, v5
	v_cndmask_b32_e32 v6, 0, v32, vcc
	v_mul_f32_e32 v8, 0x3f317217, v5
	v_fma_f32 v8, v5, s53, -v8
	v_fmac_f32_e32 v8, 0x3377d1cf, v5
	v_fmac_f32_e32 v8, 0x3f317217, v5
	v_cmp_lt_f32_e64 vcc, |v5|, s48
	v_cndmask_b32_e32 v5, v5, v8, vcc
	v_sub_f32_e32 v5, v5, v6
	v_max_f32_e64 v6, -v10, -v10
	v_min_f32_e32 v8, v6, v7
	v_max_f32_e32 v6, v6, v7
	v_frexp_mant_f32_e32 v7, v6
	v_rcp_f32_e32 v7, v7
	v_frexp_exp_i32_f32_e32 v6, v6
	v_frexp_exp_i32_f32_e32 v38, v8
	v_frexp_mant_f32_e32 v8, v8
	v_mul_f32_e32 v7, v8, v7
	v_sub_u32_e32 v6, v38, v6
	v_ldexp_f32 v6, v7, v6
	v_mul_f32_e32 v7, v6, v6
	v_mov_b32_e32 v8, 0xbc7a590c
	v_fmac_f32_e32 v8, 0x3b2d2a58, v7
	v_fma_f32 v8, v7, v8, v25
	v_fma_f32 v8, v7, v8, v26
	;; [unrolled: 1-line block ×6, first 2 shown]
	v_mul_f32_e32 v7, v7, v8
	v_mul_f32_e32 v5, 0.5, v5
	v_fmac_f32_e32 v6, v6, v7
                                        ; implicit-def: $vgpr7
.LBB56_81:                              ;   in Loop: Header=BB56_5 Depth=1
	s_andn2_saveexec_b64 s[8:9], s[8:9]
	s_cbranch_execz .LBB56_83
; %bb.82:                               ;   in Loop: Header=BB56_5 Depth=1
	v_max_f32_e64 v8, -v10, -v10
	v_max_f32_e32 v38, v8, v7
	v_cvt_f64_f32_e32 v[5:6], v38
	v_cmp_neq_f32_e32 vcc, s48, v38
	v_mov_b32_e32 v39, 0xbc7a590c
	v_frexp_exp_i32_f64_e32 v5, v[5:6]
	v_min_f32_e32 v6, v8, v7
	v_frexp_mant_f32_e32 v8, v38
	v_rcp_f32_e32 v8, v8
	v_frexp_exp_i32_f32_e32 v40, v6
	v_frexp_mant_f32_e32 v6, v6
	v_frexp_exp_i32_f32_e32 v7, v38
	v_mul_f32_e32 v6, v6, v8
	v_sub_u32_e32 v41, 0, v5
	v_ldexp_f32 v42, -v10, v41
	v_ldexp_f32 v41, |v9|, v41
	v_mul_f32_e32 v41, v41, v41
	v_fmac_f32_e32 v41, v42, v42
	v_sqrt_f32_e32 v41, v41
	v_sub_u32_e32 v7, v40, v7
	v_ldexp_f32 v6, v6, v7
	v_mul_f32_e32 v7, v6, v6
	v_ldexp_f32 v5, v41, v5
	v_cndmask_b32_e32 v5, v31, v5, vcc
	v_cmp_gt_f32_e32 vcc, s52, v5
	v_cndmask_b32_e64 v8, 0, 32, vcc
	v_ldexp_f32 v5, v5, v8
	v_log_f32_e32 v5, v5
	v_cndmask_b32_e32 v8, 0, v32, vcc
	v_fmac_f32_e32 v39, 0x3b2d2a58, v7
	v_mul_f32_e32 v38, 0x3f317217, v5
	v_fma_f32 v38, v5, s53, -v38
	v_fmac_f32_e32 v38, 0x3377d1cf, v5
	v_fmac_f32_e32 v38, 0x3f317217, v5
	v_cmp_lt_f32_e64 vcc, |v5|, s48
	v_cndmask_b32_e32 v5, v5, v38, vcc
	v_sub_f32_e32 v5, v5, v8
	v_fma_f32 v8, v7, v39, v25
	v_fma_f32 v8, v7, v8, v26
	;; [unrolled: 1-line block ×6, first 2 shown]
	v_mul_f32_e32 v7, v7, v8
	v_fmac_f32_e32 v6, v6, v7
.LBB56_83:                              ;   in Loop: Header=BB56_5 Depth=1
	s_or_b64 exec, exec, s[8:9]
                                        ; implicit-def: $vgpr7
.LBB56_84:                              ;   in Loop: Header=BB56_5 Depth=1
	s_andn2_saveexec_b64 s[34:35], s[34:35]
	s_cbranch_execz .LBB56_86
; %bb.85:                               ;   in Loop: Header=BB56_5 Depth=1
	v_div_scale_f32 v5, s[8:9], s70, s70, v10
	v_div_scale_f32 v6, s[8:9], s70, s70, v9
	v_div_scale_f32 v8, vcc, v10, s70, v10
	v_div_scale_f32 v38, s[8:9], v9, s70, v9
	v_rcp_f32_e32 v39, v5
	v_rcp_f32_e32 v40, v6
	v_fma_f32 v41, -v5, v39, 1.0
	v_fmac_f32_e32 v39, v41, v39
	v_fma_f32 v42, -v6, v40, 1.0
	v_fmac_f32_e32 v40, v42, v40
	v_mul_f32_e32 v41, v8, v39
	v_mul_f32_e32 v42, v38, v40
	v_fma_f32 v43, -v5, v41, v8
	v_fma_f32 v44, -v6, v42, v38
	v_fmac_f32_e32 v41, v43, v39
	v_fmac_f32_e32 v42, v44, v40
	v_fma_f32 v5, -v5, v41, v8
	v_fma_f32 v6, -v6, v42, v38
	v_div_fmas_f32 v5, v5, v39, v41
	s_mov_b64 vcc, s[8:9]
	v_div_fmas_f32 v6, v6, v40, v42
	v_max_f32_e64 v8, -v10, -v10
	v_min_f32_e32 v39, v8, v7
	v_max_f32_e32 v7, v8, v7
	v_frexp_exp_i32_f32_e32 v8, v7
	v_frexp_mant_f32_e32 v7, v7
	v_rcp_f32_e32 v7, v7
	v_frexp_exp_i32_f32_e32 v43, v39
	v_frexp_mant_f32_e32 v39, v39
	v_mov_b32_e32 v38, 0xbc7a590c
	v_mul_f32_e32 v7, v39, v7
	v_div_fixup_f32 v40, v5, s70, v10
	v_div_fixup_f32 v41, v6, s70, v9
	v_max_f32_e64 v42, |v40|, |v41|
	v_cvt_f64_f32_e32 v[5:6], v42
	v_cmp_neq_f32_e32 vcc, s48, v42
	v_frexp_exp_i32_f64_e32 v5, v[5:6]
	v_sub_u32_e32 v6, v43, v8
	v_ldexp_f32 v6, v7, v6
	v_mul_f32_e32 v7, v6, v6
	v_fmac_f32_e32 v38, 0x3b2d2a58, v7
	v_fma_f32 v8, v7, v38, v25
	v_fma_f32 v8, v7, v8, v26
	;; [unrolled: 1-line block ×3, first 2 shown]
	v_sub_u32_e32 v38, 0, v5
	v_ldexp_f32 v39, |v40|, v38
	v_ldexp_f32 v38, |v41|, v38
	v_mul_f32_e32 v38, v38, v38
	v_fmac_f32_e32 v38, v39, v39
	v_sqrt_f32_e32 v38, v38
	v_fma_f32 v8, v7, v8, v28
	v_fma_f32 v8, v7, v8, v29
	;; [unrolled: 1-line block ×3, first 2 shown]
	v_ldexp_f32 v5, v38, v5
	v_cndmask_b32_e32 v5, v31, v5, vcc
	v_cmp_gt_f32_e32 vcc, s52, v5
	v_cndmask_b32_e64 v38, 0, 32, vcc
	v_ldexp_f32 v5, v5, v38
	v_log_f32_e32 v5, v5
	v_mul_f32_e32 v7, v7, v8
	v_cndmask_b32_e32 v8, 0, v32, vcc
	v_fmac_f32_e32 v6, v6, v7
	v_mul_f32_e32 v38, 0x3f317217, v5
	v_fma_f32 v38, v5, s53, -v38
	v_fmac_f32_e32 v38, 0x3377d1cf, v5
	v_fmac_f32_e32 v38, 0x3f317217, v5
	v_cmp_lt_f32_e64 vcc, |v5|, s48
	v_cndmask_b32_e32 v5, v5, v38, vcc
	v_sub_f32_e32 v5, v5, v8
	v_add_f32_e32 v5, 1.0, v5
.LBB56_86:                              ;   in Loop: Header=BB56_5 Depth=1
	s_or_b64 exec, exec, s[34:35]
	v_sub_f32_e32 v7, 0x3fc90fdb, v6
	v_cndmask_b32_e64 v6, v6, v7, s[6:7]
	v_cmp_neq_f32_e32 vcc, 0, v9
	v_cndmask_b32_e32 v6, 0, v6, vcc
	v_cmp_eq_f32_e32 vcc, s58, v10
	s_andn2_b64 s[6:7], s[28:29], exec
	s_and_b64 s[8:9], vcc, exec
	s_or_b64 s[28:29], s[6:7], s[8:9]
.LBB56_87:                              ;   in Loop: Header=BB56_5 Depth=1
	s_or_b64 exec, exec, s[30:31]
	v_cmp_class_f32_e64 s[6:7], v9, s65
	s_and_b64 vcc, s[6:7], s[28:29]
	v_cndmask_b32_e32 v7, v6, v36, vcc
	v_add_f32_e32 v5, 0x3f317218, v5
	v_bfi_b32 v6, s47, v5, v10
	v_bfi_b32 v5, s47, v7, v9
.LBB56_88:                              ;   in Loop: Header=BB56_5 Depth=1
	s_or_b64 exec, exec, s[26:27]
.LBB56_89:                              ;   in Loop: Header=BB56_5 Depth=1
	s_andn2_saveexec_b64 s[6:7], s[24:25]
	s_cbranch_execz .LBB56_103
; %bb.90:                               ;   in Loop: Header=BB56_5 Depth=1
	v_cmp_neq_f32_e64 s[8:9], |v10|, s48
                                        ; implicit-def: $vgpr5
	s_and_saveexec_b64 s[24:25], s[8:9]
	s_xor_b64 s[8:9], exec, s[24:25]
	s_cbranch_execz .LBB56_100
; %bb.91:                               ;   in Loop: Header=BB56_5 Depth=1
	v_cmp_neq_f32_e64 s[24:25], |v9|, s48
                                        ; implicit-def: $vgpr5
	s_and_saveexec_b64 s[26:27], s[24:25]
	s_xor_b64 s[24:25], exec, s[26:27]
	s_cbranch_execz .LBB56_97
; %bb.92:                               ;   in Loop: Header=BB56_5 Depth=1
	v_cmp_neq_f32_e32 vcc, 0, v9
                                        ; implicit-def: $vgpr5
	s_and_saveexec_b64 s[26:27], vcc
	s_xor_b64 s[26:27], exec, s[26:27]
; %bb.93:                               ;   in Loop: Header=BB56_5 Depth=1
	v_add_f32_e32 v5, 0, v10
	v_add_f32_e32 v5, v9, v5
; %bb.94:                               ;   in Loop: Header=BB56_5 Depth=1
	s_or_saveexec_b64 s[26:27], s[26:27]
	v_mov_b32_e32 v6, v5
	s_xor_b64 exec, exec, s[26:27]
; %bb.95:                               ;   in Loop: Header=BB56_5 Depth=1
	v_add_f32_e32 v6, v10, v10
	v_mov_b32_e32 v5, v9
; %bb.96:                               ;   in Loop: Header=BB56_5 Depth=1
	s_or_b64 exec, exec, s[26:27]
.LBB56_97:                              ;   in Loop: Header=BB56_5 Depth=1
	s_andn2_saveexec_b64 s[24:25], s[24:25]
; %bb.98:                               ;   in Loop: Header=BB56_5 Depth=1
	v_add_f32_e32 v5, v10, v10
	v_mov_b32_e32 v6, v9
; %bb.99:                               ;   in Loop: Header=BB56_5 Depth=1
	s_or_b64 exec, exec, s[24:25]
.LBB56_100:                             ;   in Loop: Header=BB56_5 Depth=1
	s_andn2_saveexec_b64 s[8:9], s[8:9]
; %bb.101:                              ;   in Loop: Header=BB56_5 Depth=1
	v_add_f32_e32 v5, v9, v9
	v_mov_b32_e32 v6, v10
; %bb.102:                              ;   in Loop: Header=BB56_5 Depth=1
	s_or_b64 exec, exec, s[8:9]
.LBB56_103:                             ;   in Loop: Header=BB56_5 Depth=1
	s_or_b64 exec, exec, s[6:7]
	v_cmp_o_f32_e32 vcc, v12, v11
	s_and_saveexec_b64 s[6:7], vcc
	s_xor_b64 s[24:25], exec, s[6:7]
	s_cbranch_execz .LBB56_187
; %bb.104:                              ;   in Loop: Header=BB56_5 Depth=1
	v_max_f32_e64 v10, |v12|, |v12|
	v_max_f32_e64 v9, |v11|, |v11|
	v_max_f32_e32 v38, v9, v10
	v_cmp_nlt_f32_e32 vcc, s42, v38
	s_and_saveexec_b64 s[6:7], vcc
	s_xor_b64 s[8:9], exec, s[6:7]
	s_cbranch_execz .LBB56_164
; %bb.105:                              ;   in Loop: Header=BB56_5 Depth=1
	v_cmp_neq_f32_e32 vcc, 0, v12
	v_cmp_neq_f32_e64 s[6:7], 0, v11
	s_or_b64 s[6:7], vcc, s[6:7]
	s_and_saveexec_b64 s[26:27], s[6:7]
	s_cbranch_execz .LBB56_163
; %bb.106:                              ;   in Loop: Header=BB56_5 Depth=1
	v_mov_b32_e32 v7, s16
	v_mov_b32_e32 v8, s17
	flat_store_dword v[7:8], v18
	s_waitcnt vmcnt(0)
	flat_load_dword v7, v[7:8] glc
	s_waitcnt vmcnt(0)
	v_cmp_nlt_f32_e64 s[6:7], |v12|, s43
	v_cmp_nlt_f32_e64 s[28:29], |v11|, s43
	s_or_b64 s[6:7], s[28:29], s[6:7]
	s_waitcnt lgkmcnt(0)
	v_add_f32_e32 v9, 1.0, v7
	v_mov_b32_e32 v7, s20
	v_mov_b32_e32 v8, s21
	flat_store_dword v[7:8], v9
	s_waitcnt vmcnt(0)
	flat_load_dword v7, v[7:8] glc
	s_waitcnt vmcnt(0)
	s_and_saveexec_b64 s[28:29], s[6:7]
	s_cbranch_execz .LBB56_162
; %bb.107:                              ;   in Loop: Header=BB56_5 Depth=1
	v_add_f32_e64 v9, |v11|, 1.0
	s_waitcnt lgkmcnt(0)
	v_max_f32_e32 v7, v10, v9
	v_add_f32_e64 v8, |v11|, -1.0
	v_cvt_f64_f32_e32 v[38:39], v7
	v_max_f32_e64 v10, v10, |v8|
	v_cvt_f64_f32_e32 v[40:41], v10
	v_cmp_neq_f32_e32 vcc, s48, v7
	v_frexp_exp_i32_f64_e32 v38, v[38:39]
	v_frexp_exp_i32_f64_e32 v39, v[40:41]
	v_sub_u32_e32 v40, 0, v38
	v_ldexp_f32 v42, |v12|, v40
	v_sub_u32_e32 v41, 0, v39
	v_ldexp_f32 v40, v9, v40
	v_ldexp_f32 v43, |v12|, v41
	v_ldexp_f32 v41, |v8|, v41
	v_mul_f32_e32 v40, v40, v40
	v_mul_f32_e32 v41, v41, v41
	v_fmac_f32_e32 v40, v42, v42
	v_fmac_f32_e32 v41, v43, v43
	v_sqrt_f32_e32 v40, v40
	v_sqrt_f32_e32 v41, v41
	v_ldexp_f32 v38, v40, v38
	v_ldexp_f32 v40, v41, v39
	v_cndmask_b32_e32 v39, v31, v38, vcc
	v_cmp_neq_f32_e32 vcc, s48, v10
	v_cndmask_b32_e32 v10, v31, v40, vcc
	v_add_f32_e32 v7, v39, v10
	v_mul_f32_e32 v7, 0.5, v7
	v_cmp_ngt_f32_e32 vcc, 1.0, v7
	v_cndmask_b32_e32 v7, 1.0, v7, vcc
	v_cmp_ngt_f32_e32 vcc, s49, v7
                                        ; implicit-def: $vgpr40
	s_and_saveexec_b64 s[6:7], vcc
	s_xor_b64 s[30:31], exec, s[6:7]
	s_cbranch_execz .LBB56_109
; %bb.108:                              ;   in Loop: Header=BB56_5 Depth=1
	v_fma_f32 v38, v7, v7, -1.0
	v_mul_f32_e32 v40, 0x4f800000, v38
	v_cmp_gt_f32_e32 vcc, s50, v38
	v_cndmask_b32_e32 v38, v38, v40, vcc
	v_sqrt_f32_e32 v40, v38
	v_add_u32_e32 v41, -1, v40
	v_fma_f32 v43, -v41, v40, v38
	v_add_u32_e32 v42, 1, v40
	v_cmp_ge_f32_e64 s[6:7], 0, v43
	v_cndmask_b32_e64 v41, v40, v41, s[6:7]
	v_fma_f32 v40, -v42, v40, v38
	v_cmp_lt_f32_e64 s[6:7], 0, v40
	v_cndmask_b32_e64 v40, v41, v42, s[6:7]
	v_mul_f32_e32 v41, 0x37800000, v40
	v_cndmask_b32_e32 v40, v40, v41, vcc
	v_cmp_class_f32_e32 vcc, v38, v19
	v_cndmask_b32_e32 v38, v40, v38, vcc
	v_add_f32_e32 v38, v7, v38
	v_cmp_gt_f32_e32 vcc, s52, v38
	v_cndmask_b32_e64 v40, 0, 32, vcc
	v_ldexp_f32 v38, v38, v40
	v_log_f32_e32 v38, v38
	v_mul_f32_e32 v40, 0x3f317217, v38
	v_fma_f32 v40, v38, s53, -v40
	v_fmac_f32_e32 v40, 0x3377d1cf, v38
	v_fmac_f32_e32 v40, 0x3f317217, v38
	v_cmp_lt_f32_e64 s[6:7], |v38|, s48
	v_cndmask_b32_e64 v38, v38, v40, s[6:7]
	v_cndmask_b32_e32 v40, 0, v32, vcc
	v_sub_f32_e32 v40, v38, v40
.LBB56_109:                             ;   in Loop: Header=BB56_5 Depth=1
	s_or_saveexec_b64 s[30:31], s[30:31]
	v_and_b32_e32 v38, 0x7fffffff, v12
	s_xor_b64 exec, exec, s[30:31]
	s_cbranch_execz .LBB56_131
; %bb.110:                              ;   in Loop: Header=BB56_5 Depth=1
	v_cmp_neq_f32_e64 s[6:7], |v11|, 1.0
	v_cmp_nlt_f32_e64 s[34:35], |v12|, s54
	s_or_b64 s[6:7], s[6:7], s[34:35]
                                        ; implicit-def: $vgpr40
	s_and_saveexec_b64 s[34:35], s[6:7]
	s_xor_b64 s[34:35], exec, s[34:35]
	s_cbranch_execz .LBB56_128
; %bb.111:                              ;   in Loop: Header=BB56_5 Depth=1
	v_mul_f32_e64 v40, |v8|, s55
	v_cmp_ge_f32_e64 s[6:7], |v12|, v40
                                        ; implicit-def: $vgpr40
	s_and_saveexec_b64 s[36:37], s[6:7]
	s_xor_b64 s[36:37], exec, s[36:37]
	s_cbranch_execz .LBB56_121
; %bb.112:                              ;   in Loop: Header=BB56_5 Depth=1
	v_cmp_neq_f32_e32 vcc, 0, v9
	v_mov_b32_e32 v40, v38
	s_and_saveexec_b64 s[6:7], vcc
	s_cbranch_execz .LBB56_114
; %bb.113:                              ;   in Loop: Header=BB56_5 Depth=1
	v_mul_f32_e32 v40, v12, v12
	v_add_f32_e32 v41, v9, v39
	v_div_scale_f32 v42, s[38:39], v41, v41, v40
	v_div_scale_f32 v43, vcc, v40, v41, v40
	v_rcp_f32_e32 v44, v42
	v_fma_f32 v45, -v42, v44, 1.0
	v_fmac_f32_e32 v44, v45, v44
	v_mul_f32_e32 v45, v43, v44
	v_fma_f32 v46, -v42, v45, v43
	v_fmac_f32_e32 v45, v46, v44
	v_fma_f32 v42, -v42, v45, v43
	v_div_fmas_f32 v42, v42, v44, v45
	v_div_fixup_f32 v40, v42, v41, v40
.LBB56_114:                             ;   in Loop: Header=BB56_5 Depth=1
	s_or_b64 exec, exec, s[6:7]
	v_sub_f32_e64 v42, 1.0, |v11|
	v_cmp_ngt_f32_e32 vcc, 0, v42
                                        ; implicit-def: $vgpr41
	s_and_saveexec_b64 s[6:7], vcc
	s_xor_b64 s[6:7], exec, s[6:7]
	s_cbranch_execz .LBB56_118
; %bb.115:                              ;   in Loop: Header=BB56_5 Depth=1
	v_cmp_neq_f32_e32 vcc, 0, v42
	v_mov_b32_e32 v41, v38
	s_and_saveexec_b64 s[38:39], vcc
	s_cbranch_execz .LBB56_117
; %bb.116:                              ;   in Loop: Header=BB56_5 Depth=1
	v_mul_f32_e32 v41, v12, v12
	v_add_f32_e32 v42, v42, v10
	v_div_scale_f32 v43, s[40:41], v42, v42, v41
	v_div_scale_f32 v44, vcc, v41, v42, v41
	v_rcp_f32_e32 v45, v43
	v_fma_f32 v46, -v43, v45, 1.0
	v_fmac_f32_e32 v45, v46, v45
	v_mul_f32_e32 v46, v44, v45
	v_fma_f32 v47, -v43, v46, v44
	v_fmac_f32_e32 v46, v47, v45
	v_fma_f32 v43, -v43, v46, v44
	v_div_fmas_f32 v43, v43, v45, v46
	v_div_fixup_f32 v41, v43, v42, v41
.LBB56_117:                             ;   in Loop: Header=BB56_5 Depth=1
	s_or_b64 exec, exec, s[38:39]
                                        ; implicit-def: $vgpr42
.LBB56_118:                             ;   in Loop: Header=BB56_5 Depth=1
	s_andn2_saveexec_b64 s[6:7], s[6:7]
; %bb.119:                              ;   in Loop: Header=BB56_5 Depth=1
	v_sub_f32_e32 v41, v10, v42
; %bb.120:                              ;   in Loop: Header=BB56_5 Depth=1
	s_or_b64 exec, exec, s[6:7]
	v_mul_f32_e32 v41, 0.5, v41
	v_fmac_f32_e32 v41, 0.5, v40
	v_add_f32_e32 v40, 1.0, v7
	v_mul_f32_e32 v40, v40, v41
	v_mul_f32_e32 v42, 0x4f800000, v40
	v_cmp_gt_f32_e32 vcc, s50, v40
	v_cndmask_b32_e32 v40, v40, v42, vcc
	v_sqrt_f32_e32 v42, v40
	v_add_u32_e32 v43, -1, v42
	v_fma_f32 v44, -v43, v42, v40
	v_cmp_ge_f32_e64 s[6:7], 0, v44
	v_add_u32_e32 v44, 1, v42
	v_cndmask_b32_e64 v43, v42, v43, s[6:7]
	v_fma_f32 v42, -v44, v42, v40
	v_cmp_lt_f32_e64 s[6:7], 0, v42
	v_cndmask_b32_e64 v42, v43, v44, s[6:7]
	v_mul_f32_e32 v43, 0x37800000, v42
	v_cndmask_b32_e32 v42, v42, v43, vcc
	v_cmp_class_f32_e32 vcc, v40, v19
	v_cndmask_b32_e32 v40, v42, v40, vcc
	v_add_f32_e32 v42, v41, v40
	v_add_f32_e32 v43, 1.0, v42
	v_cvt_f64_f32_e32 v[40:41], v43
	v_add_f32_e32 v44, -1.0, v43
	v_frexp_exp_i32_f64_e32 v40, v[40:41]
	v_sub_f32_e32 v41, v44, v43
	v_add_f32_e32 v41, 1.0, v41
	v_sub_f32_e32 v44, v42, v44
	v_add_f32_e32 v41, v44, v41
	v_frexp_mant_f32_e32 v44, v43
	v_cmp_gt_f32_e32 vcc, s56, v44
	v_subbrev_co_u32_e32 v40, vcc, 0, v40, vcc
	v_sub_u32_e32 v44, 0, v40
	v_ldexp_f32 v43, v43, v44
	v_ldexp_f32 v41, v41, v44
	v_add_f32_e32 v44, -1.0, v43
	v_add_f32_e32 v47, 1.0, v43
	v_add_f32_e32 v45, 1.0, v44
	v_add_f32_e32 v48, -1.0, v47
	v_sub_f32_e32 v45, v43, v45
	v_sub_f32_e32 v43, v43, v48
	v_add_f32_e32 v45, v41, v45
	v_add_f32_e32 v41, v41, v43
	;; [unrolled: 1-line block ×3, first 2 shown]
	v_rcp_f32_e32 v48, v43
	v_add_f32_e32 v46, v44, v45
	v_sub_f32_e32 v44, v46, v44
	v_sub_f32_e32 v44, v45, v44
	;; [unrolled: 1-line block ×4, first 2 shown]
	v_mul_f32_e32 v45, v46, v48
	v_mul_f32_e32 v47, v43, v45
	v_fma_f32 v49, v45, v43, -v47
	v_fmac_f32_e32 v49, v45, v41
	v_add_f32_e32 v50, v47, v49
	v_sub_f32_e32 v51, v46, v50
	v_sub_f32_e32 v46, v46, v51
	;; [unrolled: 1-line block ×4, first 2 shown]
	v_add_f32_e32 v44, v44, v46
	v_sub_f32_e32 v46, v47, v49
	v_add_f32_e32 v44, v46, v44
	v_add_f32_e32 v46, v51, v44
	v_mul_f32_e32 v47, v48, v46
	v_mul_f32_e32 v49, v43, v47
	v_fma_f32 v43, v47, v43, -v49
	v_fmac_f32_e32 v43, v47, v41
	v_sub_f32_e32 v41, v51, v46
	v_add_f32_e32 v41, v44, v41
	v_add_f32_e32 v44, v49, v43
	v_sub_f32_e32 v50, v46, v44
	v_sub_f32_e32 v46, v46, v50
	;; [unrolled: 1-line block ×4, first 2 shown]
	v_add_f32_e32 v41, v41, v44
	v_sub_f32_e32 v43, v49, v43
	v_cvt_f32_i32_e32 v40, v40
	v_add_f32_e32 v41, v43, v41
	v_add_f32_e32 v43, v45, v47
	;; [unrolled: 1-line block ×3, first 2 shown]
	v_sub_f32_e32 v44, v43, v45
	v_mul_f32_e32 v41, v48, v41
	v_sub_f32_e32 v44, v47, v44
	v_add_f32_e32 v41, v44, v41
	v_mul_f32_e32 v47, 0x3f317218, v40
	v_add_f32_e32 v44, v43, v41
	v_fma_f32 v48, v40, s57, -v47
	v_mul_f32_e32 v45, v44, v44
	v_mov_b32_e32 v46, 0x3ecc95a3
	v_fmac_f32_e32 v48, 0xb102e308, v40
	v_sub_f32_e32 v40, v44, v43
	v_fmac_f32_e32 v46, 0x3e9b6dac, v45
	v_sub_f32_e32 v40, v41, v40
	v_add_f32_e32 v41, v47, v48
	v_fma_f32 v46, v45, v46, v20
	v_sub_f32_e32 v43, v41, v47
	v_ldexp_f32 v47, v44, 1
	v_mul_f32_e32 v44, v44, v45
	v_mul_f32_e32 v44, v44, v46
	v_add_f32_e32 v45, v47, v44
	v_sub_f32_e32 v46, v45, v47
	v_ldexp_f32 v40, v40, 1
	v_sub_f32_e32 v44, v44, v46
	v_add_f32_e32 v40, v40, v44
	v_add_f32_e32 v44, v45, v40
	v_sub_f32_e32 v45, v44, v45
	v_sub_f32_e32 v40, v40, v45
	v_add_f32_e32 v45, v41, v44
	v_sub_f32_e32 v46, v45, v41
	v_sub_f32_e32 v47, v45, v46
	;; [unrolled: 1-line block ×5, first 2 shown]
	v_add_f32_e32 v41, v44, v41
	v_add_f32_e32 v44, v43, v40
	v_sub_f32_e32 v46, v44, v43
	v_sub_f32_e32 v47, v44, v46
	;; [unrolled: 1-line block ×4, first 2 shown]
	v_add_f32_e32 v41, v44, v41
	v_add_f32_e32 v40, v40, v43
	;; [unrolled: 1-line block ×3, first 2 shown]
	v_sub_f32_e32 v44, v43, v45
	v_sub_f32_e32 v41, v41, v44
	v_add_f32_e32 v40, v40, v41
	v_add_f32_e32 v40, v43, v40
	v_cmp_neq_f32_e32 vcc, s48, v42
	v_cndmask_b32_e32 v40, v31, v40, vcc
	v_cmp_ngt_f32_e32 vcc, -1.0, v42
	v_cndmask_b32_e32 v40, v33, v40, vcc
	v_cmp_neq_f32_e32 vcc, -1.0, v42
	v_cndmask_b32_e32 v40, v34, v40, vcc
	v_cmp_lt_f32_e64 vcc, |v42|, s59
	v_cndmask_b32_e32 v40, v40, v42, vcc
.LBB56_121:                             ;   in Loop: Header=BB56_5 Depth=1
	s_andn2_saveexec_b64 s[36:37], s[36:37]
	s_cbranch_execz .LBB56_127
; %bb.122:                              ;   in Loop: Header=BB56_5 Depth=1
	v_cmp_nlt_f32_e64 s[6:7], |v11|, 1.0
                                        ; implicit-def: $vgpr40
	s_and_saveexec_b64 s[38:39], s[6:7]
	s_xor_b64 s[38:39], exec, s[38:39]
	s_cbranch_execz .LBB56_124
; %bb.123:                              ;   in Loop: Header=BB56_5 Depth=1
	v_mul_f32_e32 v40, v8, v9
	v_mul_f32_e32 v41, 0x4f800000, v40
	v_cmp_gt_f32_e32 vcc, s50, v40
	v_cndmask_b32_e32 v40, v40, v41, vcc
	v_sqrt_f32_e32 v41, v40
	v_add_u32_e32 v42, -1, v41
	v_fma_f32 v44, -v42, v41, v40
	v_add_u32_e32 v43, 1, v41
	v_cmp_ge_f32_e64 s[6:7], 0, v44
	v_cndmask_b32_e64 v42, v41, v42, s[6:7]
	v_fma_f32 v41, -v43, v41, v40
	v_cmp_lt_f32_e64 s[6:7], 0, v41
	v_cndmask_b32_e64 v41, v42, v43, s[6:7]
	v_mul_f32_e32 v42, 0x37800000, v41
	v_cndmask_b32_e32 v41, v41, v42, vcc
	v_cmp_class_f32_e32 vcc, v40, v19
	v_cndmask_b32_e32 v40, v41, v40, vcc
	v_add_f32_e32 v42, v8, v40
	v_add_f32_e32 v43, 1.0, v42
	v_cvt_f64_f32_e32 v[40:41], v43
	v_add_f32_e32 v44, -1.0, v43
	v_frexp_exp_i32_f64_e32 v40, v[40:41]
	v_sub_f32_e32 v41, v44, v43
	v_add_f32_e32 v41, 1.0, v41
	v_sub_f32_e32 v44, v42, v44
	v_add_f32_e32 v41, v44, v41
	v_frexp_mant_f32_e32 v44, v43
	v_cmp_gt_f32_e32 vcc, s56, v44
	v_subbrev_co_u32_e32 v40, vcc, 0, v40, vcc
	v_sub_u32_e32 v44, 0, v40
	v_ldexp_f32 v43, v43, v44
	v_ldexp_f32 v41, v41, v44
	v_add_f32_e32 v44, -1.0, v43
	v_add_f32_e32 v47, 1.0, v43
	v_add_f32_e32 v45, 1.0, v44
	v_add_f32_e32 v48, -1.0, v47
	v_sub_f32_e32 v45, v43, v45
	v_sub_f32_e32 v43, v43, v48
	v_add_f32_e32 v45, v41, v45
	v_add_f32_e32 v41, v41, v43
	;; [unrolled: 1-line block ×3, first 2 shown]
	v_rcp_f32_e32 v48, v43
	v_add_f32_e32 v46, v44, v45
	v_sub_f32_e32 v44, v46, v44
	v_sub_f32_e32 v44, v45, v44
	;; [unrolled: 1-line block ×4, first 2 shown]
	v_mul_f32_e32 v45, v46, v48
	v_mul_f32_e32 v47, v43, v45
	v_fma_f32 v49, v45, v43, -v47
	v_fmac_f32_e32 v49, v45, v41
	v_add_f32_e32 v50, v47, v49
	v_sub_f32_e32 v51, v46, v50
	v_sub_f32_e32 v46, v46, v51
	;; [unrolled: 1-line block ×4, first 2 shown]
	v_add_f32_e32 v44, v44, v46
	v_sub_f32_e32 v46, v47, v49
	v_add_f32_e32 v44, v46, v44
	v_add_f32_e32 v46, v51, v44
	v_mul_f32_e32 v47, v48, v46
	v_mul_f32_e32 v49, v43, v47
	v_fma_f32 v43, v47, v43, -v49
	v_fmac_f32_e32 v43, v47, v41
	v_sub_f32_e32 v41, v51, v46
	v_add_f32_e32 v41, v44, v41
	v_add_f32_e32 v44, v49, v43
	v_sub_f32_e32 v50, v46, v44
	v_sub_f32_e32 v46, v46, v50
	;; [unrolled: 1-line block ×4, first 2 shown]
	v_add_f32_e32 v41, v41, v44
	v_sub_f32_e32 v43, v49, v43
	v_cvt_f32_i32_e32 v40, v40
	v_add_f32_e32 v41, v43, v41
	v_add_f32_e32 v43, v45, v47
	v_add_f32_e32 v41, v50, v41
	v_sub_f32_e32 v44, v43, v45
	v_mul_f32_e32 v41, v48, v41
	v_sub_f32_e32 v44, v47, v44
	v_add_f32_e32 v41, v44, v41
	v_mul_f32_e32 v47, 0x3f317218, v40
	v_add_f32_e32 v44, v43, v41
	v_fma_f32 v48, v40, s57, -v47
	v_mul_f32_e32 v45, v44, v44
	v_mov_b32_e32 v46, 0x3ecc95a3
	v_fmac_f32_e32 v48, 0xb102e308, v40
	v_sub_f32_e32 v40, v44, v43
	v_fmac_f32_e32 v46, 0x3e9b6dac, v45
	v_sub_f32_e32 v40, v41, v40
	v_add_f32_e32 v41, v47, v48
	v_fma_f32 v46, v45, v46, v20
	v_sub_f32_e32 v43, v41, v47
	v_ldexp_f32 v47, v44, 1
	v_mul_f32_e32 v44, v44, v45
	v_mul_f32_e32 v44, v44, v46
	v_add_f32_e32 v45, v47, v44
	v_sub_f32_e32 v46, v45, v47
	v_ldexp_f32 v40, v40, 1
	v_sub_f32_e32 v44, v44, v46
	v_add_f32_e32 v40, v40, v44
	v_add_f32_e32 v44, v45, v40
	v_sub_f32_e32 v45, v44, v45
	v_sub_f32_e32 v40, v40, v45
	v_add_f32_e32 v45, v41, v44
	v_sub_f32_e32 v46, v45, v41
	v_sub_f32_e32 v47, v45, v46
	v_sub_f32_e32 v43, v48, v43
	v_sub_f32_e32 v41, v41, v47
	v_sub_f32_e32 v44, v44, v46
	v_add_f32_e32 v41, v44, v41
	v_add_f32_e32 v44, v43, v40
	v_sub_f32_e32 v46, v44, v43
	v_sub_f32_e32 v47, v44, v46
	;; [unrolled: 1-line block ×4, first 2 shown]
	v_add_f32_e32 v41, v44, v41
	v_add_f32_e32 v40, v40, v43
	;; [unrolled: 1-line block ×3, first 2 shown]
	v_sub_f32_e32 v44, v43, v45
	v_sub_f32_e32 v41, v41, v44
	v_add_f32_e32 v40, v40, v41
	v_add_f32_e32 v40, v43, v40
	v_cmp_neq_f32_e32 vcc, s48, v42
	v_cndmask_b32_e32 v40, v31, v40, vcc
	v_cmp_ngt_f32_e32 vcc, -1.0, v42
	v_cndmask_b32_e32 v40, v33, v40, vcc
	v_cmp_neq_f32_e32 vcc, -1.0, v42
	v_cndmask_b32_e32 v40, v34, v40, vcc
	v_cmp_lt_f32_e64 vcc, |v42|, s59
	v_cndmask_b32_e32 v40, v40, v42, vcc
.LBB56_124:                             ;   in Loop: Header=BB56_5 Depth=1
	s_andn2_saveexec_b64 s[38:39], s[38:39]
	s_cbranch_execz .LBB56_126
; %bb.125:                              ;   in Loop: Header=BB56_5 Depth=1
	v_sub_f32_e64 v40, 1.0, |v11|
	v_mul_f32_e32 v40, v40, v9
	v_mul_f32_e32 v41, 0x4f800000, v40
	v_cmp_gt_f32_e32 vcc, s50, v40
	v_cndmask_b32_e32 v40, v40, v41, vcc
	v_sqrt_f32_e32 v41, v40
	v_add_u32_e32 v42, -1, v41
	v_fma_f32 v44, -v42, v41, v40
	v_add_u32_e32 v43, 1, v41
	v_cmp_ge_f32_e64 s[6:7], 0, v44
	v_cndmask_b32_e64 v42, v41, v42, s[6:7]
	v_fma_f32 v41, -v43, v41, v40
	v_cmp_lt_f32_e64 s[6:7], 0, v41
	v_cndmask_b32_e64 v41, v42, v43, s[6:7]
	v_mul_f32_e32 v42, 0x37800000, v41
	v_cndmask_b32_e32 v41, v41, v42, vcc
	v_cmp_class_f32_e32 vcc, v40, v19
	v_cndmask_b32_e32 v40, v41, v40, vcc
	v_and_b32_e32 v41, 0x7fffffff, v12
	v_div_scale_f32 v42, s[6:7], v40, v40, v41
	v_div_scale_f32 v41, vcc, v41, v40, v41
	v_rcp_f32_e32 v43, v42
	v_fma_f32 v44, -v42, v43, 1.0
	v_fmac_f32_e32 v43, v44, v43
	v_mul_f32_e32 v44, v41, v43
	v_fma_f32 v45, -v42, v44, v41
	v_fmac_f32_e32 v44, v45, v43
	v_fma_f32 v41, -v42, v44, v41
	v_div_fmas_f32 v41, v41, v43, v44
	v_div_fixup_f32 v40, v41, v40, |v12|
.LBB56_126:                             ;   in Loop: Header=BB56_5 Depth=1
	s_or_b64 exec, exec, s[38:39]
.LBB56_127:                             ;   in Loop: Header=BB56_5 Depth=1
	s_or_b64 exec, exec, s[36:37]
.LBB56_128:                             ;   in Loop: Header=BB56_5 Depth=1
	s_andn2_saveexec_b64 s[34:35], s[34:35]
	s_cbranch_execz .LBB56_130
; %bb.129:                              ;   in Loop: Header=BB56_5 Depth=1
	v_mul_f32_e64 v40, |v12|, s51
	v_cmp_lt_f32_e64 vcc, |v12|, s50
	v_cndmask_b32_e64 v40, |v12|, v40, vcc
	v_sqrt_f32_e32 v41, v40
	v_add_u32_e32 v42, -1, v41
	v_fma_f32 v44, -v42, v41, v40
	v_add_u32_e32 v43, 1, v41
	v_cmp_ge_f32_e64 s[6:7], 0, v44
	v_cndmask_b32_e64 v42, v41, v42, s[6:7]
	v_fma_f32 v41, -v43, v41, v40
	v_cmp_lt_f32_e64 s[6:7], 0, v41
	v_cndmask_b32_e64 v41, v42, v43, s[6:7]
	v_mul_f32_e32 v42, 0x37800000, v41
	v_cndmask_b32_e32 v41, v41, v42, vcc
	v_cmp_class_f32_e32 vcc, v40, v19
	v_cndmask_b32_e32 v40, v41, v40, vcc
.LBB56_130:                             ;   in Loop: Header=BB56_5 Depth=1
	s_or_b64 exec, exec, s[34:35]
.LBB56_131:                             ;   in Loop: Header=BB56_5 Depth=1
	s_or_b64 exec, exec, s[30:31]
	v_cmp_nlt_f32_e64 s[30:31], |v11|, s60
                                        ; implicit-def: $sgpr6_sgpr7
                                        ; implicit-def: $vgpr41
                                        ; implicit-def: $vgpr43
                                        ; implicit-def: $vgpr42
	s_and_saveexec_b64 s[34:35], s[30:31]
	s_xor_b64 s[30:31], exec, s[34:35]
	s_cbranch_execz .LBB56_155
; %bb.132:                              ;   in Loop: Header=BB56_5 Depth=1
	v_and_b32_e32 v42, 0x7fffffff, v11
	v_div_scale_f32 v41, s[6:7], v7, v7, v42
	v_div_scale_f32 v43, vcc, v42, v7, v42
	s_mov_b64 s[6:7], 0
	v_rcp_f32_e32 v44, v41
	v_fma_f32 v45, -v41, v44, 1.0
	v_fmac_f32_e32 v44, v45, v44
	v_mul_f32_e32 v45, v43, v44
	v_fma_f32 v46, -v41, v45, v43
	v_fmac_f32_e32 v45, v46, v44
	v_fma_f32 v41, -v41, v45, v43
	v_div_fmas_f32 v41, v41, v44, v45
                                        ; implicit-def: $vgpr43
	v_div_fixup_f32 v41, v41, v7, |v11|
	v_cmp_lt_f32_e32 vcc, s61, v41
	s_and_saveexec_b64 s[34:35], vcc
	s_cbranch_execz .LBB56_154
; %bb.133:                              ;   in Loop: Header=BB56_5 Depth=1
	v_cmp_neq_f32_e64 s[6:7], |v11|, 1.0
	v_cmp_nlt_f32_e64 s[36:37], |v12|, s62
	s_or_b64 s[6:7], s[6:7], s[36:37]
                                        ; implicit-def: $vgpr43
	s_and_saveexec_b64 s[36:37], s[6:7]
	s_xor_b64 s[36:37], exec, s[36:37]
	s_cbranch_execz .LBB56_151
; %bb.134:                              ;   in Loop: Header=BB56_5 Depth=1
	v_mul_f32_e64 v43, |v8|, s55
	v_cmp_ge_f32_e64 s[6:7], |v12|, v43
                                        ; implicit-def: $vgpr43
	s_and_saveexec_b64 s[38:39], s[6:7]
	s_xor_b64 s[38:39], exec, s[38:39]
	s_cbranch_execz .LBB56_144
; %bb.135:                              ;   in Loop: Header=BB56_5 Depth=1
	v_cmp_neq_f32_e32 vcc, 0, v9
	v_mov_b32_e32 v43, v38
	s_and_saveexec_b64 s[6:7], vcc
	s_cbranch_execz .LBB56_137
; %bb.136:                              ;   in Loop: Header=BB56_5 Depth=1
	v_mul_f32_e32 v43, v12, v12
	v_add_f32_e32 v9, v9, v39
	v_div_scale_f32 v39, s[40:41], v9, v9, v43
	v_div_scale_f32 v44, vcc, v43, v9, v43
	v_rcp_f32_e32 v45, v39
	v_fma_f32 v46, -v39, v45, 1.0
	v_fmac_f32_e32 v45, v46, v45
	v_mul_f32_e32 v46, v44, v45
	v_fma_f32 v47, -v39, v46, v44
	v_fmac_f32_e32 v46, v47, v45
	v_fma_f32 v39, -v39, v46, v44
	v_div_fmas_f32 v39, v39, v45, v46
	v_div_fixup_f32 v43, v39, v9, v43
.LBB56_137:                             ;   in Loop: Header=BB56_5 Depth=1
	s_or_b64 exec, exec, s[6:7]
	v_cmp_ngt_f32_e32 vcc, 0, v8
	s_and_saveexec_b64 s[6:7], vcc
	s_xor_b64 s[6:7], exec, s[6:7]
	s_cbranch_execz .LBB56_141
; %bb.138:                              ;   in Loop: Header=BB56_5 Depth=1
	v_cmp_neq_f32_e32 vcc, 0, v8
	s_and_saveexec_b64 s[40:41], vcc
	s_cbranch_execz .LBB56_140
; %bb.139:                              ;   in Loop: Header=BB56_5 Depth=1
	v_mul_f32_e32 v9, v12, v12
	v_add_f32_e32 v8, v8, v10
	v_div_scale_f32 v10, s[72:73], v8, v8, v9
	v_div_scale_f32 v38, vcc, v9, v8, v9
	v_rcp_f32_e32 v39, v10
	v_fma_f32 v44, -v10, v39, 1.0
	v_fmac_f32_e32 v39, v44, v39
	v_mul_f32_e32 v44, v38, v39
	v_fma_f32 v45, -v10, v44, v38
	v_fmac_f32_e32 v44, v45, v39
	v_fma_f32 v10, -v10, v44, v38
	v_div_fmas_f32 v10, v10, v39, v44
	v_div_fixup_f32 v38, v10, v8, v9
.LBB56_140:                             ;   in Loop: Header=BB56_5 Depth=1
	s_or_b64 exec, exec, s[40:41]
                                        ; implicit-def: $vgpr10
                                        ; implicit-def: $vgpr8
.LBB56_141:                             ;   in Loop: Header=BB56_5 Depth=1
	s_andn2_saveexec_b64 s[6:7], s[6:7]
; %bb.142:                              ;   in Loop: Header=BB56_5 Depth=1
	v_sub_f32_e32 v38, v10, v8
; %bb.143:                              ;   in Loop: Header=BB56_5 Depth=1
	s_or_b64 exec, exec, s[6:7]
	v_mul_f32_e32 v8, 0.5, v38
	v_fmac_f32_e32 v8, 0.5, v43
	v_add_f32_e64 v7, |v11|, v7
	v_mul_f32_e32 v7, v7, v8
	v_mul_f32_e32 v8, 0x4f800000, v7
	v_cmp_gt_f32_e32 vcc, s50, v7
	v_cndmask_b32_e32 v7, v7, v8, vcc
	v_sqrt_f32_e32 v8, v7
	v_add_u32_e32 v9, -1, v8
	v_fma_f32 v10, -v9, v8, v7
	v_cmp_ge_f32_e64 s[6:7], 0, v10
	v_add_u32_e32 v10, 1, v8
	v_cndmask_b32_e64 v9, v8, v9, s[6:7]
	v_fma_f32 v8, -v10, v8, v7
	v_cmp_lt_f32_e64 s[6:7], 0, v8
	v_cndmask_b32_e64 v8, v9, v10, s[6:7]
	v_mul_f32_e32 v9, 0x37800000, v8
	v_cndmask_b32_e32 v8, v8, v9, vcc
	v_cmp_class_f32_e32 vcc, v7, v19
	v_cndmask_b32_e32 v43, v8, v7, vcc
                                        ; implicit-def: $vgpr9
                                        ; implicit-def: $vgpr8
.LBB56_144:                             ;   in Loop: Header=BB56_5 Depth=1
	s_andn2_saveexec_b64 s[38:39], s[38:39]
	s_cbranch_execz .LBB56_150
; %bb.145:                              ;   in Loop: Header=BB56_5 Depth=1
	v_cmp_ngt_f32_e64 s[6:7], |v11|, 1.0
                                        ; implicit-def: $vgpr43
	s_and_saveexec_b64 s[40:41], s[6:7]
	s_xor_b64 s[40:41], exec, s[40:41]
	s_cbranch_execz .LBB56_147
; %bb.146:                              ;   in Loop: Header=BB56_5 Depth=1
	v_sub_f32_e64 v7, 1.0, |v11|
	v_mul_f32_e32 v7, v7, v9
	v_mul_f32_e32 v8, 0x4f800000, v7
	v_cmp_gt_f32_e32 vcc, s50, v7
	v_cndmask_b32_e32 v7, v7, v8, vcc
	v_sqrt_f32_e32 v8, v7
	v_add_u32_e32 v9, -1, v8
	v_fma_f32 v38, -v9, v8, v7
	v_add_u32_e32 v10, 1, v8
	v_cmp_ge_f32_e64 s[6:7], 0, v38
	v_cndmask_b32_e64 v9, v8, v9, s[6:7]
	v_fma_f32 v8, -v10, v8, v7
	v_cmp_lt_f32_e64 s[6:7], 0, v8
	v_cndmask_b32_e64 v8, v9, v10, s[6:7]
	v_mul_f32_e32 v9, 0x37800000, v8
	v_cndmask_b32_e32 v8, v8, v9, vcc
	v_cmp_class_f32_e32 vcc, v7, v19
	v_cndmask_b32_e32 v43, v8, v7, vcc
                                        ; implicit-def: $vgpr9
                                        ; implicit-def: $vgpr8
.LBB56_147:                             ;   in Loop: Header=BB56_5 Depth=1
	s_andn2_saveexec_b64 s[40:41], s[40:41]
	s_cbranch_execz .LBB56_149
; %bb.148:                              ;   in Loop: Header=BB56_5 Depth=1
	v_mul_f32_e32 v7, v9, v8
	v_mul_f32_e32 v8, 0x4f800000, v7
	v_cmp_gt_f32_e32 vcc, s50, v7
	v_cndmask_b32_e32 v7, v7, v8, vcc
	v_sqrt_f32_e32 v8, v7
	v_mul_f32_e64 v9, |v12|, s63
	v_mul_f32_e64 v9, |v11|, v9
	v_add_u32_e32 v10, -1, v8
	v_fma_f32 v38, -v10, v8, v7
	v_cmp_ge_f32_e64 s[6:7], 0, v38
	v_add_u32_e32 v38, 1, v8
	v_cndmask_b32_e64 v10, v8, v10, s[6:7]
	v_fma_f32 v8, -v38, v8, v7
	v_cmp_lt_f32_e64 s[6:7], 0, v8
	v_cndmask_b32_e64 v8, v10, v38, s[6:7]
	v_mul_f32_e32 v10, 0x37800000, v8
	v_cndmask_b32_e32 v8, v8, v10, vcc
	v_cmp_class_f32_e32 vcc, v7, v19
	v_cndmask_b32_e32 v7, v8, v7, vcc
	v_div_scale_f32 v8, s[6:7], v7, v7, v9
	v_div_scale_f32 v10, vcc, v9, v7, v9
	v_rcp_f32_e32 v38, v8
	v_fma_f32 v39, -v8, v38, 1.0
	v_fmac_f32_e32 v38, v39, v38
	v_mul_f32_e32 v39, v10, v38
	v_fma_f32 v42, -v8, v39, v10
	v_fmac_f32_e32 v39, v42, v38
	v_fma_f32 v8, -v8, v39, v10
	v_div_fmas_f32 v8, v8, v38, v39
	v_mul_f32_e64 v42, |v11|, s63
	v_div_fixup_f32 v43, v8, v7, v9
.LBB56_149:                             ;   in Loop: Header=BB56_5 Depth=1
	s_or_b64 exec, exec, s[40:41]
.LBB56_150:                             ;   in Loop: Header=BB56_5 Depth=1
	s_or_b64 exec, exec, s[38:39]
                                        ; implicit-def: $vgpr7
.LBB56_151:                             ;   in Loop: Header=BB56_5 Depth=1
	s_andn2_saveexec_b64 s[36:37], s[36:37]
	s_cbranch_execz .LBB56_153
; %bb.152:                              ;   in Loop: Header=BB56_5 Depth=1
	v_mul_f32_e64 v8, |v12|, s51
	v_cmp_lt_f32_e64 vcc, |v12|, s50
	v_cndmask_b32_e64 v8, |v12|, v8, vcc
	v_sqrt_f32_e32 v9, v8
	v_add_f32_e32 v7, 1.0, v7
	v_mul_f32_e32 v7, 0.5, v7
	v_mov_b32_e32 v42, 1.0
	v_add_u32_e32 v10, -1, v9
	v_fma_f32 v39, -v10, v9, v8
	v_add_u32_e32 v38, 1, v9
	v_cmp_ge_f32_e64 s[6:7], 0, v39
	v_cndmask_b32_e64 v10, v9, v10, s[6:7]
	v_fma_f32 v9, -v38, v9, v8
	v_cmp_lt_f32_e64 s[6:7], 0, v9
	v_cndmask_b32_e64 v9, v10, v38, s[6:7]
	v_mul_f32_e32 v10, 0x37800000, v9
	v_cndmask_b32_e32 v9, v9, v10, vcc
	v_mul_f32_e32 v10, 0x4f800000, v7
	v_cmp_gt_f32_e32 vcc, s50, v7
	v_cndmask_b32_e32 v7, v7, v10, vcc
	v_sqrt_f32_e32 v10, v7
	v_cmp_class_f32_e64 s[6:7], v8, v19
	v_cndmask_b32_e64 v8, v9, v8, s[6:7]
	v_add_u32_e32 v9, -1, v10
	v_fma_f32 v38, -v9, v10, v7
	v_cmp_ge_f32_e64 s[6:7], 0, v38
	v_add_u32_e32 v38, 1, v10
	v_cndmask_b32_e64 v9, v10, v9, s[6:7]
	v_fma_f32 v10, -v38, v10, v7
	v_cmp_lt_f32_e64 s[6:7], 0, v10
	v_cndmask_b32_e64 v9, v9, v38, s[6:7]
	v_mul_f32_e32 v10, 0x37800000, v9
	v_cndmask_b32_e32 v9, v9, v10, vcc
	v_cmp_class_f32_e32 vcc, v7, v19
	v_cndmask_b32_e32 v7, v9, v7, vcc
	v_mul_f32_e32 v43, v8, v7
.LBB56_153:                             ;   in Loop: Header=BB56_5 Depth=1
	s_or_b64 exec, exec, s[36:37]
	s_mov_b64 s[6:7], exec
.LBB56_154:                             ;   in Loop: Header=BB56_5 Depth=1
	s_or_b64 exec, exec, s[34:35]
                                        ; implicit-def: $vgpr7
.LBB56_155:                             ;   in Loop: Header=BB56_5 Depth=1
	s_andn2_saveexec_b64 s[30:31], s[30:31]
; %bb.156:                              ;   in Loop: Header=BB56_5 Depth=1
	v_mul_f32_e32 v43, 0x4b800000, v7
	v_mul_f32_e64 v42, |v11|, s64
	s_or_b64 s[6:7], s[6:7], exec
                                        ; implicit-def: $vgpr41
; %bb.157:                              ;   in Loop: Header=BB56_5 Depth=1
	s_or_b64 exec, exec, s[30:31]
	s_xor_b64 s[6:7], s[6:7], -1
                                        ; implicit-def: $vgpr7
	s_and_saveexec_b64 s[30:31], s[6:7]
	s_xor_b64 s[6:7], exec, s[30:31]
	s_cbranch_execz .LBB56_159
; %bb.158:                              ;   in Loop: Header=BB56_5 Depth=1
	v_fma_f32 v7, |v41|, -0.5, 0.5
	v_mul_f32_e32 v8, v41, v41
	v_cmp_ge_f32_e64 vcc, |v41|, 0.5
	v_cndmask_b32_e32 v7, v8, v7, vcc
	v_mov_b32_e32 v8, 0x3c5fc5da
	v_fmac_f32_e32 v8, 0x3d1c21a7, v7
	v_fma_f32 v8, v7, v8, v21
	v_fma_f32 v8, v7, v8, v22
	v_sqrt_f32_e32 v9, v7
	v_fma_f32 v8, v7, v8, v23
	v_fma_f32 v8, v7, v8, v24
	v_mul_f32_e32 v7, v7, v8
	v_fmac_f32_e32 v9, v9, v7
	v_add_f32_e32 v8, v9, v9
	v_sub_f32_e32 v8, 0x3fc90fdb, v8
	v_fma_f32 v7, |v41|, v7, |v41|
	v_cmp_lt_f32_e64 vcc, |v41|, 0.5
	v_cndmask_b32_e32 v7, v8, v7, vcc
	v_bfi_b32 v7, s47, v7, v41
                                        ; implicit-def: $vgpr42
                                        ; implicit-def: $vgpr43
.LBB56_159:                             ;   in Loop: Header=BB56_5 Depth=1
	s_andn2_saveexec_b64 s[30:31], s[6:7]
	s_cbranch_execz .LBB56_161
; %bb.160:                              ;   in Loop: Header=BB56_5 Depth=1
	v_max_f32_e32 v7, v42, v42
	v_max_f32_e64 v8, |v43|, |v43|
	v_min_f32_e32 v9, v8, v7
	v_max_f32_e32 v7, v8, v7
	v_frexp_mant_f32_e32 v8, v7
	v_rcp_f32_e32 v8, v8
	v_frexp_exp_i32_f32_e32 v7, v7
	v_frexp_exp_i32_f32_e32 v10, v9
	v_frexp_mant_f32_e32 v9, v9
	v_mul_f32_e32 v8, v9, v8
	v_sub_u32_e32 v7, v10, v7
	v_ldexp_f32 v7, v8, v7
	v_mul_f32_e32 v8, v7, v7
	v_mov_b32_e32 v9, 0xbc7a590c
	v_fmac_f32_e32 v9, 0x3b2d2a58, v8
	v_fma_f32 v9, v8, v9, v25
	v_fma_f32 v9, v8, v9, v26
	;; [unrolled: 1-line block ×6, first 2 shown]
	v_mul_f32_e32 v8, v8, v9
	v_fmac_f32_e32 v7, v7, v8
	v_sub_f32_e32 v8, 0x3fc90fdb, v7
	v_cmp_gt_f32_e64 vcc, v42, |v43|
	v_cndmask_b32_e32 v7, v7, v8, vcc
	v_sub_f32_e32 v8, 0x40490fdb, v7
	v_cmp_gt_f32_e32 vcc, 0, v43
	v_cmp_gt_i32_e64 s[6:7], 0, v43
	v_cndmask_b32_e32 v7, v7, v8, vcc
	v_cndmask_b32_e64 v8, 0, v35, s[6:7]
	v_cndmask_b32_e32 v9, v36, v37, vcc
	v_cmp_class_f32_e64 s[34:35], v43, s65
	v_cmp_eq_f32_e32 vcc, s48, v42
	v_cmp_eq_f32_e64 s[6:7], 0, v42
	v_cndmask_b32_e64 v7, |v7|, v8, s[6:7]
	s_and_b64 vcc, vcc, s[34:35]
	v_cndmask_b32_e32 v7, v7, v9, vcc
	v_cmp_o_f32_e32 vcc, v43, v43
	v_cndmask_b32_e32 v7, v33, v7, vcc
.LBB56_161:                             ;   in Loop: Header=BB56_5 Depth=1
	s_or_b64 exec, exec, s[30:31]
	v_bfi_b32 v12, s47, v40, v12
	v_bfi_b32 v11, s47, v7, v11
.LBB56_162:                             ;   in Loop: Header=BB56_5 Depth=1
	s_or_b64 exec, exec, s[28:29]
.LBB56_163:                             ;   in Loop: Header=BB56_5 Depth=1
	s_or_b64 exec, exec, s[26:27]
	s_waitcnt lgkmcnt(0)
	v_mov_b32_e32 v7, v11
	v_mov_b32_e32 v8, v12
                                        ; implicit-def: $vgpr9_vgpr10_vgpr11_vgpr12
                                        ; implicit-def: $vgpr9
                                        ; implicit-def: $vgpr10
                                        ; implicit-def: $vgpr38
.LBB56_164:                             ;   in Loop: Header=BB56_5 Depth=1
	s_andn2_saveexec_b64 s[26:27], s[8:9]
	s_cbranch_execz .LBB56_186
; %bb.165:                              ;   in Loop: Header=BB56_5 Depth=1
	v_cmp_lt_i32_e32 vcc, -1, v12
                                        ; implicit-def: $sgpr28_sgpr29
                                        ; implicit-def: $vgpr7
                                        ; implicit-def: $vgpr8
	s_and_saveexec_b64 s[6:7], vcc
	s_xor_b64 s[30:31], exec, s[6:7]
	s_cbranch_execz .LBB56_175
; %bb.166:                              ;   in Loop: Header=BB56_5 Depth=1
	v_cmp_lt_f32_e64 s[6:7], |v12|, |v11|
	v_cndmask_b32_e64 v39, |v12|, |v11|, s[6:7]
	v_cmp_nlt_f32_e32 vcc, s66, v39
                                        ; implicit-def: $vgpr7
                                        ; implicit-def: $vgpr8
	s_and_saveexec_b64 s[8:9], vcc
	s_xor_b64 s[28:29], exec, s[8:9]
	s_cbranch_execz .LBB56_172
; %bb.167:                              ;   in Loop: Header=BB56_5 Depth=1
	v_cndmask_b32_e64 v40, |v11|, |v12|, s[6:7]
	v_cmp_nlt_f32_e32 vcc, s67, v39
	v_cmp_ngt_f32_e64 s[8:9], s68, v40
	s_and_b64 s[8:9], vcc, s[8:9]
                                        ; implicit-def: $vgpr7
                                        ; implicit-def: $vgpr8
	s_and_saveexec_b64 s[34:35], s[8:9]
	s_xor_b64 s[8:9], exec, s[34:35]
	s_cbranch_execz .LBB56_169
; %bb.168:                              ;   in Loop: Header=BB56_5 Depth=1
	v_mul_f32_e32 v7, v40, v40
	v_fmac_f32_e32 v7, v39, v39
	v_cmp_gt_f32_e32 vcc, s52, v7
	v_cndmask_b32_e64 v8, 0, 32, vcc
	v_ldexp_f32 v7, v7, v8
	v_log_f32_e32 v7, v7
	v_cndmask_b32_e32 v8, 0, v32, vcc
	v_mul_f32_e32 v39, 0x3f317217, v7
	v_fma_f32 v39, v7, s53, -v39
	v_fmac_f32_e32 v39, 0x3377d1cf, v7
	v_fmac_f32_e32 v39, 0x3f317217, v7
	v_cmp_lt_f32_e64 vcc, |v7|, s48
	v_cndmask_b32_e32 v7, v7, v39, vcc
	v_sub_f32_e32 v7, v7, v8
	v_min_f32_e32 v8, v10, v9
	v_frexp_mant_f32_e32 v9, v38
	v_rcp_f32_e32 v9, v9
	v_frexp_exp_i32_f32_e32 v10, v38
	v_frexp_exp_i32_f32_e32 v38, v8
	v_frexp_mant_f32_e32 v8, v8
	v_mul_f32_e32 v8, v8, v9
	v_sub_u32_e32 v9, v38, v10
	v_ldexp_f32 v8, v8, v9
	v_mul_f32_e32 v9, v8, v8
	v_mov_b32_e32 v10, 0xbc7a590c
	v_fmac_f32_e32 v10, 0x3b2d2a58, v9
	v_fma_f32 v10, v9, v10, v25
	v_fma_f32 v10, v9, v10, v26
	;; [unrolled: 1-line block ×6, first 2 shown]
	v_mul_f32_e32 v9, v9, v10
	v_mul_f32_e32 v7, 0.5, v7
	v_fmac_f32_e32 v8, v8, v9
                                        ; implicit-def: $vgpr38
                                        ; implicit-def: $vgpr10
                                        ; implicit-def: $vgpr9
.LBB56_169:                             ;   in Loop: Header=BB56_5 Depth=1
	s_andn2_saveexec_b64 s[8:9], s[8:9]
	s_cbranch_execz .LBB56_171
; %bb.170:                              ;   in Loop: Header=BB56_5 Depth=1
	v_cvt_f64_f32_e32 v[7:8], v38
	v_cmp_neq_f32_e32 vcc, s48, v38
	v_mov_b32_e32 v39, 0xbc7a590c
	v_frexp_exp_i32_f64_e32 v7, v[7:8]
	v_min_f32_e32 v8, v10, v9
	v_frexp_mant_f32_e32 v10, v38
	v_rcp_f32_e32 v10, v10
	v_frexp_exp_i32_f32_e32 v40, v8
	v_frexp_mant_f32_e32 v8, v8
	v_frexp_exp_i32_f32_e32 v9, v38
	v_mul_f32_e32 v8, v8, v10
	v_sub_u32_e32 v41, 0, v7
	v_ldexp_f32 v42, |v12|, v41
	v_ldexp_f32 v41, |v11|, v41
	v_mul_f32_e32 v41, v41, v41
	v_fmac_f32_e32 v41, v42, v42
	v_sqrt_f32_e32 v41, v41
	v_sub_u32_e32 v9, v40, v9
	v_ldexp_f32 v8, v8, v9
	v_mul_f32_e32 v9, v8, v8
	v_ldexp_f32 v7, v41, v7
	v_cndmask_b32_e32 v7, v31, v7, vcc
	v_cmp_gt_f32_e32 vcc, s52, v7
	v_cndmask_b32_e64 v10, 0, 32, vcc
	v_ldexp_f32 v7, v7, v10
	v_log_f32_e32 v7, v7
	v_cndmask_b32_e32 v10, 0, v32, vcc
	v_fmac_f32_e32 v39, 0x3b2d2a58, v9
	v_mul_f32_e32 v38, 0x3f317217, v7
	v_fma_f32 v38, v7, s53, -v38
	v_fmac_f32_e32 v38, 0x3377d1cf, v7
	v_fmac_f32_e32 v38, 0x3f317217, v7
	v_cmp_lt_f32_e64 vcc, |v7|, s48
	v_cndmask_b32_e32 v7, v7, v38, vcc
	v_sub_f32_e32 v7, v7, v10
	v_fma_f32 v10, v9, v39, v25
	v_fma_f32 v10, v9, v10, v26
	;; [unrolled: 1-line block ×6, first 2 shown]
	v_mul_f32_e32 v9, v9, v10
	v_fmac_f32_e32 v8, v8, v9
.LBB56_171:                             ;   in Loop: Header=BB56_5 Depth=1
	s_or_b64 exec, exec, s[8:9]
                                        ; implicit-def: $vgpr10
                                        ; implicit-def: $vgpr9
                                        ; implicit-def: $vgpr38
.LBB56_172:                             ;   in Loop: Header=BB56_5 Depth=1
	s_andn2_saveexec_b64 s[28:29], s[28:29]
	s_cbranch_execz .LBB56_174
; %bb.173:                              ;   in Loop: Header=BB56_5 Depth=1
	v_div_scale_f32 v7, s[8:9], s69, s69, v12
	v_div_scale_f32 v8, s[8:9], s69, s69, v11
	v_div_scale_f32 v39, vcc, v12, s69, v12
	v_div_scale_f32 v40, s[8:9], v11, s69, v11
	v_min_f32_e32 v9, v10, v9
	v_frexp_exp_i32_f32_e32 v10, v38
	v_frexp_mant_f32_e32 v38, v38
	v_rcp_f32_e32 v38, v38
	v_rcp_f32_e32 v41, v7
	;; [unrolled: 1-line block ×3, first 2 shown]
	v_fma_f32 v43, -v7, v41, 1.0
	v_fmac_f32_e32 v41, v43, v41
	v_fma_f32 v44, -v8, v42, 1.0
	v_fmac_f32_e32 v42, v44, v42
	v_mul_f32_e32 v43, v39, v41
	v_mul_f32_e32 v44, v40, v42
	v_fma_f32 v45, -v7, v43, v39
	v_fma_f32 v46, -v8, v44, v40
	v_fmac_f32_e32 v43, v45, v41
	v_fmac_f32_e32 v44, v46, v42
	v_fma_f32 v7, -v7, v43, v39
	v_fma_f32 v8, -v8, v44, v40
	v_div_fmas_f32 v7, v7, v41, v43
	s_mov_b64 vcc, s[8:9]
	v_div_fmas_f32 v8, v8, v42, v44
	v_frexp_exp_i32_f32_e32 v43, v9
	v_frexp_mant_f32_e32 v9, v9
	v_mul_f32_e32 v9, v9, v38
	v_mov_b32_e32 v39, 0xbc7a590c
	v_div_fixup_f32 v40, v7, s69, v12
	v_div_fixup_f32 v41, v8, s69, v11
	v_max_f32_e64 v42, v40, |v41|
	v_cvt_f64_f32_e32 v[7:8], v42
	v_cmp_neq_f32_e32 vcc, s48, v42
	v_frexp_exp_i32_f64_e32 v7, v[7:8]
	v_sub_u32_e32 v8, v43, v10
	v_ldexp_f32 v8, v9, v8
	v_mul_f32_e32 v9, v8, v8
	v_fmac_f32_e32 v39, 0x3b2d2a58, v9
	v_fma_f32 v10, v9, v39, v25
	v_fma_f32 v10, v9, v10, v26
	;; [unrolled: 1-line block ×3, first 2 shown]
	v_sub_u32_e32 v38, 0, v7
	v_ldexp_f32 v39, v40, v38
	v_ldexp_f32 v38, |v41|, v38
	v_mul_f32_e32 v38, v38, v38
	v_fmac_f32_e32 v38, v39, v39
	v_sqrt_f32_e32 v38, v38
	v_fma_f32 v10, v9, v10, v28
	v_fma_f32 v10, v9, v10, v29
	;; [unrolled: 1-line block ×3, first 2 shown]
	v_ldexp_f32 v7, v38, v7
	v_cndmask_b32_e32 v7, v31, v7, vcc
	v_cmp_gt_f32_e32 vcc, s52, v7
	v_cndmask_b32_e64 v38, 0, 32, vcc
	v_ldexp_f32 v7, v7, v38
	v_log_f32_e32 v7, v7
	v_mul_f32_e32 v9, v9, v10
	v_cndmask_b32_e32 v10, 0, v32, vcc
	v_fmac_f32_e32 v8, v8, v9
	v_mul_f32_e32 v38, 0x3f317217, v7
	v_fma_f32 v38, v7, s53, -v38
	v_fmac_f32_e32 v38, 0x3377d1cf, v7
	v_fmac_f32_e32 v38, 0x3f317217, v7
	v_cmp_lt_f32_e64 vcc, |v7|, s48
	v_cndmask_b32_e32 v7, v7, v38, vcc
	v_sub_f32_e32 v7, v7, v10
	v_add_f32_e32 v7, 1.0, v7
.LBB56_174:                             ;   in Loop: Header=BB56_5 Depth=1
	s_or_b64 exec, exec, s[28:29]
	v_sub_f32_e32 v9, 0x3fc90fdb, v8
	v_cndmask_b32_e64 v8, v8, v9, s[6:7]
	v_cmp_neq_f32_e32 vcc, 0, v11
	v_cndmask_b32_e32 v8, 0, v8, vcc
	v_cmp_class_f32_e64 s[28:29], v12, s65
                                        ; implicit-def: $vgpr9
.LBB56_175:                             ;   in Loop: Header=BB56_5 Depth=1
	s_andn2_saveexec_b64 s[30:31], s[30:31]
	s_cbranch_execz .LBB56_185
; %bb.176:                              ;   in Loop: Header=BB56_5 Depth=1
	v_cmp_gt_f32_e64 s[6:7], |v11|, -v12
	v_cndmask_b32_e64 v10, -v12, |v11|, s[6:7]
	v_cmp_nlt_f32_e32 vcc, s66, v10
                                        ; implicit-def: $vgpr7
                                        ; implicit-def: $vgpr8
	s_and_saveexec_b64 s[8:9], vcc
	s_xor_b64 s[34:35], exec, s[8:9]
	s_cbranch_execz .LBB56_182
; %bb.177:                              ;   in Loop: Header=BB56_5 Depth=1
	v_xor_b32_e32 v7, 0x80000000, v12
	v_cndmask_b32_e64 v38, |v11|, v7, s[6:7]
	v_cmp_nlt_f32_e32 vcc, s67, v10
	v_cmp_ngt_f32_e64 s[8:9], s68, v38
	s_and_b64 s[8:9], vcc, s[8:9]
                                        ; implicit-def: $vgpr7
                                        ; implicit-def: $vgpr8
	s_and_saveexec_b64 s[36:37], s[8:9]
	s_xor_b64 s[8:9], exec, s[36:37]
	s_cbranch_execz .LBB56_179
; %bb.178:                              ;   in Loop: Header=BB56_5 Depth=1
	v_mul_f32_e32 v7, v38, v38
	v_fmac_f32_e32 v7, v10, v10
	v_cmp_gt_f32_e32 vcc, s52, v7
	v_cndmask_b32_e64 v8, 0, 32, vcc
	v_ldexp_f32 v7, v7, v8
	v_log_f32_e32 v7, v7
	v_cndmask_b32_e32 v8, 0, v32, vcc
	v_mul_f32_e32 v10, 0x3f317217, v7
	v_fma_f32 v10, v7, s53, -v10
	v_fmac_f32_e32 v10, 0x3377d1cf, v7
	v_fmac_f32_e32 v10, 0x3f317217, v7
	v_cmp_lt_f32_e64 vcc, |v7|, s48
	v_cndmask_b32_e32 v7, v7, v10, vcc
	v_sub_f32_e32 v7, v7, v8
	v_max_f32_e64 v8, -v12, -v12
	v_min_f32_e32 v10, v8, v9
	v_max_f32_e32 v8, v8, v9
	v_frexp_mant_f32_e32 v9, v8
	v_rcp_f32_e32 v9, v9
	v_frexp_exp_i32_f32_e32 v8, v8
	v_frexp_exp_i32_f32_e32 v38, v10
	v_frexp_mant_f32_e32 v10, v10
	v_mul_f32_e32 v9, v10, v9
	v_sub_u32_e32 v8, v38, v8
	v_ldexp_f32 v8, v9, v8
	v_mul_f32_e32 v9, v8, v8
	v_mov_b32_e32 v10, 0xbc7a590c
	v_fmac_f32_e32 v10, 0x3b2d2a58, v9
	v_fma_f32 v10, v9, v10, v25
	v_fma_f32 v10, v9, v10, v26
	;; [unrolled: 1-line block ×6, first 2 shown]
	v_mul_f32_e32 v9, v9, v10
	v_mul_f32_e32 v7, 0.5, v7
	v_fmac_f32_e32 v8, v8, v9
                                        ; implicit-def: $vgpr9
.LBB56_179:                             ;   in Loop: Header=BB56_5 Depth=1
	s_andn2_saveexec_b64 s[8:9], s[8:9]
	s_cbranch_execz .LBB56_181
; %bb.180:                              ;   in Loop: Header=BB56_5 Depth=1
	v_max_f32_e64 v10, -v12, -v12
	v_max_f32_e32 v38, v10, v9
	v_cvt_f64_f32_e32 v[7:8], v38
	v_cmp_neq_f32_e32 vcc, s48, v38
	v_mov_b32_e32 v39, 0xbc7a590c
	v_frexp_exp_i32_f64_e32 v7, v[7:8]
	v_min_f32_e32 v8, v10, v9
	v_frexp_mant_f32_e32 v10, v38
	v_rcp_f32_e32 v10, v10
	v_frexp_exp_i32_f32_e32 v40, v8
	v_frexp_mant_f32_e32 v8, v8
	v_frexp_exp_i32_f32_e32 v9, v38
	v_mul_f32_e32 v8, v8, v10
	v_sub_u32_e32 v41, 0, v7
	v_ldexp_f32 v42, -v12, v41
	v_ldexp_f32 v41, |v11|, v41
	v_mul_f32_e32 v41, v41, v41
	v_fmac_f32_e32 v41, v42, v42
	v_sqrt_f32_e32 v41, v41
	v_sub_u32_e32 v9, v40, v9
	v_ldexp_f32 v8, v8, v9
	v_mul_f32_e32 v9, v8, v8
	v_ldexp_f32 v7, v41, v7
	v_cndmask_b32_e32 v7, v31, v7, vcc
	v_cmp_gt_f32_e32 vcc, s52, v7
	v_cndmask_b32_e64 v10, 0, 32, vcc
	v_ldexp_f32 v7, v7, v10
	v_log_f32_e32 v7, v7
	v_cndmask_b32_e32 v10, 0, v32, vcc
	v_fmac_f32_e32 v39, 0x3b2d2a58, v9
	v_mul_f32_e32 v38, 0x3f317217, v7
	v_fma_f32 v38, v7, s53, -v38
	v_fmac_f32_e32 v38, 0x3377d1cf, v7
	v_fmac_f32_e32 v38, 0x3f317217, v7
	v_cmp_lt_f32_e64 vcc, |v7|, s48
	v_cndmask_b32_e32 v7, v7, v38, vcc
	v_sub_f32_e32 v7, v7, v10
	v_fma_f32 v10, v9, v39, v25
	v_fma_f32 v10, v9, v10, v26
	;; [unrolled: 1-line block ×6, first 2 shown]
	v_mul_f32_e32 v9, v9, v10
	v_fmac_f32_e32 v8, v8, v9
.LBB56_181:                             ;   in Loop: Header=BB56_5 Depth=1
	s_or_b64 exec, exec, s[8:9]
                                        ; implicit-def: $vgpr9
.LBB56_182:                             ;   in Loop: Header=BB56_5 Depth=1
	s_andn2_saveexec_b64 s[34:35], s[34:35]
	s_cbranch_execz .LBB56_184
; %bb.183:                              ;   in Loop: Header=BB56_5 Depth=1
	v_div_scale_f32 v7, s[8:9], s70, s70, v12
	v_div_scale_f32 v8, s[8:9], s70, s70, v11
	v_div_scale_f32 v10, vcc, v12, s70, v12
	v_div_scale_f32 v38, s[8:9], v11, s70, v11
	v_rcp_f32_e32 v39, v7
	v_rcp_f32_e32 v40, v8
	v_fma_f32 v41, -v7, v39, 1.0
	v_fmac_f32_e32 v39, v41, v39
	v_fma_f32 v42, -v8, v40, 1.0
	v_fmac_f32_e32 v40, v42, v40
	v_mul_f32_e32 v41, v10, v39
	v_mul_f32_e32 v42, v38, v40
	v_fma_f32 v43, -v7, v41, v10
	v_fma_f32 v44, -v8, v42, v38
	v_fmac_f32_e32 v41, v43, v39
	v_fmac_f32_e32 v42, v44, v40
	v_fma_f32 v7, -v7, v41, v10
	v_fma_f32 v8, -v8, v42, v38
	v_div_fmas_f32 v7, v7, v39, v41
	s_mov_b64 vcc, s[8:9]
	v_div_fmas_f32 v8, v8, v40, v42
	v_max_f32_e64 v10, -v12, -v12
	v_min_f32_e32 v39, v10, v9
	v_max_f32_e32 v9, v10, v9
	v_frexp_exp_i32_f32_e32 v10, v9
	v_frexp_mant_f32_e32 v9, v9
	v_rcp_f32_e32 v9, v9
	v_frexp_exp_i32_f32_e32 v43, v39
	v_frexp_mant_f32_e32 v39, v39
	v_mov_b32_e32 v38, 0xbc7a590c
	v_mul_f32_e32 v9, v39, v9
	v_div_fixup_f32 v40, v7, s70, v12
	v_div_fixup_f32 v41, v8, s70, v11
	v_max_f32_e64 v42, |v40|, |v41|
	v_cvt_f64_f32_e32 v[7:8], v42
	v_cmp_neq_f32_e32 vcc, s48, v42
	v_frexp_exp_i32_f64_e32 v7, v[7:8]
	v_sub_u32_e32 v8, v43, v10
	v_ldexp_f32 v8, v9, v8
	v_mul_f32_e32 v9, v8, v8
	v_fmac_f32_e32 v38, 0x3b2d2a58, v9
	v_fma_f32 v10, v9, v38, v25
	v_fma_f32 v10, v9, v10, v26
	;; [unrolled: 1-line block ×3, first 2 shown]
	v_sub_u32_e32 v38, 0, v7
	v_ldexp_f32 v39, |v40|, v38
	v_ldexp_f32 v38, |v41|, v38
	v_mul_f32_e32 v38, v38, v38
	v_fmac_f32_e32 v38, v39, v39
	v_sqrt_f32_e32 v38, v38
	v_fma_f32 v10, v9, v10, v28
	v_fma_f32 v10, v9, v10, v29
	v_fma_f32 v10, v9, v10, v30
	v_ldexp_f32 v7, v38, v7
	v_cndmask_b32_e32 v7, v31, v7, vcc
	v_cmp_gt_f32_e32 vcc, s52, v7
	v_cndmask_b32_e64 v38, 0, 32, vcc
	v_ldexp_f32 v7, v7, v38
	v_log_f32_e32 v7, v7
	v_mul_f32_e32 v9, v9, v10
	v_cndmask_b32_e32 v10, 0, v32, vcc
	v_fmac_f32_e32 v8, v8, v9
	v_mul_f32_e32 v38, 0x3f317217, v7
	v_fma_f32 v38, v7, s53, -v38
	v_fmac_f32_e32 v38, 0x3377d1cf, v7
	v_fmac_f32_e32 v38, 0x3f317217, v7
	v_cmp_lt_f32_e64 vcc, |v7|, s48
	v_cndmask_b32_e32 v7, v7, v38, vcc
	v_sub_f32_e32 v7, v7, v10
	v_add_f32_e32 v7, 1.0, v7
.LBB56_184:                             ;   in Loop: Header=BB56_5 Depth=1
	s_or_b64 exec, exec, s[34:35]
	v_sub_f32_e32 v9, 0x3fc90fdb, v8
	v_cndmask_b32_e64 v8, v8, v9, s[6:7]
	v_cmp_neq_f32_e32 vcc, 0, v11
	v_cndmask_b32_e32 v8, 0, v8, vcc
	v_cmp_eq_f32_e32 vcc, s58, v12
	s_andn2_b64 s[6:7], s[28:29], exec
	s_and_b64 s[8:9], vcc, exec
	s_or_b64 s[28:29], s[6:7], s[8:9]
.LBB56_185:                             ;   in Loop: Header=BB56_5 Depth=1
	s_or_b64 exec, exec, s[30:31]
	v_cmp_class_f32_e64 s[6:7], v11, s65
	s_and_b64 vcc, s[6:7], s[28:29]
	v_cndmask_b32_e32 v9, v8, v36, vcc
	v_add_f32_e32 v7, 0x3f317218, v7
	v_bfi_b32 v8, s47, v7, v12
	v_bfi_b32 v7, s47, v9, v11
.LBB56_186:                             ;   in Loop: Header=BB56_5 Depth=1
	s_or_b64 exec, exec, s[26:27]
                                        ; implicit-def: $vgpr12
.LBB56_187:                             ;   in Loop: Header=BB56_5 Depth=1
	s_andn2_saveexec_b64 s[6:7], s[24:25]
	s_cbranch_execz .LBB56_201
; %bb.188:                              ;   in Loop: Header=BB56_5 Depth=1
	v_cmp_neq_f32_e64 s[8:9], |v12|, s48
	s_and_saveexec_b64 s[24:25], s[8:9]
	s_xor_b64 s[8:9], exec, s[24:25]
	s_cbranch_execz .LBB56_198
; %bb.189:                              ;   in Loop: Header=BB56_5 Depth=1
	v_cmp_neq_f32_e64 s[24:25], |v11|, s48
	s_and_saveexec_b64 s[26:27], s[24:25]
	s_xor_b64 s[24:25], exec, s[26:27]
	s_cbranch_execz .LBB56_195
; %bb.190:                              ;   in Loop: Header=BB56_5 Depth=1
	v_cmp_neq_f32_e32 vcc, 0, v11
	s_and_saveexec_b64 s[26:27], vcc
	s_xor_b64 s[26:27], exec, s[26:27]
; %bb.191:                              ;   in Loop: Header=BB56_5 Depth=1
	v_add_f32_e32 v7, 0, v12
	v_add_f32_e32 v7, v11, v7
                                        ; implicit-def: $vgpr9_vgpr10_vgpr11_vgpr12
; %bb.192:                              ;   in Loop: Header=BB56_5 Depth=1
	s_or_saveexec_b64 s[26:27], s[26:27]
	v_mov_b32_e32 v8, v7
	s_xor_b64 exec, exec, s[26:27]
; %bb.193:                              ;   in Loop: Header=BB56_5 Depth=1
	v_add_f32_e32 v8, v12, v12
	v_mov_b32_e32 v7, v11
; %bb.194:                              ;   in Loop: Header=BB56_5 Depth=1
	s_or_b64 exec, exec, s[26:27]
                                        ; implicit-def: $vgpr9_vgpr10_vgpr11_vgpr12
.LBB56_195:                             ;   in Loop: Header=BB56_5 Depth=1
	s_andn2_saveexec_b64 s[24:25], s[24:25]
; %bb.196:                              ;   in Loop: Header=BB56_5 Depth=1
	v_add_f32_e32 v7, v12, v12
	v_mov_b32_e32 v8, v11
; %bb.197:                              ;   in Loop: Header=BB56_5 Depth=1
	s_or_b64 exec, exec, s[24:25]
                                        ; implicit-def: $vgpr9_vgpr10_vgpr11_vgpr12
.LBB56_198:                             ;   in Loop: Header=BB56_5 Depth=1
	s_andn2_saveexec_b64 s[8:9], s[8:9]
; %bb.199:                              ;   in Loop: Header=BB56_5 Depth=1
	v_add_f32_e32 v7, v11, v11
	v_mov_b32_e32 v8, v12
; %bb.200:                              ;   in Loop: Header=BB56_5 Depth=1
	s_or_b64 exec, exec, s[8:9]
.LBB56_201:                             ;   in Loop: Header=BB56_5 Depth=1
	s_or_b64 exec, exec, s[6:7]
	s_waitcnt vmcnt(0)
	v_cmp_o_f32_e32 vcc, v2, v1
                                        ; implicit-def: $vgpr9
	s_and_saveexec_b64 s[6:7], vcc
	s_xor_b64 s[24:25], exec, s[6:7]
	s_cbranch_execz .LBB56_285
; %bb.202:                              ;   in Loop: Header=BB56_5 Depth=1
	v_max_f32_e64 v12, |v2|, |v2|
	v_max_f32_e64 v11, |v1|, |v1|
	v_max_f32_e32 v38, v11, v12
	v_cmp_nlt_f32_e32 vcc, s42, v38
                                        ; implicit-def: $vgpr9
	s_and_saveexec_b64 s[6:7], vcc
	s_xor_b64 s[8:9], exec, s[6:7]
	s_cbranch_execz .LBB56_262
; %bb.203:                              ;   in Loop: Header=BB56_5 Depth=1
	v_cmp_neq_f32_e32 vcc, 0, v2
	v_cmp_neq_f32_e64 s[6:7], 0, v1
	s_or_b64 s[6:7], vcc, s[6:7]
	v_mov_b32_e32 v9, v1
	v_mov_b32_e32 v10, v2
	s_and_saveexec_b64 s[26:27], s[6:7]
	s_cbranch_execz .LBB56_261
; %bb.204:                              ;   in Loop: Header=BB56_5 Depth=1
	v_mov_b32_e32 v9, s16
	v_mov_b32_e32 v10, s17
	flat_store_dword v[9:10], v18
	s_waitcnt vmcnt(0)
	flat_load_dword v9, v[9:10] glc
	s_waitcnt vmcnt(0)
	v_cmp_nlt_f32_e64 s[6:7], |v2|, s43
	v_cmp_nlt_f32_e64 s[28:29], |v1|, s43
	s_or_b64 s[6:7], s[28:29], s[6:7]
	s_waitcnt lgkmcnt(0)
	v_add_f32_e32 v11, 1.0, v9
	v_mov_b32_e32 v9, s20
	v_mov_b32_e32 v10, s21
	flat_store_dword v[9:10], v11
	s_waitcnt vmcnt(0)
	flat_load_dword v9, v[9:10] glc
	s_waitcnt vmcnt(0) lgkmcnt(0)
	v_mov_b32_e32 v9, v1
	v_mov_b32_e32 v10, v2
	s_and_saveexec_b64 s[28:29], s[6:7]
	s_cbranch_execz .LBB56_260
; %bb.205:                              ;   in Loop: Header=BB56_5 Depth=1
	v_add_f32_e64 v11, |v1|, 1.0
	v_max_f32_e32 v9, v12, v11
	v_add_f32_e64 v10, |v1|, -1.0
	v_cvt_f64_f32_e32 v[38:39], v9
	v_max_f32_e64 v12, v12, |v10|
	v_cvt_f64_f32_e32 v[40:41], v12
	v_cmp_neq_f32_e32 vcc, s48, v9
	v_frexp_exp_i32_f64_e32 v38, v[38:39]
	v_frexp_exp_i32_f64_e32 v39, v[40:41]
	v_sub_u32_e32 v40, 0, v38
	v_ldexp_f32 v42, |v2|, v40
	v_sub_u32_e32 v41, 0, v39
	v_ldexp_f32 v40, v11, v40
	v_ldexp_f32 v43, |v2|, v41
	v_ldexp_f32 v41, |v10|, v41
	v_mul_f32_e32 v40, v40, v40
	v_mul_f32_e32 v41, v41, v41
	v_fmac_f32_e32 v40, v42, v42
	v_fmac_f32_e32 v41, v43, v43
	v_sqrt_f32_e32 v40, v40
	v_sqrt_f32_e32 v41, v41
	v_ldexp_f32 v38, v40, v38
	v_ldexp_f32 v40, v41, v39
	v_cndmask_b32_e32 v39, v31, v38, vcc
	v_cmp_neq_f32_e32 vcc, s48, v12
	v_cndmask_b32_e32 v12, v31, v40, vcc
	v_add_f32_e32 v9, v39, v12
	v_mul_f32_e32 v9, 0.5, v9
	v_cmp_ngt_f32_e32 vcc, 1.0, v9
	v_cndmask_b32_e32 v9, 1.0, v9, vcc
	v_cmp_ngt_f32_e32 vcc, s49, v9
                                        ; implicit-def: $vgpr40
	s_and_saveexec_b64 s[6:7], vcc
	s_xor_b64 s[30:31], exec, s[6:7]
	s_cbranch_execz .LBB56_207
; %bb.206:                              ;   in Loop: Header=BB56_5 Depth=1
	v_fma_f32 v38, v9, v9, -1.0
	v_mul_f32_e32 v40, 0x4f800000, v38
	v_cmp_gt_f32_e32 vcc, s50, v38
	v_cndmask_b32_e32 v38, v38, v40, vcc
	v_sqrt_f32_e32 v40, v38
	v_add_u32_e32 v41, -1, v40
	v_fma_f32 v43, -v41, v40, v38
	v_add_u32_e32 v42, 1, v40
	v_cmp_ge_f32_e64 s[6:7], 0, v43
	v_cndmask_b32_e64 v41, v40, v41, s[6:7]
	v_fma_f32 v40, -v42, v40, v38
	v_cmp_lt_f32_e64 s[6:7], 0, v40
	v_cndmask_b32_e64 v40, v41, v42, s[6:7]
	v_mul_f32_e32 v41, 0x37800000, v40
	v_cndmask_b32_e32 v40, v40, v41, vcc
	v_cmp_class_f32_e32 vcc, v38, v19
	v_cndmask_b32_e32 v38, v40, v38, vcc
	v_add_f32_e32 v38, v9, v38
	v_cmp_gt_f32_e32 vcc, s52, v38
	v_cndmask_b32_e64 v40, 0, 32, vcc
	v_ldexp_f32 v38, v38, v40
	v_log_f32_e32 v38, v38
	v_mul_f32_e32 v40, 0x3f317217, v38
	v_fma_f32 v40, v38, s53, -v40
	v_fmac_f32_e32 v40, 0x3377d1cf, v38
	v_fmac_f32_e32 v40, 0x3f317217, v38
	v_cmp_lt_f32_e64 s[6:7], |v38|, s48
	v_cndmask_b32_e64 v38, v38, v40, s[6:7]
	v_cndmask_b32_e32 v40, 0, v32, vcc
	v_sub_f32_e32 v40, v38, v40
.LBB56_207:                             ;   in Loop: Header=BB56_5 Depth=1
	s_or_saveexec_b64 s[30:31], s[30:31]
	v_and_b32_e32 v38, 0x7fffffff, v2
	s_xor_b64 exec, exec, s[30:31]
	s_cbranch_execz .LBB56_229
; %bb.208:                              ;   in Loop: Header=BB56_5 Depth=1
	v_cmp_neq_f32_e64 s[6:7], |v1|, 1.0
	v_cmp_nlt_f32_e64 s[34:35], |v2|, s54
	s_or_b64 s[6:7], s[6:7], s[34:35]
                                        ; implicit-def: $vgpr40
	s_and_saveexec_b64 s[34:35], s[6:7]
	s_xor_b64 s[34:35], exec, s[34:35]
	s_cbranch_execz .LBB56_226
; %bb.209:                              ;   in Loop: Header=BB56_5 Depth=1
	v_mul_f32_e64 v40, |v10|, s55
	v_cmp_ge_f32_e64 s[6:7], |v2|, v40
                                        ; implicit-def: $vgpr40
	s_and_saveexec_b64 s[36:37], s[6:7]
	s_xor_b64 s[36:37], exec, s[36:37]
	s_cbranch_execz .LBB56_219
; %bb.210:                              ;   in Loop: Header=BB56_5 Depth=1
	v_cmp_neq_f32_e32 vcc, 0, v11
	v_mov_b32_e32 v40, v38
	s_and_saveexec_b64 s[6:7], vcc
	s_cbranch_execz .LBB56_212
; %bb.211:                              ;   in Loop: Header=BB56_5 Depth=1
	v_mul_f32_e32 v40, v2, v2
	v_add_f32_e32 v41, v11, v39
	v_div_scale_f32 v42, s[38:39], v41, v41, v40
	v_div_scale_f32 v43, vcc, v40, v41, v40
	v_rcp_f32_e32 v44, v42
	v_fma_f32 v45, -v42, v44, 1.0
	v_fmac_f32_e32 v44, v45, v44
	v_mul_f32_e32 v45, v43, v44
	v_fma_f32 v46, -v42, v45, v43
	v_fmac_f32_e32 v45, v46, v44
	v_fma_f32 v42, -v42, v45, v43
	v_div_fmas_f32 v42, v42, v44, v45
	v_div_fixup_f32 v40, v42, v41, v40
.LBB56_212:                             ;   in Loop: Header=BB56_5 Depth=1
	s_or_b64 exec, exec, s[6:7]
	v_sub_f32_e64 v42, 1.0, |v1|
	v_cmp_ngt_f32_e32 vcc, 0, v42
                                        ; implicit-def: $vgpr41
	s_and_saveexec_b64 s[6:7], vcc
	s_xor_b64 s[6:7], exec, s[6:7]
	s_cbranch_execz .LBB56_216
; %bb.213:                              ;   in Loop: Header=BB56_5 Depth=1
	v_cmp_neq_f32_e32 vcc, 0, v42
	v_mov_b32_e32 v41, v38
	s_and_saveexec_b64 s[38:39], vcc
	s_cbranch_execz .LBB56_215
; %bb.214:                              ;   in Loop: Header=BB56_5 Depth=1
	v_mul_f32_e32 v41, v2, v2
	v_add_f32_e32 v42, v42, v12
	v_div_scale_f32 v43, s[40:41], v42, v42, v41
	v_div_scale_f32 v44, vcc, v41, v42, v41
	v_rcp_f32_e32 v45, v43
	v_fma_f32 v46, -v43, v45, 1.0
	v_fmac_f32_e32 v45, v46, v45
	v_mul_f32_e32 v46, v44, v45
	v_fma_f32 v47, -v43, v46, v44
	v_fmac_f32_e32 v46, v47, v45
	v_fma_f32 v43, -v43, v46, v44
	v_div_fmas_f32 v43, v43, v45, v46
	v_div_fixup_f32 v41, v43, v42, v41
.LBB56_215:                             ;   in Loop: Header=BB56_5 Depth=1
	s_or_b64 exec, exec, s[38:39]
                                        ; implicit-def: $vgpr42
.LBB56_216:                             ;   in Loop: Header=BB56_5 Depth=1
	s_andn2_saveexec_b64 s[6:7], s[6:7]
; %bb.217:                              ;   in Loop: Header=BB56_5 Depth=1
	v_sub_f32_e32 v41, v12, v42
; %bb.218:                              ;   in Loop: Header=BB56_5 Depth=1
	s_or_b64 exec, exec, s[6:7]
	v_mul_f32_e32 v41, 0.5, v41
	v_fmac_f32_e32 v41, 0.5, v40
	v_add_f32_e32 v40, 1.0, v9
	v_mul_f32_e32 v40, v40, v41
	v_mul_f32_e32 v42, 0x4f800000, v40
	v_cmp_gt_f32_e32 vcc, s50, v40
	v_cndmask_b32_e32 v40, v40, v42, vcc
	v_sqrt_f32_e32 v42, v40
	v_add_u32_e32 v43, -1, v42
	v_fma_f32 v44, -v43, v42, v40
	v_cmp_ge_f32_e64 s[6:7], 0, v44
	v_add_u32_e32 v44, 1, v42
	v_cndmask_b32_e64 v43, v42, v43, s[6:7]
	v_fma_f32 v42, -v44, v42, v40
	v_cmp_lt_f32_e64 s[6:7], 0, v42
	v_cndmask_b32_e64 v42, v43, v44, s[6:7]
	v_mul_f32_e32 v43, 0x37800000, v42
	v_cndmask_b32_e32 v42, v42, v43, vcc
	v_cmp_class_f32_e32 vcc, v40, v19
	v_cndmask_b32_e32 v40, v42, v40, vcc
	v_add_f32_e32 v42, v41, v40
	v_add_f32_e32 v43, 1.0, v42
	v_cvt_f64_f32_e32 v[40:41], v43
	v_add_f32_e32 v44, -1.0, v43
	v_frexp_exp_i32_f64_e32 v40, v[40:41]
	v_sub_f32_e32 v41, v44, v43
	v_add_f32_e32 v41, 1.0, v41
	v_sub_f32_e32 v44, v42, v44
	v_add_f32_e32 v41, v44, v41
	v_frexp_mant_f32_e32 v44, v43
	v_cmp_gt_f32_e32 vcc, s56, v44
	v_subbrev_co_u32_e32 v40, vcc, 0, v40, vcc
	v_sub_u32_e32 v44, 0, v40
	v_ldexp_f32 v43, v43, v44
	v_ldexp_f32 v41, v41, v44
	v_add_f32_e32 v44, -1.0, v43
	v_add_f32_e32 v47, 1.0, v43
	v_add_f32_e32 v45, 1.0, v44
	v_add_f32_e32 v48, -1.0, v47
	v_sub_f32_e32 v45, v43, v45
	v_sub_f32_e32 v43, v43, v48
	v_add_f32_e32 v45, v41, v45
	v_add_f32_e32 v41, v41, v43
	;; [unrolled: 1-line block ×3, first 2 shown]
	v_rcp_f32_e32 v48, v43
	v_add_f32_e32 v46, v44, v45
	v_sub_f32_e32 v44, v46, v44
	v_sub_f32_e32 v44, v45, v44
	;; [unrolled: 1-line block ×4, first 2 shown]
	v_mul_f32_e32 v45, v46, v48
	v_mul_f32_e32 v47, v43, v45
	v_fma_f32 v49, v45, v43, -v47
	v_fmac_f32_e32 v49, v45, v41
	v_add_f32_e32 v50, v47, v49
	v_sub_f32_e32 v51, v46, v50
	v_sub_f32_e32 v46, v46, v51
	;; [unrolled: 1-line block ×4, first 2 shown]
	v_add_f32_e32 v44, v44, v46
	v_sub_f32_e32 v46, v47, v49
	v_add_f32_e32 v44, v46, v44
	v_add_f32_e32 v46, v51, v44
	v_mul_f32_e32 v47, v48, v46
	v_mul_f32_e32 v49, v43, v47
	v_fma_f32 v43, v47, v43, -v49
	v_fmac_f32_e32 v43, v47, v41
	v_sub_f32_e32 v41, v51, v46
	v_add_f32_e32 v41, v44, v41
	v_add_f32_e32 v44, v49, v43
	v_sub_f32_e32 v50, v46, v44
	v_sub_f32_e32 v46, v46, v50
	;; [unrolled: 1-line block ×4, first 2 shown]
	v_add_f32_e32 v41, v41, v44
	v_sub_f32_e32 v43, v49, v43
	v_cvt_f32_i32_e32 v40, v40
	v_add_f32_e32 v41, v43, v41
	v_add_f32_e32 v43, v45, v47
	;; [unrolled: 1-line block ×3, first 2 shown]
	v_sub_f32_e32 v44, v43, v45
	v_mul_f32_e32 v41, v48, v41
	v_sub_f32_e32 v44, v47, v44
	v_add_f32_e32 v41, v44, v41
	v_mul_f32_e32 v47, 0x3f317218, v40
	v_add_f32_e32 v44, v43, v41
	v_fma_f32 v48, v40, s57, -v47
	v_mul_f32_e32 v45, v44, v44
	v_mov_b32_e32 v46, 0x3ecc95a3
	v_fmac_f32_e32 v48, 0xb102e308, v40
	v_sub_f32_e32 v40, v44, v43
	v_fmac_f32_e32 v46, 0x3e9b6dac, v45
	v_sub_f32_e32 v40, v41, v40
	v_add_f32_e32 v41, v47, v48
	v_fma_f32 v46, v45, v46, v20
	v_sub_f32_e32 v43, v41, v47
	v_ldexp_f32 v47, v44, 1
	v_mul_f32_e32 v44, v44, v45
	v_mul_f32_e32 v44, v44, v46
	v_add_f32_e32 v45, v47, v44
	v_sub_f32_e32 v46, v45, v47
	v_ldexp_f32 v40, v40, 1
	v_sub_f32_e32 v44, v44, v46
	v_add_f32_e32 v40, v40, v44
	v_add_f32_e32 v44, v45, v40
	v_sub_f32_e32 v45, v44, v45
	v_sub_f32_e32 v40, v40, v45
	v_add_f32_e32 v45, v41, v44
	v_sub_f32_e32 v46, v45, v41
	v_sub_f32_e32 v47, v45, v46
	;; [unrolled: 1-line block ×5, first 2 shown]
	v_add_f32_e32 v41, v44, v41
	v_add_f32_e32 v44, v43, v40
	v_sub_f32_e32 v46, v44, v43
	v_sub_f32_e32 v47, v44, v46
	;; [unrolled: 1-line block ×4, first 2 shown]
	v_add_f32_e32 v41, v44, v41
	v_add_f32_e32 v40, v40, v43
	;; [unrolled: 1-line block ×3, first 2 shown]
	v_sub_f32_e32 v44, v43, v45
	v_sub_f32_e32 v41, v41, v44
	v_add_f32_e32 v40, v40, v41
	v_add_f32_e32 v40, v43, v40
	v_cmp_neq_f32_e32 vcc, s48, v42
	v_cndmask_b32_e32 v40, v31, v40, vcc
	v_cmp_ngt_f32_e32 vcc, -1.0, v42
	v_cndmask_b32_e32 v40, v33, v40, vcc
	v_cmp_neq_f32_e32 vcc, -1.0, v42
	v_cndmask_b32_e32 v40, v34, v40, vcc
	v_cmp_lt_f32_e64 vcc, |v42|, s59
	v_cndmask_b32_e32 v40, v40, v42, vcc
.LBB56_219:                             ;   in Loop: Header=BB56_5 Depth=1
	s_andn2_saveexec_b64 s[36:37], s[36:37]
	s_cbranch_execz .LBB56_225
; %bb.220:                              ;   in Loop: Header=BB56_5 Depth=1
	v_cmp_nlt_f32_e64 s[6:7], |v1|, 1.0
                                        ; implicit-def: $vgpr40
	s_and_saveexec_b64 s[38:39], s[6:7]
	s_xor_b64 s[38:39], exec, s[38:39]
	s_cbranch_execz .LBB56_222
; %bb.221:                              ;   in Loop: Header=BB56_5 Depth=1
	v_mul_f32_e32 v40, v10, v11
	v_mul_f32_e32 v41, 0x4f800000, v40
	v_cmp_gt_f32_e32 vcc, s50, v40
	v_cndmask_b32_e32 v40, v40, v41, vcc
	v_sqrt_f32_e32 v41, v40
	v_add_u32_e32 v42, -1, v41
	v_fma_f32 v44, -v42, v41, v40
	v_add_u32_e32 v43, 1, v41
	v_cmp_ge_f32_e64 s[6:7], 0, v44
	v_cndmask_b32_e64 v42, v41, v42, s[6:7]
	v_fma_f32 v41, -v43, v41, v40
	v_cmp_lt_f32_e64 s[6:7], 0, v41
	v_cndmask_b32_e64 v41, v42, v43, s[6:7]
	v_mul_f32_e32 v42, 0x37800000, v41
	v_cndmask_b32_e32 v41, v41, v42, vcc
	v_cmp_class_f32_e32 vcc, v40, v19
	v_cndmask_b32_e32 v40, v41, v40, vcc
	v_add_f32_e32 v42, v10, v40
	v_add_f32_e32 v43, 1.0, v42
	v_cvt_f64_f32_e32 v[40:41], v43
	v_add_f32_e32 v44, -1.0, v43
	v_frexp_exp_i32_f64_e32 v40, v[40:41]
	v_sub_f32_e32 v41, v44, v43
	v_add_f32_e32 v41, 1.0, v41
	v_sub_f32_e32 v44, v42, v44
	v_add_f32_e32 v41, v44, v41
	v_frexp_mant_f32_e32 v44, v43
	v_cmp_gt_f32_e32 vcc, s56, v44
	v_subbrev_co_u32_e32 v40, vcc, 0, v40, vcc
	v_sub_u32_e32 v44, 0, v40
	v_ldexp_f32 v43, v43, v44
	v_ldexp_f32 v41, v41, v44
	v_add_f32_e32 v44, -1.0, v43
	v_add_f32_e32 v47, 1.0, v43
	v_add_f32_e32 v45, 1.0, v44
	v_add_f32_e32 v48, -1.0, v47
	v_sub_f32_e32 v45, v43, v45
	v_sub_f32_e32 v43, v43, v48
	v_add_f32_e32 v45, v41, v45
	v_add_f32_e32 v41, v41, v43
	;; [unrolled: 1-line block ×3, first 2 shown]
	v_rcp_f32_e32 v48, v43
	v_add_f32_e32 v46, v44, v45
	v_sub_f32_e32 v44, v46, v44
	v_sub_f32_e32 v44, v45, v44
	;; [unrolled: 1-line block ×4, first 2 shown]
	v_mul_f32_e32 v45, v46, v48
	v_mul_f32_e32 v47, v43, v45
	v_fma_f32 v49, v45, v43, -v47
	v_fmac_f32_e32 v49, v45, v41
	v_add_f32_e32 v50, v47, v49
	v_sub_f32_e32 v51, v46, v50
	v_sub_f32_e32 v46, v46, v51
	;; [unrolled: 1-line block ×4, first 2 shown]
	v_add_f32_e32 v44, v44, v46
	v_sub_f32_e32 v46, v47, v49
	v_add_f32_e32 v44, v46, v44
	v_add_f32_e32 v46, v51, v44
	v_mul_f32_e32 v47, v48, v46
	v_mul_f32_e32 v49, v43, v47
	v_fma_f32 v43, v47, v43, -v49
	v_fmac_f32_e32 v43, v47, v41
	v_sub_f32_e32 v41, v51, v46
	v_add_f32_e32 v41, v44, v41
	v_add_f32_e32 v44, v49, v43
	v_sub_f32_e32 v50, v46, v44
	v_sub_f32_e32 v46, v46, v50
	;; [unrolled: 1-line block ×4, first 2 shown]
	v_add_f32_e32 v41, v41, v44
	v_sub_f32_e32 v43, v49, v43
	v_cvt_f32_i32_e32 v40, v40
	v_add_f32_e32 v41, v43, v41
	v_add_f32_e32 v43, v45, v47
	;; [unrolled: 1-line block ×3, first 2 shown]
	v_sub_f32_e32 v44, v43, v45
	v_mul_f32_e32 v41, v48, v41
	v_sub_f32_e32 v44, v47, v44
	v_add_f32_e32 v41, v44, v41
	v_mul_f32_e32 v47, 0x3f317218, v40
	v_add_f32_e32 v44, v43, v41
	v_fma_f32 v48, v40, s57, -v47
	v_mul_f32_e32 v45, v44, v44
	v_mov_b32_e32 v46, 0x3ecc95a3
	v_fmac_f32_e32 v48, 0xb102e308, v40
	v_sub_f32_e32 v40, v44, v43
	v_fmac_f32_e32 v46, 0x3e9b6dac, v45
	v_sub_f32_e32 v40, v41, v40
	v_add_f32_e32 v41, v47, v48
	v_fma_f32 v46, v45, v46, v20
	v_sub_f32_e32 v43, v41, v47
	v_ldexp_f32 v47, v44, 1
	v_mul_f32_e32 v44, v44, v45
	v_mul_f32_e32 v44, v44, v46
	v_add_f32_e32 v45, v47, v44
	v_sub_f32_e32 v46, v45, v47
	v_ldexp_f32 v40, v40, 1
	v_sub_f32_e32 v44, v44, v46
	v_add_f32_e32 v40, v40, v44
	v_add_f32_e32 v44, v45, v40
	v_sub_f32_e32 v45, v44, v45
	v_sub_f32_e32 v40, v40, v45
	v_add_f32_e32 v45, v41, v44
	v_sub_f32_e32 v46, v45, v41
	v_sub_f32_e32 v47, v45, v46
	v_sub_f32_e32 v43, v48, v43
	v_sub_f32_e32 v41, v41, v47
	v_sub_f32_e32 v44, v44, v46
	v_add_f32_e32 v41, v44, v41
	v_add_f32_e32 v44, v43, v40
	v_sub_f32_e32 v46, v44, v43
	v_sub_f32_e32 v47, v44, v46
	v_sub_f32_e32 v43, v43, v47
	v_sub_f32_e32 v40, v40, v46
	v_add_f32_e32 v41, v44, v41
	v_add_f32_e32 v40, v40, v43
	;; [unrolled: 1-line block ×3, first 2 shown]
	v_sub_f32_e32 v44, v43, v45
	v_sub_f32_e32 v41, v41, v44
	v_add_f32_e32 v40, v40, v41
	v_add_f32_e32 v40, v43, v40
	v_cmp_neq_f32_e32 vcc, s48, v42
	v_cndmask_b32_e32 v40, v31, v40, vcc
	v_cmp_ngt_f32_e32 vcc, -1.0, v42
	v_cndmask_b32_e32 v40, v33, v40, vcc
	v_cmp_neq_f32_e32 vcc, -1.0, v42
	v_cndmask_b32_e32 v40, v34, v40, vcc
	v_cmp_lt_f32_e64 vcc, |v42|, s59
	v_cndmask_b32_e32 v40, v40, v42, vcc
.LBB56_222:                             ;   in Loop: Header=BB56_5 Depth=1
	s_andn2_saveexec_b64 s[38:39], s[38:39]
	s_cbranch_execz .LBB56_224
; %bb.223:                              ;   in Loop: Header=BB56_5 Depth=1
	v_sub_f32_e64 v40, 1.0, |v1|
	v_mul_f32_e32 v40, v40, v11
	v_mul_f32_e32 v41, 0x4f800000, v40
	v_cmp_gt_f32_e32 vcc, s50, v40
	v_cndmask_b32_e32 v40, v40, v41, vcc
	v_sqrt_f32_e32 v41, v40
	v_add_u32_e32 v42, -1, v41
	v_fma_f32 v44, -v42, v41, v40
	v_add_u32_e32 v43, 1, v41
	v_cmp_ge_f32_e64 s[6:7], 0, v44
	v_cndmask_b32_e64 v42, v41, v42, s[6:7]
	v_fma_f32 v41, -v43, v41, v40
	v_cmp_lt_f32_e64 s[6:7], 0, v41
	v_cndmask_b32_e64 v41, v42, v43, s[6:7]
	v_mul_f32_e32 v42, 0x37800000, v41
	v_cndmask_b32_e32 v41, v41, v42, vcc
	v_cmp_class_f32_e32 vcc, v40, v19
	v_cndmask_b32_e32 v40, v41, v40, vcc
	v_and_b32_e32 v41, 0x7fffffff, v2
	v_div_scale_f32 v42, s[6:7], v40, v40, v41
	v_div_scale_f32 v41, vcc, v41, v40, v41
	v_rcp_f32_e32 v43, v42
	v_fma_f32 v44, -v42, v43, 1.0
	v_fmac_f32_e32 v43, v44, v43
	v_mul_f32_e32 v44, v41, v43
	v_fma_f32 v45, -v42, v44, v41
	v_fmac_f32_e32 v44, v45, v43
	v_fma_f32 v41, -v42, v44, v41
	v_div_fmas_f32 v41, v41, v43, v44
	v_div_fixup_f32 v40, v41, v40, |v2|
.LBB56_224:                             ;   in Loop: Header=BB56_5 Depth=1
	s_or_b64 exec, exec, s[38:39]
.LBB56_225:                             ;   in Loop: Header=BB56_5 Depth=1
	s_or_b64 exec, exec, s[36:37]
.LBB56_226:                             ;   in Loop: Header=BB56_5 Depth=1
	s_andn2_saveexec_b64 s[34:35], s[34:35]
	s_cbranch_execz .LBB56_228
; %bb.227:                              ;   in Loop: Header=BB56_5 Depth=1
	v_mul_f32_e64 v40, |v2|, s51
	v_cmp_lt_f32_e64 vcc, |v2|, s50
	v_cndmask_b32_e64 v40, |v2|, v40, vcc
	v_sqrt_f32_e32 v41, v40
	v_add_u32_e32 v42, -1, v41
	v_fma_f32 v44, -v42, v41, v40
	v_add_u32_e32 v43, 1, v41
	v_cmp_ge_f32_e64 s[6:7], 0, v44
	v_cndmask_b32_e64 v42, v41, v42, s[6:7]
	v_fma_f32 v41, -v43, v41, v40
	v_cmp_lt_f32_e64 s[6:7], 0, v41
	v_cndmask_b32_e64 v41, v42, v43, s[6:7]
	v_mul_f32_e32 v42, 0x37800000, v41
	v_cndmask_b32_e32 v41, v41, v42, vcc
	v_cmp_class_f32_e32 vcc, v40, v19
	v_cndmask_b32_e32 v40, v41, v40, vcc
.LBB56_228:                             ;   in Loop: Header=BB56_5 Depth=1
	s_or_b64 exec, exec, s[34:35]
.LBB56_229:                             ;   in Loop: Header=BB56_5 Depth=1
	s_or_b64 exec, exec, s[30:31]
	v_cmp_nlt_f32_e64 s[30:31], |v1|, s60
                                        ; implicit-def: $sgpr6_sgpr7
                                        ; implicit-def: $vgpr41
                                        ; implicit-def: $vgpr43
                                        ; implicit-def: $vgpr42
	s_and_saveexec_b64 s[34:35], s[30:31]
	s_xor_b64 s[30:31], exec, s[34:35]
	s_cbranch_execz .LBB56_253
; %bb.230:                              ;   in Loop: Header=BB56_5 Depth=1
	v_and_b32_e32 v42, 0x7fffffff, v1
	v_div_scale_f32 v41, s[6:7], v9, v9, v42
	v_div_scale_f32 v43, vcc, v42, v9, v42
	s_mov_b64 s[6:7], 0
	v_rcp_f32_e32 v44, v41
	v_fma_f32 v45, -v41, v44, 1.0
	v_fmac_f32_e32 v44, v45, v44
	v_mul_f32_e32 v45, v43, v44
	v_fma_f32 v46, -v41, v45, v43
	v_fmac_f32_e32 v45, v46, v44
	v_fma_f32 v41, -v41, v45, v43
	v_div_fmas_f32 v41, v41, v44, v45
                                        ; implicit-def: $vgpr43
	v_div_fixup_f32 v41, v41, v9, |v1|
	v_cmp_lt_f32_e32 vcc, s61, v41
	s_and_saveexec_b64 s[34:35], vcc
	s_cbranch_execz .LBB56_252
; %bb.231:                              ;   in Loop: Header=BB56_5 Depth=1
	v_cmp_neq_f32_e64 s[6:7], |v1|, 1.0
	v_cmp_nlt_f32_e64 s[36:37], |v2|, s62
	s_or_b64 s[6:7], s[6:7], s[36:37]
                                        ; implicit-def: $vgpr43
	s_and_saveexec_b64 s[36:37], s[6:7]
	s_xor_b64 s[36:37], exec, s[36:37]
	s_cbranch_execz .LBB56_249
; %bb.232:                              ;   in Loop: Header=BB56_5 Depth=1
	v_mul_f32_e64 v43, |v10|, s55
	v_cmp_ge_f32_e64 s[6:7], |v2|, v43
                                        ; implicit-def: $vgpr43
	s_and_saveexec_b64 s[38:39], s[6:7]
	s_xor_b64 s[38:39], exec, s[38:39]
	s_cbranch_execz .LBB56_242
; %bb.233:                              ;   in Loop: Header=BB56_5 Depth=1
	v_cmp_neq_f32_e32 vcc, 0, v11
	v_mov_b32_e32 v43, v38
	s_and_saveexec_b64 s[6:7], vcc
	s_cbranch_execz .LBB56_235
; %bb.234:                              ;   in Loop: Header=BB56_5 Depth=1
	v_mul_f32_e32 v43, v2, v2
	v_add_f32_e32 v11, v11, v39
	v_div_scale_f32 v39, s[40:41], v11, v11, v43
	v_div_scale_f32 v44, vcc, v43, v11, v43
	v_rcp_f32_e32 v45, v39
	v_fma_f32 v46, -v39, v45, 1.0
	v_fmac_f32_e32 v45, v46, v45
	v_mul_f32_e32 v46, v44, v45
	v_fma_f32 v47, -v39, v46, v44
	v_fmac_f32_e32 v46, v47, v45
	v_fma_f32 v39, -v39, v46, v44
	v_div_fmas_f32 v39, v39, v45, v46
	v_div_fixup_f32 v43, v39, v11, v43
.LBB56_235:                             ;   in Loop: Header=BB56_5 Depth=1
	s_or_b64 exec, exec, s[6:7]
	v_cmp_ngt_f32_e32 vcc, 0, v10
	s_and_saveexec_b64 s[6:7], vcc
	s_xor_b64 s[6:7], exec, s[6:7]
	s_cbranch_execz .LBB56_239
; %bb.236:                              ;   in Loop: Header=BB56_5 Depth=1
	v_cmp_neq_f32_e32 vcc, 0, v10
	s_and_saveexec_b64 s[40:41], vcc
	s_cbranch_execz .LBB56_238
; %bb.237:                              ;   in Loop: Header=BB56_5 Depth=1
	v_mul_f32_e32 v11, v2, v2
	v_add_f32_e32 v10, v10, v12
	v_div_scale_f32 v12, s[72:73], v10, v10, v11
	v_div_scale_f32 v38, vcc, v11, v10, v11
	v_rcp_f32_e32 v39, v12
	v_fma_f32 v44, -v12, v39, 1.0
	v_fmac_f32_e32 v39, v44, v39
	v_mul_f32_e32 v44, v38, v39
	v_fma_f32 v45, -v12, v44, v38
	v_fmac_f32_e32 v44, v45, v39
	v_fma_f32 v12, -v12, v44, v38
	v_div_fmas_f32 v12, v12, v39, v44
	v_div_fixup_f32 v38, v12, v10, v11
.LBB56_238:                             ;   in Loop: Header=BB56_5 Depth=1
	s_or_b64 exec, exec, s[40:41]
                                        ; implicit-def: $vgpr12
                                        ; implicit-def: $vgpr10
.LBB56_239:                             ;   in Loop: Header=BB56_5 Depth=1
	s_andn2_saveexec_b64 s[6:7], s[6:7]
; %bb.240:                              ;   in Loop: Header=BB56_5 Depth=1
	v_sub_f32_e32 v38, v12, v10
; %bb.241:                              ;   in Loop: Header=BB56_5 Depth=1
	s_or_b64 exec, exec, s[6:7]
	v_mul_f32_e32 v10, 0.5, v38
	v_fmac_f32_e32 v10, 0.5, v43
	v_add_f32_e64 v9, |v1|, v9
	v_mul_f32_e32 v9, v9, v10
	v_mul_f32_e32 v10, 0x4f800000, v9
	v_cmp_gt_f32_e32 vcc, s50, v9
	v_cndmask_b32_e32 v9, v9, v10, vcc
	v_sqrt_f32_e32 v10, v9
	v_add_u32_e32 v11, -1, v10
	v_fma_f32 v12, -v11, v10, v9
	v_cmp_ge_f32_e64 s[6:7], 0, v12
	v_add_u32_e32 v12, 1, v10
	v_cndmask_b32_e64 v11, v10, v11, s[6:7]
	v_fma_f32 v10, -v12, v10, v9
	v_cmp_lt_f32_e64 s[6:7], 0, v10
	v_cndmask_b32_e64 v10, v11, v12, s[6:7]
	v_mul_f32_e32 v11, 0x37800000, v10
	v_cndmask_b32_e32 v10, v10, v11, vcc
	v_cmp_class_f32_e32 vcc, v9, v19
	v_cndmask_b32_e32 v43, v10, v9, vcc
                                        ; implicit-def: $vgpr11
                                        ; implicit-def: $vgpr10
.LBB56_242:                             ;   in Loop: Header=BB56_5 Depth=1
	s_andn2_saveexec_b64 s[38:39], s[38:39]
	s_cbranch_execz .LBB56_248
; %bb.243:                              ;   in Loop: Header=BB56_5 Depth=1
	v_cmp_ngt_f32_e64 s[6:7], |v1|, 1.0
                                        ; implicit-def: $vgpr43
	s_and_saveexec_b64 s[40:41], s[6:7]
	s_xor_b64 s[40:41], exec, s[40:41]
	s_cbranch_execz .LBB56_245
; %bb.244:                              ;   in Loop: Header=BB56_5 Depth=1
	v_sub_f32_e64 v9, 1.0, |v1|
	v_mul_f32_e32 v9, v9, v11
	v_mul_f32_e32 v10, 0x4f800000, v9
	v_cmp_gt_f32_e32 vcc, s50, v9
	v_cndmask_b32_e32 v9, v9, v10, vcc
	v_sqrt_f32_e32 v10, v9
	v_add_u32_e32 v11, -1, v10
	v_fma_f32 v38, -v11, v10, v9
	v_add_u32_e32 v12, 1, v10
	v_cmp_ge_f32_e64 s[6:7], 0, v38
	v_cndmask_b32_e64 v11, v10, v11, s[6:7]
	v_fma_f32 v10, -v12, v10, v9
	v_cmp_lt_f32_e64 s[6:7], 0, v10
	v_cndmask_b32_e64 v10, v11, v12, s[6:7]
	v_mul_f32_e32 v11, 0x37800000, v10
	v_cndmask_b32_e32 v10, v10, v11, vcc
	v_cmp_class_f32_e32 vcc, v9, v19
	v_cndmask_b32_e32 v43, v10, v9, vcc
                                        ; implicit-def: $vgpr11
                                        ; implicit-def: $vgpr10
.LBB56_245:                             ;   in Loop: Header=BB56_5 Depth=1
	s_andn2_saveexec_b64 s[40:41], s[40:41]
	s_cbranch_execz .LBB56_247
; %bb.246:                              ;   in Loop: Header=BB56_5 Depth=1
	v_mul_f32_e32 v9, v11, v10
	v_mul_f32_e32 v10, 0x4f800000, v9
	v_cmp_gt_f32_e32 vcc, s50, v9
	v_cndmask_b32_e32 v9, v9, v10, vcc
	v_sqrt_f32_e32 v10, v9
	v_mul_f32_e64 v11, |v2|, s63
	v_mul_f32_e64 v11, |v1|, v11
	v_add_u32_e32 v12, -1, v10
	v_fma_f32 v38, -v12, v10, v9
	v_cmp_ge_f32_e64 s[6:7], 0, v38
	v_add_u32_e32 v38, 1, v10
	v_cndmask_b32_e64 v12, v10, v12, s[6:7]
	v_fma_f32 v10, -v38, v10, v9
	v_cmp_lt_f32_e64 s[6:7], 0, v10
	v_cndmask_b32_e64 v10, v12, v38, s[6:7]
	v_mul_f32_e32 v12, 0x37800000, v10
	v_cndmask_b32_e32 v10, v10, v12, vcc
	v_cmp_class_f32_e32 vcc, v9, v19
	v_cndmask_b32_e32 v9, v10, v9, vcc
	v_div_scale_f32 v10, s[6:7], v9, v9, v11
	v_div_scale_f32 v12, vcc, v11, v9, v11
	v_rcp_f32_e32 v38, v10
	v_fma_f32 v39, -v10, v38, 1.0
	v_fmac_f32_e32 v38, v39, v38
	v_mul_f32_e32 v39, v12, v38
	v_fma_f32 v42, -v10, v39, v12
	v_fmac_f32_e32 v39, v42, v38
	v_fma_f32 v10, -v10, v39, v12
	v_div_fmas_f32 v10, v10, v38, v39
	v_mul_f32_e64 v42, |v1|, s63
	v_div_fixup_f32 v43, v10, v9, v11
.LBB56_247:                             ;   in Loop: Header=BB56_5 Depth=1
	s_or_b64 exec, exec, s[40:41]
.LBB56_248:                             ;   in Loop: Header=BB56_5 Depth=1
	s_or_b64 exec, exec, s[38:39]
                                        ; implicit-def: $vgpr9
.LBB56_249:                             ;   in Loop: Header=BB56_5 Depth=1
	s_andn2_saveexec_b64 s[36:37], s[36:37]
	s_cbranch_execz .LBB56_251
; %bb.250:                              ;   in Loop: Header=BB56_5 Depth=1
	v_mul_f32_e64 v10, |v2|, s51
	v_cmp_lt_f32_e64 vcc, |v2|, s50
	v_cndmask_b32_e64 v10, |v2|, v10, vcc
	v_sqrt_f32_e32 v11, v10
	v_add_f32_e32 v9, 1.0, v9
	v_mul_f32_e32 v9, 0.5, v9
	v_mov_b32_e32 v42, 1.0
	v_add_u32_e32 v12, -1, v11
	v_fma_f32 v39, -v12, v11, v10
	v_add_u32_e32 v38, 1, v11
	v_cmp_ge_f32_e64 s[6:7], 0, v39
	v_cndmask_b32_e64 v12, v11, v12, s[6:7]
	v_fma_f32 v11, -v38, v11, v10
	v_cmp_lt_f32_e64 s[6:7], 0, v11
	v_cndmask_b32_e64 v11, v12, v38, s[6:7]
	v_mul_f32_e32 v12, 0x37800000, v11
	v_cndmask_b32_e32 v11, v11, v12, vcc
	v_mul_f32_e32 v12, 0x4f800000, v9
	v_cmp_gt_f32_e32 vcc, s50, v9
	v_cndmask_b32_e32 v9, v9, v12, vcc
	v_sqrt_f32_e32 v12, v9
	v_cmp_class_f32_e64 s[6:7], v10, v19
	v_cndmask_b32_e64 v10, v11, v10, s[6:7]
	v_add_u32_e32 v11, -1, v12
	v_fma_f32 v38, -v11, v12, v9
	v_cmp_ge_f32_e64 s[6:7], 0, v38
	v_add_u32_e32 v38, 1, v12
	v_cndmask_b32_e64 v11, v12, v11, s[6:7]
	v_fma_f32 v12, -v38, v12, v9
	v_cmp_lt_f32_e64 s[6:7], 0, v12
	v_cndmask_b32_e64 v11, v11, v38, s[6:7]
	v_mul_f32_e32 v12, 0x37800000, v11
	v_cndmask_b32_e32 v11, v11, v12, vcc
	v_cmp_class_f32_e32 vcc, v9, v19
	v_cndmask_b32_e32 v9, v11, v9, vcc
	v_mul_f32_e32 v43, v10, v9
.LBB56_251:                             ;   in Loop: Header=BB56_5 Depth=1
	s_or_b64 exec, exec, s[36:37]
	s_mov_b64 s[6:7], exec
.LBB56_252:                             ;   in Loop: Header=BB56_5 Depth=1
	s_or_b64 exec, exec, s[34:35]
                                        ; implicit-def: $vgpr9
.LBB56_253:                             ;   in Loop: Header=BB56_5 Depth=1
	s_andn2_saveexec_b64 s[30:31], s[30:31]
; %bb.254:                              ;   in Loop: Header=BB56_5 Depth=1
	v_mul_f32_e32 v43, 0x4b800000, v9
	v_mul_f32_e64 v42, |v1|, s64
	s_or_b64 s[6:7], s[6:7], exec
                                        ; implicit-def: $vgpr41
; %bb.255:                              ;   in Loop: Header=BB56_5 Depth=1
	s_or_b64 exec, exec, s[30:31]
	s_xor_b64 s[6:7], s[6:7], -1
                                        ; implicit-def: $vgpr9
	s_and_saveexec_b64 s[30:31], s[6:7]
	s_xor_b64 s[6:7], exec, s[30:31]
	s_cbranch_execz .LBB56_257
; %bb.256:                              ;   in Loop: Header=BB56_5 Depth=1
	v_fma_f32 v9, |v41|, -0.5, 0.5
	v_mul_f32_e32 v10, v41, v41
	v_cmp_ge_f32_e64 vcc, |v41|, 0.5
	v_cndmask_b32_e32 v9, v10, v9, vcc
	v_mov_b32_e32 v10, 0x3c5fc5da
	v_fmac_f32_e32 v10, 0x3d1c21a7, v9
	v_fma_f32 v10, v9, v10, v21
	v_fma_f32 v10, v9, v10, v22
	v_sqrt_f32_e32 v11, v9
	v_fma_f32 v10, v9, v10, v23
	v_fma_f32 v10, v9, v10, v24
	v_mul_f32_e32 v9, v9, v10
	v_fmac_f32_e32 v11, v11, v9
	v_add_f32_e32 v10, v11, v11
	v_sub_f32_e32 v10, 0x3fc90fdb, v10
	v_fma_f32 v9, |v41|, v9, |v41|
	v_cmp_lt_f32_e64 vcc, |v41|, 0.5
	v_cndmask_b32_e32 v9, v10, v9, vcc
	v_bfi_b32 v9, s47, v9, v41
                                        ; implicit-def: $vgpr42
                                        ; implicit-def: $vgpr43
.LBB56_257:                             ;   in Loop: Header=BB56_5 Depth=1
	s_andn2_saveexec_b64 s[30:31], s[6:7]
	s_cbranch_execz .LBB56_259
; %bb.258:                              ;   in Loop: Header=BB56_5 Depth=1
	v_max_f32_e32 v9, v42, v42
	v_max_f32_e64 v10, |v43|, |v43|
	v_min_f32_e32 v11, v10, v9
	v_max_f32_e32 v9, v10, v9
	v_frexp_mant_f32_e32 v10, v9
	v_rcp_f32_e32 v10, v10
	v_frexp_exp_i32_f32_e32 v9, v9
	v_frexp_exp_i32_f32_e32 v12, v11
	v_frexp_mant_f32_e32 v11, v11
	v_mul_f32_e32 v10, v11, v10
	v_sub_u32_e32 v9, v12, v9
	v_ldexp_f32 v9, v10, v9
	v_mul_f32_e32 v10, v9, v9
	v_mov_b32_e32 v11, 0xbc7a590c
	v_fmac_f32_e32 v11, 0x3b2d2a58, v10
	v_fma_f32 v11, v10, v11, v25
	v_fma_f32 v11, v10, v11, v26
	;; [unrolled: 1-line block ×6, first 2 shown]
	v_mul_f32_e32 v10, v10, v11
	v_fmac_f32_e32 v9, v9, v10
	v_sub_f32_e32 v10, 0x3fc90fdb, v9
	v_cmp_gt_f32_e64 vcc, v42, |v43|
	v_cndmask_b32_e32 v9, v9, v10, vcc
	v_sub_f32_e32 v10, 0x40490fdb, v9
	v_cmp_gt_f32_e32 vcc, 0, v43
	v_cmp_gt_i32_e64 s[6:7], 0, v43
	v_cndmask_b32_e32 v9, v9, v10, vcc
	v_cndmask_b32_e64 v10, 0, v35, s[6:7]
	v_cndmask_b32_e32 v11, v36, v37, vcc
	v_cmp_class_f32_e64 s[34:35], v43, s65
	v_cmp_eq_f32_e32 vcc, s48, v42
	v_cmp_eq_f32_e64 s[6:7], 0, v42
	v_cndmask_b32_e64 v9, |v9|, v10, s[6:7]
	s_and_b64 vcc, vcc, s[34:35]
	v_cndmask_b32_e32 v9, v9, v11, vcc
	v_cmp_o_f32_e32 vcc, v43, v43
	v_cndmask_b32_e32 v9, v33, v9, vcc
.LBB56_259:                             ;   in Loop: Header=BB56_5 Depth=1
	s_or_b64 exec, exec, s[30:31]
	v_bfi_b32 v10, s47, v40, v2
	v_bfi_b32 v9, s47, v9, v1
.LBB56_260:                             ;   in Loop: Header=BB56_5 Depth=1
	s_or_b64 exec, exec, s[28:29]
.LBB56_261:                             ;   in Loop: Header=BB56_5 Depth=1
	s_or_b64 exec, exec, s[26:27]
                                        ; implicit-def: $vgpr11
                                        ; implicit-def: $vgpr12
                                        ; implicit-def: $vgpr38
.LBB56_262:                             ;   in Loop: Header=BB56_5 Depth=1
	s_andn2_saveexec_b64 s[26:27], s[8:9]
	s_cbranch_execz .LBB56_284
; %bb.263:                              ;   in Loop: Header=BB56_5 Depth=1
	v_cmp_lt_i32_e32 vcc, -1, v2
                                        ; implicit-def: $sgpr28_sgpr29
                                        ; implicit-def: $vgpr9
                                        ; implicit-def: $vgpr10
	s_and_saveexec_b64 s[6:7], vcc
	s_xor_b64 s[30:31], exec, s[6:7]
	s_cbranch_execz .LBB56_273
; %bb.264:                              ;   in Loop: Header=BB56_5 Depth=1
	v_cmp_lt_f32_e64 s[6:7], |v2|, |v1|
	v_cndmask_b32_e64 v39, |v2|, |v1|, s[6:7]
	v_cmp_nlt_f32_e32 vcc, s66, v39
                                        ; implicit-def: $vgpr9
                                        ; implicit-def: $vgpr10
	s_and_saveexec_b64 s[8:9], vcc
	s_xor_b64 s[28:29], exec, s[8:9]
	s_cbranch_execz .LBB56_270
; %bb.265:                              ;   in Loop: Header=BB56_5 Depth=1
	v_cndmask_b32_e64 v40, |v1|, |v2|, s[6:7]
	v_cmp_nlt_f32_e32 vcc, s67, v39
	v_cmp_ngt_f32_e64 s[8:9], s68, v40
	s_and_b64 s[8:9], vcc, s[8:9]
                                        ; implicit-def: $vgpr9
                                        ; implicit-def: $vgpr10
	s_and_saveexec_b64 s[34:35], s[8:9]
	s_xor_b64 s[8:9], exec, s[34:35]
	s_cbranch_execz .LBB56_267
; %bb.266:                              ;   in Loop: Header=BB56_5 Depth=1
	v_mul_f32_e32 v9, v40, v40
	v_fmac_f32_e32 v9, v39, v39
	v_cmp_gt_f32_e32 vcc, s52, v9
	v_cndmask_b32_e64 v10, 0, 32, vcc
	v_ldexp_f32 v9, v9, v10
	v_log_f32_e32 v9, v9
	v_cndmask_b32_e32 v10, 0, v32, vcc
	v_mul_f32_e32 v39, 0x3f317217, v9
	v_fma_f32 v39, v9, s53, -v39
	v_fmac_f32_e32 v39, 0x3377d1cf, v9
	v_fmac_f32_e32 v39, 0x3f317217, v9
	v_cmp_lt_f32_e64 vcc, |v9|, s48
	v_cndmask_b32_e32 v9, v9, v39, vcc
	v_sub_f32_e32 v9, v9, v10
	v_min_f32_e32 v10, v12, v11
	v_frexp_mant_f32_e32 v11, v38
	v_rcp_f32_e32 v11, v11
	v_frexp_exp_i32_f32_e32 v12, v38
	v_frexp_exp_i32_f32_e32 v38, v10
	v_frexp_mant_f32_e32 v10, v10
	v_mul_f32_e32 v10, v10, v11
	v_sub_u32_e32 v11, v38, v12
	v_ldexp_f32 v10, v10, v11
	v_mul_f32_e32 v11, v10, v10
	v_mov_b32_e32 v12, 0xbc7a590c
	v_fmac_f32_e32 v12, 0x3b2d2a58, v11
	v_fma_f32 v12, v11, v12, v25
	v_fma_f32 v12, v11, v12, v26
	;; [unrolled: 1-line block ×6, first 2 shown]
	v_mul_f32_e32 v11, v11, v12
	v_mul_f32_e32 v9, 0.5, v9
	v_fmac_f32_e32 v10, v10, v11
                                        ; implicit-def: $vgpr38
                                        ; implicit-def: $vgpr12
                                        ; implicit-def: $vgpr11
.LBB56_267:                             ;   in Loop: Header=BB56_5 Depth=1
	s_andn2_saveexec_b64 s[8:9], s[8:9]
	s_cbranch_execz .LBB56_269
; %bb.268:                              ;   in Loop: Header=BB56_5 Depth=1
	v_cvt_f64_f32_e32 v[9:10], v38
	v_cmp_neq_f32_e32 vcc, s48, v38
	v_mov_b32_e32 v39, 0xbc7a590c
	v_frexp_exp_i32_f64_e32 v9, v[9:10]
	v_min_f32_e32 v10, v12, v11
	v_frexp_mant_f32_e32 v12, v38
	v_rcp_f32_e32 v12, v12
	v_frexp_exp_i32_f32_e32 v40, v10
	v_frexp_mant_f32_e32 v10, v10
	v_frexp_exp_i32_f32_e32 v11, v38
	v_mul_f32_e32 v10, v10, v12
	v_sub_u32_e32 v41, 0, v9
	v_ldexp_f32 v42, |v2|, v41
	v_ldexp_f32 v41, |v1|, v41
	v_mul_f32_e32 v41, v41, v41
	v_fmac_f32_e32 v41, v42, v42
	v_sqrt_f32_e32 v41, v41
	v_sub_u32_e32 v11, v40, v11
	v_ldexp_f32 v10, v10, v11
	v_mul_f32_e32 v11, v10, v10
	v_ldexp_f32 v9, v41, v9
	v_cndmask_b32_e32 v9, v31, v9, vcc
	v_cmp_gt_f32_e32 vcc, s52, v9
	v_cndmask_b32_e64 v12, 0, 32, vcc
	v_ldexp_f32 v9, v9, v12
	v_log_f32_e32 v9, v9
	v_cndmask_b32_e32 v12, 0, v32, vcc
	v_fmac_f32_e32 v39, 0x3b2d2a58, v11
	v_mul_f32_e32 v38, 0x3f317217, v9
	v_fma_f32 v38, v9, s53, -v38
	v_fmac_f32_e32 v38, 0x3377d1cf, v9
	v_fmac_f32_e32 v38, 0x3f317217, v9
	v_cmp_lt_f32_e64 vcc, |v9|, s48
	v_cndmask_b32_e32 v9, v9, v38, vcc
	v_sub_f32_e32 v9, v9, v12
	v_fma_f32 v12, v11, v39, v25
	v_fma_f32 v12, v11, v12, v26
	;; [unrolled: 1-line block ×6, first 2 shown]
	v_mul_f32_e32 v11, v11, v12
	v_fmac_f32_e32 v10, v10, v11
.LBB56_269:                             ;   in Loop: Header=BB56_5 Depth=1
	s_or_b64 exec, exec, s[8:9]
                                        ; implicit-def: $vgpr12
                                        ; implicit-def: $vgpr11
                                        ; implicit-def: $vgpr38
.LBB56_270:                             ;   in Loop: Header=BB56_5 Depth=1
	s_andn2_saveexec_b64 s[28:29], s[28:29]
	s_cbranch_execz .LBB56_272
; %bb.271:                              ;   in Loop: Header=BB56_5 Depth=1
	v_div_scale_f32 v9, s[8:9], s69, s69, v2
	v_div_scale_f32 v10, s[8:9], s69, s69, v1
	v_div_scale_f32 v39, vcc, v2, s69, v2
	v_div_scale_f32 v40, s[8:9], v1, s69, v1
	v_min_f32_e32 v11, v12, v11
	v_frexp_exp_i32_f32_e32 v12, v38
	v_frexp_mant_f32_e32 v38, v38
	v_rcp_f32_e32 v38, v38
	v_rcp_f32_e32 v41, v9
	v_rcp_f32_e32 v42, v10
	v_fma_f32 v43, -v9, v41, 1.0
	v_fmac_f32_e32 v41, v43, v41
	v_fma_f32 v44, -v10, v42, 1.0
	v_fmac_f32_e32 v42, v44, v42
	v_mul_f32_e32 v43, v39, v41
	v_mul_f32_e32 v44, v40, v42
	v_fma_f32 v45, -v9, v43, v39
	v_fma_f32 v46, -v10, v44, v40
	v_fmac_f32_e32 v43, v45, v41
	v_fmac_f32_e32 v44, v46, v42
	v_fma_f32 v9, -v9, v43, v39
	v_fma_f32 v10, -v10, v44, v40
	v_div_fmas_f32 v9, v9, v41, v43
	s_mov_b64 vcc, s[8:9]
	v_div_fmas_f32 v10, v10, v42, v44
	v_frexp_exp_i32_f32_e32 v43, v11
	v_frexp_mant_f32_e32 v11, v11
	v_mul_f32_e32 v11, v11, v38
	v_mov_b32_e32 v39, 0xbc7a590c
	v_div_fixup_f32 v40, v9, s69, v2
	v_div_fixup_f32 v41, v10, s69, v1
	v_max_f32_e64 v42, v40, |v41|
	v_cvt_f64_f32_e32 v[9:10], v42
	v_cmp_neq_f32_e32 vcc, s48, v42
	v_frexp_exp_i32_f64_e32 v9, v[9:10]
	v_sub_u32_e32 v10, v43, v12
	v_ldexp_f32 v10, v11, v10
	v_mul_f32_e32 v11, v10, v10
	v_fmac_f32_e32 v39, 0x3b2d2a58, v11
	v_fma_f32 v12, v11, v39, v25
	v_fma_f32 v12, v11, v12, v26
	;; [unrolled: 1-line block ×3, first 2 shown]
	v_sub_u32_e32 v38, 0, v9
	v_ldexp_f32 v39, v40, v38
	v_ldexp_f32 v38, |v41|, v38
	v_mul_f32_e32 v38, v38, v38
	v_fmac_f32_e32 v38, v39, v39
	v_sqrt_f32_e32 v38, v38
	v_fma_f32 v12, v11, v12, v28
	v_fma_f32 v12, v11, v12, v29
	v_fma_f32 v12, v11, v12, v30
	v_ldexp_f32 v9, v38, v9
	v_cndmask_b32_e32 v9, v31, v9, vcc
	v_cmp_gt_f32_e32 vcc, s52, v9
	v_cndmask_b32_e64 v38, 0, 32, vcc
	v_ldexp_f32 v9, v9, v38
	v_log_f32_e32 v9, v9
	v_mul_f32_e32 v11, v11, v12
	v_cndmask_b32_e32 v12, 0, v32, vcc
	v_fmac_f32_e32 v10, v10, v11
	v_mul_f32_e32 v38, 0x3f317217, v9
	v_fma_f32 v38, v9, s53, -v38
	v_fmac_f32_e32 v38, 0x3377d1cf, v9
	v_fmac_f32_e32 v38, 0x3f317217, v9
	v_cmp_lt_f32_e64 vcc, |v9|, s48
	v_cndmask_b32_e32 v9, v9, v38, vcc
	v_sub_f32_e32 v9, v9, v12
	v_add_f32_e32 v9, 1.0, v9
.LBB56_272:                             ;   in Loop: Header=BB56_5 Depth=1
	s_or_b64 exec, exec, s[28:29]
	v_sub_f32_e32 v11, 0x3fc90fdb, v10
	v_cndmask_b32_e64 v10, v10, v11, s[6:7]
	v_cmp_neq_f32_e32 vcc, 0, v1
	v_cndmask_b32_e32 v10, 0, v10, vcc
	v_cmp_class_f32_e64 s[28:29], v2, s65
                                        ; implicit-def: $vgpr11
.LBB56_273:                             ;   in Loop: Header=BB56_5 Depth=1
	s_andn2_saveexec_b64 s[30:31], s[30:31]
	s_cbranch_execz .LBB56_283
; %bb.274:                              ;   in Loop: Header=BB56_5 Depth=1
	v_cmp_gt_f32_e64 s[6:7], |v1|, -v2
	v_cndmask_b32_e64 v12, -v2, |v1|, s[6:7]
	v_cmp_nlt_f32_e32 vcc, s66, v12
                                        ; implicit-def: $vgpr9
                                        ; implicit-def: $vgpr10
	s_and_saveexec_b64 s[8:9], vcc
	s_xor_b64 s[34:35], exec, s[8:9]
	s_cbranch_execz .LBB56_280
; %bb.275:                              ;   in Loop: Header=BB56_5 Depth=1
	v_xor_b32_e32 v9, 0x80000000, v2
	v_cndmask_b32_e64 v38, |v1|, v9, s[6:7]
	v_cmp_nlt_f32_e32 vcc, s67, v12
	v_cmp_ngt_f32_e64 s[8:9], s68, v38
	s_and_b64 s[8:9], vcc, s[8:9]
                                        ; implicit-def: $vgpr9
                                        ; implicit-def: $vgpr10
	s_and_saveexec_b64 s[36:37], s[8:9]
	s_xor_b64 s[8:9], exec, s[36:37]
	s_cbranch_execz .LBB56_277
; %bb.276:                              ;   in Loop: Header=BB56_5 Depth=1
	v_mul_f32_e32 v9, v38, v38
	v_fmac_f32_e32 v9, v12, v12
	v_cmp_gt_f32_e32 vcc, s52, v9
	v_cndmask_b32_e64 v10, 0, 32, vcc
	v_ldexp_f32 v9, v9, v10
	v_log_f32_e32 v9, v9
	v_cndmask_b32_e32 v10, 0, v32, vcc
	v_mul_f32_e32 v12, 0x3f317217, v9
	v_fma_f32 v12, v9, s53, -v12
	v_fmac_f32_e32 v12, 0x3377d1cf, v9
	v_fmac_f32_e32 v12, 0x3f317217, v9
	v_cmp_lt_f32_e64 vcc, |v9|, s48
	v_cndmask_b32_e32 v9, v9, v12, vcc
	v_sub_f32_e32 v9, v9, v10
	v_max_f32_e64 v10, -v2, -v2
	v_min_f32_e32 v12, v10, v11
	v_max_f32_e32 v10, v10, v11
	v_frexp_mant_f32_e32 v11, v10
	v_rcp_f32_e32 v11, v11
	v_frexp_exp_i32_f32_e32 v10, v10
	v_frexp_exp_i32_f32_e32 v38, v12
	v_frexp_mant_f32_e32 v12, v12
	v_mul_f32_e32 v11, v12, v11
	v_sub_u32_e32 v10, v38, v10
	v_ldexp_f32 v10, v11, v10
	v_mul_f32_e32 v11, v10, v10
	v_mov_b32_e32 v12, 0xbc7a590c
	v_fmac_f32_e32 v12, 0x3b2d2a58, v11
	v_fma_f32 v12, v11, v12, v25
	v_fma_f32 v12, v11, v12, v26
	;; [unrolled: 1-line block ×6, first 2 shown]
	v_mul_f32_e32 v11, v11, v12
	v_mul_f32_e32 v9, 0.5, v9
	v_fmac_f32_e32 v10, v10, v11
                                        ; implicit-def: $vgpr11
.LBB56_277:                             ;   in Loop: Header=BB56_5 Depth=1
	s_andn2_saveexec_b64 s[8:9], s[8:9]
	s_cbranch_execz .LBB56_279
; %bb.278:                              ;   in Loop: Header=BB56_5 Depth=1
	v_max_f32_e64 v12, -v2, -v2
	v_max_f32_e32 v38, v12, v11
	v_cvt_f64_f32_e32 v[9:10], v38
	v_cmp_neq_f32_e32 vcc, s48, v38
	v_mov_b32_e32 v39, 0xbc7a590c
	v_frexp_exp_i32_f64_e32 v9, v[9:10]
	v_min_f32_e32 v10, v12, v11
	v_frexp_mant_f32_e32 v12, v38
	v_rcp_f32_e32 v12, v12
	v_frexp_exp_i32_f32_e32 v40, v10
	v_frexp_mant_f32_e32 v10, v10
	v_frexp_exp_i32_f32_e32 v11, v38
	v_mul_f32_e32 v10, v10, v12
	v_sub_u32_e32 v41, 0, v9
	v_ldexp_f32 v42, -v2, v41
	v_ldexp_f32 v41, |v1|, v41
	v_mul_f32_e32 v41, v41, v41
	v_fmac_f32_e32 v41, v42, v42
	v_sqrt_f32_e32 v41, v41
	v_sub_u32_e32 v11, v40, v11
	v_ldexp_f32 v10, v10, v11
	v_mul_f32_e32 v11, v10, v10
	v_ldexp_f32 v9, v41, v9
	v_cndmask_b32_e32 v9, v31, v9, vcc
	v_cmp_gt_f32_e32 vcc, s52, v9
	v_cndmask_b32_e64 v12, 0, 32, vcc
	v_ldexp_f32 v9, v9, v12
	v_log_f32_e32 v9, v9
	v_cndmask_b32_e32 v12, 0, v32, vcc
	v_fmac_f32_e32 v39, 0x3b2d2a58, v11
	v_mul_f32_e32 v38, 0x3f317217, v9
	v_fma_f32 v38, v9, s53, -v38
	v_fmac_f32_e32 v38, 0x3377d1cf, v9
	v_fmac_f32_e32 v38, 0x3f317217, v9
	v_cmp_lt_f32_e64 vcc, |v9|, s48
	v_cndmask_b32_e32 v9, v9, v38, vcc
	v_sub_f32_e32 v9, v9, v12
	v_fma_f32 v12, v11, v39, v25
	v_fma_f32 v12, v11, v12, v26
	;; [unrolled: 1-line block ×6, first 2 shown]
	v_mul_f32_e32 v11, v11, v12
	v_fmac_f32_e32 v10, v10, v11
.LBB56_279:                             ;   in Loop: Header=BB56_5 Depth=1
	s_or_b64 exec, exec, s[8:9]
                                        ; implicit-def: $vgpr11
.LBB56_280:                             ;   in Loop: Header=BB56_5 Depth=1
	s_andn2_saveexec_b64 s[34:35], s[34:35]
	s_cbranch_execz .LBB56_282
; %bb.281:                              ;   in Loop: Header=BB56_5 Depth=1
	v_div_scale_f32 v9, s[8:9], s70, s70, v2
	v_div_scale_f32 v10, s[8:9], s70, s70, v1
	v_div_scale_f32 v12, vcc, v2, s70, v2
	v_div_scale_f32 v38, s[8:9], v1, s70, v1
	v_rcp_f32_e32 v39, v9
	v_rcp_f32_e32 v40, v10
	v_fma_f32 v41, -v9, v39, 1.0
	v_fmac_f32_e32 v39, v41, v39
	v_fma_f32 v42, -v10, v40, 1.0
	v_fmac_f32_e32 v40, v42, v40
	v_mul_f32_e32 v41, v12, v39
	v_mul_f32_e32 v42, v38, v40
	v_fma_f32 v43, -v9, v41, v12
	v_fma_f32 v44, -v10, v42, v38
	v_fmac_f32_e32 v41, v43, v39
	v_fmac_f32_e32 v42, v44, v40
	v_fma_f32 v9, -v9, v41, v12
	v_fma_f32 v10, -v10, v42, v38
	v_div_fmas_f32 v9, v9, v39, v41
	s_mov_b64 vcc, s[8:9]
	v_div_fmas_f32 v10, v10, v40, v42
	v_max_f32_e64 v12, -v2, -v2
	v_min_f32_e32 v39, v12, v11
	v_max_f32_e32 v11, v12, v11
	v_frexp_exp_i32_f32_e32 v12, v11
	v_frexp_mant_f32_e32 v11, v11
	v_rcp_f32_e32 v11, v11
	v_frexp_exp_i32_f32_e32 v43, v39
	v_frexp_mant_f32_e32 v39, v39
	v_mov_b32_e32 v38, 0xbc7a590c
	v_mul_f32_e32 v11, v39, v11
	v_div_fixup_f32 v40, v9, s70, v2
	v_div_fixup_f32 v41, v10, s70, v1
	v_max_f32_e64 v42, |v40|, |v41|
	v_cvt_f64_f32_e32 v[9:10], v42
	v_cmp_neq_f32_e32 vcc, s48, v42
	v_frexp_exp_i32_f64_e32 v9, v[9:10]
	v_sub_u32_e32 v10, v43, v12
	v_ldexp_f32 v10, v11, v10
	v_mul_f32_e32 v11, v10, v10
	v_fmac_f32_e32 v38, 0x3b2d2a58, v11
	v_fma_f32 v12, v11, v38, v25
	v_fma_f32 v12, v11, v12, v26
	;; [unrolled: 1-line block ×3, first 2 shown]
	v_sub_u32_e32 v38, 0, v9
	v_ldexp_f32 v39, |v40|, v38
	v_ldexp_f32 v38, |v41|, v38
	v_mul_f32_e32 v38, v38, v38
	v_fmac_f32_e32 v38, v39, v39
	v_sqrt_f32_e32 v38, v38
	v_fma_f32 v12, v11, v12, v28
	v_fma_f32 v12, v11, v12, v29
	;; [unrolled: 1-line block ×3, first 2 shown]
	v_ldexp_f32 v9, v38, v9
	v_cndmask_b32_e32 v9, v31, v9, vcc
	v_cmp_gt_f32_e32 vcc, s52, v9
	v_cndmask_b32_e64 v38, 0, 32, vcc
	v_ldexp_f32 v9, v9, v38
	v_log_f32_e32 v9, v9
	v_mul_f32_e32 v11, v11, v12
	v_cndmask_b32_e32 v12, 0, v32, vcc
	v_fmac_f32_e32 v10, v10, v11
	v_mul_f32_e32 v38, 0x3f317217, v9
	v_fma_f32 v38, v9, s53, -v38
	v_fmac_f32_e32 v38, 0x3377d1cf, v9
	v_fmac_f32_e32 v38, 0x3f317217, v9
	v_cmp_lt_f32_e64 vcc, |v9|, s48
	v_cndmask_b32_e32 v9, v9, v38, vcc
	v_sub_f32_e32 v9, v9, v12
	v_add_f32_e32 v9, 1.0, v9
.LBB56_282:                             ;   in Loop: Header=BB56_5 Depth=1
	s_or_b64 exec, exec, s[34:35]
	v_sub_f32_e32 v11, 0x3fc90fdb, v10
	v_cndmask_b32_e64 v10, v10, v11, s[6:7]
	v_cmp_neq_f32_e32 vcc, 0, v1
	v_cndmask_b32_e32 v10, 0, v10, vcc
	v_cmp_eq_f32_e32 vcc, s58, v2
	s_andn2_b64 s[6:7], s[28:29], exec
	s_and_b64 s[8:9], vcc, exec
	s_or_b64 s[28:29], s[6:7], s[8:9]
.LBB56_283:                             ;   in Loop: Header=BB56_5 Depth=1
	s_or_b64 exec, exec, s[30:31]
	v_cmp_class_f32_e64 s[6:7], v1, s65
	s_and_b64 vcc, s[6:7], s[28:29]
	v_cndmask_b32_e32 v11, v10, v36, vcc
	v_add_f32_e32 v9, 0x3f317218, v9
	v_bfi_b32 v10, s47, v9, v2
	v_bfi_b32 v9, s47, v11, v1
.LBB56_284:                             ;   in Loop: Header=BB56_5 Depth=1
	s_or_b64 exec, exec, s[26:27]
.LBB56_285:                             ;   in Loop: Header=BB56_5 Depth=1
	s_andn2_saveexec_b64 s[6:7], s[24:25]
	s_cbranch_execz .LBB56_299
; %bb.286:                              ;   in Loop: Header=BB56_5 Depth=1
	v_cmp_neq_f32_e64 s[8:9], |v2|, s48
                                        ; implicit-def: $vgpr9
	s_and_saveexec_b64 s[24:25], s[8:9]
	s_xor_b64 s[8:9], exec, s[24:25]
	s_cbranch_execz .LBB56_296
; %bb.287:                              ;   in Loop: Header=BB56_5 Depth=1
	v_cmp_neq_f32_e64 s[24:25], |v1|, s48
                                        ; implicit-def: $vgpr9
	s_and_saveexec_b64 s[26:27], s[24:25]
	s_xor_b64 s[24:25], exec, s[26:27]
	s_cbranch_execz .LBB56_293
; %bb.288:                              ;   in Loop: Header=BB56_5 Depth=1
	v_cmp_neq_f32_e32 vcc, 0, v1
                                        ; implicit-def: $vgpr9
	s_and_saveexec_b64 s[26:27], vcc
	s_xor_b64 s[26:27], exec, s[26:27]
; %bb.289:                              ;   in Loop: Header=BB56_5 Depth=1
	v_add_f32_e32 v9, 0, v2
	v_add_f32_e32 v9, v1, v9
; %bb.290:                              ;   in Loop: Header=BB56_5 Depth=1
	s_or_saveexec_b64 s[26:27], s[26:27]
	v_mov_b32_e32 v10, v9
	s_xor_b64 exec, exec, s[26:27]
; %bb.291:                              ;   in Loop: Header=BB56_5 Depth=1
	v_add_f32_e32 v10, v2, v2
	v_mov_b32_e32 v9, v1
; %bb.292:                              ;   in Loop: Header=BB56_5 Depth=1
	s_or_b64 exec, exec, s[26:27]
.LBB56_293:                             ;   in Loop: Header=BB56_5 Depth=1
	s_andn2_saveexec_b64 s[24:25], s[24:25]
; %bb.294:                              ;   in Loop: Header=BB56_5 Depth=1
	v_add_f32_e32 v9, v2, v2
	v_mov_b32_e32 v10, v1
; %bb.295:                              ;   in Loop: Header=BB56_5 Depth=1
	s_or_b64 exec, exec, s[24:25]
.LBB56_296:                             ;   in Loop: Header=BB56_5 Depth=1
	s_andn2_saveexec_b64 s[8:9], s[8:9]
; %bb.297:                              ;   in Loop: Header=BB56_5 Depth=1
	v_add_f32_e32 v9, v1, v1
	v_mov_b32_e32 v10, v2
; %bb.298:                              ;   in Loop: Header=BB56_5 Depth=1
	s_or_b64 exec, exec, s[8:9]
.LBB56_299:                             ;   in Loop: Header=BB56_5 Depth=1
	s_or_b64 exec, exec, s[6:7]
	v_cmp_o_f32_e32 vcc, v4, v3
	s_and_saveexec_b64 s[6:7], vcc
	s_xor_b64 s[24:25], exec, s[6:7]
	s_cbranch_execz .LBB56_383
; %bb.300:                              ;   in Loop: Header=BB56_5 Depth=1
	v_max_f32_e64 v38, |v4|, |v4|
	v_max_f32_e64 v1, |v3|, |v3|
	v_max_f32_e32 v39, v1, v38
	v_cmp_nlt_f32_e32 vcc, s42, v39
	s_and_saveexec_b64 s[6:7], vcc
	s_xor_b64 s[8:9], exec, s[6:7]
	s_cbranch_execz .LBB56_360
; %bb.301:                              ;   in Loop: Header=BB56_5 Depth=1
	v_cmp_neq_f32_e32 vcc, 0, v4
	v_cmp_neq_f32_e64 s[6:7], 0, v3
	s_or_b64 s[6:7], vcc, s[6:7]
	s_and_saveexec_b64 s[26:27], s[6:7]
	s_cbranch_execz .LBB56_359
; %bb.302:                              ;   in Loop: Header=BB56_5 Depth=1
	v_mov_b32_e32 v1, s16
	v_mov_b32_e32 v2, s17
	flat_store_dword v[1:2], v18
	s_waitcnt vmcnt(0)
	flat_load_dword v1, v[1:2] glc
	s_waitcnt vmcnt(0)
	v_cmp_nlt_f32_e64 s[6:7], |v4|, s43
	v_cmp_nlt_f32_e64 s[28:29], |v3|, s43
	s_or_b64 s[6:7], s[28:29], s[6:7]
	s_waitcnt lgkmcnt(0)
	v_add_f32_e32 v11, 1.0, v1
	v_mov_b32_e32 v1, s20
	v_mov_b32_e32 v2, s21
	flat_store_dword v[1:2], v11
	s_waitcnt vmcnt(0)
	flat_load_dword v1, v[1:2] glc
	s_waitcnt vmcnt(0)
	s_and_saveexec_b64 s[28:29], s[6:7]
	s_cbranch_execz .LBB56_358
; %bb.303:                              ;   in Loop: Header=BB56_5 Depth=1
	v_add_f32_e64 v11, |v3|, 1.0
	s_waitcnt lgkmcnt(0)
	v_max_f32_e32 v1, v38, v11
	v_add_f32_e64 v2, |v3|, -1.0
	v_cvt_f64_f32_e32 v[39:40], v1
	v_max_f32_e64 v12, v38, |v2|
	v_cvt_f64_f32_e32 v[41:42], v12
	v_cmp_neq_f32_e32 vcc, s48, v1
	v_frexp_exp_i32_f64_e32 v38, v[39:40]
	v_frexp_exp_i32_f64_e32 v39, v[41:42]
	v_sub_u32_e32 v40, 0, v38
	v_ldexp_f32 v42, |v4|, v40
	v_sub_u32_e32 v41, 0, v39
	v_ldexp_f32 v40, v11, v40
	v_ldexp_f32 v43, |v4|, v41
	v_ldexp_f32 v41, |v2|, v41
	v_mul_f32_e32 v40, v40, v40
	v_mul_f32_e32 v41, v41, v41
	v_fmac_f32_e32 v40, v42, v42
	v_fmac_f32_e32 v41, v43, v43
	v_sqrt_f32_e32 v40, v40
	v_sqrt_f32_e32 v41, v41
	v_ldexp_f32 v38, v40, v38
	v_ldexp_f32 v40, v41, v39
	v_cndmask_b32_e32 v39, v31, v38, vcc
	v_cmp_neq_f32_e32 vcc, s48, v12
	v_cndmask_b32_e32 v12, v31, v40, vcc
	v_add_f32_e32 v1, v39, v12
	v_mul_f32_e32 v1, 0.5, v1
	v_cmp_ngt_f32_e32 vcc, 1.0, v1
	v_cndmask_b32_e32 v1, 1.0, v1, vcc
	v_cmp_ngt_f32_e32 vcc, s49, v1
                                        ; implicit-def: $vgpr40
	s_and_saveexec_b64 s[6:7], vcc
	s_xor_b64 s[30:31], exec, s[6:7]
	s_cbranch_execz .LBB56_305
; %bb.304:                              ;   in Loop: Header=BB56_5 Depth=1
	v_fma_f32 v38, v1, v1, -1.0
	v_mul_f32_e32 v40, 0x4f800000, v38
	v_cmp_gt_f32_e32 vcc, s50, v38
	v_cndmask_b32_e32 v38, v38, v40, vcc
	v_sqrt_f32_e32 v40, v38
	v_add_u32_e32 v41, -1, v40
	v_fma_f32 v43, -v41, v40, v38
	v_add_u32_e32 v42, 1, v40
	v_cmp_ge_f32_e64 s[6:7], 0, v43
	v_cndmask_b32_e64 v41, v40, v41, s[6:7]
	v_fma_f32 v40, -v42, v40, v38
	v_cmp_lt_f32_e64 s[6:7], 0, v40
	v_cndmask_b32_e64 v40, v41, v42, s[6:7]
	v_mul_f32_e32 v41, 0x37800000, v40
	v_cndmask_b32_e32 v40, v40, v41, vcc
	v_cmp_class_f32_e32 vcc, v38, v19
	v_cndmask_b32_e32 v38, v40, v38, vcc
	v_add_f32_e32 v38, v1, v38
	v_cmp_gt_f32_e32 vcc, s52, v38
	v_cndmask_b32_e64 v40, 0, 32, vcc
	v_ldexp_f32 v38, v38, v40
	v_log_f32_e32 v38, v38
	v_mul_f32_e32 v40, 0x3f317217, v38
	v_fma_f32 v40, v38, s53, -v40
	v_fmac_f32_e32 v40, 0x3377d1cf, v38
	v_fmac_f32_e32 v40, 0x3f317217, v38
	v_cmp_lt_f32_e64 s[6:7], |v38|, s48
	v_cndmask_b32_e64 v38, v38, v40, s[6:7]
	v_cndmask_b32_e32 v40, 0, v32, vcc
	v_sub_f32_e32 v40, v38, v40
.LBB56_305:                             ;   in Loop: Header=BB56_5 Depth=1
	s_or_saveexec_b64 s[30:31], s[30:31]
	v_and_b32_e32 v38, 0x7fffffff, v4
	s_xor_b64 exec, exec, s[30:31]
	s_cbranch_execz .LBB56_327
; %bb.306:                              ;   in Loop: Header=BB56_5 Depth=1
	v_cmp_neq_f32_e64 s[6:7], |v3|, 1.0
	v_cmp_nlt_f32_e64 s[34:35], |v4|, s54
	s_or_b64 s[6:7], s[6:7], s[34:35]
                                        ; implicit-def: $vgpr40
	s_and_saveexec_b64 s[34:35], s[6:7]
	s_xor_b64 s[34:35], exec, s[34:35]
	s_cbranch_execz .LBB56_324
; %bb.307:                              ;   in Loop: Header=BB56_5 Depth=1
	v_mul_f32_e64 v40, |v2|, s55
	v_cmp_ge_f32_e64 s[6:7], |v4|, v40
                                        ; implicit-def: $vgpr40
	s_and_saveexec_b64 s[36:37], s[6:7]
	s_xor_b64 s[36:37], exec, s[36:37]
	s_cbranch_execz .LBB56_317
; %bb.308:                              ;   in Loop: Header=BB56_5 Depth=1
	v_cmp_neq_f32_e32 vcc, 0, v11
	v_mov_b32_e32 v40, v38
	s_and_saveexec_b64 s[6:7], vcc
	s_cbranch_execz .LBB56_310
; %bb.309:                              ;   in Loop: Header=BB56_5 Depth=1
	v_mul_f32_e32 v40, v4, v4
	v_add_f32_e32 v41, v11, v39
	v_div_scale_f32 v42, s[38:39], v41, v41, v40
	v_div_scale_f32 v43, vcc, v40, v41, v40
	v_rcp_f32_e32 v44, v42
	v_fma_f32 v45, -v42, v44, 1.0
	v_fmac_f32_e32 v44, v45, v44
	v_mul_f32_e32 v45, v43, v44
	v_fma_f32 v46, -v42, v45, v43
	v_fmac_f32_e32 v45, v46, v44
	v_fma_f32 v42, -v42, v45, v43
	v_div_fmas_f32 v42, v42, v44, v45
	v_div_fixup_f32 v40, v42, v41, v40
.LBB56_310:                             ;   in Loop: Header=BB56_5 Depth=1
	s_or_b64 exec, exec, s[6:7]
	v_sub_f32_e64 v42, 1.0, |v3|
	v_cmp_ngt_f32_e32 vcc, 0, v42
                                        ; implicit-def: $vgpr41
	s_and_saveexec_b64 s[6:7], vcc
	s_xor_b64 s[6:7], exec, s[6:7]
	s_cbranch_execz .LBB56_314
; %bb.311:                              ;   in Loop: Header=BB56_5 Depth=1
	v_cmp_neq_f32_e32 vcc, 0, v42
	v_mov_b32_e32 v41, v38
	s_and_saveexec_b64 s[38:39], vcc
	s_cbranch_execz .LBB56_313
; %bb.312:                              ;   in Loop: Header=BB56_5 Depth=1
	v_mul_f32_e32 v41, v4, v4
	v_add_f32_e32 v42, v42, v12
	v_div_scale_f32 v43, s[40:41], v42, v42, v41
	v_div_scale_f32 v44, vcc, v41, v42, v41
	v_rcp_f32_e32 v45, v43
	v_fma_f32 v46, -v43, v45, 1.0
	v_fmac_f32_e32 v45, v46, v45
	v_mul_f32_e32 v46, v44, v45
	v_fma_f32 v47, -v43, v46, v44
	v_fmac_f32_e32 v46, v47, v45
	v_fma_f32 v43, -v43, v46, v44
	v_div_fmas_f32 v43, v43, v45, v46
	v_div_fixup_f32 v41, v43, v42, v41
.LBB56_313:                             ;   in Loop: Header=BB56_5 Depth=1
	s_or_b64 exec, exec, s[38:39]
                                        ; implicit-def: $vgpr42
.LBB56_314:                             ;   in Loop: Header=BB56_5 Depth=1
	s_andn2_saveexec_b64 s[6:7], s[6:7]
; %bb.315:                              ;   in Loop: Header=BB56_5 Depth=1
	v_sub_f32_e32 v41, v12, v42
; %bb.316:                              ;   in Loop: Header=BB56_5 Depth=1
	s_or_b64 exec, exec, s[6:7]
	v_mul_f32_e32 v41, 0.5, v41
	v_fmac_f32_e32 v41, 0.5, v40
	v_add_f32_e32 v40, 1.0, v1
	v_mul_f32_e32 v40, v40, v41
	v_mul_f32_e32 v42, 0x4f800000, v40
	v_cmp_gt_f32_e32 vcc, s50, v40
	v_cndmask_b32_e32 v40, v40, v42, vcc
	v_sqrt_f32_e32 v42, v40
	v_add_u32_e32 v43, -1, v42
	v_fma_f32 v44, -v43, v42, v40
	v_cmp_ge_f32_e64 s[6:7], 0, v44
	v_add_u32_e32 v44, 1, v42
	v_cndmask_b32_e64 v43, v42, v43, s[6:7]
	v_fma_f32 v42, -v44, v42, v40
	v_cmp_lt_f32_e64 s[6:7], 0, v42
	v_cndmask_b32_e64 v42, v43, v44, s[6:7]
	v_mul_f32_e32 v43, 0x37800000, v42
	v_cndmask_b32_e32 v42, v42, v43, vcc
	v_cmp_class_f32_e32 vcc, v40, v19
	v_cndmask_b32_e32 v40, v42, v40, vcc
	v_add_f32_e32 v42, v41, v40
	v_add_f32_e32 v43, 1.0, v42
	v_cvt_f64_f32_e32 v[40:41], v43
	v_add_f32_e32 v44, -1.0, v43
	v_frexp_exp_i32_f64_e32 v40, v[40:41]
	v_sub_f32_e32 v41, v44, v43
	v_add_f32_e32 v41, 1.0, v41
	v_sub_f32_e32 v44, v42, v44
	v_add_f32_e32 v41, v44, v41
	v_frexp_mant_f32_e32 v44, v43
	v_cmp_gt_f32_e32 vcc, s56, v44
	v_subbrev_co_u32_e32 v40, vcc, 0, v40, vcc
	v_sub_u32_e32 v44, 0, v40
	v_ldexp_f32 v43, v43, v44
	v_ldexp_f32 v41, v41, v44
	v_add_f32_e32 v44, -1.0, v43
	v_add_f32_e32 v47, 1.0, v43
	v_add_f32_e32 v45, 1.0, v44
	v_add_f32_e32 v48, -1.0, v47
	v_sub_f32_e32 v45, v43, v45
	v_sub_f32_e32 v43, v43, v48
	v_add_f32_e32 v45, v41, v45
	v_add_f32_e32 v41, v41, v43
	;; [unrolled: 1-line block ×3, first 2 shown]
	v_rcp_f32_e32 v48, v43
	v_add_f32_e32 v46, v44, v45
	v_sub_f32_e32 v44, v46, v44
	v_sub_f32_e32 v44, v45, v44
	;; [unrolled: 1-line block ×4, first 2 shown]
	v_mul_f32_e32 v45, v46, v48
	v_mul_f32_e32 v47, v43, v45
	v_fma_f32 v49, v45, v43, -v47
	v_fmac_f32_e32 v49, v45, v41
	v_add_f32_e32 v50, v47, v49
	v_sub_f32_e32 v51, v46, v50
	v_sub_f32_e32 v46, v46, v51
	;; [unrolled: 1-line block ×4, first 2 shown]
	v_add_f32_e32 v44, v44, v46
	v_sub_f32_e32 v46, v47, v49
	v_add_f32_e32 v44, v46, v44
	v_add_f32_e32 v46, v51, v44
	v_mul_f32_e32 v47, v48, v46
	v_mul_f32_e32 v49, v43, v47
	v_fma_f32 v43, v47, v43, -v49
	v_fmac_f32_e32 v43, v47, v41
	v_sub_f32_e32 v41, v51, v46
	v_add_f32_e32 v41, v44, v41
	v_add_f32_e32 v44, v49, v43
	v_sub_f32_e32 v50, v46, v44
	v_sub_f32_e32 v46, v46, v50
	v_sub_f32_e32 v49, v44, v49
	v_sub_f32_e32 v44, v46, v44
	v_add_f32_e32 v41, v41, v44
	v_sub_f32_e32 v43, v49, v43
	v_cvt_f32_i32_e32 v40, v40
	v_add_f32_e32 v41, v43, v41
	v_add_f32_e32 v43, v45, v47
	;; [unrolled: 1-line block ×3, first 2 shown]
	v_sub_f32_e32 v44, v43, v45
	v_mul_f32_e32 v41, v48, v41
	v_sub_f32_e32 v44, v47, v44
	v_add_f32_e32 v41, v44, v41
	v_mul_f32_e32 v47, 0x3f317218, v40
	v_add_f32_e32 v44, v43, v41
	v_fma_f32 v48, v40, s57, -v47
	v_mul_f32_e32 v45, v44, v44
	v_mov_b32_e32 v46, 0x3ecc95a3
	v_fmac_f32_e32 v48, 0xb102e308, v40
	v_sub_f32_e32 v40, v44, v43
	v_fmac_f32_e32 v46, 0x3e9b6dac, v45
	v_sub_f32_e32 v40, v41, v40
	v_add_f32_e32 v41, v47, v48
	v_fma_f32 v46, v45, v46, v20
	v_sub_f32_e32 v43, v41, v47
	v_ldexp_f32 v47, v44, 1
	v_mul_f32_e32 v44, v44, v45
	v_mul_f32_e32 v44, v44, v46
	v_add_f32_e32 v45, v47, v44
	v_sub_f32_e32 v46, v45, v47
	v_ldexp_f32 v40, v40, 1
	v_sub_f32_e32 v44, v44, v46
	v_add_f32_e32 v40, v40, v44
	v_add_f32_e32 v44, v45, v40
	v_sub_f32_e32 v45, v44, v45
	v_sub_f32_e32 v40, v40, v45
	v_add_f32_e32 v45, v41, v44
	v_sub_f32_e32 v46, v45, v41
	v_sub_f32_e32 v47, v45, v46
	;; [unrolled: 1-line block ×5, first 2 shown]
	v_add_f32_e32 v41, v44, v41
	v_add_f32_e32 v44, v43, v40
	v_sub_f32_e32 v46, v44, v43
	v_sub_f32_e32 v47, v44, v46
	;; [unrolled: 1-line block ×4, first 2 shown]
	v_add_f32_e32 v41, v44, v41
	v_add_f32_e32 v40, v40, v43
	;; [unrolled: 1-line block ×3, first 2 shown]
	v_sub_f32_e32 v44, v43, v45
	v_sub_f32_e32 v41, v41, v44
	v_add_f32_e32 v40, v40, v41
	v_add_f32_e32 v40, v43, v40
	v_cmp_neq_f32_e32 vcc, s48, v42
	v_cndmask_b32_e32 v40, v31, v40, vcc
	v_cmp_ngt_f32_e32 vcc, -1.0, v42
	v_cndmask_b32_e32 v40, v33, v40, vcc
	v_cmp_neq_f32_e32 vcc, -1.0, v42
	v_cndmask_b32_e32 v40, v34, v40, vcc
	v_cmp_lt_f32_e64 vcc, |v42|, s59
	v_cndmask_b32_e32 v40, v40, v42, vcc
.LBB56_317:                             ;   in Loop: Header=BB56_5 Depth=1
	s_andn2_saveexec_b64 s[36:37], s[36:37]
	s_cbranch_execz .LBB56_323
; %bb.318:                              ;   in Loop: Header=BB56_5 Depth=1
	v_cmp_nlt_f32_e64 s[6:7], |v3|, 1.0
                                        ; implicit-def: $vgpr40
	s_and_saveexec_b64 s[38:39], s[6:7]
	s_xor_b64 s[38:39], exec, s[38:39]
	s_cbranch_execz .LBB56_320
; %bb.319:                              ;   in Loop: Header=BB56_5 Depth=1
	v_mul_f32_e32 v40, v2, v11
	v_mul_f32_e32 v41, 0x4f800000, v40
	v_cmp_gt_f32_e32 vcc, s50, v40
	v_cndmask_b32_e32 v40, v40, v41, vcc
	v_sqrt_f32_e32 v41, v40
	v_add_u32_e32 v42, -1, v41
	v_fma_f32 v44, -v42, v41, v40
	v_add_u32_e32 v43, 1, v41
	v_cmp_ge_f32_e64 s[6:7], 0, v44
	v_cndmask_b32_e64 v42, v41, v42, s[6:7]
	v_fma_f32 v41, -v43, v41, v40
	v_cmp_lt_f32_e64 s[6:7], 0, v41
	v_cndmask_b32_e64 v41, v42, v43, s[6:7]
	v_mul_f32_e32 v42, 0x37800000, v41
	v_cndmask_b32_e32 v41, v41, v42, vcc
	v_cmp_class_f32_e32 vcc, v40, v19
	v_cndmask_b32_e32 v40, v41, v40, vcc
	v_add_f32_e32 v42, v2, v40
	v_add_f32_e32 v43, 1.0, v42
	v_cvt_f64_f32_e32 v[40:41], v43
	v_add_f32_e32 v44, -1.0, v43
	v_frexp_exp_i32_f64_e32 v40, v[40:41]
	v_sub_f32_e32 v41, v44, v43
	v_add_f32_e32 v41, 1.0, v41
	v_sub_f32_e32 v44, v42, v44
	v_add_f32_e32 v41, v44, v41
	v_frexp_mant_f32_e32 v44, v43
	v_cmp_gt_f32_e32 vcc, s56, v44
	v_subbrev_co_u32_e32 v40, vcc, 0, v40, vcc
	v_sub_u32_e32 v44, 0, v40
	v_ldexp_f32 v43, v43, v44
	v_ldexp_f32 v41, v41, v44
	v_add_f32_e32 v44, -1.0, v43
	v_add_f32_e32 v47, 1.0, v43
	v_add_f32_e32 v45, 1.0, v44
	v_add_f32_e32 v48, -1.0, v47
	v_sub_f32_e32 v45, v43, v45
	v_sub_f32_e32 v43, v43, v48
	v_add_f32_e32 v45, v41, v45
	v_add_f32_e32 v41, v41, v43
	;; [unrolled: 1-line block ×3, first 2 shown]
	v_rcp_f32_e32 v48, v43
	v_add_f32_e32 v46, v44, v45
	v_sub_f32_e32 v44, v46, v44
	v_sub_f32_e32 v44, v45, v44
	;; [unrolled: 1-line block ×4, first 2 shown]
	v_mul_f32_e32 v45, v46, v48
	v_mul_f32_e32 v47, v43, v45
	v_fma_f32 v49, v45, v43, -v47
	v_fmac_f32_e32 v49, v45, v41
	v_add_f32_e32 v50, v47, v49
	v_sub_f32_e32 v51, v46, v50
	v_sub_f32_e32 v46, v46, v51
	;; [unrolled: 1-line block ×4, first 2 shown]
	v_add_f32_e32 v44, v44, v46
	v_sub_f32_e32 v46, v47, v49
	v_add_f32_e32 v44, v46, v44
	v_add_f32_e32 v46, v51, v44
	v_mul_f32_e32 v47, v48, v46
	v_mul_f32_e32 v49, v43, v47
	v_fma_f32 v43, v47, v43, -v49
	v_fmac_f32_e32 v43, v47, v41
	v_sub_f32_e32 v41, v51, v46
	v_add_f32_e32 v41, v44, v41
	v_add_f32_e32 v44, v49, v43
	v_sub_f32_e32 v50, v46, v44
	v_sub_f32_e32 v46, v46, v50
	;; [unrolled: 1-line block ×4, first 2 shown]
	v_add_f32_e32 v41, v41, v44
	v_sub_f32_e32 v43, v49, v43
	v_cvt_f32_i32_e32 v40, v40
	v_add_f32_e32 v41, v43, v41
	v_add_f32_e32 v43, v45, v47
	v_add_f32_e32 v41, v50, v41
	v_sub_f32_e32 v44, v43, v45
	v_mul_f32_e32 v41, v48, v41
	v_sub_f32_e32 v44, v47, v44
	v_add_f32_e32 v41, v44, v41
	v_mul_f32_e32 v47, 0x3f317218, v40
	v_add_f32_e32 v44, v43, v41
	v_fma_f32 v48, v40, s57, -v47
	v_mul_f32_e32 v45, v44, v44
	v_mov_b32_e32 v46, 0x3ecc95a3
	v_fmac_f32_e32 v48, 0xb102e308, v40
	v_sub_f32_e32 v40, v44, v43
	v_fmac_f32_e32 v46, 0x3e9b6dac, v45
	v_sub_f32_e32 v40, v41, v40
	v_add_f32_e32 v41, v47, v48
	v_fma_f32 v46, v45, v46, v20
	v_sub_f32_e32 v43, v41, v47
	v_ldexp_f32 v47, v44, 1
	v_mul_f32_e32 v44, v44, v45
	v_mul_f32_e32 v44, v44, v46
	v_add_f32_e32 v45, v47, v44
	v_sub_f32_e32 v46, v45, v47
	v_ldexp_f32 v40, v40, 1
	v_sub_f32_e32 v44, v44, v46
	v_add_f32_e32 v40, v40, v44
	v_add_f32_e32 v44, v45, v40
	v_sub_f32_e32 v45, v44, v45
	v_sub_f32_e32 v40, v40, v45
	v_add_f32_e32 v45, v41, v44
	v_sub_f32_e32 v46, v45, v41
	v_sub_f32_e32 v47, v45, v46
	;; [unrolled: 1-line block ×5, first 2 shown]
	v_add_f32_e32 v41, v44, v41
	v_add_f32_e32 v44, v43, v40
	v_sub_f32_e32 v46, v44, v43
	v_sub_f32_e32 v47, v44, v46
	;; [unrolled: 1-line block ×4, first 2 shown]
	v_add_f32_e32 v41, v44, v41
	v_add_f32_e32 v40, v40, v43
	;; [unrolled: 1-line block ×3, first 2 shown]
	v_sub_f32_e32 v44, v43, v45
	v_sub_f32_e32 v41, v41, v44
	v_add_f32_e32 v40, v40, v41
	v_add_f32_e32 v40, v43, v40
	v_cmp_neq_f32_e32 vcc, s48, v42
	v_cndmask_b32_e32 v40, v31, v40, vcc
	v_cmp_ngt_f32_e32 vcc, -1.0, v42
	v_cndmask_b32_e32 v40, v33, v40, vcc
	v_cmp_neq_f32_e32 vcc, -1.0, v42
	v_cndmask_b32_e32 v40, v34, v40, vcc
	v_cmp_lt_f32_e64 vcc, |v42|, s59
	v_cndmask_b32_e32 v40, v40, v42, vcc
.LBB56_320:                             ;   in Loop: Header=BB56_5 Depth=1
	s_andn2_saveexec_b64 s[38:39], s[38:39]
	s_cbranch_execz .LBB56_322
; %bb.321:                              ;   in Loop: Header=BB56_5 Depth=1
	v_sub_f32_e64 v40, 1.0, |v3|
	v_mul_f32_e32 v40, v40, v11
	v_mul_f32_e32 v41, 0x4f800000, v40
	v_cmp_gt_f32_e32 vcc, s50, v40
	v_cndmask_b32_e32 v40, v40, v41, vcc
	v_sqrt_f32_e32 v41, v40
	v_add_u32_e32 v42, -1, v41
	v_fma_f32 v44, -v42, v41, v40
	v_add_u32_e32 v43, 1, v41
	v_cmp_ge_f32_e64 s[6:7], 0, v44
	v_cndmask_b32_e64 v42, v41, v42, s[6:7]
	v_fma_f32 v41, -v43, v41, v40
	v_cmp_lt_f32_e64 s[6:7], 0, v41
	v_cndmask_b32_e64 v41, v42, v43, s[6:7]
	v_mul_f32_e32 v42, 0x37800000, v41
	v_cndmask_b32_e32 v41, v41, v42, vcc
	v_cmp_class_f32_e32 vcc, v40, v19
	v_cndmask_b32_e32 v40, v41, v40, vcc
	v_and_b32_e32 v41, 0x7fffffff, v4
	v_div_scale_f32 v42, s[6:7], v40, v40, v41
	v_div_scale_f32 v41, vcc, v41, v40, v41
	v_rcp_f32_e32 v43, v42
	v_fma_f32 v44, -v42, v43, 1.0
	v_fmac_f32_e32 v43, v44, v43
	v_mul_f32_e32 v44, v41, v43
	v_fma_f32 v45, -v42, v44, v41
	v_fmac_f32_e32 v44, v45, v43
	v_fma_f32 v41, -v42, v44, v41
	v_div_fmas_f32 v41, v41, v43, v44
	v_div_fixup_f32 v40, v41, v40, |v4|
.LBB56_322:                             ;   in Loop: Header=BB56_5 Depth=1
	s_or_b64 exec, exec, s[38:39]
.LBB56_323:                             ;   in Loop: Header=BB56_5 Depth=1
	s_or_b64 exec, exec, s[36:37]
.LBB56_324:                             ;   in Loop: Header=BB56_5 Depth=1
	s_andn2_saveexec_b64 s[34:35], s[34:35]
	s_cbranch_execz .LBB56_326
; %bb.325:                              ;   in Loop: Header=BB56_5 Depth=1
	v_mul_f32_e64 v40, |v4|, s51
	v_cmp_lt_f32_e64 vcc, |v4|, s50
	v_cndmask_b32_e64 v40, |v4|, v40, vcc
	v_sqrt_f32_e32 v41, v40
	v_add_u32_e32 v42, -1, v41
	v_fma_f32 v44, -v42, v41, v40
	v_add_u32_e32 v43, 1, v41
	v_cmp_ge_f32_e64 s[6:7], 0, v44
	v_cndmask_b32_e64 v42, v41, v42, s[6:7]
	v_fma_f32 v41, -v43, v41, v40
	v_cmp_lt_f32_e64 s[6:7], 0, v41
	v_cndmask_b32_e64 v41, v42, v43, s[6:7]
	v_mul_f32_e32 v42, 0x37800000, v41
	v_cndmask_b32_e32 v41, v41, v42, vcc
	v_cmp_class_f32_e32 vcc, v40, v19
	v_cndmask_b32_e32 v40, v41, v40, vcc
.LBB56_326:                             ;   in Loop: Header=BB56_5 Depth=1
	s_or_b64 exec, exec, s[34:35]
.LBB56_327:                             ;   in Loop: Header=BB56_5 Depth=1
	s_or_b64 exec, exec, s[30:31]
	v_cmp_nlt_f32_e64 s[30:31], |v3|, s60
                                        ; implicit-def: $sgpr6_sgpr7
                                        ; implicit-def: $vgpr41
                                        ; implicit-def: $vgpr43
                                        ; implicit-def: $vgpr42
	s_and_saveexec_b64 s[34:35], s[30:31]
	s_xor_b64 s[30:31], exec, s[34:35]
	s_cbranch_execz .LBB56_351
; %bb.328:                              ;   in Loop: Header=BB56_5 Depth=1
	v_and_b32_e32 v42, 0x7fffffff, v3
	v_div_scale_f32 v41, s[6:7], v1, v1, v42
	v_div_scale_f32 v43, vcc, v42, v1, v42
	s_mov_b64 s[6:7], 0
	v_rcp_f32_e32 v44, v41
	v_fma_f32 v45, -v41, v44, 1.0
	v_fmac_f32_e32 v44, v45, v44
	v_mul_f32_e32 v45, v43, v44
	v_fma_f32 v46, -v41, v45, v43
	v_fmac_f32_e32 v45, v46, v44
	v_fma_f32 v41, -v41, v45, v43
	v_div_fmas_f32 v41, v41, v44, v45
                                        ; implicit-def: $vgpr43
	v_div_fixup_f32 v41, v41, v1, |v3|
	v_cmp_lt_f32_e32 vcc, s61, v41
	s_and_saveexec_b64 s[34:35], vcc
	s_cbranch_execz .LBB56_350
; %bb.329:                              ;   in Loop: Header=BB56_5 Depth=1
	v_cmp_neq_f32_e64 s[6:7], |v3|, 1.0
	v_cmp_nlt_f32_e64 s[36:37], |v4|, s62
	s_or_b64 s[6:7], s[6:7], s[36:37]
                                        ; implicit-def: $vgpr43
	s_and_saveexec_b64 s[36:37], s[6:7]
	s_xor_b64 s[36:37], exec, s[36:37]
	s_cbranch_execz .LBB56_347
; %bb.330:                              ;   in Loop: Header=BB56_5 Depth=1
	v_mul_f32_e64 v43, |v2|, s55
	v_cmp_ge_f32_e64 s[6:7], |v4|, v43
                                        ; implicit-def: $vgpr43
	s_and_saveexec_b64 s[38:39], s[6:7]
	s_xor_b64 s[38:39], exec, s[38:39]
	s_cbranch_execz .LBB56_340
; %bb.331:                              ;   in Loop: Header=BB56_5 Depth=1
	v_cmp_neq_f32_e32 vcc, 0, v11
	v_mov_b32_e32 v43, v38
	s_and_saveexec_b64 s[6:7], vcc
	s_cbranch_execz .LBB56_333
; %bb.332:                              ;   in Loop: Header=BB56_5 Depth=1
	v_mul_f32_e32 v43, v4, v4
	v_add_f32_e32 v11, v11, v39
	v_div_scale_f32 v39, s[40:41], v11, v11, v43
	v_div_scale_f32 v44, vcc, v43, v11, v43
	v_rcp_f32_e32 v45, v39
	v_fma_f32 v46, -v39, v45, 1.0
	v_fmac_f32_e32 v45, v46, v45
	v_mul_f32_e32 v46, v44, v45
	v_fma_f32 v47, -v39, v46, v44
	v_fmac_f32_e32 v46, v47, v45
	v_fma_f32 v39, -v39, v46, v44
	v_div_fmas_f32 v39, v39, v45, v46
	v_div_fixup_f32 v43, v39, v11, v43
.LBB56_333:                             ;   in Loop: Header=BB56_5 Depth=1
	s_or_b64 exec, exec, s[6:7]
	v_cmp_ngt_f32_e32 vcc, 0, v2
	s_and_saveexec_b64 s[6:7], vcc
	s_xor_b64 s[6:7], exec, s[6:7]
	s_cbranch_execz .LBB56_337
; %bb.334:                              ;   in Loop: Header=BB56_5 Depth=1
	v_cmp_neq_f32_e32 vcc, 0, v2
	s_and_saveexec_b64 s[40:41], vcc
	s_cbranch_execz .LBB56_336
; %bb.335:                              ;   in Loop: Header=BB56_5 Depth=1
	v_mul_f32_e32 v11, v4, v4
	v_add_f32_e32 v2, v2, v12
	v_div_scale_f32 v12, s[72:73], v2, v2, v11
	v_div_scale_f32 v38, vcc, v11, v2, v11
	v_rcp_f32_e32 v39, v12
	v_fma_f32 v44, -v12, v39, 1.0
	v_fmac_f32_e32 v39, v44, v39
	v_mul_f32_e32 v44, v38, v39
	v_fma_f32 v45, -v12, v44, v38
	v_fmac_f32_e32 v44, v45, v39
	v_fma_f32 v12, -v12, v44, v38
	v_div_fmas_f32 v12, v12, v39, v44
	v_div_fixup_f32 v38, v12, v2, v11
.LBB56_336:                             ;   in Loop: Header=BB56_5 Depth=1
	s_or_b64 exec, exec, s[40:41]
                                        ; implicit-def: $vgpr12
                                        ; implicit-def: $vgpr2
.LBB56_337:                             ;   in Loop: Header=BB56_5 Depth=1
	s_andn2_saveexec_b64 s[6:7], s[6:7]
; %bb.338:                              ;   in Loop: Header=BB56_5 Depth=1
	v_sub_f32_e32 v38, v12, v2
; %bb.339:                              ;   in Loop: Header=BB56_5 Depth=1
	s_or_b64 exec, exec, s[6:7]
	v_mul_f32_e32 v2, 0.5, v38
	v_fmac_f32_e32 v2, 0.5, v43
	v_add_f32_e64 v1, |v3|, v1
	v_mul_f32_e32 v1, v1, v2
	v_mul_f32_e32 v2, 0x4f800000, v1
	v_cmp_gt_f32_e32 vcc, s50, v1
	v_cndmask_b32_e32 v1, v1, v2, vcc
	v_sqrt_f32_e32 v2, v1
	v_add_u32_e32 v11, -1, v2
	v_fma_f32 v12, -v11, v2, v1
	v_cmp_ge_f32_e64 s[6:7], 0, v12
	v_add_u32_e32 v12, 1, v2
	v_cndmask_b32_e64 v11, v2, v11, s[6:7]
	v_fma_f32 v2, -v12, v2, v1
	v_cmp_lt_f32_e64 s[6:7], 0, v2
	v_cndmask_b32_e64 v2, v11, v12, s[6:7]
	v_mul_f32_e32 v11, 0x37800000, v2
	v_cndmask_b32_e32 v2, v2, v11, vcc
	v_cmp_class_f32_e32 vcc, v1, v19
	v_cndmask_b32_e32 v43, v2, v1, vcc
                                        ; implicit-def: $vgpr11
                                        ; implicit-def: $vgpr2
.LBB56_340:                             ;   in Loop: Header=BB56_5 Depth=1
	s_andn2_saveexec_b64 s[38:39], s[38:39]
	s_cbranch_execz .LBB56_346
; %bb.341:                              ;   in Loop: Header=BB56_5 Depth=1
	v_cmp_ngt_f32_e64 s[6:7], |v3|, 1.0
                                        ; implicit-def: $vgpr43
	s_and_saveexec_b64 s[40:41], s[6:7]
	s_xor_b64 s[40:41], exec, s[40:41]
	s_cbranch_execz .LBB56_343
; %bb.342:                              ;   in Loop: Header=BB56_5 Depth=1
	v_sub_f32_e64 v1, 1.0, |v3|
	v_mul_f32_e32 v1, v1, v11
	v_mul_f32_e32 v2, 0x4f800000, v1
	v_cmp_gt_f32_e32 vcc, s50, v1
	v_cndmask_b32_e32 v1, v1, v2, vcc
	v_sqrt_f32_e32 v2, v1
	v_add_u32_e32 v11, -1, v2
	v_fma_f32 v38, -v11, v2, v1
	v_add_u32_e32 v12, 1, v2
	v_cmp_ge_f32_e64 s[6:7], 0, v38
	v_cndmask_b32_e64 v11, v2, v11, s[6:7]
	v_fma_f32 v2, -v12, v2, v1
	v_cmp_lt_f32_e64 s[6:7], 0, v2
	v_cndmask_b32_e64 v2, v11, v12, s[6:7]
	v_mul_f32_e32 v11, 0x37800000, v2
	v_cndmask_b32_e32 v2, v2, v11, vcc
	v_cmp_class_f32_e32 vcc, v1, v19
	v_cndmask_b32_e32 v43, v2, v1, vcc
                                        ; implicit-def: $vgpr11
                                        ; implicit-def: $vgpr2
.LBB56_343:                             ;   in Loop: Header=BB56_5 Depth=1
	s_andn2_saveexec_b64 s[40:41], s[40:41]
	s_cbranch_execz .LBB56_345
; %bb.344:                              ;   in Loop: Header=BB56_5 Depth=1
	v_mul_f32_e32 v1, v11, v2
	v_mul_f32_e32 v2, 0x4f800000, v1
	v_cmp_gt_f32_e32 vcc, s50, v1
	v_cndmask_b32_e32 v1, v1, v2, vcc
	v_sqrt_f32_e32 v2, v1
	v_mul_f32_e64 v11, |v4|, s63
	v_mul_f32_e64 v11, |v3|, v11
	v_add_u32_e32 v12, -1, v2
	v_fma_f32 v38, -v12, v2, v1
	v_cmp_ge_f32_e64 s[6:7], 0, v38
	v_add_u32_e32 v38, 1, v2
	v_cndmask_b32_e64 v12, v2, v12, s[6:7]
	v_fma_f32 v2, -v38, v2, v1
	v_cmp_lt_f32_e64 s[6:7], 0, v2
	v_cndmask_b32_e64 v2, v12, v38, s[6:7]
	v_mul_f32_e32 v12, 0x37800000, v2
	v_cndmask_b32_e32 v2, v2, v12, vcc
	v_cmp_class_f32_e32 vcc, v1, v19
	v_cndmask_b32_e32 v1, v2, v1, vcc
	v_div_scale_f32 v2, s[6:7], v1, v1, v11
	v_div_scale_f32 v12, vcc, v11, v1, v11
	v_rcp_f32_e32 v38, v2
	v_fma_f32 v39, -v2, v38, 1.0
	v_fmac_f32_e32 v38, v39, v38
	v_mul_f32_e32 v39, v12, v38
	v_fma_f32 v42, -v2, v39, v12
	v_fmac_f32_e32 v39, v42, v38
	v_fma_f32 v2, -v2, v39, v12
	v_div_fmas_f32 v2, v2, v38, v39
	v_mul_f32_e64 v42, |v3|, s63
	v_div_fixup_f32 v43, v2, v1, v11
.LBB56_345:                             ;   in Loop: Header=BB56_5 Depth=1
	s_or_b64 exec, exec, s[40:41]
.LBB56_346:                             ;   in Loop: Header=BB56_5 Depth=1
	s_or_b64 exec, exec, s[38:39]
                                        ; implicit-def: $vgpr1
.LBB56_347:                             ;   in Loop: Header=BB56_5 Depth=1
	s_andn2_saveexec_b64 s[36:37], s[36:37]
	s_cbranch_execz .LBB56_349
; %bb.348:                              ;   in Loop: Header=BB56_5 Depth=1
	v_mul_f32_e64 v2, |v4|, s51
	v_cmp_lt_f32_e64 vcc, |v4|, s50
	v_cndmask_b32_e64 v2, |v4|, v2, vcc
	v_sqrt_f32_e32 v11, v2
	v_add_f32_e32 v1, 1.0, v1
	v_mul_f32_e32 v1, 0.5, v1
	v_mov_b32_e32 v42, 1.0
	v_add_u32_e32 v12, -1, v11
	v_fma_f32 v39, -v12, v11, v2
	v_add_u32_e32 v38, 1, v11
	v_cmp_ge_f32_e64 s[6:7], 0, v39
	v_cndmask_b32_e64 v12, v11, v12, s[6:7]
	v_fma_f32 v11, -v38, v11, v2
	v_cmp_lt_f32_e64 s[6:7], 0, v11
	v_cndmask_b32_e64 v11, v12, v38, s[6:7]
	v_mul_f32_e32 v12, 0x37800000, v11
	v_cndmask_b32_e32 v11, v11, v12, vcc
	v_mul_f32_e32 v12, 0x4f800000, v1
	v_cmp_gt_f32_e32 vcc, s50, v1
	v_cndmask_b32_e32 v1, v1, v12, vcc
	v_sqrt_f32_e32 v12, v1
	v_cmp_class_f32_e64 s[6:7], v2, v19
	v_cndmask_b32_e64 v2, v11, v2, s[6:7]
	v_add_u32_e32 v11, -1, v12
	v_fma_f32 v38, -v11, v12, v1
	v_cmp_ge_f32_e64 s[6:7], 0, v38
	v_add_u32_e32 v38, 1, v12
	v_cndmask_b32_e64 v11, v12, v11, s[6:7]
	v_fma_f32 v12, -v38, v12, v1
	v_cmp_lt_f32_e64 s[6:7], 0, v12
	v_cndmask_b32_e64 v11, v11, v38, s[6:7]
	v_mul_f32_e32 v12, 0x37800000, v11
	v_cndmask_b32_e32 v11, v11, v12, vcc
	v_cmp_class_f32_e32 vcc, v1, v19
	v_cndmask_b32_e32 v1, v11, v1, vcc
	v_mul_f32_e32 v43, v2, v1
.LBB56_349:                             ;   in Loop: Header=BB56_5 Depth=1
	s_or_b64 exec, exec, s[36:37]
	s_mov_b64 s[6:7], exec
.LBB56_350:                             ;   in Loop: Header=BB56_5 Depth=1
	s_or_b64 exec, exec, s[34:35]
                                        ; implicit-def: $vgpr1
.LBB56_351:                             ;   in Loop: Header=BB56_5 Depth=1
	s_andn2_saveexec_b64 s[30:31], s[30:31]
; %bb.352:                              ;   in Loop: Header=BB56_5 Depth=1
	v_mul_f32_e32 v43, 0x4b800000, v1
	v_mul_f32_e64 v42, |v3|, s64
	s_or_b64 s[6:7], s[6:7], exec
                                        ; implicit-def: $vgpr41
; %bb.353:                              ;   in Loop: Header=BB56_5 Depth=1
	s_or_b64 exec, exec, s[30:31]
	s_xor_b64 s[6:7], s[6:7], -1
                                        ; implicit-def: $vgpr1
	s_and_saveexec_b64 s[30:31], s[6:7]
	s_xor_b64 s[6:7], exec, s[30:31]
	s_cbranch_execz .LBB56_355
; %bb.354:                              ;   in Loop: Header=BB56_5 Depth=1
	v_fma_f32 v1, |v41|, -0.5, 0.5
	v_mul_f32_e32 v2, v41, v41
	v_cmp_ge_f32_e64 vcc, |v41|, 0.5
	v_cndmask_b32_e32 v1, v2, v1, vcc
	v_mov_b32_e32 v2, 0x3c5fc5da
	v_fmac_f32_e32 v2, 0x3d1c21a7, v1
	v_fma_f32 v2, v1, v2, v21
	v_fma_f32 v2, v1, v2, v22
	v_sqrt_f32_e32 v11, v1
	v_fma_f32 v2, v1, v2, v23
	v_fma_f32 v2, v1, v2, v24
	v_mul_f32_e32 v1, v1, v2
	v_fmac_f32_e32 v11, v11, v1
	v_add_f32_e32 v2, v11, v11
	v_sub_f32_e32 v2, 0x3fc90fdb, v2
	v_fma_f32 v1, |v41|, v1, |v41|
	v_cmp_lt_f32_e64 vcc, |v41|, 0.5
	v_cndmask_b32_e32 v1, v2, v1, vcc
	v_bfi_b32 v1, s47, v1, v41
                                        ; implicit-def: $vgpr42
                                        ; implicit-def: $vgpr43
.LBB56_355:                             ;   in Loop: Header=BB56_5 Depth=1
	s_andn2_saveexec_b64 s[30:31], s[6:7]
	s_cbranch_execz .LBB56_357
; %bb.356:                              ;   in Loop: Header=BB56_5 Depth=1
	v_max_f32_e32 v1, v42, v42
	v_max_f32_e64 v2, |v43|, |v43|
	v_min_f32_e32 v11, v2, v1
	v_max_f32_e32 v1, v2, v1
	v_frexp_mant_f32_e32 v2, v1
	v_rcp_f32_e32 v2, v2
	v_frexp_exp_i32_f32_e32 v1, v1
	v_frexp_exp_i32_f32_e32 v12, v11
	v_frexp_mant_f32_e32 v11, v11
	v_mul_f32_e32 v2, v11, v2
	v_sub_u32_e32 v1, v12, v1
	v_ldexp_f32 v1, v2, v1
	v_mul_f32_e32 v2, v1, v1
	v_mov_b32_e32 v11, 0xbc7a590c
	v_fmac_f32_e32 v11, 0x3b2d2a58, v2
	v_fma_f32 v11, v2, v11, v25
	v_fma_f32 v11, v2, v11, v26
	;; [unrolled: 1-line block ×6, first 2 shown]
	v_mul_f32_e32 v2, v2, v11
	v_fmac_f32_e32 v1, v1, v2
	v_sub_f32_e32 v2, 0x3fc90fdb, v1
	v_cmp_gt_f32_e64 vcc, v42, |v43|
	v_cndmask_b32_e32 v1, v1, v2, vcc
	v_sub_f32_e32 v2, 0x40490fdb, v1
	v_cmp_gt_f32_e32 vcc, 0, v43
	v_cmp_gt_i32_e64 s[6:7], 0, v43
	v_cndmask_b32_e32 v1, v1, v2, vcc
	v_cndmask_b32_e64 v2, 0, v35, s[6:7]
	v_cndmask_b32_e32 v11, v36, v37, vcc
	v_cmp_class_f32_e64 s[34:35], v43, s65
	v_cmp_eq_f32_e32 vcc, s48, v42
	v_cmp_eq_f32_e64 s[6:7], 0, v42
	v_cndmask_b32_e64 v1, |v1|, v2, s[6:7]
	s_and_b64 vcc, vcc, s[34:35]
	v_cndmask_b32_e32 v1, v1, v11, vcc
	v_cmp_o_f32_e32 vcc, v43, v43
	v_cndmask_b32_e32 v1, v33, v1, vcc
.LBB56_357:                             ;   in Loop: Header=BB56_5 Depth=1
	s_or_b64 exec, exec, s[30:31]
	v_bfi_b32 v4, s47, v40, v4
	v_bfi_b32 v3, s47, v1, v3
.LBB56_358:                             ;   in Loop: Header=BB56_5 Depth=1
	s_or_b64 exec, exec, s[28:29]
.LBB56_359:                             ;   in Loop: Header=BB56_5 Depth=1
	s_or_b64 exec, exec, s[26:27]
	v_mov_b32_e32 v11, v3
	v_mov_b32_e32 v12, v4
                                        ; implicit-def: $vgpr1_vgpr2_vgpr3_vgpr4
                                        ; implicit-def: $vgpr1
                                        ; implicit-def: $vgpr38
                                        ; implicit-def: $vgpr39
.LBB56_360:                             ;   in Loop: Header=BB56_5 Depth=1
	s_andn2_saveexec_b64 s[26:27], s[8:9]
	s_cbranch_execz .LBB56_382
; %bb.361:                              ;   in Loop: Header=BB56_5 Depth=1
	v_cmp_lt_i32_e32 vcc, -1, v4
                                        ; implicit-def: $sgpr28_sgpr29
                                        ; implicit-def: $vgpr2
                                        ; implicit-def: $vgpr11
	s_and_saveexec_b64 s[6:7], vcc
	s_xor_b64 s[30:31], exec, s[6:7]
	s_cbranch_execz .LBB56_371
; %bb.362:                              ;   in Loop: Header=BB56_5 Depth=1
	v_cmp_lt_f32_e64 s[6:7], |v4|, |v3|
	v_cndmask_b32_e64 v12, |v4|, |v3|, s[6:7]
	v_cmp_nlt_f32_e32 vcc, s66, v12
                                        ; implicit-def: $vgpr2
                                        ; implicit-def: $vgpr11
	s_and_saveexec_b64 s[8:9], vcc
	s_xor_b64 s[28:29], exec, s[8:9]
	s_cbranch_execz .LBB56_368
; %bb.363:                              ;   in Loop: Header=BB56_5 Depth=1
	v_cndmask_b32_e64 v40, |v3|, |v4|, s[6:7]
	v_cmp_nlt_f32_e32 vcc, s67, v12
	v_cmp_ngt_f32_e64 s[8:9], s68, v40
	s_and_b64 s[8:9], vcc, s[8:9]
                                        ; implicit-def: $vgpr2
                                        ; implicit-def: $vgpr11
	s_and_saveexec_b64 s[34:35], s[8:9]
	s_xor_b64 s[8:9], exec, s[34:35]
	s_cbranch_execz .LBB56_365
; %bb.364:                              ;   in Loop: Header=BB56_5 Depth=1
	v_mul_f32_e32 v2, v40, v40
	v_fmac_f32_e32 v2, v12, v12
	v_cmp_gt_f32_e32 vcc, s52, v2
	v_cndmask_b32_e64 v11, 0, 32, vcc
	v_ldexp_f32 v2, v2, v11
	v_log_f32_e32 v2, v2
	v_cndmask_b32_e32 v11, 0, v32, vcc
	s_waitcnt lgkmcnt(0)
	v_min_f32_e32 v1, v38, v1
	v_frexp_exp_i32_f32_e32 v38, v1
	v_mul_f32_e32 v12, 0x3f317217, v2
	v_fma_f32 v12, v2, s53, -v12
	v_fmac_f32_e32 v12, 0x3377d1cf, v2
	v_fmac_f32_e32 v12, 0x3f317217, v2
	v_cmp_lt_f32_e64 vcc, |v2|, s48
	v_cndmask_b32_e32 v2, v2, v12, vcc
	v_sub_f32_e32 v2, v2, v11
	v_frexp_mant_f32_e32 v11, v39
	v_rcp_f32_e32 v11, v11
	v_frexp_exp_i32_f32_e32 v12, v39
	v_frexp_mant_f32_e32 v1, v1
	v_mul_f32_e32 v2, 0.5, v2
	v_mul_f32_e32 v1, v1, v11
	v_sub_u32_e32 v11, v38, v12
	v_ldexp_f32 v11, v1, v11
	v_mul_f32_e32 v1, v11, v11
	v_mov_b32_e32 v12, 0xbc7a590c
	v_fmac_f32_e32 v12, 0x3b2d2a58, v1
	v_fma_f32 v12, v1, v12, v25
	v_fma_f32 v12, v1, v12, v26
	;; [unrolled: 1-line block ×6, first 2 shown]
	v_mul_f32_e32 v1, v1, v12
	v_fmac_f32_e32 v11, v11, v1
                                        ; implicit-def: $vgpr39
                                        ; implicit-def: $vgpr38
                                        ; implicit-def: $vgpr1
.LBB56_365:                             ;   in Loop: Header=BB56_5 Depth=1
	s_andn2_saveexec_b64 s[8:9], s[8:9]
	s_cbranch_execz .LBB56_367
; %bb.366:                              ;   in Loop: Header=BB56_5 Depth=1
	v_cvt_f64_f32_e32 v[11:12], v39
	v_cmp_neq_f32_e32 vcc, s48, v39
	s_waitcnt lgkmcnt(0)
	v_min_f32_e32 v1, v38, v1
	v_frexp_exp_i32_f32_e32 v40, v1
	v_frexp_exp_i32_f64_e32 v2, v[11:12]
	v_frexp_mant_f32_e32 v12, v39
	v_rcp_f32_e32 v12, v12
	v_frexp_mant_f32_e32 v1, v1
	v_frexp_exp_i32_f32_e32 v11, v39
	v_sub_u32_e32 v11, v40, v11
	v_mul_f32_e32 v1, v1, v12
	v_ldexp_f32 v11, v1, v11
	v_sub_u32_e32 v41, 0, v2
	v_ldexp_f32 v42, |v4|, v41
	v_ldexp_f32 v41, |v3|, v41
	v_mul_f32_e32 v41, v41, v41
	v_fmac_f32_e32 v41, v42, v42
	v_sqrt_f32_e32 v41, v41
	v_mov_b32_e32 v38, 0xbc7a590c
	v_mul_f32_e32 v1, v11, v11
	v_fmac_f32_e32 v38, 0x3b2d2a58, v1
	v_ldexp_f32 v2, v41, v2
	v_cndmask_b32_e32 v2, v31, v2, vcc
	v_cmp_gt_f32_e32 vcc, s52, v2
	v_cndmask_b32_e64 v12, 0, 32, vcc
	v_ldexp_f32 v2, v2, v12
	v_log_f32_e32 v2, v2
	v_cndmask_b32_e32 v12, 0, v32, vcc
	v_mul_f32_e32 v39, 0x3f317217, v2
	v_fma_f32 v39, v2, s53, -v39
	v_fmac_f32_e32 v39, 0x3377d1cf, v2
	v_fmac_f32_e32 v39, 0x3f317217, v2
	v_cmp_lt_f32_e64 vcc, |v2|, s48
	v_cndmask_b32_e32 v2, v2, v39, vcc
	v_sub_f32_e32 v2, v2, v12
	v_fma_f32 v12, v1, v38, v25
	v_fma_f32 v12, v1, v12, v26
	;; [unrolled: 1-line block ×6, first 2 shown]
	v_mul_f32_e32 v1, v1, v12
	v_fmac_f32_e32 v11, v11, v1
.LBB56_367:                             ;   in Loop: Header=BB56_5 Depth=1
	s_or_b64 exec, exec, s[8:9]
                                        ; implicit-def: $vgpr38
                                        ; implicit-def: $vgpr1
                                        ; implicit-def: $vgpr39
.LBB56_368:                             ;   in Loop: Header=BB56_5 Depth=1
	s_andn2_saveexec_b64 s[28:29], s[28:29]
	s_cbranch_execz .LBB56_370
; %bb.369:                              ;   in Loop: Header=BB56_5 Depth=1
	v_div_scale_f32 v2, s[8:9], s69, s69, v4
	v_div_scale_f32 v11, s[8:9], s69, s69, v3
	v_div_scale_f32 v12, vcc, v4, s69, v4
	v_div_scale_f32 v40, s[8:9], v3, s69, v3
	v_rcp_f32_e32 v41, v2
	v_rcp_f32_e32 v42, v11
	v_fma_f32 v43, -v2, v41, 1.0
	v_fmac_f32_e32 v41, v43, v41
	v_fma_f32 v44, -v11, v42, 1.0
	v_fmac_f32_e32 v42, v44, v42
	v_mul_f32_e32 v43, v12, v41
	v_mul_f32_e32 v44, v40, v42
	v_fma_f32 v45, -v2, v43, v12
	v_fma_f32 v46, -v11, v44, v40
	v_fmac_f32_e32 v43, v45, v41
	v_fmac_f32_e32 v44, v46, v42
	v_fma_f32 v2, -v2, v43, v12
	v_fma_f32 v11, -v11, v44, v40
	v_div_fmas_f32 v2, v2, v41, v43
	s_mov_b64 vcc, s[8:9]
	v_div_fmas_f32 v11, v11, v42, v44
	s_waitcnt lgkmcnt(0)
	v_min_f32_e32 v12, v38, v1
	v_frexp_exp_i32_f32_e32 v38, v39
	v_frexp_mant_f32_e32 v39, v39
	v_mov_b32_e32 v40, 0xbc7a590c
	v_div_fixup_f32 v41, v2, s69, v4
	v_div_fixup_f32 v42, v11, s69, v3
	v_max_f32_e64 v43, v41, |v42|
	v_cvt_f64_f32_e32 v[1:2], v43
	v_rcp_f32_e32 v11, v39
	v_frexp_exp_i32_f32_e32 v39, v12
	v_cmp_neq_f32_e32 vcc, s48, v43
	v_frexp_exp_i32_f64_e32 v1, v[1:2]
	v_sub_u32_e32 v2, v39, v38
	v_frexp_mant_f32_e32 v12, v12
	v_mul_f32_e32 v11, v12, v11
	v_ldexp_f32 v11, v11, v2
	v_mul_f32_e32 v2, v11, v11
	v_fmac_f32_e32 v40, 0x3b2d2a58, v2
	v_fma_f32 v12, v2, v40, v25
	v_sub_u32_e32 v38, 0, v1
	v_ldexp_f32 v39, v41, v38
	v_ldexp_f32 v38, |v42|, v38
	v_mul_f32_e32 v38, v38, v38
	v_fmac_f32_e32 v38, v39, v39
	v_sqrt_f32_e32 v38, v38
	v_fma_f32 v12, v2, v12, v26
	v_fma_f32 v12, v2, v12, v27
	;; [unrolled: 1-line block ×3, first 2 shown]
	v_ldexp_f32 v1, v38, v1
	v_cndmask_b32_e32 v1, v31, v1, vcc
	v_cmp_gt_f32_e32 vcc, s52, v1
	v_cndmask_b32_e64 v38, 0, 32, vcc
	v_ldexp_f32 v1, v1, v38
	v_log_f32_e32 v1, v1
	v_fma_f32 v12, v2, v12, v29
	v_fma_f32 v12, v2, v12, v30
	v_mul_f32_e32 v12, v2, v12
	v_mul_f32_e32 v38, 0x3f317217, v1
	v_fma_f32 v38, v1, s53, -v38
	v_fmac_f32_e32 v38, 0x3377d1cf, v1
	v_cndmask_b32_e32 v2, 0, v32, vcc
	v_fmac_f32_e32 v38, 0x3f317217, v1
	v_cmp_lt_f32_e64 vcc, |v1|, s48
	v_cndmask_b32_e32 v1, v1, v38, vcc
	v_sub_f32_e32 v1, v1, v2
	v_add_f32_e32 v2, 1.0, v1
	v_fmac_f32_e32 v11, v11, v12
.LBB56_370:                             ;   in Loop: Header=BB56_5 Depth=1
	s_or_b64 exec, exec, s[28:29]
	s_waitcnt lgkmcnt(0)
	v_sub_f32_e32 v1, 0x3fc90fdb, v11
	v_cndmask_b32_e64 v1, v11, v1, s[6:7]
	v_cmp_neq_f32_e32 vcc, 0, v3
	v_cndmask_b32_e32 v11, 0, v1, vcc
	v_cmp_class_f32_e64 s[28:29], v4, s65
                                        ; implicit-def: $vgpr1
.LBB56_371:                             ;   in Loop: Header=BB56_5 Depth=1
	s_andn2_saveexec_b64 s[30:31], s[30:31]
	s_cbranch_execz .LBB56_381
; %bb.372:                              ;   in Loop: Header=BB56_5 Depth=1
	v_cmp_gt_f32_e64 s[6:7], |v3|, -v4
	v_cndmask_b32_e64 v12, -v4, |v3|, s[6:7]
	v_cmp_nlt_f32_e32 vcc, s66, v12
                                        ; implicit-def: $vgpr2
                                        ; implicit-def: $vgpr11
	s_and_saveexec_b64 s[8:9], vcc
	s_xor_b64 s[34:35], exec, s[8:9]
	s_cbranch_execz .LBB56_378
; %bb.373:                              ;   in Loop: Header=BB56_5 Depth=1
	v_xor_b32_e32 v2, 0x80000000, v4
	v_cndmask_b32_e64 v38, |v3|, v2, s[6:7]
	v_cmp_nlt_f32_e32 vcc, s67, v12
	v_cmp_ngt_f32_e64 s[8:9], s68, v38
	s_and_b64 s[8:9], vcc, s[8:9]
                                        ; implicit-def: $vgpr2
                                        ; implicit-def: $vgpr11
	s_and_saveexec_b64 s[36:37], s[8:9]
	s_xor_b64 s[8:9], exec, s[36:37]
	s_cbranch_execz .LBB56_375
; %bb.374:                              ;   in Loop: Header=BB56_5 Depth=1
	v_mul_f32_e32 v2, v38, v38
	v_fmac_f32_e32 v2, v12, v12
	v_cmp_gt_f32_e32 vcc, s52, v2
	v_cndmask_b32_e64 v11, 0, 32, vcc
	v_ldexp_f32 v2, v2, v11
	v_log_f32_e32 v2, v2
	v_cndmask_b32_e32 v11, 0, v32, vcc
	v_mul_f32_e32 v12, 0x3f317217, v2
	v_fma_f32 v12, v2, s53, -v12
	v_fmac_f32_e32 v12, 0x3377d1cf, v2
	v_fmac_f32_e32 v12, 0x3f317217, v2
	v_cmp_lt_f32_e64 vcc, |v2|, s48
	v_cndmask_b32_e32 v2, v2, v12, vcc
	v_sub_f32_e32 v2, v2, v11
	v_max_f32_e64 v11, -v4, -v4
	s_waitcnt lgkmcnt(0)
	v_min_f32_e32 v12, v11, v1
	v_max_f32_e32 v1, v11, v1
	v_frexp_mant_f32_e32 v11, v1
	v_rcp_f32_e32 v11, v11
	v_frexp_exp_i32_f32_e32 v1, v1
	v_frexp_exp_i32_f32_e32 v38, v12
	v_frexp_mant_f32_e32 v12, v12
	v_mul_f32_e32 v11, v12, v11
	v_sub_u32_e32 v1, v38, v1
	v_ldexp_f32 v11, v11, v1
	v_mul_f32_e32 v1, v11, v11
	v_mov_b32_e32 v12, 0xbc7a590c
	v_fmac_f32_e32 v12, 0x3b2d2a58, v1
	v_fma_f32 v12, v1, v12, v25
	v_fma_f32 v12, v1, v12, v26
	;; [unrolled: 1-line block ×6, first 2 shown]
	v_mul_f32_e32 v1, v1, v12
	v_mul_f32_e32 v2, 0.5, v2
	v_fmac_f32_e32 v11, v11, v1
                                        ; implicit-def: $vgpr1
.LBB56_375:                             ;   in Loop: Header=BB56_5 Depth=1
	s_andn2_saveexec_b64 s[8:9], s[8:9]
	s_cbranch_execz .LBB56_377
; %bb.376:                              ;   in Loop: Header=BB56_5 Depth=1
	v_max_f32_e64 v2, -v4, -v4
	s_waitcnt lgkmcnt(0)
	v_max_f32_e32 v38, v2, v1
	v_cvt_f64_f32_e32 v[11:12], v38
	v_frexp_mant_f32_e32 v39, v38
	v_rcp_f32_e32 v39, v39
	v_cmp_neq_f32_e32 vcc, s48, v38
	v_frexp_exp_i32_f64_e32 v11, v[11:12]
	v_min_f32_e32 v1, v2, v1
	v_frexp_exp_i32_f32_e32 v2, v38
	v_frexp_exp_i32_f32_e32 v40, v1
	v_frexp_mant_f32_e32 v1, v1
	v_sub_u32_e32 v2, v40, v2
	v_mul_f32_e32 v1, v1, v39
	v_mov_b32_e32 v12, 0xbc7a590c
	v_sub_u32_e32 v41, 0, v11
	v_ldexp_f32 v42, -v4, v41
	v_ldexp_f32 v41, |v3|, v41
	v_mul_f32_e32 v41, v41, v41
	v_fmac_f32_e32 v41, v42, v42
	v_sqrt_f32_e32 v41, v41
	v_ldexp_f32 v11, v41, v11
	v_cndmask_b32_e32 v11, v31, v11, vcc
	v_cmp_gt_f32_e32 vcc, s52, v11
	v_cndmask_b32_e64 v38, 0, 32, vcc
	v_ldexp_f32 v11, v11, v38
	v_log_f32_e32 v38, v11
	v_ldexp_f32 v11, v1, v2
	v_mul_f32_e32 v1, v11, v11
	v_fmac_f32_e32 v12, 0x3b2d2a58, v1
	v_fma_f32 v12, v1, v12, v25
	v_fma_f32 v12, v1, v12, v26
	v_mul_f32_e32 v39, 0x3f317217, v38
	v_fma_f32 v12, v1, v12, v27
	v_fma_f32 v39, v38, s53, -v39
	v_fma_f32 v12, v1, v12, v28
	v_fmac_f32_e32 v39, 0x3377d1cf, v38
	v_fma_f32 v12, v1, v12, v29
	v_cndmask_b32_e32 v2, 0, v32, vcc
	v_fmac_f32_e32 v39, 0x3f317217, v38
	v_cmp_lt_f32_e64 vcc, |v38|, s48
	v_fma_f32 v12, v1, v12, v30
	v_cndmask_b32_e32 v38, v38, v39, vcc
	v_mul_f32_e32 v1, v1, v12
	v_sub_f32_e32 v2, v38, v2
	v_fmac_f32_e32 v11, v11, v1
.LBB56_377:                             ;   in Loop: Header=BB56_5 Depth=1
	s_or_b64 exec, exec, s[8:9]
                                        ; implicit-def: $vgpr1
.LBB56_378:                             ;   in Loop: Header=BB56_5 Depth=1
	s_andn2_saveexec_b64 s[34:35], s[34:35]
	s_cbranch_execz .LBB56_380
; %bb.379:                              ;   in Loop: Header=BB56_5 Depth=1
	v_div_scale_f32 v2, s[8:9], s70, s70, v4
	v_div_scale_f32 v11, s[8:9], s70, s70, v3
	v_div_scale_f32 v12, vcc, v4, s70, v4
	v_div_scale_f32 v38, s[8:9], v3, s70, v3
	v_rcp_f32_e32 v39, v2
	v_rcp_f32_e32 v40, v11
	v_fma_f32 v41, -v2, v39, 1.0
	v_fmac_f32_e32 v39, v41, v39
	v_fma_f32 v42, -v11, v40, 1.0
	v_fmac_f32_e32 v40, v42, v40
	v_mul_f32_e32 v41, v12, v39
	v_mul_f32_e32 v42, v38, v40
	v_fma_f32 v43, -v2, v41, v12
	v_fma_f32 v44, -v11, v42, v38
	v_fmac_f32_e32 v41, v43, v39
	v_fmac_f32_e32 v42, v44, v40
	v_fma_f32 v2, -v2, v41, v12
	v_fma_f32 v11, -v11, v42, v38
	v_div_fmas_f32 v2, v2, v39, v41
	s_mov_b64 vcc, s[8:9]
	v_div_fmas_f32 v11, v11, v40, v42
	v_max_f32_e64 v12, -v4, -v4
	s_waitcnt lgkmcnt(0)
	v_min_f32_e32 v39, v12, v1
	v_max_f32_e32 v1, v12, v1
	v_frexp_exp_i32_f32_e32 v12, v1
	v_frexp_mant_f32_e32 v40, v1
	v_rcp_f32_e32 v40, v40
	v_mov_b32_e32 v38, 0xbc7a590c
	v_div_fixup_f32 v41, v2, s70, v4
	v_div_fixup_f32 v42, v11, s70, v3
	v_max_f32_e64 v43, |v41|, |v42|
	v_cvt_f64_f32_e32 v[1:2], v43
	v_frexp_exp_i32_f32_e32 v11, v39
	v_frexp_mant_f32_e32 v39, v39
	v_cmp_neq_f32_e32 vcc, s48, v43
	v_frexp_exp_i32_f64_e32 v1, v[1:2]
	v_sub_u32_e32 v2, v11, v12
	v_mul_f32_e32 v11, v39, v40
	v_ldexp_f32 v11, v11, v2
	v_mul_f32_e32 v2, v11, v11
	v_fmac_f32_e32 v38, 0x3b2d2a58, v2
	v_fma_f32 v12, v2, v38, v25
	v_fma_f32 v12, v2, v12, v26
	v_sub_u32_e32 v38, 0, v1
	v_ldexp_f32 v39, |v41|, v38
	v_ldexp_f32 v38, |v42|, v38
	v_mul_f32_e32 v38, v38, v38
	v_fmac_f32_e32 v38, v39, v39
	v_sqrt_f32_e32 v38, v38
	v_fma_f32 v12, v2, v12, v27
	v_fma_f32 v12, v2, v12, v28
	;; [unrolled: 1-line block ×3, first 2 shown]
	v_ldexp_f32 v1, v38, v1
	v_cndmask_b32_e32 v1, v31, v1, vcc
	v_cmp_gt_f32_e32 vcc, s52, v1
	v_cndmask_b32_e64 v38, 0, 32, vcc
	v_ldexp_f32 v1, v1, v38
	v_log_f32_e32 v1, v1
	v_fma_f32 v12, v2, v12, v30
	v_mul_f32_e32 v12, v2, v12
	v_cndmask_b32_e32 v2, 0, v32, vcc
	v_mul_f32_e32 v38, 0x3f317217, v1
	v_fma_f32 v38, v1, s53, -v38
	v_fmac_f32_e32 v38, 0x3377d1cf, v1
	v_fmac_f32_e32 v38, 0x3f317217, v1
	v_cmp_lt_f32_e64 vcc, |v1|, s48
	v_cndmask_b32_e32 v1, v1, v38, vcc
	v_sub_f32_e32 v1, v1, v2
	v_add_f32_e32 v2, 1.0, v1
	v_fmac_f32_e32 v11, v11, v12
.LBB56_380:                             ;   in Loop: Header=BB56_5 Depth=1
	s_or_b64 exec, exec, s[34:35]
	s_waitcnt lgkmcnt(0)
	v_sub_f32_e32 v1, 0x3fc90fdb, v11
	v_cndmask_b32_e64 v1, v11, v1, s[6:7]
	v_cmp_neq_f32_e32 vcc, 0, v3
	v_cndmask_b32_e32 v11, 0, v1, vcc
	v_cmp_eq_f32_e32 vcc, s58, v4
	s_andn2_b64 s[6:7], s[28:29], exec
	s_and_b64 s[8:9], vcc, exec
	s_or_b64 s[28:29], s[6:7], s[8:9]
.LBB56_381:                             ;   in Loop: Header=BB56_5 Depth=1
	s_or_b64 exec, exec, s[30:31]
	v_cmp_class_f32_e64 s[6:7], v3, s65
	s_and_b64 vcc, s[6:7], s[28:29]
	s_waitcnt lgkmcnt(0)
	v_cndmask_b32_e32 v1, v11, v36, vcc
	v_add_f32_e32 v2, 0x3f317218, v2
	v_bfi_b32 v12, s47, v2, v4
	v_bfi_b32 v11, s47, v1, v3
.LBB56_382:                             ;   in Loop: Header=BB56_5 Depth=1
	s_or_b64 exec, exec, s[26:27]
                                        ; implicit-def: $vgpr4
.LBB56_383:                             ;   in Loop: Header=BB56_5 Depth=1
	s_andn2_saveexec_b64 s[6:7], s[24:25]
	s_cbranch_execz .LBB56_4
; %bb.384:                              ;   in Loop: Header=BB56_5 Depth=1
	v_cmp_neq_f32_e64 s[8:9], |v4|, s48
	s_and_saveexec_b64 s[24:25], s[8:9]
	s_xor_b64 s[8:9], exec, s[24:25]
	s_cbranch_execz .LBB56_394
; %bb.385:                              ;   in Loop: Header=BB56_5 Depth=1
	v_cmp_neq_f32_e64 s[24:25], |v3|, s48
	s_and_saveexec_b64 s[26:27], s[24:25]
	s_xor_b64 s[24:25], exec, s[26:27]
	s_cbranch_execz .LBB56_391
; %bb.386:                              ;   in Loop: Header=BB56_5 Depth=1
	v_cmp_neq_f32_e32 vcc, 0, v3
	s_and_saveexec_b64 s[26:27], vcc
	s_xor_b64 s[26:27], exec, s[26:27]
	s_cbranch_execz .LBB56_388
; %bb.387:                              ;   in Loop: Header=BB56_5 Depth=1
	s_waitcnt lgkmcnt(0)
	v_add_f32_e32 v1, 0, v4
	v_add_f32_e32 v11, v3, v1
                                        ; implicit-def: $vgpr1_vgpr2_vgpr3_vgpr4
.LBB56_388:                             ;   in Loop: Header=BB56_5 Depth=1
	s_or_saveexec_b64 s[26:27], s[26:27]
	v_mov_b32_e32 v12, v11
	s_xor_b64 exec, exec, s[26:27]
; %bb.389:                              ;   in Loop: Header=BB56_5 Depth=1
	v_add_f32_e32 v12, v4, v4
	v_mov_b32_e32 v11, v3
; %bb.390:                              ;   in Loop: Header=BB56_5 Depth=1
	s_or_b64 exec, exec, s[26:27]
                                        ; implicit-def: $vgpr1_vgpr2_vgpr3_vgpr4
.LBB56_391:                             ;   in Loop: Header=BB56_5 Depth=1
	s_andn2_saveexec_b64 s[24:25], s[24:25]
; %bb.392:                              ;   in Loop: Header=BB56_5 Depth=1
	v_add_f32_e32 v11, v4, v4
	v_mov_b32_e32 v12, v3
; %bb.393:                              ;   in Loop: Header=BB56_5 Depth=1
	s_or_b64 exec, exec, s[24:25]
                                        ; implicit-def: $vgpr1_vgpr2_vgpr3_vgpr4
.LBB56_394:                             ;   in Loop: Header=BB56_5 Depth=1
	s_andn2_saveexec_b64 s[8:9], s[8:9]
	s_cbranch_execz .LBB56_3
; %bb.395:                              ;   in Loop: Header=BB56_5 Depth=1
	v_add_f32_e32 v11, v3, v3
	v_mov_b32_e32 v12, v4
	s_branch .LBB56_3
.LBB56_396:
	s_or_b64 exec, exec, s[14:15]
	s_mov_b64 s[6:7], 0
.LBB56_397:
	s_andn2_b64 vcc, exec, s[6:7]
	s_cbranch_vccnz .LBB56_809
; %bb.398:
	v_cmp_lt_i64_e64 s[6:7], s[10:11], 1
	s_and_b64 vcc, exec, s[6:7]
	s_cbranch_vccnz .LBB56_809
; %bb.399:
	v_mov_b32_e32 v1, 0x10000
	s_load_dword s6, s[4:5], 0xc5c
	v_mov_b32_e32 v2, 0
	v_cmp_lt_i64_e32 vcc, s[10:11], v[1:2]
	s_mov_b64 s[16:17], src_private_base
	s_and_b64 s[4:5], vcc, exec
	v_cmp_lt_u64_e32 vcc, s[10:11], v[1:2]
	s_cselect_b32 s19, s11, 0
	s_cselect_b32 s18, s10, 0x10000
	s_waitcnt lgkmcnt(0)
	s_and_b32 s47, s6, 0xffff
	s_and_b64 s[4:5], vcc, exec
	s_cselect_b32 s21, s11, 0
	s_cselect_b32 s20, s10, 0x10000
	s_lshl_b32 s48, s47, 1
	s_mul_i32 s49, s47, 3
	s_lshl_b32 s50, s47, 2
	s_mov_b32 s16, 0
	s_mov_b32 s22, 4
	;; [unrolled: 1-line block ×3, first 2 shown]
	s_mov_b64 s[24:25], 0
	s_mov_b32 s51, 0x4b000000
	v_mov_b32_e32 v17, 0xd800000
	s_mov_b32 s52, 0x395db3d7
	s_brev_b32 s53, -2
	s_mov_b32 s54, 0x7f800000
	s_mov_b32 s55, 0x41200000
	s_mov_b32 s56, 0xf800000
	s_mov_b32 s57, 0x4f800000
	v_mov_b32_e32 v18, 0x260
	s_mov_b32 s58, 0x800000
	s_mov_b32 s59, 0x3f317217
	;; [unrolled: 1-line block ×3, first 2 shown]
	s_brev_b32 s61, 44
	s_mov_b32 s62, 0x3f2aaaab
	v_mov_b32_e32 v19, 0x3f2aaada
	s_mov_b32 s63, 0x3f317218
	s_mov_b32 s64, 0xff800000
	;; [unrolled: 1-line block ×8, first 2 shown]
	v_mov_b32_e32 v20, 0x3d034c3c
	v_mov_b32_e32 v21, 0x3d3641b1
	;; [unrolled: 1-line block ×10, first 2 shown]
	s_movk_i32 s71, 0x204
	s_mov_b32 s72, 0x7effffff
	s_mov_b32 s73, 0x5e000000
	s_brev_b32 s74, 4
	s_mov_b32 s75, 0x402df854
	s_mov_b32 s76, 0xc02df854
	v_mov_b32_e32 v30, 0x7f800000
	v_mov_b32_e32 v31, 0x41b17218
	v_mov_b32_e32 v32, 0x7fc00000
	v_mov_b32_e32 v33, 0xff800000
	v_mov_b32_e32 v34, 0x40490fdb
	v_mov_b32_e32 v35, 0x3f490fdb
	v_mov_b32_e32 v36, 0x4016cbe4
	s_branch .LBB56_401
.LBB56_400:                             ;   in Loop: Header=BB56_401 Depth=1
	s_or_b64 exec, exec, s[4:5]
	s_add_u32 s24, s24, s50
	v_mov_b32_e32 v1, s18
	s_addc_u32 s25, s25, 0
	v_mov_b32_e32 v2, s19
	v_cmp_ge_i64_e32 vcc, s[24:25], v[1:2]
	s_cbranch_vccnz .LBB56_809
.LBB56_401:                             ; =>This Inner Loop Header: Depth=1
	v_mov_b32_e32 v2, s25
	v_add_co_u32_e32 v1, vcc, s24, v0
	v_addc_co_u32_e32 v2, vcc, 0, v2, vcc
	v_cmp_gt_u64_e64 s[4:5], s[20:21], v[1:2]
	v_mov_b32_e32 v10, 0
	v_mov_b32_e32 v9, 0
	s_and_saveexec_b64 s[6:7], s[4:5]
	s_cbranch_execz .LBB56_403
; %bb.402:                              ;   in Loop: Header=BB56_401 Depth=1
	v_lshlrev_b64 v[3:4], 3, v[1:2]
	v_mov_b32_e32 v5, s44
	v_add_co_u32_e32 v3, vcc, s33, v3
	v_addc_co_u32_e32 v4, vcc, v5, v4, vcc
	global_load_dwordx2 v[9:10], v[3:4], off
.LBB56_403:                             ;   in Loop: Header=BB56_401 Depth=1
	s_or_b64 exec, exec, s[6:7]
	v_add_co_u32_e32 v3, vcc, s47, v1
	v_addc_co_u32_e32 v4, vcc, 0, v2, vcc
	v_cmp_gt_u64_e64 s[6:7], s[20:21], v[3:4]
	v_mov_b32_e32 v6, 0
	v_mov_b32_e32 v14, 0
	;; [unrolled: 1-line block ×3, first 2 shown]
	s_and_saveexec_b64 s[8:9], s[6:7]
	s_cbranch_execz .LBB56_405
; %bb.404:                              ;   in Loop: Header=BB56_401 Depth=1
	v_lshlrev_b64 v[7:8], 3, v[3:4]
	v_mov_b32_e32 v5, s44
	v_add_co_u32_e32 v7, vcc, s33, v7
	v_addc_co_u32_e32 v8, vcc, v5, v8, vcc
	global_load_dwordx2 v[13:14], v[7:8], off
.LBB56_405:                             ;   in Loop: Header=BB56_401 Depth=1
	s_or_b64 exec, exec, s[8:9]
	v_add_co_u32_e32 v7, vcc, s48, v1
	v_addc_co_u32_e32 v8, vcc, 0, v2, vcc
	v_cmp_gt_u64_e64 s[8:9], s[20:21], v[7:8]
	v_mov_b32_e32 v5, 0
	s_and_saveexec_b64 s[10:11], s[8:9]
	s_cbranch_execz .LBB56_407
; %bb.406:                              ;   in Loop: Header=BB56_401 Depth=1
	v_lshlrev_b64 v[5:6], 3, v[7:8]
	v_mov_b32_e32 v11, s44
	v_add_co_u32_e32 v5, vcc, s33, v5
	v_addc_co_u32_e32 v6, vcc, v11, v6, vcc
	global_load_dwordx2 v[5:6], v[5:6], off
.LBB56_407:                             ;   in Loop: Header=BB56_401 Depth=1
	s_or_b64 exec, exec, s[10:11]
	v_add_co_u32_e32 v11, vcc, s49, v1
	v_addc_co_u32_e32 v12, vcc, 0, v2, vcc
	v_cmp_gt_u64_e64 s[10:11], s[20:21], v[11:12]
	v_mov_b32_e32 v16, 0
	v_mov_b32_e32 v15, 0
	s_and_saveexec_b64 s[12:13], s[10:11]
	s_cbranch_execz .LBB56_409
; %bb.408:                              ;   in Loop: Header=BB56_401 Depth=1
	v_lshlrev_b64 v[15:16], 3, v[11:12]
	s_waitcnt lgkmcnt(0)
	v_mov_b32_e32 v37, s44
	v_add_co_u32_e32 v15, vcc, s33, v15
	v_addc_co_u32_e32 v16, vcc, v37, v16, vcc
	global_load_dwordx2 v[15:16], v[15:16], off
.LBB56_409:                             ;   in Loop: Header=BB56_401 Depth=1
	s_or_b64 exec, exec, s[12:13]
	s_waitcnt vmcnt(0)
	v_cmp_o_f32_e32 vcc, v10, v9
	s_and_saveexec_b64 s[12:13], vcc
	s_xor_b64 s[26:27], exec, s[12:13]
	s_cbranch_execz .LBB56_493
; %bb.410:                              ;   in Loop: Header=BB56_401 Depth=1
	s_waitcnt lgkmcnt(0)
	v_max_f32_e64 v37, |v9|, |v9|
	v_max_f32_e64 v40, |v10|, |v10|
	v_max_f32_e32 v39, v40, v37
	v_cmp_nlt_f32_e32 vcc, s51, v39
	s_and_saveexec_b64 s[12:13], vcc
	s_xor_b64 s[14:15], exec, s[12:13]
	s_cbranch_execz .LBB56_470
; %bb.411:                              ;   in Loop: Header=BB56_401 Depth=1
	v_cmp_neq_f32_e32 vcc, 0, v10
	v_cmp_neq_f32_e64 s[12:13], 0, v9
	s_or_b64 s[12:13], vcc, s[12:13]
	s_and_saveexec_b64 s[28:29], s[12:13]
	s_cbranch_execz .LBB56_469
; %bb.412:                              ;   in Loop: Header=BB56_401 Depth=1
	v_mov_b32_e32 v38, s17
	v_mov_b32_e32 v37, s16
	flat_store_dword v[37:38], v17
	s_waitcnt vmcnt(0)
	flat_load_dword v37, v[37:38] glc
	s_waitcnt vmcnt(0)
	v_cmp_nlt_f32_e64 s[12:13], |v10|, s52
	v_cmp_nlt_f32_e64 s[30:31], |v9|, s52
	s_or_b64 s[12:13], s[12:13], s[30:31]
	s_waitcnt lgkmcnt(0)
	v_add_f32_e32 v39, 1.0, v37
	v_mov_b32_e32 v38, s23
	v_mov_b32_e32 v37, s22
	flat_store_dword v[37:38], v39
	s_waitcnt vmcnt(0)
	flat_load_dword v37, v[37:38] glc
	s_waitcnt vmcnt(0)
	s_and_saveexec_b64 s[30:31], s[12:13]
	s_cbranch_execz .LBB56_468
; %bb.413:                              ;   in Loop: Header=BB56_401 Depth=1
	v_add_f32_e64 v39, |v9|, 1.0
	s_waitcnt lgkmcnt(0)
	v_max_f32_e32 v37, v40, v39
	v_add_f32_e64 v38, |v9|, -1.0
	v_cvt_f64_f32_e32 v[41:42], v37
	v_max_f32_e64 v40, v40, |v38|
	v_cvt_f64_f32_e32 v[43:44], v40
	v_cmp_neq_f32_e32 vcc, s54, v37
	v_frexp_exp_i32_f64_e32 v41, v[41:42]
	v_frexp_exp_i32_f64_e32 v42, v[43:44]
	v_sub_u32_e32 v43, 0, v41
	v_ldexp_f32 v45, |v10|, v43
	v_sub_u32_e32 v44, 0, v42
	v_ldexp_f32 v43, v39, v43
	v_ldexp_f32 v46, |v10|, v44
	v_ldexp_f32 v44, |v38|, v44
	v_mul_f32_e32 v43, v43, v43
	v_mul_f32_e32 v44, v44, v44
	v_fmac_f32_e32 v43, v45, v45
	v_fmac_f32_e32 v44, v46, v46
	v_sqrt_f32_e32 v43, v43
	v_sqrt_f32_e32 v44, v44
	v_ldexp_f32 v41, v43, v41
	v_ldexp_f32 v43, v44, v42
	v_cndmask_b32_e32 v42, v30, v41, vcc
	v_cmp_neq_f32_e32 vcc, s54, v40
	v_cndmask_b32_e32 v40, v30, v43, vcc
	v_add_f32_e32 v37, v42, v40
	v_mul_f32_e32 v37, 0.5, v37
	v_cmp_ngt_f32_e32 vcc, 1.0, v37
	v_cndmask_b32_e32 v37, 1.0, v37, vcc
	v_cmp_ngt_f32_e32 vcc, s55, v37
                                        ; implicit-def: $vgpr43
	s_and_saveexec_b64 s[12:13], vcc
	s_xor_b64 s[34:35], exec, s[12:13]
	s_cbranch_execz .LBB56_415
; %bb.414:                              ;   in Loop: Header=BB56_401 Depth=1
	v_fma_f32 v41, v37, v37, -1.0
	v_mul_f32_e32 v43, 0x4f800000, v41
	v_cmp_gt_f32_e32 vcc, s56, v41
	v_cndmask_b32_e32 v41, v41, v43, vcc
	v_sqrt_f32_e32 v43, v41
	v_add_u32_e32 v44, -1, v43
	v_fma_f32 v46, -v44, v43, v41
	v_add_u32_e32 v45, 1, v43
	v_cmp_ge_f32_e64 s[12:13], 0, v46
	v_cndmask_b32_e64 v44, v43, v44, s[12:13]
	v_fma_f32 v43, -v45, v43, v41
	v_cmp_lt_f32_e64 s[12:13], 0, v43
	v_cndmask_b32_e64 v43, v44, v45, s[12:13]
	v_mul_f32_e32 v44, 0x37800000, v43
	v_cndmask_b32_e32 v43, v43, v44, vcc
	v_cmp_class_f32_e32 vcc, v41, v18
	v_cndmask_b32_e32 v41, v43, v41, vcc
	v_add_f32_e32 v41, v37, v41
	v_cmp_gt_f32_e32 vcc, s58, v41
	v_cndmask_b32_e64 v43, 0, 32, vcc
	v_ldexp_f32 v41, v41, v43
	v_log_f32_e32 v41, v41
	v_mul_f32_e32 v43, 0x3f317217, v41
	v_fma_f32 v43, v41, s59, -v43
	v_fmac_f32_e32 v43, 0x3377d1cf, v41
	v_fmac_f32_e32 v43, 0x3f317217, v41
	v_cmp_lt_f32_e64 s[12:13], |v41|, s54
	v_cndmask_b32_e64 v41, v41, v43, s[12:13]
	v_cndmask_b32_e32 v43, 0, v31, vcc
	v_sub_f32_e32 v43, v41, v43
.LBB56_415:                             ;   in Loop: Header=BB56_401 Depth=1
	s_or_saveexec_b64 s[34:35], s[34:35]
	v_and_b32_e32 v41, 0x7fffffff, v10
	s_xor_b64 exec, exec, s[34:35]
	s_cbranch_execz .LBB56_437
; %bb.416:                              ;   in Loop: Header=BB56_401 Depth=1
	v_cmp_neq_f32_e64 s[12:13], |v9|, 1.0
	v_cmp_nlt_f32_e64 s[36:37], |v10|, s60
	s_or_b64 s[12:13], s[36:37], s[12:13]
                                        ; implicit-def: $vgpr43
	s_and_saveexec_b64 s[36:37], s[12:13]
	s_xor_b64 s[36:37], exec, s[36:37]
	s_cbranch_execz .LBB56_434
; %bb.417:                              ;   in Loop: Header=BB56_401 Depth=1
	v_mul_f32_e64 v43, |v38|, s61
	v_cmp_ge_f32_e64 s[12:13], |v10|, v43
                                        ; implicit-def: $vgpr43
	s_and_saveexec_b64 s[38:39], s[12:13]
	s_xor_b64 s[38:39], exec, s[38:39]
	s_cbranch_execz .LBB56_427
; %bb.418:                              ;   in Loop: Header=BB56_401 Depth=1
	v_cmp_neq_f32_e32 vcc, 0, v39
	v_mov_b32_e32 v43, v41
	s_and_saveexec_b64 s[12:13], vcc
	s_cbranch_execz .LBB56_420
; %bb.419:                              ;   in Loop: Header=BB56_401 Depth=1
	v_mul_f32_e32 v43, v10, v10
	v_add_f32_e32 v44, v39, v42
	v_div_scale_f32 v45, s[40:41], v44, v44, v43
	v_div_scale_f32 v46, vcc, v43, v44, v43
	v_rcp_f32_e32 v47, v45
	v_fma_f32 v48, -v45, v47, 1.0
	v_fmac_f32_e32 v47, v48, v47
	v_mul_f32_e32 v48, v46, v47
	v_fma_f32 v49, -v45, v48, v46
	v_fmac_f32_e32 v48, v49, v47
	v_fma_f32 v45, -v45, v48, v46
	v_div_fmas_f32 v45, v45, v47, v48
	v_div_fixup_f32 v43, v45, v44, v43
.LBB56_420:                             ;   in Loop: Header=BB56_401 Depth=1
	s_or_b64 exec, exec, s[12:13]
	v_sub_f32_e64 v45, 1.0, |v9|
	v_cmp_ngt_f32_e32 vcc, 0, v45
                                        ; implicit-def: $vgpr44
	s_and_saveexec_b64 s[12:13], vcc
	s_xor_b64 s[12:13], exec, s[12:13]
	s_cbranch_execz .LBB56_424
; %bb.421:                              ;   in Loop: Header=BB56_401 Depth=1
	v_cmp_neq_f32_e32 vcc, 0, v45
	v_mov_b32_e32 v44, v41
	s_and_saveexec_b64 s[40:41], vcc
	s_cbranch_execz .LBB56_423
; %bb.422:                              ;   in Loop: Header=BB56_401 Depth=1
	v_mul_f32_e32 v44, v10, v10
	v_add_f32_e32 v45, v45, v40
	v_div_scale_f32 v46, s[42:43], v45, v45, v44
	v_div_scale_f32 v47, vcc, v44, v45, v44
	v_rcp_f32_e32 v48, v46
	v_fma_f32 v49, -v46, v48, 1.0
	v_fmac_f32_e32 v48, v49, v48
	v_mul_f32_e32 v49, v47, v48
	v_fma_f32 v50, -v46, v49, v47
	v_fmac_f32_e32 v49, v50, v48
	v_fma_f32 v46, -v46, v49, v47
	v_div_fmas_f32 v46, v46, v48, v49
	v_div_fixup_f32 v44, v46, v45, v44
.LBB56_423:                             ;   in Loop: Header=BB56_401 Depth=1
	s_or_b64 exec, exec, s[40:41]
                                        ; implicit-def: $vgpr45
.LBB56_424:                             ;   in Loop: Header=BB56_401 Depth=1
	s_andn2_saveexec_b64 s[12:13], s[12:13]
; %bb.425:                              ;   in Loop: Header=BB56_401 Depth=1
	v_sub_f32_e32 v44, v40, v45
; %bb.426:                              ;   in Loop: Header=BB56_401 Depth=1
	s_or_b64 exec, exec, s[12:13]
	v_mul_f32_e32 v44, 0.5, v44
	v_fmac_f32_e32 v44, 0.5, v43
	v_add_f32_e32 v43, 1.0, v37
	v_mul_f32_e32 v43, v43, v44
	v_mul_f32_e32 v45, 0x4f800000, v43
	v_cmp_gt_f32_e32 vcc, s56, v43
	v_cndmask_b32_e32 v43, v43, v45, vcc
	v_sqrt_f32_e32 v45, v43
	v_add_u32_e32 v46, -1, v45
	v_fma_f32 v47, -v46, v45, v43
	v_cmp_ge_f32_e64 s[12:13], 0, v47
	v_add_u32_e32 v47, 1, v45
	v_cndmask_b32_e64 v46, v45, v46, s[12:13]
	v_fma_f32 v45, -v47, v45, v43
	v_cmp_lt_f32_e64 s[12:13], 0, v45
	v_cndmask_b32_e64 v45, v46, v47, s[12:13]
	v_mul_f32_e32 v46, 0x37800000, v45
	v_cndmask_b32_e32 v45, v45, v46, vcc
	v_cmp_class_f32_e32 vcc, v43, v18
	v_cndmask_b32_e32 v43, v45, v43, vcc
	v_add_f32_e32 v45, v44, v43
	v_add_f32_e32 v46, 1.0, v45
	v_cvt_f64_f32_e32 v[43:44], v46
	v_add_f32_e32 v47, -1.0, v46
	v_frexp_exp_i32_f64_e32 v43, v[43:44]
	v_sub_f32_e32 v44, v47, v46
	v_add_f32_e32 v44, 1.0, v44
	v_sub_f32_e32 v47, v45, v47
	v_add_f32_e32 v44, v47, v44
	v_frexp_mant_f32_e32 v47, v46
	v_cmp_gt_f32_e32 vcc, s62, v47
	v_subbrev_co_u32_e32 v43, vcc, 0, v43, vcc
	v_sub_u32_e32 v47, 0, v43
	v_ldexp_f32 v46, v46, v47
	v_ldexp_f32 v44, v44, v47
	v_add_f32_e32 v47, -1.0, v46
	v_add_f32_e32 v50, 1.0, v46
	v_add_f32_e32 v48, 1.0, v47
	v_add_f32_e32 v51, -1.0, v50
	v_sub_f32_e32 v48, v46, v48
	v_sub_f32_e32 v46, v46, v51
	v_add_f32_e32 v48, v44, v48
	v_add_f32_e32 v44, v44, v46
	;; [unrolled: 1-line block ×3, first 2 shown]
	v_rcp_f32_e32 v51, v46
	v_add_f32_e32 v49, v47, v48
	v_sub_f32_e32 v47, v49, v47
	v_sub_f32_e32 v47, v48, v47
	;; [unrolled: 1-line block ×4, first 2 shown]
	v_mul_f32_e32 v48, v49, v51
	v_mul_f32_e32 v50, v46, v48
	v_fma_f32 v52, v48, v46, -v50
	v_fmac_f32_e32 v52, v48, v44
	v_add_f32_e32 v53, v50, v52
	v_sub_f32_e32 v54, v49, v53
	v_sub_f32_e32 v49, v49, v54
	;; [unrolled: 1-line block ×4, first 2 shown]
	v_add_f32_e32 v47, v47, v49
	v_sub_f32_e32 v49, v50, v52
	v_add_f32_e32 v47, v49, v47
	v_add_f32_e32 v49, v54, v47
	v_mul_f32_e32 v50, v51, v49
	v_mul_f32_e32 v52, v46, v50
	v_fma_f32 v46, v50, v46, -v52
	v_fmac_f32_e32 v46, v50, v44
	v_sub_f32_e32 v44, v54, v49
	v_add_f32_e32 v44, v47, v44
	v_add_f32_e32 v47, v52, v46
	v_sub_f32_e32 v53, v49, v47
	v_sub_f32_e32 v49, v49, v53
	;; [unrolled: 1-line block ×4, first 2 shown]
	v_add_f32_e32 v44, v44, v47
	v_sub_f32_e32 v46, v52, v46
	v_cvt_f32_i32_e32 v43, v43
	v_add_f32_e32 v44, v46, v44
	v_add_f32_e32 v46, v48, v50
	;; [unrolled: 1-line block ×3, first 2 shown]
	v_sub_f32_e32 v47, v46, v48
	v_mul_f32_e32 v44, v51, v44
	v_sub_f32_e32 v47, v50, v47
	v_add_f32_e32 v44, v47, v44
	v_mul_f32_e32 v50, 0x3f317218, v43
	v_add_f32_e32 v47, v46, v44
	v_fma_f32 v51, v43, s63, -v50
	v_mul_f32_e32 v48, v47, v47
	v_mov_b32_e32 v49, 0x3ecc95a3
	v_fmac_f32_e32 v51, 0xb102e308, v43
	v_sub_f32_e32 v43, v47, v46
	v_fmac_f32_e32 v49, 0x3e9b6dac, v48
	v_sub_f32_e32 v43, v44, v43
	v_add_f32_e32 v44, v50, v51
	v_fma_f32 v49, v48, v49, v19
	v_sub_f32_e32 v46, v44, v50
	v_ldexp_f32 v50, v47, 1
	v_mul_f32_e32 v47, v47, v48
	v_mul_f32_e32 v47, v47, v49
	v_add_f32_e32 v48, v50, v47
	v_sub_f32_e32 v49, v48, v50
	v_ldexp_f32 v43, v43, 1
	v_sub_f32_e32 v47, v47, v49
	v_add_f32_e32 v43, v43, v47
	v_add_f32_e32 v47, v48, v43
	v_sub_f32_e32 v48, v47, v48
	v_sub_f32_e32 v43, v43, v48
	v_add_f32_e32 v48, v44, v47
	v_sub_f32_e32 v49, v48, v44
	v_sub_f32_e32 v50, v48, v49
	;; [unrolled: 1-line block ×5, first 2 shown]
	v_add_f32_e32 v44, v47, v44
	v_add_f32_e32 v47, v46, v43
	v_sub_f32_e32 v49, v47, v46
	v_sub_f32_e32 v50, v47, v49
	v_sub_f32_e32 v46, v46, v50
	v_sub_f32_e32 v43, v43, v49
	v_add_f32_e32 v44, v47, v44
	v_add_f32_e32 v43, v43, v46
	;; [unrolled: 1-line block ×3, first 2 shown]
	v_sub_f32_e32 v47, v46, v48
	v_sub_f32_e32 v44, v44, v47
	v_add_f32_e32 v43, v43, v44
	v_add_f32_e32 v43, v46, v43
	v_cmp_neq_f32_e32 vcc, s54, v45
	v_cndmask_b32_e32 v43, v30, v43, vcc
	v_cmp_ngt_f32_e32 vcc, -1.0, v45
	v_cndmask_b32_e32 v43, v32, v43, vcc
	v_cmp_neq_f32_e32 vcc, -1.0, v45
	v_cndmask_b32_e32 v43, v33, v43, vcc
	v_cmp_lt_f32_e64 vcc, |v45|, s65
	v_cndmask_b32_e32 v43, v43, v45, vcc
.LBB56_427:                             ;   in Loop: Header=BB56_401 Depth=1
	s_andn2_saveexec_b64 s[38:39], s[38:39]
	s_cbranch_execz .LBB56_433
; %bb.428:                              ;   in Loop: Header=BB56_401 Depth=1
	v_cmp_nlt_f32_e64 s[12:13], |v9|, 1.0
                                        ; implicit-def: $vgpr43
	s_and_saveexec_b64 s[40:41], s[12:13]
	s_xor_b64 s[40:41], exec, s[40:41]
	s_cbranch_execz .LBB56_430
; %bb.429:                              ;   in Loop: Header=BB56_401 Depth=1
	v_mul_f32_e32 v43, v38, v39
	v_mul_f32_e32 v44, 0x4f800000, v43
	v_cmp_gt_f32_e32 vcc, s56, v43
	v_cndmask_b32_e32 v43, v43, v44, vcc
	v_sqrt_f32_e32 v44, v43
	v_add_u32_e32 v45, -1, v44
	v_fma_f32 v47, -v45, v44, v43
	v_add_u32_e32 v46, 1, v44
	v_cmp_ge_f32_e64 s[12:13], 0, v47
	v_cndmask_b32_e64 v45, v44, v45, s[12:13]
	v_fma_f32 v44, -v46, v44, v43
	v_cmp_lt_f32_e64 s[12:13], 0, v44
	v_cndmask_b32_e64 v44, v45, v46, s[12:13]
	v_mul_f32_e32 v45, 0x37800000, v44
	v_cndmask_b32_e32 v44, v44, v45, vcc
	v_cmp_class_f32_e32 vcc, v43, v18
	v_cndmask_b32_e32 v43, v44, v43, vcc
	v_add_f32_e32 v45, v38, v43
	v_add_f32_e32 v46, 1.0, v45
	v_cvt_f64_f32_e32 v[43:44], v46
	v_add_f32_e32 v47, -1.0, v46
	v_frexp_exp_i32_f64_e32 v43, v[43:44]
	v_sub_f32_e32 v44, v47, v46
	v_add_f32_e32 v44, 1.0, v44
	v_sub_f32_e32 v47, v45, v47
	v_add_f32_e32 v44, v47, v44
	v_frexp_mant_f32_e32 v47, v46
	v_cmp_gt_f32_e32 vcc, s62, v47
	v_subbrev_co_u32_e32 v43, vcc, 0, v43, vcc
	v_sub_u32_e32 v47, 0, v43
	v_ldexp_f32 v46, v46, v47
	v_ldexp_f32 v44, v44, v47
	v_add_f32_e32 v47, -1.0, v46
	v_add_f32_e32 v50, 1.0, v46
	v_add_f32_e32 v48, 1.0, v47
	v_add_f32_e32 v51, -1.0, v50
	v_sub_f32_e32 v48, v46, v48
	v_sub_f32_e32 v46, v46, v51
	v_add_f32_e32 v48, v44, v48
	v_add_f32_e32 v44, v44, v46
	;; [unrolled: 1-line block ×3, first 2 shown]
	v_rcp_f32_e32 v51, v46
	v_add_f32_e32 v49, v47, v48
	v_sub_f32_e32 v47, v49, v47
	v_sub_f32_e32 v47, v48, v47
	;; [unrolled: 1-line block ×4, first 2 shown]
	v_mul_f32_e32 v48, v49, v51
	v_mul_f32_e32 v50, v46, v48
	v_fma_f32 v52, v48, v46, -v50
	v_fmac_f32_e32 v52, v48, v44
	v_add_f32_e32 v53, v50, v52
	v_sub_f32_e32 v54, v49, v53
	v_sub_f32_e32 v49, v49, v54
	;; [unrolled: 1-line block ×4, first 2 shown]
	v_add_f32_e32 v47, v47, v49
	v_sub_f32_e32 v49, v50, v52
	v_add_f32_e32 v47, v49, v47
	v_add_f32_e32 v49, v54, v47
	v_mul_f32_e32 v50, v51, v49
	v_mul_f32_e32 v52, v46, v50
	v_fma_f32 v46, v50, v46, -v52
	v_fmac_f32_e32 v46, v50, v44
	v_sub_f32_e32 v44, v54, v49
	v_add_f32_e32 v44, v47, v44
	v_add_f32_e32 v47, v52, v46
	v_sub_f32_e32 v53, v49, v47
	v_sub_f32_e32 v49, v49, v53
	;; [unrolled: 1-line block ×4, first 2 shown]
	v_add_f32_e32 v44, v44, v47
	v_sub_f32_e32 v46, v52, v46
	v_cvt_f32_i32_e32 v43, v43
	v_add_f32_e32 v44, v46, v44
	v_add_f32_e32 v46, v48, v50
	;; [unrolled: 1-line block ×3, first 2 shown]
	v_sub_f32_e32 v47, v46, v48
	v_mul_f32_e32 v44, v51, v44
	v_sub_f32_e32 v47, v50, v47
	v_add_f32_e32 v44, v47, v44
	v_mul_f32_e32 v50, 0x3f317218, v43
	v_add_f32_e32 v47, v46, v44
	v_fma_f32 v51, v43, s63, -v50
	v_mul_f32_e32 v48, v47, v47
	v_mov_b32_e32 v49, 0x3ecc95a3
	v_fmac_f32_e32 v51, 0xb102e308, v43
	v_sub_f32_e32 v43, v47, v46
	v_fmac_f32_e32 v49, 0x3e9b6dac, v48
	v_sub_f32_e32 v43, v44, v43
	v_add_f32_e32 v44, v50, v51
	v_fma_f32 v49, v48, v49, v19
	v_sub_f32_e32 v46, v44, v50
	v_ldexp_f32 v50, v47, 1
	v_mul_f32_e32 v47, v47, v48
	v_mul_f32_e32 v47, v47, v49
	v_add_f32_e32 v48, v50, v47
	v_sub_f32_e32 v49, v48, v50
	v_ldexp_f32 v43, v43, 1
	v_sub_f32_e32 v47, v47, v49
	v_add_f32_e32 v43, v43, v47
	v_add_f32_e32 v47, v48, v43
	v_sub_f32_e32 v48, v47, v48
	v_sub_f32_e32 v43, v43, v48
	v_add_f32_e32 v48, v44, v47
	v_sub_f32_e32 v49, v48, v44
	v_sub_f32_e32 v50, v48, v49
	;; [unrolled: 1-line block ×5, first 2 shown]
	v_add_f32_e32 v44, v47, v44
	v_add_f32_e32 v47, v46, v43
	v_sub_f32_e32 v49, v47, v46
	v_sub_f32_e32 v50, v47, v49
	;; [unrolled: 1-line block ×4, first 2 shown]
	v_add_f32_e32 v44, v47, v44
	v_add_f32_e32 v43, v43, v46
	;; [unrolled: 1-line block ×3, first 2 shown]
	v_sub_f32_e32 v47, v46, v48
	v_sub_f32_e32 v44, v44, v47
	v_add_f32_e32 v43, v43, v44
	v_add_f32_e32 v43, v46, v43
	v_cmp_neq_f32_e32 vcc, s54, v45
	v_cndmask_b32_e32 v43, v30, v43, vcc
	v_cmp_ngt_f32_e32 vcc, -1.0, v45
	v_cndmask_b32_e32 v43, v32, v43, vcc
	v_cmp_neq_f32_e32 vcc, -1.0, v45
	v_cndmask_b32_e32 v43, v33, v43, vcc
	v_cmp_lt_f32_e64 vcc, |v45|, s65
	v_cndmask_b32_e32 v43, v43, v45, vcc
.LBB56_430:                             ;   in Loop: Header=BB56_401 Depth=1
	s_andn2_saveexec_b64 s[40:41], s[40:41]
	s_cbranch_execz .LBB56_432
; %bb.431:                              ;   in Loop: Header=BB56_401 Depth=1
	v_sub_f32_e64 v43, 1.0, |v9|
	v_mul_f32_e32 v43, v43, v39
	v_mul_f32_e32 v44, 0x4f800000, v43
	v_cmp_gt_f32_e32 vcc, s56, v43
	v_cndmask_b32_e32 v43, v43, v44, vcc
	v_sqrt_f32_e32 v44, v43
	v_add_u32_e32 v45, -1, v44
	v_fma_f32 v47, -v45, v44, v43
	v_add_u32_e32 v46, 1, v44
	v_cmp_ge_f32_e64 s[12:13], 0, v47
	v_cndmask_b32_e64 v45, v44, v45, s[12:13]
	v_fma_f32 v44, -v46, v44, v43
	v_cmp_lt_f32_e64 s[12:13], 0, v44
	v_cndmask_b32_e64 v44, v45, v46, s[12:13]
	v_mul_f32_e32 v45, 0x37800000, v44
	v_cndmask_b32_e32 v44, v44, v45, vcc
	v_cmp_class_f32_e32 vcc, v43, v18
	v_cndmask_b32_e32 v43, v44, v43, vcc
	v_and_b32_e32 v44, 0x7fffffff, v10
	v_div_scale_f32 v45, s[12:13], v43, v43, v44
	v_div_scale_f32 v44, vcc, v44, v43, v44
	v_rcp_f32_e32 v46, v45
	v_fma_f32 v47, -v45, v46, 1.0
	v_fmac_f32_e32 v46, v47, v46
	v_mul_f32_e32 v47, v44, v46
	v_fma_f32 v48, -v45, v47, v44
	v_fmac_f32_e32 v47, v48, v46
	v_fma_f32 v44, -v45, v47, v44
	v_div_fmas_f32 v44, v44, v46, v47
	v_div_fixup_f32 v43, v44, v43, |v10|
.LBB56_432:                             ;   in Loop: Header=BB56_401 Depth=1
	s_or_b64 exec, exec, s[40:41]
.LBB56_433:                             ;   in Loop: Header=BB56_401 Depth=1
	s_or_b64 exec, exec, s[38:39]
.LBB56_434:                             ;   in Loop: Header=BB56_401 Depth=1
	s_andn2_saveexec_b64 s[36:37], s[36:37]
	s_cbranch_execz .LBB56_436
; %bb.435:                              ;   in Loop: Header=BB56_401 Depth=1
	v_mul_f32_e64 v43, |v10|, s57
	v_cmp_lt_f32_e64 vcc, |v10|, s56
	v_cndmask_b32_e64 v43, |v10|, v43, vcc
	v_sqrt_f32_e32 v44, v43
	v_add_u32_e32 v45, -1, v44
	v_fma_f32 v47, -v45, v44, v43
	v_add_u32_e32 v46, 1, v44
	v_cmp_ge_f32_e64 s[12:13], 0, v47
	v_cndmask_b32_e64 v45, v44, v45, s[12:13]
	v_fma_f32 v44, -v46, v44, v43
	v_cmp_lt_f32_e64 s[12:13], 0, v44
	v_cndmask_b32_e64 v44, v45, v46, s[12:13]
	v_mul_f32_e32 v45, 0x37800000, v44
	v_cndmask_b32_e32 v44, v44, v45, vcc
	v_cmp_class_f32_e32 vcc, v43, v18
	v_cndmask_b32_e32 v43, v44, v43, vcc
.LBB56_436:                             ;   in Loop: Header=BB56_401 Depth=1
	s_or_b64 exec, exec, s[36:37]
.LBB56_437:                             ;   in Loop: Header=BB56_401 Depth=1
	s_or_b64 exec, exec, s[34:35]
	v_cmp_nlt_f32_e64 s[34:35], |v9|, s66
                                        ; implicit-def: $sgpr12_sgpr13
                                        ; implicit-def: $vgpr44
                                        ; implicit-def: $vgpr46
                                        ; implicit-def: $vgpr45
	s_and_saveexec_b64 s[36:37], s[34:35]
	s_xor_b64 s[34:35], exec, s[36:37]
	s_cbranch_execz .LBB56_461
; %bb.438:                              ;   in Loop: Header=BB56_401 Depth=1
	v_and_b32_e32 v45, 0x7fffffff, v9
	v_div_scale_f32 v44, s[12:13], v37, v37, v45
	v_div_scale_f32 v46, vcc, v45, v37, v45
	s_mov_b64 s[12:13], 0
	v_rcp_f32_e32 v47, v44
	v_fma_f32 v48, -v44, v47, 1.0
	v_fmac_f32_e32 v47, v48, v47
	v_mul_f32_e32 v48, v46, v47
	v_fma_f32 v49, -v44, v48, v46
	v_fmac_f32_e32 v48, v49, v47
	v_fma_f32 v44, -v44, v48, v46
	v_div_fmas_f32 v44, v44, v47, v48
                                        ; implicit-def: $vgpr46
	v_div_fixup_f32 v44, v44, v37, |v9|
	v_cmp_lt_f32_e32 vcc, s67, v44
	s_and_saveexec_b64 s[36:37], vcc
	s_cbranch_execz .LBB56_460
; %bb.439:                              ;   in Loop: Header=BB56_401 Depth=1
	v_cmp_neq_f32_e64 s[12:13], |v9|, 1.0
	v_cmp_nlt_f32_e64 s[38:39], |v10|, s68
	s_or_b64 s[12:13], s[38:39], s[12:13]
                                        ; implicit-def: $vgpr46
	s_and_saveexec_b64 s[38:39], s[12:13]
	s_xor_b64 s[38:39], exec, s[38:39]
	s_cbranch_execz .LBB56_457
; %bb.440:                              ;   in Loop: Header=BB56_401 Depth=1
	v_mul_f32_e64 v46, |v38|, s61
	v_cmp_ge_f32_e64 s[12:13], |v10|, v46
                                        ; implicit-def: $vgpr46
	s_and_saveexec_b64 s[40:41], s[12:13]
	s_xor_b64 s[40:41], exec, s[40:41]
	s_cbranch_execz .LBB56_450
; %bb.441:                              ;   in Loop: Header=BB56_401 Depth=1
	v_cmp_neq_f32_e32 vcc, 0, v39
	v_mov_b32_e32 v46, v41
	s_and_saveexec_b64 s[12:13], vcc
	s_cbranch_execz .LBB56_443
; %bb.442:                              ;   in Loop: Header=BB56_401 Depth=1
	v_mul_f32_e32 v46, v10, v10
	v_add_f32_e32 v39, v39, v42
	v_div_scale_f32 v42, s[42:43], v39, v39, v46
	v_div_scale_f32 v47, vcc, v46, v39, v46
	v_rcp_f32_e32 v48, v42
	v_fma_f32 v49, -v42, v48, 1.0
	v_fmac_f32_e32 v48, v49, v48
	v_mul_f32_e32 v49, v47, v48
	v_fma_f32 v50, -v42, v49, v47
	v_fmac_f32_e32 v49, v50, v48
	v_fma_f32 v42, -v42, v49, v47
	v_div_fmas_f32 v42, v42, v48, v49
	v_div_fixup_f32 v46, v42, v39, v46
.LBB56_443:                             ;   in Loop: Header=BB56_401 Depth=1
	s_or_b64 exec, exec, s[12:13]
	v_cmp_ngt_f32_e32 vcc, 0, v38
	s_and_saveexec_b64 s[12:13], vcc
	s_xor_b64 s[12:13], exec, s[12:13]
	s_cbranch_execz .LBB56_447
; %bb.444:                              ;   in Loop: Header=BB56_401 Depth=1
	v_cmp_neq_f32_e32 vcc, 0, v38
	s_and_saveexec_b64 s[42:43], vcc
	s_cbranch_execz .LBB56_446
; %bb.445:                              ;   in Loop: Header=BB56_401 Depth=1
	v_mul_f32_e32 v39, v10, v10
	v_add_f32_e32 v38, v38, v40
	v_div_scale_f32 v40, s[78:79], v38, v38, v39
	v_div_scale_f32 v41, vcc, v39, v38, v39
	v_rcp_f32_e32 v42, v40
	v_fma_f32 v47, -v40, v42, 1.0
	v_fmac_f32_e32 v42, v47, v42
	v_mul_f32_e32 v47, v41, v42
	v_fma_f32 v48, -v40, v47, v41
	v_fmac_f32_e32 v47, v48, v42
	v_fma_f32 v40, -v40, v47, v41
	v_div_fmas_f32 v40, v40, v42, v47
	v_div_fixup_f32 v41, v40, v38, v39
.LBB56_446:                             ;   in Loop: Header=BB56_401 Depth=1
	s_or_b64 exec, exec, s[42:43]
                                        ; implicit-def: $vgpr40
                                        ; implicit-def: $vgpr38
.LBB56_447:                             ;   in Loop: Header=BB56_401 Depth=1
	s_andn2_saveexec_b64 s[12:13], s[12:13]
; %bb.448:                              ;   in Loop: Header=BB56_401 Depth=1
	v_sub_f32_e32 v41, v40, v38
; %bb.449:                              ;   in Loop: Header=BB56_401 Depth=1
	s_or_b64 exec, exec, s[12:13]
	v_mul_f32_e32 v38, 0.5, v41
	v_fmac_f32_e32 v38, 0.5, v46
	v_add_f32_e64 v37, |v9|, v37
	v_mul_f32_e32 v37, v37, v38
	v_mul_f32_e32 v38, 0x4f800000, v37
	v_cmp_gt_f32_e32 vcc, s56, v37
	v_cndmask_b32_e32 v37, v37, v38, vcc
	v_sqrt_f32_e32 v38, v37
	v_add_u32_e32 v39, -1, v38
	v_fma_f32 v40, -v39, v38, v37
	v_cmp_ge_f32_e64 s[12:13], 0, v40
	v_add_u32_e32 v40, 1, v38
	v_cndmask_b32_e64 v39, v38, v39, s[12:13]
	v_fma_f32 v38, -v40, v38, v37
	v_cmp_lt_f32_e64 s[12:13], 0, v38
	v_cndmask_b32_e64 v38, v39, v40, s[12:13]
	v_mul_f32_e32 v39, 0x37800000, v38
	v_cndmask_b32_e32 v38, v38, v39, vcc
	v_cmp_class_f32_e32 vcc, v37, v18
	v_cndmask_b32_e32 v46, v38, v37, vcc
                                        ; implicit-def: $vgpr39
                                        ; implicit-def: $vgpr38
.LBB56_450:                             ;   in Loop: Header=BB56_401 Depth=1
	s_andn2_saveexec_b64 s[40:41], s[40:41]
	s_cbranch_execz .LBB56_456
; %bb.451:                              ;   in Loop: Header=BB56_401 Depth=1
	v_cmp_ngt_f32_e64 s[12:13], |v9|, 1.0
                                        ; implicit-def: $vgpr46
	s_and_saveexec_b64 s[42:43], s[12:13]
	s_xor_b64 s[42:43], exec, s[42:43]
	s_cbranch_execz .LBB56_453
; %bb.452:                              ;   in Loop: Header=BB56_401 Depth=1
	v_sub_f32_e64 v37, 1.0, |v9|
	v_mul_f32_e32 v37, v37, v39
	v_mul_f32_e32 v38, 0x4f800000, v37
	v_cmp_gt_f32_e32 vcc, s56, v37
	v_cndmask_b32_e32 v37, v37, v38, vcc
	v_sqrt_f32_e32 v38, v37
	v_add_u32_e32 v39, -1, v38
	v_fma_f32 v41, -v39, v38, v37
	v_add_u32_e32 v40, 1, v38
	v_cmp_ge_f32_e64 s[12:13], 0, v41
	v_cndmask_b32_e64 v39, v38, v39, s[12:13]
	v_fma_f32 v38, -v40, v38, v37
	v_cmp_lt_f32_e64 s[12:13], 0, v38
	v_cndmask_b32_e64 v38, v39, v40, s[12:13]
	v_mul_f32_e32 v39, 0x37800000, v38
	v_cndmask_b32_e32 v38, v38, v39, vcc
	v_cmp_class_f32_e32 vcc, v37, v18
	v_cndmask_b32_e32 v46, v38, v37, vcc
                                        ; implicit-def: $vgpr39
                                        ; implicit-def: $vgpr38
.LBB56_453:                             ;   in Loop: Header=BB56_401 Depth=1
	s_andn2_saveexec_b64 s[42:43], s[42:43]
	s_cbranch_execz .LBB56_455
; %bb.454:                              ;   in Loop: Header=BB56_401 Depth=1
	v_mul_f32_e32 v37, v39, v38
	v_mul_f32_e32 v38, 0x4f800000, v37
	v_cmp_gt_f32_e32 vcc, s56, v37
	v_cndmask_b32_e32 v37, v37, v38, vcc
	v_sqrt_f32_e32 v38, v37
	v_mul_f32_e64 v39, |v10|, s69
	v_mul_f32_e64 v39, |v9|, v39
	v_add_u32_e32 v40, -1, v38
	v_fma_f32 v41, -v40, v38, v37
	v_cmp_ge_f32_e64 s[12:13], 0, v41
	v_add_u32_e32 v41, 1, v38
	v_cndmask_b32_e64 v40, v38, v40, s[12:13]
	v_fma_f32 v38, -v41, v38, v37
	v_cmp_lt_f32_e64 s[12:13], 0, v38
	v_cndmask_b32_e64 v38, v40, v41, s[12:13]
	v_mul_f32_e32 v40, 0x37800000, v38
	v_cndmask_b32_e32 v38, v38, v40, vcc
	v_cmp_class_f32_e32 vcc, v37, v18
	v_cndmask_b32_e32 v37, v38, v37, vcc
	v_div_scale_f32 v38, s[12:13], v37, v37, v39
	v_div_scale_f32 v40, vcc, v39, v37, v39
	v_rcp_f32_e32 v41, v38
	v_fma_f32 v42, -v38, v41, 1.0
	v_fmac_f32_e32 v41, v42, v41
	v_mul_f32_e32 v42, v40, v41
	v_fma_f32 v45, -v38, v42, v40
	v_fmac_f32_e32 v42, v45, v41
	v_fma_f32 v38, -v38, v42, v40
	v_div_fmas_f32 v38, v38, v41, v42
	v_mul_f32_e64 v45, |v9|, s69
	v_div_fixup_f32 v46, v38, v37, v39
.LBB56_455:                             ;   in Loop: Header=BB56_401 Depth=1
	s_or_b64 exec, exec, s[42:43]
.LBB56_456:                             ;   in Loop: Header=BB56_401 Depth=1
	s_or_b64 exec, exec, s[40:41]
                                        ; implicit-def: $vgpr37
.LBB56_457:                             ;   in Loop: Header=BB56_401 Depth=1
	s_andn2_saveexec_b64 s[38:39], s[38:39]
	s_cbranch_execz .LBB56_459
; %bb.458:                              ;   in Loop: Header=BB56_401 Depth=1
	v_mul_f32_e64 v38, |v10|, s57
	v_cmp_lt_f32_e64 vcc, |v10|, s56
	v_cndmask_b32_e64 v38, |v10|, v38, vcc
	v_sqrt_f32_e32 v39, v38
	v_add_f32_e32 v37, 1.0, v37
	v_mul_f32_e32 v37, 0.5, v37
	v_mov_b32_e32 v45, 1.0
	v_add_u32_e32 v40, -1, v39
	v_fma_f32 v42, -v40, v39, v38
	v_add_u32_e32 v41, 1, v39
	v_cmp_ge_f32_e64 s[12:13], 0, v42
	v_cndmask_b32_e64 v40, v39, v40, s[12:13]
	v_fma_f32 v39, -v41, v39, v38
	v_cmp_lt_f32_e64 s[12:13], 0, v39
	v_cndmask_b32_e64 v39, v40, v41, s[12:13]
	v_mul_f32_e32 v40, 0x37800000, v39
	v_cndmask_b32_e32 v39, v39, v40, vcc
	v_mul_f32_e32 v40, 0x4f800000, v37
	v_cmp_gt_f32_e32 vcc, s56, v37
	v_cndmask_b32_e32 v37, v37, v40, vcc
	v_sqrt_f32_e32 v40, v37
	v_cmp_class_f32_e64 s[12:13], v38, v18
	v_cndmask_b32_e64 v38, v39, v38, s[12:13]
	v_add_u32_e32 v39, -1, v40
	v_fma_f32 v41, -v39, v40, v37
	v_cmp_ge_f32_e64 s[12:13], 0, v41
	v_add_u32_e32 v41, 1, v40
	v_cndmask_b32_e64 v39, v40, v39, s[12:13]
	v_fma_f32 v40, -v41, v40, v37
	v_cmp_lt_f32_e64 s[12:13], 0, v40
	v_cndmask_b32_e64 v39, v39, v41, s[12:13]
	v_mul_f32_e32 v40, 0x37800000, v39
	v_cndmask_b32_e32 v39, v39, v40, vcc
	v_cmp_class_f32_e32 vcc, v37, v18
	v_cndmask_b32_e32 v37, v39, v37, vcc
	v_mul_f32_e32 v46, v38, v37
.LBB56_459:                             ;   in Loop: Header=BB56_401 Depth=1
	s_or_b64 exec, exec, s[38:39]
	s_mov_b64 s[12:13], exec
.LBB56_460:                             ;   in Loop: Header=BB56_401 Depth=1
	s_or_b64 exec, exec, s[36:37]
                                        ; implicit-def: $vgpr37
.LBB56_461:                             ;   in Loop: Header=BB56_401 Depth=1
	s_andn2_saveexec_b64 s[34:35], s[34:35]
; %bb.462:                              ;   in Loop: Header=BB56_401 Depth=1
	v_mul_f32_e32 v46, 0x4b800000, v37
	v_mul_f32_e64 v45, |v9|, s70
	s_or_b64 s[12:13], s[12:13], exec
                                        ; implicit-def: $vgpr44
; %bb.463:                              ;   in Loop: Header=BB56_401 Depth=1
	s_or_b64 exec, exec, s[34:35]
	s_xor_b64 s[12:13], s[12:13], -1
                                        ; implicit-def: $vgpr37
	s_and_saveexec_b64 s[34:35], s[12:13]
	s_xor_b64 s[12:13], exec, s[34:35]
	s_cbranch_execz .LBB56_465
; %bb.464:                              ;   in Loop: Header=BB56_401 Depth=1
	v_fma_f32 v37, |v44|, -0.5, 0.5
	v_mul_f32_e32 v38, v44, v44
	v_cmp_ge_f32_e64 vcc, |v44|, 0.5
	v_cndmask_b32_e32 v37, v38, v37, vcc
	v_mov_b32_e32 v38, 0x3c5fc5da
	v_fmac_f32_e32 v38, 0x3d1c21a7, v37
	v_fma_f32 v38, v37, v38, v20
	v_fma_f32 v38, v37, v38, v21
	v_sqrt_f32_e32 v39, v37
	v_fma_f32 v38, v37, v38, v22
	v_fma_f32 v38, v37, v38, v23
	v_mul_f32_e32 v37, v37, v38
	v_fmac_f32_e32 v39, v39, v37
	v_add_f32_e32 v38, v39, v39
	v_sub_f32_e32 v38, 0x3fc90fdb, v38
	v_fma_f32 v37, |v44|, v37, |v44|
	v_cmp_lt_f32_e64 vcc, |v44|, 0.5
	v_cndmask_b32_e32 v37, v38, v37, vcc
	v_bfi_b32 v37, s53, v37, v44
                                        ; implicit-def: $vgpr45
                                        ; implicit-def: $vgpr46
.LBB56_465:                             ;   in Loop: Header=BB56_401 Depth=1
	s_andn2_saveexec_b64 s[34:35], s[12:13]
	s_cbranch_execz .LBB56_467
; %bb.466:                              ;   in Loop: Header=BB56_401 Depth=1
	v_max_f32_e32 v37, v45, v45
	v_max_f32_e64 v38, |v46|, |v46|
	v_min_f32_e32 v39, v38, v37
	v_max_f32_e32 v37, v38, v37
	v_frexp_mant_f32_e32 v38, v37
	v_rcp_f32_e32 v38, v38
	v_frexp_exp_i32_f32_e32 v37, v37
	v_frexp_exp_i32_f32_e32 v40, v39
	v_frexp_mant_f32_e32 v39, v39
	v_mul_f32_e32 v38, v39, v38
	v_sub_u32_e32 v37, v40, v37
	v_ldexp_f32 v37, v38, v37
	v_mul_f32_e32 v38, v37, v37
	v_mov_b32_e32 v39, 0xbc7a590c
	v_fmac_f32_e32 v39, 0x3b2d2a58, v38
	v_fma_f32 v39, v38, v39, v24
	v_fma_f32 v39, v38, v39, v25
	;; [unrolled: 1-line block ×6, first 2 shown]
	v_mul_f32_e32 v38, v38, v39
	v_fmac_f32_e32 v37, v37, v38
	v_sub_f32_e32 v38, 0x3fc90fdb, v37
	v_cmp_gt_f32_e64 vcc, v45, |v46|
	v_cndmask_b32_e32 v37, v37, v38, vcc
	v_sub_f32_e32 v38, 0x40490fdb, v37
	v_cmp_gt_f32_e32 vcc, 0, v46
	v_cmp_gt_i32_e64 s[12:13], 0, v46
	v_cndmask_b32_e32 v37, v37, v38, vcc
	v_cndmask_b32_e64 v38, 0, v34, s[12:13]
	v_cndmask_b32_e32 v39, v35, v36, vcc
	v_cmp_class_f32_e64 s[36:37], v46, s71
	v_cmp_eq_f32_e32 vcc, s54, v45
	v_cmp_eq_f32_e64 s[12:13], 0, v45
	v_cndmask_b32_e64 v37, |v37|, v38, s[12:13]
	s_and_b64 vcc, vcc, s[36:37]
	v_cndmask_b32_e32 v37, v37, v39, vcc
	v_cmp_o_f32_e32 vcc, v46, v46
	v_cndmask_b32_e32 v37, v32, v37, vcc
.LBB56_467:                             ;   in Loop: Header=BB56_401 Depth=1
	s_or_b64 exec, exec, s[34:35]
	v_bfi_b32 v10, s53, v43, v10
	v_bfi_b32 v9, s53, v37, v9
.LBB56_468:                             ;   in Loop: Header=BB56_401 Depth=1
	s_or_b64 exec, exec, s[30:31]
.LBB56_469:                             ;   in Loop: Header=BB56_401 Depth=1
	s_or_b64 exec, exec, s[28:29]
                                        ; implicit-def: $vgpr37
                                        ; implicit-def: $vgpr40
                                        ; implicit-def: $vgpr39
.LBB56_470:                             ;   in Loop: Header=BB56_401 Depth=1
	s_andn2_saveexec_b64 s[28:29], s[14:15]
	s_cbranch_execz .LBB56_492
; %bb.471:                              ;   in Loop: Header=BB56_401 Depth=1
	v_cmp_lt_i32_e32 vcc, -1, v10
                                        ; implicit-def: $sgpr30_sgpr31
                                        ; implicit-def: $vgpr38
                                        ; implicit-def: $vgpr41
	s_and_saveexec_b64 s[12:13], vcc
	s_xor_b64 s[34:35], exec, s[12:13]
	s_cbranch_execz .LBB56_481
; %bb.472:                              ;   in Loop: Header=BB56_401 Depth=1
	v_cmp_lt_f32_e64 s[12:13], |v10|, |v9|
	v_cndmask_b32_e64 v42, |v10|, |v9|, s[12:13]
	v_cmp_nlt_f32_e32 vcc, s72, v42
                                        ; implicit-def: $vgpr38
                                        ; implicit-def: $vgpr41
	s_and_saveexec_b64 s[14:15], vcc
	s_xor_b64 s[30:31], exec, s[14:15]
	s_cbranch_execz .LBB56_478
; %bb.473:                              ;   in Loop: Header=BB56_401 Depth=1
	v_cndmask_b32_e64 v43, |v9|, |v10|, s[12:13]
	v_cmp_nlt_f32_e32 vcc, s73, v42
	v_cmp_ngt_f32_e64 s[14:15], s74, v43
	s_and_b64 s[14:15], vcc, s[14:15]
                                        ; implicit-def: $vgpr38
                                        ; implicit-def: $vgpr41
	s_and_saveexec_b64 s[36:37], s[14:15]
	s_xor_b64 s[14:15], exec, s[36:37]
	s_cbranch_execz .LBB56_475
; %bb.474:                              ;   in Loop: Header=BB56_401 Depth=1
	v_mul_f32_e32 v38, v43, v43
	v_fmac_f32_e32 v38, v42, v42
	v_cmp_gt_f32_e32 vcc, s58, v38
	v_cndmask_b32_e64 v41, 0, 32, vcc
	v_ldexp_f32 v38, v38, v41
	v_log_f32_e32 v38, v38
	s_waitcnt lgkmcnt(0)
	v_min_f32_e32 v37, v40, v37
	v_frexp_mant_f32_e32 v40, v39
	v_rcp_f32_e32 v40, v40
	v_mul_f32_e32 v42, 0x3f317217, v38
	v_fma_f32 v42, v38, s59, -v42
	v_fmac_f32_e32 v42, 0x3377d1cf, v38
	v_cndmask_b32_e32 v41, 0, v31, vcc
	v_fmac_f32_e32 v42, 0x3f317217, v38
	v_cmp_lt_f32_e64 vcc, |v38|, s54
	v_cndmask_b32_e32 v38, v38, v42, vcc
	v_sub_f32_e32 v38, v38, v41
	v_frexp_exp_i32_f32_e32 v39, v39
	v_frexp_exp_i32_f32_e32 v41, v37
	v_frexp_mant_f32_e32 v37, v37
	v_mul_f32_e32 v37, v37, v40
	v_sub_u32_e32 v39, v41, v39
	v_ldexp_f32 v41, v37, v39
	v_mul_f32_e32 v37, v41, v41
	v_mov_b32_e32 v39, 0xbc7a590c
	v_fmac_f32_e32 v39, 0x3b2d2a58, v37
	v_fma_f32 v39, v37, v39, v24
	v_fma_f32 v39, v37, v39, v25
	;; [unrolled: 1-line block ×6, first 2 shown]
	v_mul_f32_e32 v37, v37, v39
	v_mul_f32_e32 v38, 0.5, v38
	v_fmac_f32_e32 v41, v41, v37
                                        ; implicit-def: $vgpr39
                                        ; implicit-def: $vgpr40
                                        ; implicit-def: $vgpr37
.LBB56_475:                             ;   in Loop: Header=BB56_401 Depth=1
	s_andn2_saveexec_b64 s[14:15], s[14:15]
	s_cbranch_execz .LBB56_477
; %bb.476:                              ;   in Loop: Header=BB56_401 Depth=1
	v_cvt_f64_f32_e32 v[41:42], v39
	v_cmp_neq_f32_e32 vcc, s54, v39
	s_waitcnt lgkmcnt(0)
	v_min_f32_e32 v37, v40, v37
	v_frexp_exp_i32_f32_e32 v40, v39
	v_frexp_exp_i32_f64_e32 v38, v[41:42]
	v_frexp_mant_f32_e32 v41, v39
	v_rcp_f32_e32 v41, v41
	v_frexp_exp_i32_f32_e32 v43, v37
	v_frexp_mant_f32_e32 v37, v37
	v_sub_u32_e32 v40, v43, v40
	v_mul_f32_e32 v37, v37, v41
	v_ldexp_f32 v41, v37, v40
	v_sub_u32_e32 v44, 0, v38
	v_ldexp_f32 v45, |v10|, v44
	v_ldexp_f32 v44, |v9|, v44
	v_mul_f32_e32 v44, v44, v44
	v_fmac_f32_e32 v44, v45, v45
	v_sqrt_f32_e32 v44, v44
	v_mov_b32_e32 v42, 0xbc7a590c
	v_mul_f32_e32 v37, v41, v41
	v_fmac_f32_e32 v42, 0x3b2d2a58, v37
	v_ldexp_f32 v38, v44, v38
	v_cndmask_b32_e32 v38, v30, v38, vcc
	v_cmp_gt_f32_e32 vcc, s58, v38
	v_cndmask_b32_e64 v39, 0, 32, vcc
	v_ldexp_f32 v38, v38, v39
	v_log_f32_e32 v38, v38
	v_cndmask_b32_e32 v39, 0, v31, vcc
	v_mul_f32_e32 v40, 0x3f317217, v38
	v_fma_f32 v40, v38, s59, -v40
	v_fmac_f32_e32 v40, 0x3377d1cf, v38
	v_fmac_f32_e32 v40, 0x3f317217, v38
	v_cmp_lt_f32_e64 vcc, |v38|, s54
	v_cndmask_b32_e32 v38, v38, v40, vcc
	v_sub_f32_e32 v38, v38, v39
	v_fma_f32 v39, v37, v42, v24
	v_fma_f32 v39, v37, v39, v25
	;; [unrolled: 1-line block ×6, first 2 shown]
	v_mul_f32_e32 v37, v37, v39
	v_fmac_f32_e32 v41, v41, v37
.LBB56_477:                             ;   in Loop: Header=BB56_401 Depth=1
	s_or_b64 exec, exec, s[14:15]
                                        ; implicit-def: $vgpr40
                                        ; implicit-def: $vgpr37
                                        ; implicit-def: $vgpr39
.LBB56_478:                             ;   in Loop: Header=BB56_401 Depth=1
	s_andn2_saveexec_b64 s[30:31], s[30:31]
	s_cbranch_execz .LBB56_480
; %bb.479:                              ;   in Loop: Header=BB56_401 Depth=1
	v_div_scale_f32 v38, s[14:15], s75, s75, v10
	v_div_scale_f32 v41, s[14:15], s75, s75, v9
	v_div_scale_f32 v42, vcc, v10, s75, v10
	v_div_scale_f32 v43, s[14:15], v9, s75, v9
	s_waitcnt lgkmcnt(0)
	v_min_f32_e32 v40, v40, v37
	v_rcp_f32_e32 v44, v38
	v_rcp_f32_e32 v45, v41
	v_fma_f32 v46, -v38, v44, 1.0
	v_fmac_f32_e32 v44, v46, v44
	v_fma_f32 v47, -v41, v45, 1.0
	v_fmac_f32_e32 v45, v47, v45
	v_mul_f32_e32 v46, v42, v44
	v_mul_f32_e32 v47, v43, v45
	v_fma_f32 v48, -v38, v46, v42
	v_fma_f32 v49, -v41, v47, v43
	v_fmac_f32_e32 v46, v48, v44
	v_fmac_f32_e32 v47, v49, v45
	v_fma_f32 v38, -v38, v46, v42
	v_fma_f32 v41, -v41, v47, v43
	v_div_fmas_f32 v38, v38, v44, v46
	s_mov_b64 vcc, s[14:15]
	v_div_fmas_f32 v41, v41, v45, v47
	v_frexp_exp_i32_f32_e32 v42, v39
	v_frexp_mant_f32_e32 v39, v39
	v_rcp_f32_e32 v39, v39
	v_mov_b32_e32 v43, 0xbc7a590c
	v_div_fixup_f32 v44, v38, s75, v10
	v_div_fixup_f32 v45, v41, s75, v9
	v_max_f32_e64 v46, v44, |v45|
	v_cvt_f64_f32_e32 v[37:38], v46
	v_frexp_exp_i32_f32_e32 v41, v40
	v_frexp_mant_f32_e32 v40, v40
	v_mul_f32_e32 v39, v40, v39
	v_frexp_exp_i32_f64_e32 v37, v[37:38]
	v_sub_u32_e32 v38, v41, v42
	v_cmp_neq_f32_e32 vcc, s54, v46
	v_ldexp_f32 v41, v39, v38
	v_mul_f32_e32 v38, v41, v41
	v_fmac_f32_e32 v43, 0x3b2d2a58, v38
	v_fma_f32 v39, v38, v43, v24
	v_fma_f32 v39, v38, v39, v25
	v_sub_u32_e32 v40, 0, v37
	v_ldexp_f32 v42, v44, v40
	v_ldexp_f32 v40, |v45|, v40
	v_mul_f32_e32 v40, v40, v40
	v_fmac_f32_e32 v40, v42, v42
	v_sqrt_f32_e32 v40, v40
	v_fma_f32 v39, v38, v39, v26
	v_fma_f32 v39, v38, v39, v27
	;; [unrolled: 1-line block ×3, first 2 shown]
	v_ldexp_f32 v37, v40, v37
	v_cndmask_b32_e32 v37, v30, v37, vcc
	v_cmp_gt_f32_e32 vcc, s58, v37
	v_cndmask_b32_e64 v40, 0, 32, vcc
	v_ldexp_f32 v37, v37, v40
	v_log_f32_e32 v37, v37
	v_fma_f32 v39, v38, v39, v29
	v_mul_f32_e32 v39, v38, v39
	v_cndmask_b32_e32 v38, 0, v31, vcc
	v_mul_f32_e32 v40, 0x3f317217, v37
	v_fma_f32 v40, v37, s59, -v40
	v_fmac_f32_e32 v40, 0x3377d1cf, v37
	v_fmac_f32_e32 v40, 0x3f317217, v37
	v_cmp_lt_f32_e64 vcc, |v37|, s54
	v_cndmask_b32_e32 v37, v37, v40, vcc
	v_sub_f32_e32 v37, v37, v38
	v_add_f32_e32 v38, 1.0, v37
	v_fmac_f32_e32 v41, v41, v39
.LBB56_480:                             ;   in Loop: Header=BB56_401 Depth=1
	s_or_b64 exec, exec, s[30:31]
	s_waitcnt lgkmcnt(0)
	v_sub_f32_e32 v37, 0x3fc90fdb, v41
	v_cndmask_b32_e64 v37, v41, v37, s[12:13]
	v_cmp_neq_f32_e32 vcc, 0, v9
	v_cndmask_b32_e32 v41, 0, v37, vcc
	v_cmp_class_f32_e64 s[30:31], v10, s71
                                        ; implicit-def: $vgpr37
.LBB56_481:                             ;   in Loop: Header=BB56_401 Depth=1
	s_andn2_saveexec_b64 s[34:35], s[34:35]
	s_cbranch_execz .LBB56_491
; %bb.482:                              ;   in Loop: Header=BB56_401 Depth=1
	v_cmp_gt_f32_e64 s[12:13], |v9|, -v10
	v_cndmask_b32_e64 v40, -v10, |v9|, s[12:13]
	v_cmp_nlt_f32_e32 vcc, s72, v40
                                        ; implicit-def: $vgpr38
                                        ; implicit-def: $vgpr39
	s_and_saveexec_b64 s[14:15], vcc
	s_xor_b64 s[36:37], exec, s[14:15]
	s_cbranch_execz .LBB56_488
; %bb.483:                              ;   in Loop: Header=BB56_401 Depth=1
	v_xor_b32_e32 v38, 0x80000000, v10
	v_cndmask_b32_e64 v41, |v9|, v38, s[12:13]
	v_cmp_nlt_f32_e32 vcc, s73, v40
	v_cmp_ngt_f32_e64 s[14:15], s74, v41
	s_and_b64 s[14:15], vcc, s[14:15]
                                        ; implicit-def: $vgpr38
                                        ; implicit-def: $vgpr39
	s_and_saveexec_b64 s[38:39], s[14:15]
	s_xor_b64 s[14:15], exec, s[38:39]
	s_cbranch_execz .LBB56_485
; %bb.484:                              ;   in Loop: Header=BB56_401 Depth=1
	v_mul_f32_e32 v38, v41, v41
	v_fmac_f32_e32 v38, v40, v40
	v_cmp_gt_f32_e32 vcc, s58, v38
	v_cndmask_b32_e64 v39, 0, 32, vcc
	v_ldexp_f32 v38, v38, v39
	v_log_f32_e32 v38, v38
	v_cndmask_b32_e32 v39, 0, v31, vcc
	v_mul_f32_e32 v40, 0x3f317217, v38
	v_fma_f32 v40, v38, s59, -v40
	v_fmac_f32_e32 v40, 0x3377d1cf, v38
	v_fmac_f32_e32 v40, 0x3f317217, v38
	v_cmp_lt_f32_e64 vcc, |v38|, s54
	v_cndmask_b32_e32 v38, v38, v40, vcc
	v_sub_f32_e32 v38, v38, v39
	v_max_f32_e64 v39, -v10, -v10
	s_waitcnt lgkmcnt(0)
	v_min_f32_e32 v40, v39, v37
	v_max_f32_e32 v37, v39, v37
	v_frexp_mant_f32_e32 v39, v37
	v_rcp_f32_e32 v39, v39
	v_frexp_exp_i32_f32_e32 v37, v37
	v_frexp_exp_i32_f32_e32 v41, v40
	v_frexp_mant_f32_e32 v40, v40
	v_mul_f32_e32 v39, v40, v39
	v_sub_u32_e32 v37, v41, v37
	v_ldexp_f32 v39, v39, v37
	v_mul_f32_e32 v37, v39, v39
	v_mov_b32_e32 v40, 0xbc7a590c
	v_fmac_f32_e32 v40, 0x3b2d2a58, v37
	v_fma_f32 v40, v37, v40, v24
	v_fma_f32 v40, v37, v40, v25
	;; [unrolled: 1-line block ×6, first 2 shown]
	v_mul_f32_e32 v37, v37, v40
	v_mul_f32_e32 v38, 0.5, v38
	v_fmac_f32_e32 v39, v39, v37
                                        ; implicit-def: $vgpr37
.LBB56_485:                             ;   in Loop: Header=BB56_401 Depth=1
	s_andn2_saveexec_b64 s[14:15], s[14:15]
	s_cbranch_execz .LBB56_487
; %bb.486:                              ;   in Loop: Header=BB56_401 Depth=1
	v_max_f32_e64 v40, -v10, -v10
	s_waitcnt lgkmcnt(0)
	v_max_f32_e32 v41, v40, v37
	v_cvt_f64_f32_e32 v[38:39], v41
	v_min_f32_e32 v37, v40, v37
	v_frexp_mant_f32_e32 v40, v41
	v_rcp_f32_e32 v40, v40
	v_frexp_exp_i32_f64_e32 v38, v[38:39]
	v_cmp_neq_f32_e32 vcc, s54, v41
	v_frexp_exp_i32_f32_e32 v43, v37
	v_frexp_mant_f32_e32 v37, v37
	v_mul_f32_e32 v37, v37, v40
	v_frexp_exp_i32_f32_e32 v39, v41
	v_sub_u32_e32 v39, v43, v39
	v_ldexp_f32 v39, v37, v39
	v_sub_u32_e32 v44, 0, v38
	v_ldexp_f32 v45, -v10, v44
	v_ldexp_f32 v44, |v9|, v44
	v_mul_f32_e32 v44, v44, v44
	v_fmac_f32_e32 v44, v45, v45
	v_sqrt_f32_e32 v44, v44
	v_mov_b32_e32 v42, 0xbc7a590c
	v_mul_f32_e32 v37, v39, v39
	v_fmac_f32_e32 v42, 0x3b2d2a58, v37
	v_ldexp_f32 v38, v44, v38
	v_cndmask_b32_e32 v38, v30, v38, vcc
	v_cmp_gt_f32_e32 vcc, s58, v38
	v_cndmask_b32_e64 v40, 0, 32, vcc
	v_ldexp_f32 v38, v38, v40
	v_log_f32_e32 v38, v38
	v_cndmask_b32_e32 v40, 0, v31, vcc
	v_mul_f32_e32 v41, 0x3f317217, v38
	v_fma_f32 v41, v38, s59, -v41
	v_fmac_f32_e32 v41, 0x3377d1cf, v38
	v_fmac_f32_e32 v41, 0x3f317217, v38
	v_cmp_lt_f32_e64 vcc, |v38|, s54
	v_cndmask_b32_e32 v38, v38, v41, vcc
	v_sub_f32_e32 v38, v38, v40
	v_fma_f32 v40, v37, v42, v24
	v_fma_f32 v40, v37, v40, v25
	;; [unrolled: 1-line block ×6, first 2 shown]
	v_mul_f32_e32 v37, v37, v40
	v_fmac_f32_e32 v39, v39, v37
.LBB56_487:                             ;   in Loop: Header=BB56_401 Depth=1
	s_or_b64 exec, exec, s[14:15]
                                        ; implicit-def: $vgpr37
.LBB56_488:                             ;   in Loop: Header=BB56_401 Depth=1
	s_andn2_saveexec_b64 s[36:37], s[36:37]
	s_cbranch_execz .LBB56_490
; %bb.489:                              ;   in Loop: Header=BB56_401 Depth=1
	v_div_scale_f32 v38, s[14:15], s76, s76, v10
	v_div_scale_f32 v39, s[14:15], s76, s76, v9
	v_div_scale_f32 v40, vcc, v10, s76, v10
	v_div_scale_f32 v41, s[14:15], v9, s76, v9
	v_rcp_f32_e32 v42, v38
	v_rcp_f32_e32 v43, v39
	v_fma_f32 v44, -v38, v42, 1.0
	v_fmac_f32_e32 v42, v44, v42
	v_fma_f32 v45, -v39, v43, 1.0
	v_fmac_f32_e32 v43, v45, v43
	v_mul_f32_e32 v44, v40, v42
	v_mul_f32_e32 v45, v41, v43
	v_fma_f32 v46, -v38, v44, v40
	v_fma_f32 v47, -v39, v45, v41
	v_fmac_f32_e32 v44, v46, v42
	v_fmac_f32_e32 v45, v47, v43
	v_fma_f32 v38, -v38, v44, v40
	v_fma_f32 v39, -v39, v45, v41
	v_div_fmas_f32 v38, v38, v42, v44
	s_mov_b64 vcc, s[14:15]
	v_div_fmas_f32 v39, v39, v43, v45
	v_max_f32_e64 v40, -v10, -v10
	s_waitcnt lgkmcnt(0)
	v_min_f32_e32 v42, v40, v37
	v_max_f32_e32 v37, v40, v37
	v_frexp_exp_i32_f32_e32 v40, v37
	v_frexp_mant_f32_e32 v43, v37
	v_rcp_f32_e32 v43, v43
	v_mov_b32_e32 v41, 0xbc7a590c
	v_div_fixup_f32 v44, v38, s76, v10
	v_div_fixup_f32 v45, v39, s76, v9
	v_max_f32_e64 v46, |v44|, |v45|
	v_cvt_f64_f32_e32 v[37:38], v46
	v_frexp_exp_i32_f32_e32 v39, v42
	v_frexp_mant_f32_e32 v42, v42
	v_cmp_neq_f32_e32 vcc, s54, v46
	v_frexp_exp_i32_f64_e32 v37, v[37:38]
	v_sub_u32_e32 v38, v39, v40
	v_mul_f32_e32 v39, v42, v43
	v_ldexp_f32 v39, v39, v38
	v_mul_f32_e32 v38, v39, v39
	v_fmac_f32_e32 v41, 0x3b2d2a58, v38
	v_fma_f32 v40, v38, v41, v24
	v_fma_f32 v40, v38, v40, v25
	v_sub_u32_e32 v41, 0, v37
	v_ldexp_f32 v42, |v44|, v41
	v_ldexp_f32 v41, |v45|, v41
	v_mul_f32_e32 v41, v41, v41
	v_fmac_f32_e32 v41, v42, v42
	v_sqrt_f32_e32 v41, v41
	v_fma_f32 v40, v38, v40, v26
	v_fma_f32 v40, v38, v40, v27
	;; [unrolled: 1-line block ×3, first 2 shown]
	v_ldexp_f32 v37, v41, v37
	v_cndmask_b32_e32 v37, v30, v37, vcc
	v_cmp_gt_f32_e32 vcc, s58, v37
	v_cndmask_b32_e64 v41, 0, 32, vcc
	v_ldexp_f32 v37, v37, v41
	v_log_f32_e32 v37, v37
	v_fma_f32 v40, v38, v40, v29
	v_mul_f32_e32 v40, v38, v40
	v_cndmask_b32_e32 v38, 0, v31, vcc
	v_mul_f32_e32 v41, 0x3f317217, v37
	v_fma_f32 v41, v37, s59, -v41
	v_fmac_f32_e32 v41, 0x3377d1cf, v37
	v_fmac_f32_e32 v41, 0x3f317217, v37
	v_cmp_lt_f32_e64 vcc, |v37|, s54
	v_cndmask_b32_e32 v37, v37, v41, vcc
	v_sub_f32_e32 v37, v37, v38
	v_add_f32_e32 v38, 1.0, v37
	v_fmac_f32_e32 v39, v39, v40
.LBB56_490:                             ;   in Loop: Header=BB56_401 Depth=1
	s_or_b64 exec, exec, s[36:37]
	s_waitcnt lgkmcnt(0)
	v_sub_f32_e32 v37, 0x3fc90fdb, v39
	v_cndmask_b32_e64 v37, v39, v37, s[12:13]
	v_cmp_neq_f32_e32 vcc, 0, v9
	v_cndmask_b32_e32 v41, 0, v37, vcc
	v_cmp_eq_f32_e32 vcc, s64, v10
	s_andn2_b64 s[12:13], s[30:31], exec
	s_and_b64 s[14:15], vcc, exec
	s_or_b64 s[30:31], s[12:13], s[14:15]
.LBB56_491:                             ;   in Loop: Header=BB56_401 Depth=1
	s_or_b64 exec, exec, s[34:35]
	v_cmp_class_f32_e64 s[12:13], v9, s71
	s_and_b64 vcc, s[12:13], s[30:31]
	s_waitcnt lgkmcnt(0)
	v_cndmask_b32_e32 v37, v41, v35, vcc
	v_add_f32_e32 v38, 0x3f317218, v38
	v_bfi_b32 v10, s53, v38, v10
	v_bfi_b32 v9, s53, v37, v9
.LBB56_492:                             ;   in Loop: Header=BB56_401 Depth=1
	s_or_b64 exec, exec, s[28:29]
.LBB56_493:                             ;   in Loop: Header=BB56_401 Depth=1
	s_andn2_saveexec_b64 s[12:13], s[26:27]
	s_cbranch_execz .LBB56_507
; %bb.494:                              ;   in Loop: Header=BB56_401 Depth=1
	v_cmp_neq_f32_e64 s[14:15], |v10|, s54
                                        ; implicit-def: $vgpr37
                                        ; implicit-def: $vgpr38
	s_and_saveexec_b64 s[26:27], s[14:15]
	s_xor_b64 s[14:15], exec, s[26:27]
	s_cbranch_execz .LBB56_504
; %bb.495:                              ;   in Loop: Header=BB56_401 Depth=1
	v_cmp_neq_f32_e64 s[26:27], |v9|, s54
                                        ; implicit-def: $vgpr37
                                        ; implicit-def: $vgpr38
	s_and_saveexec_b64 s[28:29], s[26:27]
	s_xor_b64 s[26:27], exec, s[28:29]
	s_cbranch_execz .LBB56_501
; %bb.496:                              ;   in Loop: Header=BB56_401 Depth=1
	v_cmp_neq_f32_e32 vcc, 0, v9
                                        ; implicit-def: $vgpr37
	s_and_saveexec_b64 s[28:29], vcc
	s_xor_b64 s[28:29], exec, s[28:29]
	s_cbranch_execz .LBB56_498
; %bb.497:                              ;   in Loop: Header=BB56_401 Depth=1
	v_add_f32_e32 v10, 0, v10
	s_waitcnt lgkmcnt(0)
	v_add_f32_e32 v37, v9, v10
                                        ; implicit-def: $vgpr10
.LBB56_498:                             ;   in Loop: Header=BB56_401 Depth=1
	s_or_saveexec_b64 s[28:29], s[28:29]
	s_waitcnt lgkmcnt(0)
	v_mov_b32_e32 v38, v37
	s_xor_b64 exec, exec, s[28:29]
; %bb.499:                              ;   in Loop: Header=BB56_401 Depth=1
	v_add_f32_e32 v38, v10, v10
	v_mov_b32_e32 v37, v9
; %bb.500:                              ;   in Loop: Header=BB56_401 Depth=1
	s_or_b64 exec, exec, s[28:29]
                                        ; implicit-def: $vgpr10
.LBB56_501:                             ;   in Loop: Header=BB56_401 Depth=1
	s_andn2_saveexec_b64 s[26:27], s[26:27]
	s_cbranch_execz .LBB56_503
; %bb.502:                              ;   in Loop: Header=BB56_401 Depth=1
	s_waitcnt lgkmcnt(0)
	v_add_f32_e32 v37, v10, v10
	v_mov_b32_e32 v38, v9
.LBB56_503:                             ;   in Loop: Header=BB56_401 Depth=1
	s_or_b64 exec, exec, s[26:27]
                                        ; implicit-def: $vgpr9
.LBB56_504:                             ;   in Loop: Header=BB56_401 Depth=1
	s_andn2_saveexec_b64 s[14:15], s[14:15]
	s_cbranch_execz .LBB56_506
; %bb.505:                              ;   in Loop: Header=BB56_401 Depth=1
	s_waitcnt lgkmcnt(0)
	v_add_f32_e32 v37, v9, v9
	v_mov_b32_e32 v38, v10
.LBB56_506:                             ;   in Loop: Header=BB56_401 Depth=1
	s_or_b64 exec, exec, s[14:15]
	v_mov_b32_e32 v10, v38
	s_waitcnt lgkmcnt(0)
	v_mov_b32_e32 v9, v37
.LBB56_507:                             ;   in Loop: Header=BB56_401 Depth=1
	s_or_b64 exec, exec, s[12:13]
	v_cmp_o_f32_e32 vcc, v14, v13
	s_and_saveexec_b64 s[12:13], vcc
	s_xor_b64 s[26:27], exec, s[12:13]
	s_cbranch_execz .LBB56_591
; %bb.508:                              ;   in Loop: Header=BB56_401 Depth=1
	s_waitcnt lgkmcnt(0)
	v_max_f32_e64 v37, |v13|, |v13|
	v_max_f32_e64 v40, |v14|, |v14|
	v_max_f32_e32 v39, v40, v37
	v_cmp_nlt_f32_e32 vcc, s51, v39
	s_and_saveexec_b64 s[12:13], vcc
	s_xor_b64 s[14:15], exec, s[12:13]
	s_cbranch_execz .LBB56_568
; %bb.509:                              ;   in Loop: Header=BB56_401 Depth=1
	v_cmp_neq_f32_e32 vcc, 0, v14
	v_cmp_neq_f32_e64 s[12:13], 0, v13
	s_or_b64 s[12:13], vcc, s[12:13]
	s_and_saveexec_b64 s[28:29], s[12:13]
	s_cbranch_execz .LBB56_567
; %bb.510:                              ;   in Loop: Header=BB56_401 Depth=1
	v_mov_b32_e32 v38, s17
	v_mov_b32_e32 v37, s16
	flat_store_dword v[37:38], v17
	s_waitcnt vmcnt(0)
	flat_load_dword v37, v[37:38] glc
	s_waitcnt vmcnt(0)
	v_cmp_nlt_f32_e64 s[12:13], |v14|, s52
	v_cmp_nlt_f32_e64 s[30:31], |v13|, s52
	s_or_b64 s[12:13], s[12:13], s[30:31]
	s_waitcnt lgkmcnt(0)
	v_add_f32_e32 v39, 1.0, v37
	v_mov_b32_e32 v38, s23
	v_mov_b32_e32 v37, s22
	flat_store_dword v[37:38], v39
	s_waitcnt vmcnt(0)
	flat_load_dword v37, v[37:38] glc
	s_waitcnt vmcnt(0)
	s_and_saveexec_b64 s[30:31], s[12:13]
	s_cbranch_execz .LBB56_566
; %bb.511:                              ;   in Loop: Header=BB56_401 Depth=1
	v_add_f32_e64 v39, |v13|, 1.0
	s_waitcnt lgkmcnt(0)
	v_max_f32_e32 v37, v40, v39
	v_add_f32_e64 v38, |v13|, -1.0
	v_cvt_f64_f32_e32 v[41:42], v37
	v_max_f32_e64 v40, v40, |v38|
	v_cvt_f64_f32_e32 v[43:44], v40
	v_cmp_neq_f32_e32 vcc, s54, v37
	v_frexp_exp_i32_f64_e32 v41, v[41:42]
	v_frexp_exp_i32_f64_e32 v42, v[43:44]
	v_sub_u32_e32 v43, 0, v41
	v_ldexp_f32 v45, |v14|, v43
	v_sub_u32_e32 v44, 0, v42
	v_ldexp_f32 v43, v39, v43
	v_ldexp_f32 v46, |v14|, v44
	v_ldexp_f32 v44, |v38|, v44
	v_mul_f32_e32 v43, v43, v43
	v_mul_f32_e32 v44, v44, v44
	v_fmac_f32_e32 v43, v45, v45
	v_fmac_f32_e32 v44, v46, v46
	v_sqrt_f32_e32 v43, v43
	v_sqrt_f32_e32 v44, v44
	v_ldexp_f32 v41, v43, v41
	v_ldexp_f32 v43, v44, v42
	v_cndmask_b32_e32 v42, v30, v41, vcc
	v_cmp_neq_f32_e32 vcc, s54, v40
	v_cndmask_b32_e32 v40, v30, v43, vcc
	v_add_f32_e32 v37, v42, v40
	v_mul_f32_e32 v37, 0.5, v37
	v_cmp_ngt_f32_e32 vcc, 1.0, v37
	v_cndmask_b32_e32 v37, 1.0, v37, vcc
	v_cmp_ngt_f32_e32 vcc, s55, v37
                                        ; implicit-def: $vgpr43
	s_and_saveexec_b64 s[12:13], vcc
	s_xor_b64 s[34:35], exec, s[12:13]
	s_cbranch_execz .LBB56_513
; %bb.512:                              ;   in Loop: Header=BB56_401 Depth=1
	v_fma_f32 v41, v37, v37, -1.0
	v_mul_f32_e32 v43, 0x4f800000, v41
	v_cmp_gt_f32_e32 vcc, s56, v41
	v_cndmask_b32_e32 v41, v41, v43, vcc
	v_sqrt_f32_e32 v43, v41
	v_add_u32_e32 v44, -1, v43
	v_fma_f32 v46, -v44, v43, v41
	v_add_u32_e32 v45, 1, v43
	v_cmp_ge_f32_e64 s[12:13], 0, v46
	v_cndmask_b32_e64 v44, v43, v44, s[12:13]
	v_fma_f32 v43, -v45, v43, v41
	v_cmp_lt_f32_e64 s[12:13], 0, v43
	v_cndmask_b32_e64 v43, v44, v45, s[12:13]
	v_mul_f32_e32 v44, 0x37800000, v43
	v_cndmask_b32_e32 v43, v43, v44, vcc
	v_cmp_class_f32_e32 vcc, v41, v18
	v_cndmask_b32_e32 v41, v43, v41, vcc
	v_add_f32_e32 v41, v37, v41
	v_cmp_gt_f32_e32 vcc, s58, v41
	v_cndmask_b32_e64 v43, 0, 32, vcc
	v_ldexp_f32 v41, v41, v43
	v_log_f32_e32 v41, v41
	v_mul_f32_e32 v43, 0x3f317217, v41
	v_fma_f32 v43, v41, s59, -v43
	v_fmac_f32_e32 v43, 0x3377d1cf, v41
	v_fmac_f32_e32 v43, 0x3f317217, v41
	v_cmp_lt_f32_e64 s[12:13], |v41|, s54
	v_cndmask_b32_e64 v41, v41, v43, s[12:13]
	v_cndmask_b32_e32 v43, 0, v31, vcc
	v_sub_f32_e32 v43, v41, v43
.LBB56_513:                             ;   in Loop: Header=BB56_401 Depth=1
	s_or_saveexec_b64 s[34:35], s[34:35]
	v_and_b32_e32 v41, 0x7fffffff, v14
	s_xor_b64 exec, exec, s[34:35]
	s_cbranch_execz .LBB56_535
; %bb.514:                              ;   in Loop: Header=BB56_401 Depth=1
	v_cmp_neq_f32_e64 s[12:13], |v13|, 1.0
	v_cmp_nlt_f32_e64 s[36:37], |v14|, s60
	s_or_b64 s[12:13], s[36:37], s[12:13]
                                        ; implicit-def: $vgpr43
	s_and_saveexec_b64 s[36:37], s[12:13]
	s_xor_b64 s[36:37], exec, s[36:37]
	s_cbranch_execz .LBB56_532
; %bb.515:                              ;   in Loop: Header=BB56_401 Depth=1
	v_mul_f32_e64 v43, |v38|, s61
	v_cmp_ge_f32_e64 s[12:13], |v14|, v43
                                        ; implicit-def: $vgpr43
	s_and_saveexec_b64 s[38:39], s[12:13]
	s_xor_b64 s[38:39], exec, s[38:39]
	s_cbranch_execz .LBB56_525
; %bb.516:                              ;   in Loop: Header=BB56_401 Depth=1
	v_cmp_neq_f32_e32 vcc, 0, v39
	v_mov_b32_e32 v43, v41
	s_and_saveexec_b64 s[12:13], vcc
	s_cbranch_execz .LBB56_518
; %bb.517:                              ;   in Loop: Header=BB56_401 Depth=1
	v_mul_f32_e32 v43, v14, v14
	v_add_f32_e32 v44, v39, v42
	v_div_scale_f32 v45, s[40:41], v44, v44, v43
	v_div_scale_f32 v46, vcc, v43, v44, v43
	v_rcp_f32_e32 v47, v45
	v_fma_f32 v48, -v45, v47, 1.0
	v_fmac_f32_e32 v47, v48, v47
	v_mul_f32_e32 v48, v46, v47
	v_fma_f32 v49, -v45, v48, v46
	v_fmac_f32_e32 v48, v49, v47
	v_fma_f32 v45, -v45, v48, v46
	v_div_fmas_f32 v45, v45, v47, v48
	v_div_fixup_f32 v43, v45, v44, v43
.LBB56_518:                             ;   in Loop: Header=BB56_401 Depth=1
	s_or_b64 exec, exec, s[12:13]
	v_sub_f32_e64 v45, 1.0, |v13|
	v_cmp_ngt_f32_e32 vcc, 0, v45
                                        ; implicit-def: $vgpr44
	s_and_saveexec_b64 s[12:13], vcc
	s_xor_b64 s[12:13], exec, s[12:13]
	s_cbranch_execz .LBB56_522
; %bb.519:                              ;   in Loop: Header=BB56_401 Depth=1
	v_cmp_neq_f32_e32 vcc, 0, v45
	v_mov_b32_e32 v44, v41
	s_and_saveexec_b64 s[40:41], vcc
	s_cbranch_execz .LBB56_521
; %bb.520:                              ;   in Loop: Header=BB56_401 Depth=1
	v_mul_f32_e32 v44, v14, v14
	v_add_f32_e32 v45, v45, v40
	v_div_scale_f32 v46, s[42:43], v45, v45, v44
	v_div_scale_f32 v47, vcc, v44, v45, v44
	v_rcp_f32_e32 v48, v46
	v_fma_f32 v49, -v46, v48, 1.0
	v_fmac_f32_e32 v48, v49, v48
	v_mul_f32_e32 v49, v47, v48
	v_fma_f32 v50, -v46, v49, v47
	v_fmac_f32_e32 v49, v50, v48
	v_fma_f32 v46, -v46, v49, v47
	v_div_fmas_f32 v46, v46, v48, v49
	v_div_fixup_f32 v44, v46, v45, v44
.LBB56_521:                             ;   in Loop: Header=BB56_401 Depth=1
	s_or_b64 exec, exec, s[40:41]
                                        ; implicit-def: $vgpr45
.LBB56_522:                             ;   in Loop: Header=BB56_401 Depth=1
	s_andn2_saveexec_b64 s[12:13], s[12:13]
; %bb.523:                              ;   in Loop: Header=BB56_401 Depth=1
	v_sub_f32_e32 v44, v40, v45
; %bb.524:                              ;   in Loop: Header=BB56_401 Depth=1
	s_or_b64 exec, exec, s[12:13]
	v_mul_f32_e32 v44, 0.5, v44
	v_fmac_f32_e32 v44, 0.5, v43
	v_add_f32_e32 v43, 1.0, v37
	v_mul_f32_e32 v43, v43, v44
	v_mul_f32_e32 v45, 0x4f800000, v43
	v_cmp_gt_f32_e32 vcc, s56, v43
	v_cndmask_b32_e32 v43, v43, v45, vcc
	v_sqrt_f32_e32 v45, v43
	v_add_u32_e32 v46, -1, v45
	v_fma_f32 v47, -v46, v45, v43
	v_cmp_ge_f32_e64 s[12:13], 0, v47
	v_add_u32_e32 v47, 1, v45
	v_cndmask_b32_e64 v46, v45, v46, s[12:13]
	v_fma_f32 v45, -v47, v45, v43
	v_cmp_lt_f32_e64 s[12:13], 0, v45
	v_cndmask_b32_e64 v45, v46, v47, s[12:13]
	v_mul_f32_e32 v46, 0x37800000, v45
	v_cndmask_b32_e32 v45, v45, v46, vcc
	v_cmp_class_f32_e32 vcc, v43, v18
	v_cndmask_b32_e32 v43, v45, v43, vcc
	v_add_f32_e32 v45, v44, v43
	v_add_f32_e32 v46, 1.0, v45
	v_cvt_f64_f32_e32 v[43:44], v46
	v_add_f32_e32 v47, -1.0, v46
	v_frexp_exp_i32_f64_e32 v43, v[43:44]
	v_sub_f32_e32 v44, v47, v46
	v_add_f32_e32 v44, 1.0, v44
	v_sub_f32_e32 v47, v45, v47
	v_add_f32_e32 v44, v47, v44
	v_frexp_mant_f32_e32 v47, v46
	v_cmp_gt_f32_e32 vcc, s62, v47
	v_subbrev_co_u32_e32 v43, vcc, 0, v43, vcc
	v_sub_u32_e32 v47, 0, v43
	v_ldexp_f32 v46, v46, v47
	v_ldexp_f32 v44, v44, v47
	v_add_f32_e32 v47, -1.0, v46
	v_add_f32_e32 v50, 1.0, v46
	v_add_f32_e32 v48, 1.0, v47
	v_add_f32_e32 v51, -1.0, v50
	v_sub_f32_e32 v48, v46, v48
	v_sub_f32_e32 v46, v46, v51
	v_add_f32_e32 v48, v44, v48
	v_add_f32_e32 v44, v44, v46
	;; [unrolled: 1-line block ×3, first 2 shown]
	v_rcp_f32_e32 v51, v46
	v_add_f32_e32 v49, v47, v48
	v_sub_f32_e32 v47, v49, v47
	v_sub_f32_e32 v47, v48, v47
	;; [unrolled: 1-line block ×4, first 2 shown]
	v_mul_f32_e32 v48, v49, v51
	v_mul_f32_e32 v50, v46, v48
	v_fma_f32 v52, v48, v46, -v50
	v_fmac_f32_e32 v52, v48, v44
	v_add_f32_e32 v53, v50, v52
	v_sub_f32_e32 v54, v49, v53
	v_sub_f32_e32 v49, v49, v54
	;; [unrolled: 1-line block ×4, first 2 shown]
	v_add_f32_e32 v47, v47, v49
	v_sub_f32_e32 v49, v50, v52
	v_add_f32_e32 v47, v49, v47
	v_add_f32_e32 v49, v54, v47
	v_mul_f32_e32 v50, v51, v49
	v_mul_f32_e32 v52, v46, v50
	v_fma_f32 v46, v50, v46, -v52
	v_fmac_f32_e32 v46, v50, v44
	v_sub_f32_e32 v44, v54, v49
	v_add_f32_e32 v44, v47, v44
	v_add_f32_e32 v47, v52, v46
	v_sub_f32_e32 v53, v49, v47
	v_sub_f32_e32 v49, v49, v53
	;; [unrolled: 1-line block ×4, first 2 shown]
	v_add_f32_e32 v44, v44, v47
	v_sub_f32_e32 v46, v52, v46
	v_cvt_f32_i32_e32 v43, v43
	v_add_f32_e32 v44, v46, v44
	v_add_f32_e32 v46, v48, v50
	;; [unrolled: 1-line block ×3, first 2 shown]
	v_sub_f32_e32 v47, v46, v48
	v_mul_f32_e32 v44, v51, v44
	v_sub_f32_e32 v47, v50, v47
	v_add_f32_e32 v44, v47, v44
	v_mul_f32_e32 v50, 0x3f317218, v43
	v_add_f32_e32 v47, v46, v44
	v_fma_f32 v51, v43, s63, -v50
	v_mul_f32_e32 v48, v47, v47
	v_mov_b32_e32 v49, 0x3ecc95a3
	v_fmac_f32_e32 v51, 0xb102e308, v43
	v_sub_f32_e32 v43, v47, v46
	v_fmac_f32_e32 v49, 0x3e9b6dac, v48
	v_sub_f32_e32 v43, v44, v43
	v_add_f32_e32 v44, v50, v51
	v_fma_f32 v49, v48, v49, v19
	v_sub_f32_e32 v46, v44, v50
	v_ldexp_f32 v50, v47, 1
	v_mul_f32_e32 v47, v47, v48
	v_mul_f32_e32 v47, v47, v49
	v_add_f32_e32 v48, v50, v47
	v_sub_f32_e32 v49, v48, v50
	v_ldexp_f32 v43, v43, 1
	v_sub_f32_e32 v47, v47, v49
	v_add_f32_e32 v43, v43, v47
	v_add_f32_e32 v47, v48, v43
	v_sub_f32_e32 v48, v47, v48
	v_sub_f32_e32 v43, v43, v48
	v_add_f32_e32 v48, v44, v47
	v_sub_f32_e32 v49, v48, v44
	v_sub_f32_e32 v50, v48, v49
	;; [unrolled: 1-line block ×5, first 2 shown]
	v_add_f32_e32 v44, v47, v44
	v_add_f32_e32 v47, v46, v43
	v_sub_f32_e32 v49, v47, v46
	v_sub_f32_e32 v50, v47, v49
	;; [unrolled: 1-line block ×4, first 2 shown]
	v_add_f32_e32 v44, v47, v44
	v_add_f32_e32 v43, v43, v46
	;; [unrolled: 1-line block ×3, first 2 shown]
	v_sub_f32_e32 v47, v46, v48
	v_sub_f32_e32 v44, v44, v47
	v_add_f32_e32 v43, v43, v44
	v_add_f32_e32 v43, v46, v43
	v_cmp_neq_f32_e32 vcc, s54, v45
	v_cndmask_b32_e32 v43, v30, v43, vcc
	v_cmp_ngt_f32_e32 vcc, -1.0, v45
	v_cndmask_b32_e32 v43, v32, v43, vcc
	v_cmp_neq_f32_e32 vcc, -1.0, v45
	v_cndmask_b32_e32 v43, v33, v43, vcc
	v_cmp_lt_f32_e64 vcc, |v45|, s65
	v_cndmask_b32_e32 v43, v43, v45, vcc
.LBB56_525:                             ;   in Loop: Header=BB56_401 Depth=1
	s_andn2_saveexec_b64 s[38:39], s[38:39]
	s_cbranch_execz .LBB56_531
; %bb.526:                              ;   in Loop: Header=BB56_401 Depth=1
	v_cmp_nlt_f32_e64 s[12:13], |v13|, 1.0
                                        ; implicit-def: $vgpr43
	s_and_saveexec_b64 s[40:41], s[12:13]
	s_xor_b64 s[40:41], exec, s[40:41]
	s_cbranch_execz .LBB56_528
; %bb.527:                              ;   in Loop: Header=BB56_401 Depth=1
	v_mul_f32_e32 v43, v38, v39
	v_mul_f32_e32 v44, 0x4f800000, v43
	v_cmp_gt_f32_e32 vcc, s56, v43
	v_cndmask_b32_e32 v43, v43, v44, vcc
	v_sqrt_f32_e32 v44, v43
	v_add_u32_e32 v45, -1, v44
	v_fma_f32 v47, -v45, v44, v43
	v_add_u32_e32 v46, 1, v44
	v_cmp_ge_f32_e64 s[12:13], 0, v47
	v_cndmask_b32_e64 v45, v44, v45, s[12:13]
	v_fma_f32 v44, -v46, v44, v43
	v_cmp_lt_f32_e64 s[12:13], 0, v44
	v_cndmask_b32_e64 v44, v45, v46, s[12:13]
	v_mul_f32_e32 v45, 0x37800000, v44
	v_cndmask_b32_e32 v44, v44, v45, vcc
	v_cmp_class_f32_e32 vcc, v43, v18
	v_cndmask_b32_e32 v43, v44, v43, vcc
	v_add_f32_e32 v45, v38, v43
	v_add_f32_e32 v46, 1.0, v45
	v_cvt_f64_f32_e32 v[43:44], v46
	v_add_f32_e32 v47, -1.0, v46
	v_frexp_exp_i32_f64_e32 v43, v[43:44]
	v_sub_f32_e32 v44, v47, v46
	v_add_f32_e32 v44, 1.0, v44
	v_sub_f32_e32 v47, v45, v47
	v_add_f32_e32 v44, v47, v44
	v_frexp_mant_f32_e32 v47, v46
	v_cmp_gt_f32_e32 vcc, s62, v47
	v_subbrev_co_u32_e32 v43, vcc, 0, v43, vcc
	v_sub_u32_e32 v47, 0, v43
	v_ldexp_f32 v46, v46, v47
	v_ldexp_f32 v44, v44, v47
	v_add_f32_e32 v47, -1.0, v46
	v_add_f32_e32 v50, 1.0, v46
	v_add_f32_e32 v48, 1.0, v47
	v_add_f32_e32 v51, -1.0, v50
	v_sub_f32_e32 v48, v46, v48
	v_sub_f32_e32 v46, v46, v51
	v_add_f32_e32 v48, v44, v48
	v_add_f32_e32 v44, v44, v46
	;; [unrolled: 1-line block ×3, first 2 shown]
	v_rcp_f32_e32 v51, v46
	v_add_f32_e32 v49, v47, v48
	v_sub_f32_e32 v47, v49, v47
	v_sub_f32_e32 v47, v48, v47
	;; [unrolled: 1-line block ×4, first 2 shown]
	v_mul_f32_e32 v48, v49, v51
	v_mul_f32_e32 v50, v46, v48
	v_fma_f32 v52, v48, v46, -v50
	v_fmac_f32_e32 v52, v48, v44
	v_add_f32_e32 v53, v50, v52
	v_sub_f32_e32 v54, v49, v53
	v_sub_f32_e32 v49, v49, v54
	;; [unrolled: 1-line block ×4, first 2 shown]
	v_add_f32_e32 v47, v47, v49
	v_sub_f32_e32 v49, v50, v52
	v_add_f32_e32 v47, v49, v47
	v_add_f32_e32 v49, v54, v47
	v_mul_f32_e32 v50, v51, v49
	v_mul_f32_e32 v52, v46, v50
	v_fma_f32 v46, v50, v46, -v52
	v_fmac_f32_e32 v46, v50, v44
	v_sub_f32_e32 v44, v54, v49
	v_add_f32_e32 v44, v47, v44
	v_add_f32_e32 v47, v52, v46
	v_sub_f32_e32 v53, v49, v47
	v_sub_f32_e32 v49, v49, v53
	;; [unrolled: 1-line block ×4, first 2 shown]
	v_add_f32_e32 v44, v44, v47
	v_sub_f32_e32 v46, v52, v46
	v_cvt_f32_i32_e32 v43, v43
	v_add_f32_e32 v44, v46, v44
	v_add_f32_e32 v46, v48, v50
	;; [unrolled: 1-line block ×3, first 2 shown]
	v_sub_f32_e32 v47, v46, v48
	v_mul_f32_e32 v44, v51, v44
	v_sub_f32_e32 v47, v50, v47
	v_add_f32_e32 v44, v47, v44
	v_mul_f32_e32 v50, 0x3f317218, v43
	v_add_f32_e32 v47, v46, v44
	v_fma_f32 v51, v43, s63, -v50
	v_mul_f32_e32 v48, v47, v47
	v_mov_b32_e32 v49, 0x3ecc95a3
	v_fmac_f32_e32 v51, 0xb102e308, v43
	v_sub_f32_e32 v43, v47, v46
	v_fmac_f32_e32 v49, 0x3e9b6dac, v48
	v_sub_f32_e32 v43, v44, v43
	v_add_f32_e32 v44, v50, v51
	v_fma_f32 v49, v48, v49, v19
	v_sub_f32_e32 v46, v44, v50
	v_ldexp_f32 v50, v47, 1
	v_mul_f32_e32 v47, v47, v48
	v_mul_f32_e32 v47, v47, v49
	v_add_f32_e32 v48, v50, v47
	v_sub_f32_e32 v49, v48, v50
	v_ldexp_f32 v43, v43, 1
	v_sub_f32_e32 v47, v47, v49
	v_add_f32_e32 v43, v43, v47
	v_add_f32_e32 v47, v48, v43
	v_sub_f32_e32 v48, v47, v48
	v_sub_f32_e32 v43, v43, v48
	v_add_f32_e32 v48, v44, v47
	v_sub_f32_e32 v49, v48, v44
	v_sub_f32_e32 v50, v48, v49
	;; [unrolled: 1-line block ×5, first 2 shown]
	v_add_f32_e32 v44, v47, v44
	v_add_f32_e32 v47, v46, v43
	v_sub_f32_e32 v49, v47, v46
	v_sub_f32_e32 v50, v47, v49
	v_sub_f32_e32 v46, v46, v50
	v_sub_f32_e32 v43, v43, v49
	v_add_f32_e32 v44, v47, v44
	v_add_f32_e32 v43, v43, v46
	v_add_f32_e32 v46, v48, v44
	v_sub_f32_e32 v47, v46, v48
	v_sub_f32_e32 v44, v44, v47
	v_add_f32_e32 v43, v43, v44
	v_add_f32_e32 v43, v46, v43
	v_cmp_neq_f32_e32 vcc, s54, v45
	v_cndmask_b32_e32 v43, v30, v43, vcc
	v_cmp_ngt_f32_e32 vcc, -1.0, v45
	v_cndmask_b32_e32 v43, v32, v43, vcc
	v_cmp_neq_f32_e32 vcc, -1.0, v45
	v_cndmask_b32_e32 v43, v33, v43, vcc
	v_cmp_lt_f32_e64 vcc, |v45|, s65
	v_cndmask_b32_e32 v43, v43, v45, vcc
.LBB56_528:                             ;   in Loop: Header=BB56_401 Depth=1
	s_andn2_saveexec_b64 s[40:41], s[40:41]
	s_cbranch_execz .LBB56_530
; %bb.529:                              ;   in Loop: Header=BB56_401 Depth=1
	v_sub_f32_e64 v43, 1.0, |v13|
	v_mul_f32_e32 v43, v43, v39
	v_mul_f32_e32 v44, 0x4f800000, v43
	v_cmp_gt_f32_e32 vcc, s56, v43
	v_cndmask_b32_e32 v43, v43, v44, vcc
	v_sqrt_f32_e32 v44, v43
	v_add_u32_e32 v45, -1, v44
	v_fma_f32 v47, -v45, v44, v43
	v_add_u32_e32 v46, 1, v44
	v_cmp_ge_f32_e64 s[12:13], 0, v47
	v_cndmask_b32_e64 v45, v44, v45, s[12:13]
	v_fma_f32 v44, -v46, v44, v43
	v_cmp_lt_f32_e64 s[12:13], 0, v44
	v_cndmask_b32_e64 v44, v45, v46, s[12:13]
	v_mul_f32_e32 v45, 0x37800000, v44
	v_cndmask_b32_e32 v44, v44, v45, vcc
	v_cmp_class_f32_e32 vcc, v43, v18
	v_cndmask_b32_e32 v43, v44, v43, vcc
	v_and_b32_e32 v44, 0x7fffffff, v14
	v_div_scale_f32 v45, s[12:13], v43, v43, v44
	v_div_scale_f32 v44, vcc, v44, v43, v44
	v_rcp_f32_e32 v46, v45
	v_fma_f32 v47, -v45, v46, 1.0
	v_fmac_f32_e32 v46, v47, v46
	v_mul_f32_e32 v47, v44, v46
	v_fma_f32 v48, -v45, v47, v44
	v_fmac_f32_e32 v47, v48, v46
	v_fma_f32 v44, -v45, v47, v44
	v_div_fmas_f32 v44, v44, v46, v47
	v_div_fixup_f32 v43, v44, v43, |v14|
.LBB56_530:                             ;   in Loop: Header=BB56_401 Depth=1
	s_or_b64 exec, exec, s[40:41]
.LBB56_531:                             ;   in Loop: Header=BB56_401 Depth=1
	s_or_b64 exec, exec, s[38:39]
.LBB56_532:                             ;   in Loop: Header=BB56_401 Depth=1
	s_andn2_saveexec_b64 s[36:37], s[36:37]
	s_cbranch_execz .LBB56_534
; %bb.533:                              ;   in Loop: Header=BB56_401 Depth=1
	v_mul_f32_e64 v43, |v14|, s57
	v_cmp_lt_f32_e64 vcc, |v14|, s56
	v_cndmask_b32_e64 v43, |v14|, v43, vcc
	v_sqrt_f32_e32 v44, v43
	v_add_u32_e32 v45, -1, v44
	v_fma_f32 v47, -v45, v44, v43
	v_add_u32_e32 v46, 1, v44
	v_cmp_ge_f32_e64 s[12:13], 0, v47
	v_cndmask_b32_e64 v45, v44, v45, s[12:13]
	v_fma_f32 v44, -v46, v44, v43
	v_cmp_lt_f32_e64 s[12:13], 0, v44
	v_cndmask_b32_e64 v44, v45, v46, s[12:13]
	v_mul_f32_e32 v45, 0x37800000, v44
	v_cndmask_b32_e32 v44, v44, v45, vcc
	v_cmp_class_f32_e32 vcc, v43, v18
	v_cndmask_b32_e32 v43, v44, v43, vcc
.LBB56_534:                             ;   in Loop: Header=BB56_401 Depth=1
	s_or_b64 exec, exec, s[36:37]
.LBB56_535:                             ;   in Loop: Header=BB56_401 Depth=1
	s_or_b64 exec, exec, s[34:35]
	v_cmp_nlt_f32_e64 s[34:35], |v13|, s66
                                        ; implicit-def: $sgpr12_sgpr13
                                        ; implicit-def: $vgpr44
                                        ; implicit-def: $vgpr46
                                        ; implicit-def: $vgpr45
	s_and_saveexec_b64 s[36:37], s[34:35]
	s_xor_b64 s[34:35], exec, s[36:37]
	s_cbranch_execz .LBB56_559
; %bb.536:                              ;   in Loop: Header=BB56_401 Depth=1
	v_and_b32_e32 v45, 0x7fffffff, v13
	v_div_scale_f32 v44, s[12:13], v37, v37, v45
	v_div_scale_f32 v46, vcc, v45, v37, v45
	s_mov_b64 s[12:13], 0
	v_rcp_f32_e32 v47, v44
	v_fma_f32 v48, -v44, v47, 1.0
	v_fmac_f32_e32 v47, v48, v47
	v_mul_f32_e32 v48, v46, v47
	v_fma_f32 v49, -v44, v48, v46
	v_fmac_f32_e32 v48, v49, v47
	v_fma_f32 v44, -v44, v48, v46
	v_div_fmas_f32 v44, v44, v47, v48
                                        ; implicit-def: $vgpr46
	v_div_fixup_f32 v44, v44, v37, |v13|
	v_cmp_lt_f32_e32 vcc, s67, v44
	s_and_saveexec_b64 s[36:37], vcc
	s_cbranch_execz .LBB56_558
; %bb.537:                              ;   in Loop: Header=BB56_401 Depth=1
	v_cmp_neq_f32_e64 s[12:13], |v13|, 1.0
	v_cmp_nlt_f32_e64 s[38:39], |v14|, s68
	s_or_b64 s[12:13], s[38:39], s[12:13]
                                        ; implicit-def: $vgpr46
	s_and_saveexec_b64 s[38:39], s[12:13]
	s_xor_b64 s[38:39], exec, s[38:39]
	s_cbranch_execz .LBB56_555
; %bb.538:                              ;   in Loop: Header=BB56_401 Depth=1
	v_mul_f32_e64 v46, |v38|, s61
	v_cmp_ge_f32_e64 s[12:13], |v14|, v46
                                        ; implicit-def: $vgpr46
	s_and_saveexec_b64 s[40:41], s[12:13]
	s_xor_b64 s[40:41], exec, s[40:41]
	s_cbranch_execz .LBB56_548
; %bb.539:                              ;   in Loop: Header=BB56_401 Depth=1
	v_cmp_neq_f32_e32 vcc, 0, v39
	v_mov_b32_e32 v46, v41
	s_and_saveexec_b64 s[12:13], vcc
	s_cbranch_execz .LBB56_541
; %bb.540:                              ;   in Loop: Header=BB56_401 Depth=1
	v_mul_f32_e32 v46, v14, v14
	v_add_f32_e32 v39, v39, v42
	v_div_scale_f32 v42, s[42:43], v39, v39, v46
	v_div_scale_f32 v47, vcc, v46, v39, v46
	v_rcp_f32_e32 v48, v42
	v_fma_f32 v49, -v42, v48, 1.0
	v_fmac_f32_e32 v48, v49, v48
	v_mul_f32_e32 v49, v47, v48
	v_fma_f32 v50, -v42, v49, v47
	v_fmac_f32_e32 v49, v50, v48
	v_fma_f32 v42, -v42, v49, v47
	v_div_fmas_f32 v42, v42, v48, v49
	v_div_fixup_f32 v46, v42, v39, v46
.LBB56_541:                             ;   in Loop: Header=BB56_401 Depth=1
	s_or_b64 exec, exec, s[12:13]
	v_cmp_ngt_f32_e32 vcc, 0, v38
	s_and_saveexec_b64 s[12:13], vcc
	s_xor_b64 s[12:13], exec, s[12:13]
	s_cbranch_execz .LBB56_545
; %bb.542:                              ;   in Loop: Header=BB56_401 Depth=1
	v_cmp_neq_f32_e32 vcc, 0, v38
	s_and_saveexec_b64 s[42:43], vcc
	s_cbranch_execz .LBB56_544
; %bb.543:                              ;   in Loop: Header=BB56_401 Depth=1
	v_mul_f32_e32 v39, v14, v14
	v_add_f32_e32 v38, v38, v40
	v_div_scale_f32 v40, s[78:79], v38, v38, v39
	v_div_scale_f32 v41, vcc, v39, v38, v39
	v_rcp_f32_e32 v42, v40
	v_fma_f32 v47, -v40, v42, 1.0
	v_fmac_f32_e32 v42, v47, v42
	v_mul_f32_e32 v47, v41, v42
	v_fma_f32 v48, -v40, v47, v41
	v_fmac_f32_e32 v47, v48, v42
	v_fma_f32 v40, -v40, v47, v41
	v_div_fmas_f32 v40, v40, v42, v47
	v_div_fixup_f32 v41, v40, v38, v39
.LBB56_544:                             ;   in Loop: Header=BB56_401 Depth=1
	s_or_b64 exec, exec, s[42:43]
                                        ; implicit-def: $vgpr40
                                        ; implicit-def: $vgpr38
.LBB56_545:                             ;   in Loop: Header=BB56_401 Depth=1
	s_andn2_saveexec_b64 s[12:13], s[12:13]
; %bb.546:                              ;   in Loop: Header=BB56_401 Depth=1
	v_sub_f32_e32 v41, v40, v38
; %bb.547:                              ;   in Loop: Header=BB56_401 Depth=1
	s_or_b64 exec, exec, s[12:13]
	v_mul_f32_e32 v38, 0.5, v41
	v_fmac_f32_e32 v38, 0.5, v46
	v_add_f32_e64 v37, |v13|, v37
	v_mul_f32_e32 v37, v37, v38
	v_mul_f32_e32 v38, 0x4f800000, v37
	v_cmp_gt_f32_e32 vcc, s56, v37
	v_cndmask_b32_e32 v37, v37, v38, vcc
	v_sqrt_f32_e32 v38, v37
	v_add_u32_e32 v39, -1, v38
	v_fma_f32 v40, -v39, v38, v37
	v_cmp_ge_f32_e64 s[12:13], 0, v40
	v_add_u32_e32 v40, 1, v38
	v_cndmask_b32_e64 v39, v38, v39, s[12:13]
	v_fma_f32 v38, -v40, v38, v37
	v_cmp_lt_f32_e64 s[12:13], 0, v38
	v_cndmask_b32_e64 v38, v39, v40, s[12:13]
	v_mul_f32_e32 v39, 0x37800000, v38
	v_cndmask_b32_e32 v38, v38, v39, vcc
	v_cmp_class_f32_e32 vcc, v37, v18
	v_cndmask_b32_e32 v46, v38, v37, vcc
                                        ; implicit-def: $vgpr39
                                        ; implicit-def: $vgpr38
.LBB56_548:                             ;   in Loop: Header=BB56_401 Depth=1
	s_andn2_saveexec_b64 s[40:41], s[40:41]
	s_cbranch_execz .LBB56_554
; %bb.549:                              ;   in Loop: Header=BB56_401 Depth=1
	v_cmp_ngt_f32_e64 s[12:13], |v13|, 1.0
                                        ; implicit-def: $vgpr46
	s_and_saveexec_b64 s[42:43], s[12:13]
	s_xor_b64 s[42:43], exec, s[42:43]
	s_cbranch_execz .LBB56_551
; %bb.550:                              ;   in Loop: Header=BB56_401 Depth=1
	v_sub_f32_e64 v37, 1.0, |v13|
	v_mul_f32_e32 v37, v37, v39
	v_mul_f32_e32 v38, 0x4f800000, v37
	v_cmp_gt_f32_e32 vcc, s56, v37
	v_cndmask_b32_e32 v37, v37, v38, vcc
	v_sqrt_f32_e32 v38, v37
	v_add_u32_e32 v39, -1, v38
	v_fma_f32 v41, -v39, v38, v37
	v_add_u32_e32 v40, 1, v38
	v_cmp_ge_f32_e64 s[12:13], 0, v41
	v_cndmask_b32_e64 v39, v38, v39, s[12:13]
	v_fma_f32 v38, -v40, v38, v37
	v_cmp_lt_f32_e64 s[12:13], 0, v38
	v_cndmask_b32_e64 v38, v39, v40, s[12:13]
	v_mul_f32_e32 v39, 0x37800000, v38
	v_cndmask_b32_e32 v38, v38, v39, vcc
	v_cmp_class_f32_e32 vcc, v37, v18
	v_cndmask_b32_e32 v46, v38, v37, vcc
                                        ; implicit-def: $vgpr39
                                        ; implicit-def: $vgpr38
.LBB56_551:                             ;   in Loop: Header=BB56_401 Depth=1
	s_andn2_saveexec_b64 s[42:43], s[42:43]
	s_cbranch_execz .LBB56_553
; %bb.552:                              ;   in Loop: Header=BB56_401 Depth=1
	v_mul_f32_e32 v37, v39, v38
	v_mul_f32_e32 v38, 0x4f800000, v37
	v_cmp_gt_f32_e32 vcc, s56, v37
	v_cndmask_b32_e32 v37, v37, v38, vcc
	v_sqrt_f32_e32 v38, v37
	v_mul_f32_e64 v39, |v14|, s69
	v_mul_f32_e64 v39, |v13|, v39
	v_add_u32_e32 v40, -1, v38
	v_fma_f32 v41, -v40, v38, v37
	v_cmp_ge_f32_e64 s[12:13], 0, v41
	v_add_u32_e32 v41, 1, v38
	v_cndmask_b32_e64 v40, v38, v40, s[12:13]
	v_fma_f32 v38, -v41, v38, v37
	v_cmp_lt_f32_e64 s[12:13], 0, v38
	v_cndmask_b32_e64 v38, v40, v41, s[12:13]
	v_mul_f32_e32 v40, 0x37800000, v38
	v_cndmask_b32_e32 v38, v38, v40, vcc
	v_cmp_class_f32_e32 vcc, v37, v18
	v_cndmask_b32_e32 v37, v38, v37, vcc
	v_div_scale_f32 v38, s[12:13], v37, v37, v39
	v_div_scale_f32 v40, vcc, v39, v37, v39
	v_rcp_f32_e32 v41, v38
	v_fma_f32 v42, -v38, v41, 1.0
	v_fmac_f32_e32 v41, v42, v41
	v_mul_f32_e32 v42, v40, v41
	v_fma_f32 v45, -v38, v42, v40
	v_fmac_f32_e32 v42, v45, v41
	v_fma_f32 v38, -v38, v42, v40
	v_div_fmas_f32 v38, v38, v41, v42
	v_mul_f32_e64 v45, |v13|, s69
	v_div_fixup_f32 v46, v38, v37, v39
.LBB56_553:                             ;   in Loop: Header=BB56_401 Depth=1
	s_or_b64 exec, exec, s[42:43]
.LBB56_554:                             ;   in Loop: Header=BB56_401 Depth=1
	s_or_b64 exec, exec, s[40:41]
                                        ; implicit-def: $vgpr37
.LBB56_555:                             ;   in Loop: Header=BB56_401 Depth=1
	s_andn2_saveexec_b64 s[38:39], s[38:39]
	s_cbranch_execz .LBB56_557
; %bb.556:                              ;   in Loop: Header=BB56_401 Depth=1
	v_mul_f32_e64 v38, |v14|, s57
	v_cmp_lt_f32_e64 vcc, |v14|, s56
	v_cndmask_b32_e64 v38, |v14|, v38, vcc
	v_sqrt_f32_e32 v39, v38
	v_add_f32_e32 v37, 1.0, v37
	v_mul_f32_e32 v37, 0.5, v37
	v_mov_b32_e32 v45, 1.0
	v_add_u32_e32 v40, -1, v39
	v_fma_f32 v42, -v40, v39, v38
	v_add_u32_e32 v41, 1, v39
	v_cmp_ge_f32_e64 s[12:13], 0, v42
	v_cndmask_b32_e64 v40, v39, v40, s[12:13]
	v_fma_f32 v39, -v41, v39, v38
	v_cmp_lt_f32_e64 s[12:13], 0, v39
	v_cndmask_b32_e64 v39, v40, v41, s[12:13]
	v_mul_f32_e32 v40, 0x37800000, v39
	v_cndmask_b32_e32 v39, v39, v40, vcc
	v_mul_f32_e32 v40, 0x4f800000, v37
	v_cmp_gt_f32_e32 vcc, s56, v37
	v_cndmask_b32_e32 v37, v37, v40, vcc
	v_sqrt_f32_e32 v40, v37
	v_cmp_class_f32_e64 s[12:13], v38, v18
	v_cndmask_b32_e64 v38, v39, v38, s[12:13]
	v_add_u32_e32 v39, -1, v40
	v_fma_f32 v41, -v39, v40, v37
	v_cmp_ge_f32_e64 s[12:13], 0, v41
	v_add_u32_e32 v41, 1, v40
	v_cndmask_b32_e64 v39, v40, v39, s[12:13]
	v_fma_f32 v40, -v41, v40, v37
	v_cmp_lt_f32_e64 s[12:13], 0, v40
	v_cndmask_b32_e64 v39, v39, v41, s[12:13]
	v_mul_f32_e32 v40, 0x37800000, v39
	v_cndmask_b32_e32 v39, v39, v40, vcc
	v_cmp_class_f32_e32 vcc, v37, v18
	v_cndmask_b32_e32 v37, v39, v37, vcc
	v_mul_f32_e32 v46, v38, v37
.LBB56_557:                             ;   in Loop: Header=BB56_401 Depth=1
	s_or_b64 exec, exec, s[38:39]
	s_mov_b64 s[12:13], exec
.LBB56_558:                             ;   in Loop: Header=BB56_401 Depth=1
	s_or_b64 exec, exec, s[36:37]
                                        ; implicit-def: $vgpr37
.LBB56_559:                             ;   in Loop: Header=BB56_401 Depth=1
	s_andn2_saveexec_b64 s[34:35], s[34:35]
; %bb.560:                              ;   in Loop: Header=BB56_401 Depth=1
	v_mul_f32_e32 v46, 0x4b800000, v37
	v_mul_f32_e64 v45, |v13|, s70
	s_or_b64 s[12:13], s[12:13], exec
                                        ; implicit-def: $vgpr44
; %bb.561:                              ;   in Loop: Header=BB56_401 Depth=1
	s_or_b64 exec, exec, s[34:35]
	s_xor_b64 s[12:13], s[12:13], -1
                                        ; implicit-def: $vgpr37
	s_and_saveexec_b64 s[34:35], s[12:13]
	s_xor_b64 s[12:13], exec, s[34:35]
	s_cbranch_execz .LBB56_563
; %bb.562:                              ;   in Loop: Header=BB56_401 Depth=1
	v_fma_f32 v37, |v44|, -0.5, 0.5
	v_mul_f32_e32 v38, v44, v44
	v_cmp_ge_f32_e64 vcc, |v44|, 0.5
	v_cndmask_b32_e32 v37, v38, v37, vcc
	v_mov_b32_e32 v38, 0x3c5fc5da
	v_fmac_f32_e32 v38, 0x3d1c21a7, v37
	v_fma_f32 v38, v37, v38, v20
	v_fma_f32 v38, v37, v38, v21
	v_sqrt_f32_e32 v39, v37
	v_fma_f32 v38, v37, v38, v22
	v_fma_f32 v38, v37, v38, v23
	v_mul_f32_e32 v37, v37, v38
	v_fmac_f32_e32 v39, v39, v37
	v_add_f32_e32 v38, v39, v39
	v_sub_f32_e32 v38, 0x3fc90fdb, v38
	v_fma_f32 v37, |v44|, v37, |v44|
	v_cmp_lt_f32_e64 vcc, |v44|, 0.5
	v_cndmask_b32_e32 v37, v38, v37, vcc
	v_bfi_b32 v37, s53, v37, v44
                                        ; implicit-def: $vgpr45
                                        ; implicit-def: $vgpr46
.LBB56_563:                             ;   in Loop: Header=BB56_401 Depth=1
	s_andn2_saveexec_b64 s[34:35], s[12:13]
	s_cbranch_execz .LBB56_565
; %bb.564:                              ;   in Loop: Header=BB56_401 Depth=1
	v_max_f32_e32 v37, v45, v45
	v_max_f32_e64 v38, |v46|, |v46|
	v_min_f32_e32 v39, v38, v37
	v_max_f32_e32 v37, v38, v37
	v_frexp_mant_f32_e32 v38, v37
	v_rcp_f32_e32 v38, v38
	v_frexp_exp_i32_f32_e32 v37, v37
	v_frexp_exp_i32_f32_e32 v40, v39
	v_frexp_mant_f32_e32 v39, v39
	v_mul_f32_e32 v38, v39, v38
	v_sub_u32_e32 v37, v40, v37
	v_ldexp_f32 v37, v38, v37
	v_mul_f32_e32 v38, v37, v37
	v_mov_b32_e32 v39, 0xbc7a590c
	v_fmac_f32_e32 v39, 0x3b2d2a58, v38
	v_fma_f32 v39, v38, v39, v24
	v_fma_f32 v39, v38, v39, v25
	;; [unrolled: 1-line block ×6, first 2 shown]
	v_mul_f32_e32 v38, v38, v39
	v_fmac_f32_e32 v37, v37, v38
	v_sub_f32_e32 v38, 0x3fc90fdb, v37
	v_cmp_gt_f32_e64 vcc, v45, |v46|
	v_cndmask_b32_e32 v37, v37, v38, vcc
	v_sub_f32_e32 v38, 0x40490fdb, v37
	v_cmp_gt_f32_e32 vcc, 0, v46
	v_cmp_gt_i32_e64 s[12:13], 0, v46
	v_cndmask_b32_e32 v37, v37, v38, vcc
	v_cndmask_b32_e64 v38, 0, v34, s[12:13]
	v_cndmask_b32_e32 v39, v35, v36, vcc
	v_cmp_class_f32_e64 s[36:37], v46, s71
	v_cmp_eq_f32_e32 vcc, s54, v45
	v_cmp_eq_f32_e64 s[12:13], 0, v45
	v_cndmask_b32_e64 v37, |v37|, v38, s[12:13]
	s_and_b64 vcc, vcc, s[36:37]
	v_cndmask_b32_e32 v37, v37, v39, vcc
	v_cmp_o_f32_e32 vcc, v46, v46
	v_cndmask_b32_e32 v37, v32, v37, vcc
.LBB56_565:                             ;   in Loop: Header=BB56_401 Depth=1
	s_or_b64 exec, exec, s[34:35]
	v_bfi_b32 v14, s53, v43, v14
	v_bfi_b32 v13, s53, v37, v13
.LBB56_566:                             ;   in Loop: Header=BB56_401 Depth=1
	s_or_b64 exec, exec, s[30:31]
.LBB56_567:                             ;   in Loop: Header=BB56_401 Depth=1
	s_or_b64 exec, exec, s[28:29]
                                        ; implicit-def: $vgpr37
                                        ; implicit-def: $vgpr40
                                        ; implicit-def: $vgpr39
.LBB56_568:                             ;   in Loop: Header=BB56_401 Depth=1
	s_andn2_saveexec_b64 s[28:29], s[14:15]
	s_cbranch_execz .LBB56_590
; %bb.569:                              ;   in Loop: Header=BB56_401 Depth=1
	v_cmp_lt_i32_e32 vcc, -1, v14
                                        ; implicit-def: $sgpr30_sgpr31
                                        ; implicit-def: $vgpr38
                                        ; implicit-def: $vgpr41
	s_and_saveexec_b64 s[12:13], vcc
	s_xor_b64 s[34:35], exec, s[12:13]
	s_cbranch_execz .LBB56_579
; %bb.570:                              ;   in Loop: Header=BB56_401 Depth=1
	v_cmp_lt_f32_e64 s[12:13], |v14|, |v13|
	v_cndmask_b32_e64 v42, |v14|, |v13|, s[12:13]
	v_cmp_nlt_f32_e32 vcc, s72, v42
                                        ; implicit-def: $vgpr38
                                        ; implicit-def: $vgpr41
	s_and_saveexec_b64 s[14:15], vcc
	s_xor_b64 s[30:31], exec, s[14:15]
	s_cbranch_execz .LBB56_576
; %bb.571:                              ;   in Loop: Header=BB56_401 Depth=1
	v_cndmask_b32_e64 v43, |v13|, |v14|, s[12:13]
	v_cmp_nlt_f32_e32 vcc, s73, v42
	v_cmp_ngt_f32_e64 s[14:15], s74, v43
	s_and_b64 s[14:15], vcc, s[14:15]
                                        ; implicit-def: $vgpr38
                                        ; implicit-def: $vgpr41
	s_and_saveexec_b64 s[36:37], s[14:15]
	s_xor_b64 s[14:15], exec, s[36:37]
	s_cbranch_execz .LBB56_573
; %bb.572:                              ;   in Loop: Header=BB56_401 Depth=1
	v_mul_f32_e32 v38, v43, v43
	v_fmac_f32_e32 v38, v42, v42
	v_cmp_gt_f32_e32 vcc, s58, v38
	v_cndmask_b32_e64 v41, 0, 32, vcc
	v_ldexp_f32 v38, v38, v41
	v_log_f32_e32 v38, v38
	s_waitcnt lgkmcnt(0)
	v_min_f32_e32 v37, v40, v37
	v_frexp_mant_f32_e32 v40, v39
	v_rcp_f32_e32 v40, v40
	v_mul_f32_e32 v42, 0x3f317217, v38
	v_fma_f32 v42, v38, s59, -v42
	v_fmac_f32_e32 v42, 0x3377d1cf, v38
	v_cndmask_b32_e32 v41, 0, v31, vcc
	v_fmac_f32_e32 v42, 0x3f317217, v38
	v_cmp_lt_f32_e64 vcc, |v38|, s54
	v_cndmask_b32_e32 v38, v38, v42, vcc
	v_sub_f32_e32 v38, v38, v41
	v_frexp_exp_i32_f32_e32 v39, v39
	v_frexp_exp_i32_f32_e32 v41, v37
	v_frexp_mant_f32_e32 v37, v37
	v_mul_f32_e32 v37, v37, v40
	v_sub_u32_e32 v39, v41, v39
	v_ldexp_f32 v41, v37, v39
	v_mul_f32_e32 v37, v41, v41
	v_mov_b32_e32 v39, 0xbc7a590c
	v_fmac_f32_e32 v39, 0x3b2d2a58, v37
	v_fma_f32 v39, v37, v39, v24
	v_fma_f32 v39, v37, v39, v25
	;; [unrolled: 1-line block ×6, first 2 shown]
	v_mul_f32_e32 v37, v37, v39
	v_mul_f32_e32 v38, 0.5, v38
	v_fmac_f32_e32 v41, v41, v37
                                        ; implicit-def: $vgpr39
                                        ; implicit-def: $vgpr40
                                        ; implicit-def: $vgpr37
.LBB56_573:                             ;   in Loop: Header=BB56_401 Depth=1
	s_andn2_saveexec_b64 s[14:15], s[14:15]
	s_cbranch_execz .LBB56_575
; %bb.574:                              ;   in Loop: Header=BB56_401 Depth=1
	v_cvt_f64_f32_e32 v[41:42], v39
	v_cmp_neq_f32_e32 vcc, s54, v39
	s_waitcnt lgkmcnt(0)
	v_min_f32_e32 v37, v40, v37
	v_frexp_exp_i32_f32_e32 v40, v39
	v_frexp_exp_i32_f64_e32 v38, v[41:42]
	v_frexp_mant_f32_e32 v41, v39
	v_rcp_f32_e32 v41, v41
	v_frexp_exp_i32_f32_e32 v43, v37
	v_frexp_mant_f32_e32 v37, v37
	v_sub_u32_e32 v40, v43, v40
	v_mul_f32_e32 v37, v37, v41
	v_ldexp_f32 v41, v37, v40
	v_sub_u32_e32 v44, 0, v38
	v_ldexp_f32 v45, |v14|, v44
	v_ldexp_f32 v44, |v13|, v44
	v_mul_f32_e32 v44, v44, v44
	v_fmac_f32_e32 v44, v45, v45
	v_sqrt_f32_e32 v44, v44
	v_mov_b32_e32 v42, 0xbc7a590c
	v_mul_f32_e32 v37, v41, v41
	v_fmac_f32_e32 v42, 0x3b2d2a58, v37
	v_ldexp_f32 v38, v44, v38
	v_cndmask_b32_e32 v38, v30, v38, vcc
	v_cmp_gt_f32_e32 vcc, s58, v38
	v_cndmask_b32_e64 v39, 0, 32, vcc
	v_ldexp_f32 v38, v38, v39
	v_log_f32_e32 v38, v38
	v_cndmask_b32_e32 v39, 0, v31, vcc
	v_mul_f32_e32 v40, 0x3f317217, v38
	v_fma_f32 v40, v38, s59, -v40
	v_fmac_f32_e32 v40, 0x3377d1cf, v38
	v_fmac_f32_e32 v40, 0x3f317217, v38
	v_cmp_lt_f32_e64 vcc, |v38|, s54
	v_cndmask_b32_e32 v38, v38, v40, vcc
	v_sub_f32_e32 v38, v38, v39
	v_fma_f32 v39, v37, v42, v24
	v_fma_f32 v39, v37, v39, v25
	;; [unrolled: 1-line block ×6, first 2 shown]
	v_mul_f32_e32 v37, v37, v39
	v_fmac_f32_e32 v41, v41, v37
.LBB56_575:                             ;   in Loop: Header=BB56_401 Depth=1
	s_or_b64 exec, exec, s[14:15]
                                        ; implicit-def: $vgpr40
                                        ; implicit-def: $vgpr37
                                        ; implicit-def: $vgpr39
.LBB56_576:                             ;   in Loop: Header=BB56_401 Depth=1
	s_andn2_saveexec_b64 s[30:31], s[30:31]
	s_cbranch_execz .LBB56_578
; %bb.577:                              ;   in Loop: Header=BB56_401 Depth=1
	v_div_scale_f32 v38, s[14:15], s75, s75, v14
	v_div_scale_f32 v41, s[14:15], s75, s75, v13
	v_div_scale_f32 v42, vcc, v14, s75, v14
	v_div_scale_f32 v43, s[14:15], v13, s75, v13
	s_waitcnt lgkmcnt(0)
	v_min_f32_e32 v40, v40, v37
	v_rcp_f32_e32 v44, v38
	v_rcp_f32_e32 v45, v41
	v_fma_f32 v46, -v38, v44, 1.0
	v_fmac_f32_e32 v44, v46, v44
	v_fma_f32 v47, -v41, v45, 1.0
	v_fmac_f32_e32 v45, v47, v45
	v_mul_f32_e32 v46, v42, v44
	v_mul_f32_e32 v47, v43, v45
	v_fma_f32 v48, -v38, v46, v42
	v_fma_f32 v49, -v41, v47, v43
	v_fmac_f32_e32 v46, v48, v44
	v_fmac_f32_e32 v47, v49, v45
	v_fma_f32 v38, -v38, v46, v42
	v_fma_f32 v41, -v41, v47, v43
	v_div_fmas_f32 v38, v38, v44, v46
	s_mov_b64 vcc, s[14:15]
	v_div_fmas_f32 v41, v41, v45, v47
	v_frexp_exp_i32_f32_e32 v42, v39
	v_frexp_mant_f32_e32 v39, v39
	v_rcp_f32_e32 v39, v39
	v_mov_b32_e32 v43, 0xbc7a590c
	v_div_fixup_f32 v44, v38, s75, v14
	v_div_fixup_f32 v45, v41, s75, v13
	v_max_f32_e64 v46, v44, |v45|
	v_cvt_f64_f32_e32 v[37:38], v46
	v_frexp_exp_i32_f32_e32 v41, v40
	v_frexp_mant_f32_e32 v40, v40
	v_mul_f32_e32 v39, v40, v39
	v_frexp_exp_i32_f64_e32 v37, v[37:38]
	v_sub_u32_e32 v38, v41, v42
	v_cmp_neq_f32_e32 vcc, s54, v46
	v_ldexp_f32 v41, v39, v38
	v_mul_f32_e32 v38, v41, v41
	v_fmac_f32_e32 v43, 0x3b2d2a58, v38
	v_fma_f32 v39, v38, v43, v24
	v_fma_f32 v39, v38, v39, v25
	v_sub_u32_e32 v40, 0, v37
	v_ldexp_f32 v42, v44, v40
	v_ldexp_f32 v40, |v45|, v40
	v_mul_f32_e32 v40, v40, v40
	v_fmac_f32_e32 v40, v42, v42
	v_sqrt_f32_e32 v40, v40
	v_fma_f32 v39, v38, v39, v26
	v_fma_f32 v39, v38, v39, v27
	;; [unrolled: 1-line block ×3, first 2 shown]
	v_ldexp_f32 v37, v40, v37
	v_cndmask_b32_e32 v37, v30, v37, vcc
	v_cmp_gt_f32_e32 vcc, s58, v37
	v_cndmask_b32_e64 v40, 0, 32, vcc
	v_ldexp_f32 v37, v37, v40
	v_log_f32_e32 v37, v37
	v_fma_f32 v39, v38, v39, v29
	v_mul_f32_e32 v39, v38, v39
	v_cndmask_b32_e32 v38, 0, v31, vcc
	v_mul_f32_e32 v40, 0x3f317217, v37
	v_fma_f32 v40, v37, s59, -v40
	v_fmac_f32_e32 v40, 0x3377d1cf, v37
	v_fmac_f32_e32 v40, 0x3f317217, v37
	v_cmp_lt_f32_e64 vcc, |v37|, s54
	v_cndmask_b32_e32 v37, v37, v40, vcc
	v_sub_f32_e32 v37, v37, v38
	v_add_f32_e32 v38, 1.0, v37
	v_fmac_f32_e32 v41, v41, v39
.LBB56_578:                             ;   in Loop: Header=BB56_401 Depth=1
	s_or_b64 exec, exec, s[30:31]
	s_waitcnt lgkmcnt(0)
	v_sub_f32_e32 v37, 0x3fc90fdb, v41
	v_cndmask_b32_e64 v37, v41, v37, s[12:13]
	v_cmp_neq_f32_e32 vcc, 0, v13
	v_cndmask_b32_e32 v41, 0, v37, vcc
	v_cmp_class_f32_e64 s[30:31], v14, s71
                                        ; implicit-def: $vgpr37
.LBB56_579:                             ;   in Loop: Header=BB56_401 Depth=1
	s_andn2_saveexec_b64 s[34:35], s[34:35]
	s_cbranch_execz .LBB56_589
; %bb.580:                              ;   in Loop: Header=BB56_401 Depth=1
	v_cmp_gt_f32_e64 s[12:13], |v13|, -v14
	v_cndmask_b32_e64 v40, -v14, |v13|, s[12:13]
	v_cmp_nlt_f32_e32 vcc, s72, v40
                                        ; implicit-def: $vgpr38
                                        ; implicit-def: $vgpr39
	s_and_saveexec_b64 s[14:15], vcc
	s_xor_b64 s[36:37], exec, s[14:15]
	s_cbranch_execz .LBB56_586
; %bb.581:                              ;   in Loop: Header=BB56_401 Depth=1
	v_xor_b32_e32 v38, 0x80000000, v14
	v_cndmask_b32_e64 v41, |v13|, v38, s[12:13]
	v_cmp_nlt_f32_e32 vcc, s73, v40
	v_cmp_ngt_f32_e64 s[14:15], s74, v41
	s_and_b64 s[14:15], vcc, s[14:15]
                                        ; implicit-def: $vgpr38
                                        ; implicit-def: $vgpr39
	s_and_saveexec_b64 s[38:39], s[14:15]
	s_xor_b64 s[14:15], exec, s[38:39]
	s_cbranch_execz .LBB56_583
; %bb.582:                              ;   in Loop: Header=BB56_401 Depth=1
	v_mul_f32_e32 v38, v41, v41
	v_fmac_f32_e32 v38, v40, v40
	v_cmp_gt_f32_e32 vcc, s58, v38
	v_cndmask_b32_e64 v39, 0, 32, vcc
	v_ldexp_f32 v38, v38, v39
	v_log_f32_e32 v38, v38
	v_cndmask_b32_e32 v39, 0, v31, vcc
	v_mul_f32_e32 v40, 0x3f317217, v38
	v_fma_f32 v40, v38, s59, -v40
	v_fmac_f32_e32 v40, 0x3377d1cf, v38
	v_fmac_f32_e32 v40, 0x3f317217, v38
	v_cmp_lt_f32_e64 vcc, |v38|, s54
	v_cndmask_b32_e32 v38, v38, v40, vcc
	v_sub_f32_e32 v38, v38, v39
	v_max_f32_e64 v39, -v14, -v14
	s_waitcnt lgkmcnt(0)
	v_min_f32_e32 v40, v39, v37
	v_max_f32_e32 v37, v39, v37
	v_frexp_mant_f32_e32 v39, v37
	v_rcp_f32_e32 v39, v39
	v_frexp_exp_i32_f32_e32 v37, v37
	v_frexp_exp_i32_f32_e32 v41, v40
	v_frexp_mant_f32_e32 v40, v40
	v_mul_f32_e32 v39, v40, v39
	v_sub_u32_e32 v37, v41, v37
	v_ldexp_f32 v39, v39, v37
	v_mul_f32_e32 v37, v39, v39
	v_mov_b32_e32 v40, 0xbc7a590c
	v_fmac_f32_e32 v40, 0x3b2d2a58, v37
	v_fma_f32 v40, v37, v40, v24
	v_fma_f32 v40, v37, v40, v25
	v_fma_f32 v40, v37, v40, v26
	v_fma_f32 v40, v37, v40, v27
	v_fma_f32 v40, v37, v40, v28
	v_fma_f32 v40, v37, v40, v29
	v_mul_f32_e32 v37, v37, v40
	v_mul_f32_e32 v38, 0.5, v38
	v_fmac_f32_e32 v39, v39, v37
                                        ; implicit-def: $vgpr37
.LBB56_583:                             ;   in Loop: Header=BB56_401 Depth=1
	s_andn2_saveexec_b64 s[14:15], s[14:15]
	s_cbranch_execz .LBB56_585
; %bb.584:                              ;   in Loop: Header=BB56_401 Depth=1
	v_max_f32_e64 v40, -v14, -v14
	s_waitcnt lgkmcnt(0)
	v_max_f32_e32 v41, v40, v37
	v_cvt_f64_f32_e32 v[38:39], v41
	v_min_f32_e32 v37, v40, v37
	v_frexp_mant_f32_e32 v40, v41
	v_rcp_f32_e32 v40, v40
	v_frexp_exp_i32_f64_e32 v38, v[38:39]
	v_cmp_neq_f32_e32 vcc, s54, v41
	v_frexp_exp_i32_f32_e32 v43, v37
	v_frexp_mant_f32_e32 v37, v37
	v_mul_f32_e32 v37, v37, v40
	v_frexp_exp_i32_f32_e32 v39, v41
	v_sub_u32_e32 v39, v43, v39
	v_ldexp_f32 v39, v37, v39
	v_sub_u32_e32 v44, 0, v38
	v_ldexp_f32 v45, -v14, v44
	v_ldexp_f32 v44, |v13|, v44
	v_mul_f32_e32 v44, v44, v44
	v_fmac_f32_e32 v44, v45, v45
	v_sqrt_f32_e32 v44, v44
	v_mov_b32_e32 v42, 0xbc7a590c
	v_mul_f32_e32 v37, v39, v39
	v_fmac_f32_e32 v42, 0x3b2d2a58, v37
	v_ldexp_f32 v38, v44, v38
	v_cndmask_b32_e32 v38, v30, v38, vcc
	v_cmp_gt_f32_e32 vcc, s58, v38
	v_cndmask_b32_e64 v40, 0, 32, vcc
	v_ldexp_f32 v38, v38, v40
	v_log_f32_e32 v38, v38
	v_cndmask_b32_e32 v40, 0, v31, vcc
	v_mul_f32_e32 v41, 0x3f317217, v38
	v_fma_f32 v41, v38, s59, -v41
	v_fmac_f32_e32 v41, 0x3377d1cf, v38
	v_fmac_f32_e32 v41, 0x3f317217, v38
	v_cmp_lt_f32_e64 vcc, |v38|, s54
	v_cndmask_b32_e32 v38, v38, v41, vcc
	v_sub_f32_e32 v38, v38, v40
	v_fma_f32 v40, v37, v42, v24
	v_fma_f32 v40, v37, v40, v25
	;; [unrolled: 1-line block ×6, first 2 shown]
	v_mul_f32_e32 v37, v37, v40
	v_fmac_f32_e32 v39, v39, v37
.LBB56_585:                             ;   in Loop: Header=BB56_401 Depth=1
	s_or_b64 exec, exec, s[14:15]
                                        ; implicit-def: $vgpr37
.LBB56_586:                             ;   in Loop: Header=BB56_401 Depth=1
	s_andn2_saveexec_b64 s[36:37], s[36:37]
	s_cbranch_execz .LBB56_588
; %bb.587:                              ;   in Loop: Header=BB56_401 Depth=1
	v_div_scale_f32 v38, s[14:15], s76, s76, v14
	v_div_scale_f32 v39, s[14:15], s76, s76, v13
	v_div_scale_f32 v40, vcc, v14, s76, v14
	v_div_scale_f32 v41, s[14:15], v13, s76, v13
	v_rcp_f32_e32 v42, v38
	v_rcp_f32_e32 v43, v39
	v_fma_f32 v44, -v38, v42, 1.0
	v_fmac_f32_e32 v42, v44, v42
	v_fma_f32 v45, -v39, v43, 1.0
	v_fmac_f32_e32 v43, v45, v43
	v_mul_f32_e32 v44, v40, v42
	v_mul_f32_e32 v45, v41, v43
	v_fma_f32 v46, -v38, v44, v40
	v_fma_f32 v47, -v39, v45, v41
	v_fmac_f32_e32 v44, v46, v42
	v_fmac_f32_e32 v45, v47, v43
	v_fma_f32 v38, -v38, v44, v40
	v_fma_f32 v39, -v39, v45, v41
	v_div_fmas_f32 v38, v38, v42, v44
	s_mov_b64 vcc, s[14:15]
	v_div_fmas_f32 v39, v39, v43, v45
	v_max_f32_e64 v40, -v14, -v14
	s_waitcnt lgkmcnt(0)
	v_min_f32_e32 v42, v40, v37
	v_max_f32_e32 v37, v40, v37
	v_frexp_exp_i32_f32_e32 v40, v37
	v_frexp_mant_f32_e32 v43, v37
	v_rcp_f32_e32 v43, v43
	v_mov_b32_e32 v41, 0xbc7a590c
	v_div_fixup_f32 v44, v38, s76, v14
	v_div_fixup_f32 v45, v39, s76, v13
	v_max_f32_e64 v46, |v44|, |v45|
	v_cvt_f64_f32_e32 v[37:38], v46
	v_frexp_exp_i32_f32_e32 v39, v42
	v_frexp_mant_f32_e32 v42, v42
	v_cmp_neq_f32_e32 vcc, s54, v46
	v_frexp_exp_i32_f64_e32 v37, v[37:38]
	v_sub_u32_e32 v38, v39, v40
	v_mul_f32_e32 v39, v42, v43
	v_ldexp_f32 v39, v39, v38
	v_mul_f32_e32 v38, v39, v39
	v_fmac_f32_e32 v41, 0x3b2d2a58, v38
	v_fma_f32 v40, v38, v41, v24
	v_fma_f32 v40, v38, v40, v25
	v_sub_u32_e32 v41, 0, v37
	v_ldexp_f32 v42, |v44|, v41
	v_ldexp_f32 v41, |v45|, v41
	v_mul_f32_e32 v41, v41, v41
	v_fmac_f32_e32 v41, v42, v42
	v_sqrt_f32_e32 v41, v41
	v_fma_f32 v40, v38, v40, v26
	v_fma_f32 v40, v38, v40, v27
	;; [unrolled: 1-line block ×3, first 2 shown]
	v_ldexp_f32 v37, v41, v37
	v_cndmask_b32_e32 v37, v30, v37, vcc
	v_cmp_gt_f32_e32 vcc, s58, v37
	v_cndmask_b32_e64 v41, 0, 32, vcc
	v_ldexp_f32 v37, v37, v41
	v_log_f32_e32 v37, v37
	v_fma_f32 v40, v38, v40, v29
	v_mul_f32_e32 v40, v38, v40
	v_cndmask_b32_e32 v38, 0, v31, vcc
	v_mul_f32_e32 v41, 0x3f317217, v37
	v_fma_f32 v41, v37, s59, -v41
	v_fmac_f32_e32 v41, 0x3377d1cf, v37
	v_fmac_f32_e32 v41, 0x3f317217, v37
	v_cmp_lt_f32_e64 vcc, |v37|, s54
	v_cndmask_b32_e32 v37, v37, v41, vcc
	v_sub_f32_e32 v37, v37, v38
	v_add_f32_e32 v38, 1.0, v37
	v_fmac_f32_e32 v39, v39, v40
.LBB56_588:                             ;   in Loop: Header=BB56_401 Depth=1
	s_or_b64 exec, exec, s[36:37]
	s_waitcnt lgkmcnt(0)
	v_sub_f32_e32 v37, 0x3fc90fdb, v39
	v_cndmask_b32_e64 v37, v39, v37, s[12:13]
	v_cmp_neq_f32_e32 vcc, 0, v13
	v_cndmask_b32_e32 v41, 0, v37, vcc
	v_cmp_eq_f32_e32 vcc, s64, v14
	s_andn2_b64 s[12:13], s[30:31], exec
	s_and_b64 s[14:15], vcc, exec
	s_or_b64 s[30:31], s[12:13], s[14:15]
.LBB56_589:                             ;   in Loop: Header=BB56_401 Depth=1
	s_or_b64 exec, exec, s[34:35]
	v_cmp_class_f32_e64 s[12:13], v13, s71
	s_and_b64 vcc, s[12:13], s[30:31]
	s_waitcnt lgkmcnt(0)
	v_cndmask_b32_e32 v37, v41, v35, vcc
	v_add_f32_e32 v38, 0x3f317218, v38
	v_bfi_b32 v14, s53, v38, v14
	v_bfi_b32 v13, s53, v37, v13
.LBB56_590:                             ;   in Loop: Header=BB56_401 Depth=1
	s_or_b64 exec, exec, s[28:29]
.LBB56_591:                             ;   in Loop: Header=BB56_401 Depth=1
	s_andn2_saveexec_b64 s[12:13], s[26:27]
	s_cbranch_execz .LBB56_605
; %bb.592:                              ;   in Loop: Header=BB56_401 Depth=1
	v_cmp_neq_f32_e64 s[14:15], |v14|, s54
                                        ; implicit-def: $vgpr37
                                        ; implicit-def: $vgpr38
	s_and_saveexec_b64 s[26:27], s[14:15]
	s_xor_b64 s[14:15], exec, s[26:27]
	s_cbranch_execz .LBB56_602
; %bb.593:                              ;   in Loop: Header=BB56_401 Depth=1
	v_cmp_neq_f32_e64 s[26:27], |v13|, s54
                                        ; implicit-def: $vgpr37
                                        ; implicit-def: $vgpr38
	s_and_saveexec_b64 s[28:29], s[26:27]
	s_xor_b64 s[26:27], exec, s[28:29]
	s_cbranch_execz .LBB56_599
; %bb.594:                              ;   in Loop: Header=BB56_401 Depth=1
	v_cmp_neq_f32_e32 vcc, 0, v13
                                        ; implicit-def: $vgpr37
	s_and_saveexec_b64 s[28:29], vcc
	s_xor_b64 s[28:29], exec, s[28:29]
	s_cbranch_execz .LBB56_596
; %bb.595:                              ;   in Loop: Header=BB56_401 Depth=1
	v_add_f32_e32 v14, 0, v14
	s_waitcnt lgkmcnt(0)
	v_add_f32_e32 v37, v13, v14
                                        ; implicit-def: $vgpr14
.LBB56_596:                             ;   in Loop: Header=BB56_401 Depth=1
	s_or_saveexec_b64 s[28:29], s[28:29]
	s_waitcnt lgkmcnt(0)
	v_mov_b32_e32 v38, v37
	s_xor_b64 exec, exec, s[28:29]
; %bb.597:                              ;   in Loop: Header=BB56_401 Depth=1
	v_add_f32_e32 v38, v14, v14
	v_mov_b32_e32 v37, v13
; %bb.598:                              ;   in Loop: Header=BB56_401 Depth=1
	s_or_b64 exec, exec, s[28:29]
                                        ; implicit-def: $vgpr14
.LBB56_599:                             ;   in Loop: Header=BB56_401 Depth=1
	s_andn2_saveexec_b64 s[26:27], s[26:27]
	s_cbranch_execz .LBB56_601
; %bb.600:                              ;   in Loop: Header=BB56_401 Depth=1
	s_waitcnt lgkmcnt(0)
	v_add_f32_e32 v37, v14, v14
	v_mov_b32_e32 v38, v13
.LBB56_601:                             ;   in Loop: Header=BB56_401 Depth=1
	s_or_b64 exec, exec, s[26:27]
                                        ; implicit-def: $vgpr13
.LBB56_602:                             ;   in Loop: Header=BB56_401 Depth=1
	s_andn2_saveexec_b64 s[14:15], s[14:15]
	s_cbranch_execz .LBB56_604
; %bb.603:                              ;   in Loop: Header=BB56_401 Depth=1
	s_waitcnt lgkmcnt(0)
	v_add_f32_e32 v37, v13, v13
	v_mov_b32_e32 v38, v14
.LBB56_604:                             ;   in Loop: Header=BB56_401 Depth=1
	s_or_b64 exec, exec, s[14:15]
	v_mov_b32_e32 v14, v38
	s_waitcnt lgkmcnt(0)
	v_mov_b32_e32 v13, v37
.LBB56_605:                             ;   in Loop: Header=BB56_401 Depth=1
	s_or_b64 exec, exec, s[12:13]
	v_cmp_o_f32_e32 vcc, v6, v5
	s_and_saveexec_b64 s[12:13], vcc
	s_xor_b64 s[26:27], exec, s[12:13]
	s_cbranch_execz .LBB56_689
; %bb.606:                              ;   in Loop: Header=BB56_401 Depth=1
	s_waitcnt lgkmcnt(0)
	v_max_f32_e64 v37, |v5|, |v5|
	v_max_f32_e64 v40, |v6|, |v6|
	v_max_f32_e32 v39, v40, v37
	v_cmp_nlt_f32_e32 vcc, s51, v39
	s_and_saveexec_b64 s[12:13], vcc
	s_xor_b64 s[14:15], exec, s[12:13]
	s_cbranch_execz .LBB56_666
; %bb.607:                              ;   in Loop: Header=BB56_401 Depth=1
	v_cmp_neq_f32_e32 vcc, 0, v6
	v_cmp_neq_f32_e64 s[12:13], 0, v5
	s_or_b64 s[12:13], vcc, s[12:13]
	s_and_saveexec_b64 s[28:29], s[12:13]
	s_cbranch_execz .LBB56_665
; %bb.608:                              ;   in Loop: Header=BB56_401 Depth=1
	v_mov_b32_e32 v38, s17
	v_mov_b32_e32 v37, s16
	flat_store_dword v[37:38], v17
	s_waitcnt vmcnt(0)
	flat_load_dword v37, v[37:38] glc
	s_waitcnt vmcnt(0)
	v_cmp_nlt_f32_e64 s[12:13], |v6|, s52
	v_cmp_nlt_f32_e64 s[30:31], |v5|, s52
	s_or_b64 s[12:13], s[12:13], s[30:31]
	s_waitcnt lgkmcnt(0)
	v_add_f32_e32 v39, 1.0, v37
	v_mov_b32_e32 v38, s23
	v_mov_b32_e32 v37, s22
	flat_store_dword v[37:38], v39
	s_waitcnt vmcnt(0)
	flat_load_dword v37, v[37:38] glc
	s_waitcnt vmcnt(0)
	s_and_saveexec_b64 s[30:31], s[12:13]
	s_cbranch_execz .LBB56_664
; %bb.609:                              ;   in Loop: Header=BB56_401 Depth=1
	v_add_f32_e64 v39, |v5|, 1.0
	s_waitcnt lgkmcnt(0)
	v_max_f32_e32 v37, v40, v39
	v_add_f32_e64 v38, |v5|, -1.0
	v_cvt_f64_f32_e32 v[41:42], v37
	v_max_f32_e64 v40, v40, |v38|
	v_cvt_f64_f32_e32 v[43:44], v40
	v_cmp_neq_f32_e32 vcc, s54, v37
	v_frexp_exp_i32_f64_e32 v41, v[41:42]
	v_frexp_exp_i32_f64_e32 v42, v[43:44]
	v_sub_u32_e32 v43, 0, v41
	v_ldexp_f32 v45, |v6|, v43
	v_sub_u32_e32 v44, 0, v42
	v_ldexp_f32 v43, v39, v43
	v_ldexp_f32 v46, |v6|, v44
	v_ldexp_f32 v44, |v38|, v44
	v_mul_f32_e32 v43, v43, v43
	v_mul_f32_e32 v44, v44, v44
	v_fmac_f32_e32 v43, v45, v45
	v_fmac_f32_e32 v44, v46, v46
	v_sqrt_f32_e32 v43, v43
	v_sqrt_f32_e32 v44, v44
	v_ldexp_f32 v41, v43, v41
	v_ldexp_f32 v43, v44, v42
	v_cndmask_b32_e32 v42, v30, v41, vcc
	v_cmp_neq_f32_e32 vcc, s54, v40
	v_cndmask_b32_e32 v40, v30, v43, vcc
	v_add_f32_e32 v37, v42, v40
	v_mul_f32_e32 v37, 0.5, v37
	v_cmp_ngt_f32_e32 vcc, 1.0, v37
	v_cndmask_b32_e32 v37, 1.0, v37, vcc
	v_cmp_ngt_f32_e32 vcc, s55, v37
                                        ; implicit-def: $vgpr43
	s_and_saveexec_b64 s[12:13], vcc
	s_xor_b64 s[34:35], exec, s[12:13]
	s_cbranch_execz .LBB56_611
; %bb.610:                              ;   in Loop: Header=BB56_401 Depth=1
	v_fma_f32 v41, v37, v37, -1.0
	v_mul_f32_e32 v43, 0x4f800000, v41
	v_cmp_gt_f32_e32 vcc, s56, v41
	v_cndmask_b32_e32 v41, v41, v43, vcc
	v_sqrt_f32_e32 v43, v41
	v_add_u32_e32 v44, -1, v43
	v_fma_f32 v46, -v44, v43, v41
	v_add_u32_e32 v45, 1, v43
	v_cmp_ge_f32_e64 s[12:13], 0, v46
	v_cndmask_b32_e64 v44, v43, v44, s[12:13]
	v_fma_f32 v43, -v45, v43, v41
	v_cmp_lt_f32_e64 s[12:13], 0, v43
	v_cndmask_b32_e64 v43, v44, v45, s[12:13]
	v_mul_f32_e32 v44, 0x37800000, v43
	v_cndmask_b32_e32 v43, v43, v44, vcc
	v_cmp_class_f32_e32 vcc, v41, v18
	v_cndmask_b32_e32 v41, v43, v41, vcc
	v_add_f32_e32 v41, v37, v41
	v_cmp_gt_f32_e32 vcc, s58, v41
	v_cndmask_b32_e64 v43, 0, 32, vcc
	v_ldexp_f32 v41, v41, v43
	v_log_f32_e32 v41, v41
	v_mul_f32_e32 v43, 0x3f317217, v41
	v_fma_f32 v43, v41, s59, -v43
	v_fmac_f32_e32 v43, 0x3377d1cf, v41
	v_fmac_f32_e32 v43, 0x3f317217, v41
	v_cmp_lt_f32_e64 s[12:13], |v41|, s54
	v_cndmask_b32_e64 v41, v41, v43, s[12:13]
	v_cndmask_b32_e32 v43, 0, v31, vcc
	v_sub_f32_e32 v43, v41, v43
.LBB56_611:                             ;   in Loop: Header=BB56_401 Depth=1
	s_or_saveexec_b64 s[34:35], s[34:35]
	v_and_b32_e32 v41, 0x7fffffff, v6
	s_xor_b64 exec, exec, s[34:35]
	s_cbranch_execz .LBB56_633
; %bb.612:                              ;   in Loop: Header=BB56_401 Depth=1
	v_cmp_neq_f32_e64 s[12:13], |v5|, 1.0
	v_cmp_nlt_f32_e64 s[36:37], |v6|, s60
	s_or_b64 s[12:13], s[36:37], s[12:13]
                                        ; implicit-def: $vgpr43
	s_and_saveexec_b64 s[36:37], s[12:13]
	s_xor_b64 s[36:37], exec, s[36:37]
	s_cbranch_execz .LBB56_630
; %bb.613:                              ;   in Loop: Header=BB56_401 Depth=1
	v_mul_f32_e64 v43, |v38|, s61
	v_cmp_ge_f32_e64 s[12:13], |v6|, v43
                                        ; implicit-def: $vgpr43
	s_and_saveexec_b64 s[38:39], s[12:13]
	s_xor_b64 s[38:39], exec, s[38:39]
	s_cbranch_execz .LBB56_623
; %bb.614:                              ;   in Loop: Header=BB56_401 Depth=1
	v_cmp_neq_f32_e32 vcc, 0, v39
	v_mov_b32_e32 v43, v41
	s_and_saveexec_b64 s[12:13], vcc
	s_cbranch_execz .LBB56_616
; %bb.615:                              ;   in Loop: Header=BB56_401 Depth=1
	v_mul_f32_e32 v43, v6, v6
	v_add_f32_e32 v44, v39, v42
	v_div_scale_f32 v45, s[40:41], v44, v44, v43
	v_div_scale_f32 v46, vcc, v43, v44, v43
	v_rcp_f32_e32 v47, v45
	v_fma_f32 v48, -v45, v47, 1.0
	v_fmac_f32_e32 v47, v48, v47
	v_mul_f32_e32 v48, v46, v47
	v_fma_f32 v49, -v45, v48, v46
	v_fmac_f32_e32 v48, v49, v47
	v_fma_f32 v45, -v45, v48, v46
	v_div_fmas_f32 v45, v45, v47, v48
	v_div_fixup_f32 v43, v45, v44, v43
.LBB56_616:                             ;   in Loop: Header=BB56_401 Depth=1
	s_or_b64 exec, exec, s[12:13]
	v_sub_f32_e64 v45, 1.0, |v5|
	v_cmp_ngt_f32_e32 vcc, 0, v45
                                        ; implicit-def: $vgpr44
	s_and_saveexec_b64 s[12:13], vcc
	s_xor_b64 s[12:13], exec, s[12:13]
	s_cbranch_execz .LBB56_620
; %bb.617:                              ;   in Loop: Header=BB56_401 Depth=1
	v_cmp_neq_f32_e32 vcc, 0, v45
	v_mov_b32_e32 v44, v41
	s_and_saveexec_b64 s[40:41], vcc
	s_cbranch_execz .LBB56_619
; %bb.618:                              ;   in Loop: Header=BB56_401 Depth=1
	v_mul_f32_e32 v44, v6, v6
	v_add_f32_e32 v45, v45, v40
	v_div_scale_f32 v46, s[42:43], v45, v45, v44
	v_div_scale_f32 v47, vcc, v44, v45, v44
	v_rcp_f32_e32 v48, v46
	v_fma_f32 v49, -v46, v48, 1.0
	v_fmac_f32_e32 v48, v49, v48
	v_mul_f32_e32 v49, v47, v48
	v_fma_f32 v50, -v46, v49, v47
	v_fmac_f32_e32 v49, v50, v48
	v_fma_f32 v46, -v46, v49, v47
	v_div_fmas_f32 v46, v46, v48, v49
	v_div_fixup_f32 v44, v46, v45, v44
.LBB56_619:                             ;   in Loop: Header=BB56_401 Depth=1
	s_or_b64 exec, exec, s[40:41]
                                        ; implicit-def: $vgpr45
.LBB56_620:                             ;   in Loop: Header=BB56_401 Depth=1
	s_andn2_saveexec_b64 s[12:13], s[12:13]
; %bb.621:                              ;   in Loop: Header=BB56_401 Depth=1
	v_sub_f32_e32 v44, v40, v45
; %bb.622:                              ;   in Loop: Header=BB56_401 Depth=1
	s_or_b64 exec, exec, s[12:13]
	v_mul_f32_e32 v44, 0.5, v44
	v_fmac_f32_e32 v44, 0.5, v43
	v_add_f32_e32 v43, 1.0, v37
	v_mul_f32_e32 v43, v43, v44
	v_mul_f32_e32 v45, 0x4f800000, v43
	v_cmp_gt_f32_e32 vcc, s56, v43
	v_cndmask_b32_e32 v43, v43, v45, vcc
	v_sqrt_f32_e32 v45, v43
	v_add_u32_e32 v46, -1, v45
	v_fma_f32 v47, -v46, v45, v43
	v_cmp_ge_f32_e64 s[12:13], 0, v47
	v_add_u32_e32 v47, 1, v45
	v_cndmask_b32_e64 v46, v45, v46, s[12:13]
	v_fma_f32 v45, -v47, v45, v43
	v_cmp_lt_f32_e64 s[12:13], 0, v45
	v_cndmask_b32_e64 v45, v46, v47, s[12:13]
	v_mul_f32_e32 v46, 0x37800000, v45
	v_cndmask_b32_e32 v45, v45, v46, vcc
	v_cmp_class_f32_e32 vcc, v43, v18
	v_cndmask_b32_e32 v43, v45, v43, vcc
	v_add_f32_e32 v45, v44, v43
	v_add_f32_e32 v46, 1.0, v45
	v_cvt_f64_f32_e32 v[43:44], v46
	v_add_f32_e32 v47, -1.0, v46
	v_frexp_exp_i32_f64_e32 v43, v[43:44]
	v_sub_f32_e32 v44, v47, v46
	v_add_f32_e32 v44, 1.0, v44
	v_sub_f32_e32 v47, v45, v47
	v_add_f32_e32 v44, v47, v44
	v_frexp_mant_f32_e32 v47, v46
	v_cmp_gt_f32_e32 vcc, s62, v47
	v_subbrev_co_u32_e32 v43, vcc, 0, v43, vcc
	v_sub_u32_e32 v47, 0, v43
	v_ldexp_f32 v46, v46, v47
	v_ldexp_f32 v44, v44, v47
	v_add_f32_e32 v47, -1.0, v46
	v_add_f32_e32 v50, 1.0, v46
	v_add_f32_e32 v48, 1.0, v47
	v_add_f32_e32 v51, -1.0, v50
	v_sub_f32_e32 v48, v46, v48
	v_sub_f32_e32 v46, v46, v51
	v_add_f32_e32 v48, v44, v48
	v_add_f32_e32 v44, v44, v46
	v_add_f32_e32 v46, v50, v44
	v_rcp_f32_e32 v51, v46
	v_add_f32_e32 v49, v47, v48
	v_sub_f32_e32 v47, v49, v47
	v_sub_f32_e32 v47, v48, v47
	;; [unrolled: 1-line block ×4, first 2 shown]
	v_mul_f32_e32 v48, v49, v51
	v_mul_f32_e32 v50, v46, v48
	v_fma_f32 v52, v48, v46, -v50
	v_fmac_f32_e32 v52, v48, v44
	v_add_f32_e32 v53, v50, v52
	v_sub_f32_e32 v54, v49, v53
	v_sub_f32_e32 v49, v49, v54
	;; [unrolled: 1-line block ×4, first 2 shown]
	v_add_f32_e32 v47, v47, v49
	v_sub_f32_e32 v49, v50, v52
	v_add_f32_e32 v47, v49, v47
	v_add_f32_e32 v49, v54, v47
	v_mul_f32_e32 v50, v51, v49
	v_mul_f32_e32 v52, v46, v50
	v_fma_f32 v46, v50, v46, -v52
	v_fmac_f32_e32 v46, v50, v44
	v_sub_f32_e32 v44, v54, v49
	v_add_f32_e32 v44, v47, v44
	v_add_f32_e32 v47, v52, v46
	v_sub_f32_e32 v53, v49, v47
	v_sub_f32_e32 v49, v49, v53
	v_sub_f32_e32 v52, v47, v52
	v_sub_f32_e32 v47, v49, v47
	v_add_f32_e32 v44, v44, v47
	v_sub_f32_e32 v46, v52, v46
	v_cvt_f32_i32_e32 v43, v43
	v_add_f32_e32 v44, v46, v44
	v_add_f32_e32 v46, v48, v50
	;; [unrolled: 1-line block ×3, first 2 shown]
	v_sub_f32_e32 v47, v46, v48
	v_mul_f32_e32 v44, v51, v44
	v_sub_f32_e32 v47, v50, v47
	v_add_f32_e32 v44, v47, v44
	v_mul_f32_e32 v50, 0x3f317218, v43
	v_add_f32_e32 v47, v46, v44
	v_fma_f32 v51, v43, s63, -v50
	v_mul_f32_e32 v48, v47, v47
	v_mov_b32_e32 v49, 0x3ecc95a3
	v_fmac_f32_e32 v51, 0xb102e308, v43
	v_sub_f32_e32 v43, v47, v46
	v_fmac_f32_e32 v49, 0x3e9b6dac, v48
	v_sub_f32_e32 v43, v44, v43
	v_add_f32_e32 v44, v50, v51
	v_fma_f32 v49, v48, v49, v19
	v_sub_f32_e32 v46, v44, v50
	v_ldexp_f32 v50, v47, 1
	v_mul_f32_e32 v47, v47, v48
	v_mul_f32_e32 v47, v47, v49
	v_add_f32_e32 v48, v50, v47
	v_sub_f32_e32 v49, v48, v50
	v_ldexp_f32 v43, v43, 1
	v_sub_f32_e32 v47, v47, v49
	v_add_f32_e32 v43, v43, v47
	v_add_f32_e32 v47, v48, v43
	v_sub_f32_e32 v48, v47, v48
	v_sub_f32_e32 v43, v43, v48
	v_add_f32_e32 v48, v44, v47
	v_sub_f32_e32 v49, v48, v44
	v_sub_f32_e32 v50, v48, v49
	v_sub_f32_e32 v46, v51, v46
	v_sub_f32_e32 v44, v44, v50
	v_sub_f32_e32 v47, v47, v49
	v_add_f32_e32 v44, v47, v44
	v_add_f32_e32 v47, v46, v43
	v_sub_f32_e32 v49, v47, v46
	v_sub_f32_e32 v50, v47, v49
	;; [unrolled: 1-line block ×4, first 2 shown]
	v_add_f32_e32 v44, v47, v44
	v_add_f32_e32 v43, v43, v46
	;; [unrolled: 1-line block ×3, first 2 shown]
	v_sub_f32_e32 v47, v46, v48
	v_sub_f32_e32 v44, v44, v47
	v_add_f32_e32 v43, v43, v44
	v_add_f32_e32 v43, v46, v43
	v_cmp_neq_f32_e32 vcc, s54, v45
	v_cndmask_b32_e32 v43, v30, v43, vcc
	v_cmp_ngt_f32_e32 vcc, -1.0, v45
	v_cndmask_b32_e32 v43, v32, v43, vcc
	v_cmp_neq_f32_e32 vcc, -1.0, v45
	v_cndmask_b32_e32 v43, v33, v43, vcc
	v_cmp_lt_f32_e64 vcc, |v45|, s65
	v_cndmask_b32_e32 v43, v43, v45, vcc
.LBB56_623:                             ;   in Loop: Header=BB56_401 Depth=1
	s_andn2_saveexec_b64 s[38:39], s[38:39]
	s_cbranch_execz .LBB56_629
; %bb.624:                              ;   in Loop: Header=BB56_401 Depth=1
	v_cmp_nlt_f32_e64 s[12:13], |v5|, 1.0
                                        ; implicit-def: $vgpr43
	s_and_saveexec_b64 s[40:41], s[12:13]
	s_xor_b64 s[40:41], exec, s[40:41]
	s_cbranch_execz .LBB56_626
; %bb.625:                              ;   in Loop: Header=BB56_401 Depth=1
	v_mul_f32_e32 v43, v38, v39
	v_mul_f32_e32 v44, 0x4f800000, v43
	v_cmp_gt_f32_e32 vcc, s56, v43
	v_cndmask_b32_e32 v43, v43, v44, vcc
	v_sqrt_f32_e32 v44, v43
	v_add_u32_e32 v45, -1, v44
	v_fma_f32 v47, -v45, v44, v43
	v_add_u32_e32 v46, 1, v44
	v_cmp_ge_f32_e64 s[12:13], 0, v47
	v_cndmask_b32_e64 v45, v44, v45, s[12:13]
	v_fma_f32 v44, -v46, v44, v43
	v_cmp_lt_f32_e64 s[12:13], 0, v44
	v_cndmask_b32_e64 v44, v45, v46, s[12:13]
	v_mul_f32_e32 v45, 0x37800000, v44
	v_cndmask_b32_e32 v44, v44, v45, vcc
	v_cmp_class_f32_e32 vcc, v43, v18
	v_cndmask_b32_e32 v43, v44, v43, vcc
	v_add_f32_e32 v45, v38, v43
	v_add_f32_e32 v46, 1.0, v45
	v_cvt_f64_f32_e32 v[43:44], v46
	v_add_f32_e32 v47, -1.0, v46
	v_frexp_exp_i32_f64_e32 v43, v[43:44]
	v_sub_f32_e32 v44, v47, v46
	v_add_f32_e32 v44, 1.0, v44
	v_sub_f32_e32 v47, v45, v47
	v_add_f32_e32 v44, v47, v44
	v_frexp_mant_f32_e32 v47, v46
	v_cmp_gt_f32_e32 vcc, s62, v47
	v_subbrev_co_u32_e32 v43, vcc, 0, v43, vcc
	v_sub_u32_e32 v47, 0, v43
	v_ldexp_f32 v46, v46, v47
	v_ldexp_f32 v44, v44, v47
	v_add_f32_e32 v47, -1.0, v46
	v_add_f32_e32 v50, 1.0, v46
	v_add_f32_e32 v48, 1.0, v47
	v_add_f32_e32 v51, -1.0, v50
	v_sub_f32_e32 v48, v46, v48
	v_sub_f32_e32 v46, v46, v51
	v_add_f32_e32 v48, v44, v48
	v_add_f32_e32 v44, v44, v46
	;; [unrolled: 1-line block ×3, first 2 shown]
	v_rcp_f32_e32 v51, v46
	v_add_f32_e32 v49, v47, v48
	v_sub_f32_e32 v47, v49, v47
	v_sub_f32_e32 v47, v48, v47
	;; [unrolled: 1-line block ×4, first 2 shown]
	v_mul_f32_e32 v48, v49, v51
	v_mul_f32_e32 v50, v46, v48
	v_fma_f32 v52, v48, v46, -v50
	v_fmac_f32_e32 v52, v48, v44
	v_add_f32_e32 v53, v50, v52
	v_sub_f32_e32 v54, v49, v53
	v_sub_f32_e32 v49, v49, v54
	v_sub_f32_e32 v50, v53, v50
	v_sub_f32_e32 v49, v49, v53
	v_add_f32_e32 v47, v47, v49
	v_sub_f32_e32 v49, v50, v52
	v_add_f32_e32 v47, v49, v47
	v_add_f32_e32 v49, v54, v47
	v_mul_f32_e32 v50, v51, v49
	v_mul_f32_e32 v52, v46, v50
	v_fma_f32 v46, v50, v46, -v52
	v_fmac_f32_e32 v46, v50, v44
	v_sub_f32_e32 v44, v54, v49
	v_add_f32_e32 v44, v47, v44
	v_add_f32_e32 v47, v52, v46
	v_sub_f32_e32 v53, v49, v47
	v_sub_f32_e32 v49, v49, v53
	;; [unrolled: 1-line block ×4, first 2 shown]
	v_add_f32_e32 v44, v44, v47
	v_sub_f32_e32 v46, v52, v46
	v_cvt_f32_i32_e32 v43, v43
	v_add_f32_e32 v44, v46, v44
	v_add_f32_e32 v46, v48, v50
	;; [unrolled: 1-line block ×3, first 2 shown]
	v_sub_f32_e32 v47, v46, v48
	v_mul_f32_e32 v44, v51, v44
	v_sub_f32_e32 v47, v50, v47
	v_add_f32_e32 v44, v47, v44
	v_mul_f32_e32 v50, 0x3f317218, v43
	v_add_f32_e32 v47, v46, v44
	v_fma_f32 v51, v43, s63, -v50
	v_mul_f32_e32 v48, v47, v47
	v_mov_b32_e32 v49, 0x3ecc95a3
	v_fmac_f32_e32 v51, 0xb102e308, v43
	v_sub_f32_e32 v43, v47, v46
	v_fmac_f32_e32 v49, 0x3e9b6dac, v48
	v_sub_f32_e32 v43, v44, v43
	v_add_f32_e32 v44, v50, v51
	v_fma_f32 v49, v48, v49, v19
	v_sub_f32_e32 v46, v44, v50
	v_ldexp_f32 v50, v47, 1
	v_mul_f32_e32 v47, v47, v48
	v_mul_f32_e32 v47, v47, v49
	v_add_f32_e32 v48, v50, v47
	v_sub_f32_e32 v49, v48, v50
	v_ldexp_f32 v43, v43, 1
	v_sub_f32_e32 v47, v47, v49
	v_add_f32_e32 v43, v43, v47
	v_add_f32_e32 v47, v48, v43
	v_sub_f32_e32 v48, v47, v48
	v_sub_f32_e32 v43, v43, v48
	v_add_f32_e32 v48, v44, v47
	v_sub_f32_e32 v49, v48, v44
	v_sub_f32_e32 v50, v48, v49
	;; [unrolled: 1-line block ×5, first 2 shown]
	v_add_f32_e32 v44, v47, v44
	v_add_f32_e32 v47, v46, v43
	v_sub_f32_e32 v49, v47, v46
	v_sub_f32_e32 v50, v47, v49
	;; [unrolled: 1-line block ×4, first 2 shown]
	v_add_f32_e32 v44, v47, v44
	v_add_f32_e32 v43, v43, v46
	v_add_f32_e32 v46, v48, v44
	v_sub_f32_e32 v47, v46, v48
	v_sub_f32_e32 v44, v44, v47
	v_add_f32_e32 v43, v43, v44
	v_add_f32_e32 v43, v46, v43
	v_cmp_neq_f32_e32 vcc, s54, v45
	v_cndmask_b32_e32 v43, v30, v43, vcc
	v_cmp_ngt_f32_e32 vcc, -1.0, v45
	v_cndmask_b32_e32 v43, v32, v43, vcc
	v_cmp_neq_f32_e32 vcc, -1.0, v45
	v_cndmask_b32_e32 v43, v33, v43, vcc
	v_cmp_lt_f32_e64 vcc, |v45|, s65
	v_cndmask_b32_e32 v43, v43, v45, vcc
.LBB56_626:                             ;   in Loop: Header=BB56_401 Depth=1
	s_andn2_saveexec_b64 s[40:41], s[40:41]
	s_cbranch_execz .LBB56_628
; %bb.627:                              ;   in Loop: Header=BB56_401 Depth=1
	v_sub_f32_e64 v43, 1.0, |v5|
	v_mul_f32_e32 v43, v43, v39
	v_mul_f32_e32 v44, 0x4f800000, v43
	v_cmp_gt_f32_e32 vcc, s56, v43
	v_cndmask_b32_e32 v43, v43, v44, vcc
	v_sqrt_f32_e32 v44, v43
	v_add_u32_e32 v45, -1, v44
	v_fma_f32 v47, -v45, v44, v43
	v_add_u32_e32 v46, 1, v44
	v_cmp_ge_f32_e64 s[12:13], 0, v47
	v_cndmask_b32_e64 v45, v44, v45, s[12:13]
	v_fma_f32 v44, -v46, v44, v43
	v_cmp_lt_f32_e64 s[12:13], 0, v44
	v_cndmask_b32_e64 v44, v45, v46, s[12:13]
	v_mul_f32_e32 v45, 0x37800000, v44
	v_cndmask_b32_e32 v44, v44, v45, vcc
	v_cmp_class_f32_e32 vcc, v43, v18
	v_cndmask_b32_e32 v43, v44, v43, vcc
	v_and_b32_e32 v44, 0x7fffffff, v6
	v_div_scale_f32 v45, s[12:13], v43, v43, v44
	v_div_scale_f32 v44, vcc, v44, v43, v44
	v_rcp_f32_e32 v46, v45
	v_fma_f32 v47, -v45, v46, 1.0
	v_fmac_f32_e32 v46, v47, v46
	v_mul_f32_e32 v47, v44, v46
	v_fma_f32 v48, -v45, v47, v44
	v_fmac_f32_e32 v47, v48, v46
	v_fma_f32 v44, -v45, v47, v44
	v_div_fmas_f32 v44, v44, v46, v47
	v_div_fixup_f32 v43, v44, v43, |v6|
.LBB56_628:                             ;   in Loop: Header=BB56_401 Depth=1
	s_or_b64 exec, exec, s[40:41]
.LBB56_629:                             ;   in Loop: Header=BB56_401 Depth=1
	s_or_b64 exec, exec, s[38:39]
.LBB56_630:                             ;   in Loop: Header=BB56_401 Depth=1
	s_andn2_saveexec_b64 s[36:37], s[36:37]
	s_cbranch_execz .LBB56_632
; %bb.631:                              ;   in Loop: Header=BB56_401 Depth=1
	v_mul_f32_e64 v43, |v6|, s57
	v_cmp_lt_f32_e64 vcc, |v6|, s56
	v_cndmask_b32_e64 v43, |v6|, v43, vcc
	v_sqrt_f32_e32 v44, v43
	v_add_u32_e32 v45, -1, v44
	v_fma_f32 v47, -v45, v44, v43
	v_add_u32_e32 v46, 1, v44
	v_cmp_ge_f32_e64 s[12:13], 0, v47
	v_cndmask_b32_e64 v45, v44, v45, s[12:13]
	v_fma_f32 v44, -v46, v44, v43
	v_cmp_lt_f32_e64 s[12:13], 0, v44
	v_cndmask_b32_e64 v44, v45, v46, s[12:13]
	v_mul_f32_e32 v45, 0x37800000, v44
	v_cndmask_b32_e32 v44, v44, v45, vcc
	v_cmp_class_f32_e32 vcc, v43, v18
	v_cndmask_b32_e32 v43, v44, v43, vcc
.LBB56_632:                             ;   in Loop: Header=BB56_401 Depth=1
	s_or_b64 exec, exec, s[36:37]
.LBB56_633:                             ;   in Loop: Header=BB56_401 Depth=1
	s_or_b64 exec, exec, s[34:35]
	v_cmp_nlt_f32_e64 s[34:35], |v5|, s66
                                        ; implicit-def: $sgpr12_sgpr13
                                        ; implicit-def: $vgpr44
                                        ; implicit-def: $vgpr46
                                        ; implicit-def: $vgpr45
	s_and_saveexec_b64 s[36:37], s[34:35]
	s_xor_b64 s[34:35], exec, s[36:37]
	s_cbranch_execz .LBB56_657
; %bb.634:                              ;   in Loop: Header=BB56_401 Depth=1
	v_and_b32_e32 v45, 0x7fffffff, v5
	v_div_scale_f32 v44, s[12:13], v37, v37, v45
	v_div_scale_f32 v46, vcc, v45, v37, v45
	s_mov_b64 s[12:13], 0
	v_rcp_f32_e32 v47, v44
	v_fma_f32 v48, -v44, v47, 1.0
	v_fmac_f32_e32 v47, v48, v47
	v_mul_f32_e32 v48, v46, v47
	v_fma_f32 v49, -v44, v48, v46
	v_fmac_f32_e32 v48, v49, v47
	v_fma_f32 v44, -v44, v48, v46
	v_div_fmas_f32 v44, v44, v47, v48
                                        ; implicit-def: $vgpr46
	v_div_fixup_f32 v44, v44, v37, |v5|
	v_cmp_lt_f32_e32 vcc, s67, v44
	s_and_saveexec_b64 s[36:37], vcc
	s_cbranch_execz .LBB56_656
; %bb.635:                              ;   in Loop: Header=BB56_401 Depth=1
	v_cmp_neq_f32_e64 s[12:13], |v5|, 1.0
	v_cmp_nlt_f32_e64 s[38:39], |v6|, s68
	s_or_b64 s[12:13], s[38:39], s[12:13]
                                        ; implicit-def: $vgpr46
	s_and_saveexec_b64 s[38:39], s[12:13]
	s_xor_b64 s[38:39], exec, s[38:39]
	s_cbranch_execz .LBB56_653
; %bb.636:                              ;   in Loop: Header=BB56_401 Depth=1
	v_mul_f32_e64 v46, |v38|, s61
	v_cmp_ge_f32_e64 s[12:13], |v6|, v46
                                        ; implicit-def: $vgpr46
	s_and_saveexec_b64 s[40:41], s[12:13]
	s_xor_b64 s[40:41], exec, s[40:41]
	s_cbranch_execz .LBB56_646
; %bb.637:                              ;   in Loop: Header=BB56_401 Depth=1
	v_cmp_neq_f32_e32 vcc, 0, v39
	v_mov_b32_e32 v46, v41
	s_and_saveexec_b64 s[12:13], vcc
	s_cbranch_execz .LBB56_639
; %bb.638:                              ;   in Loop: Header=BB56_401 Depth=1
	v_mul_f32_e32 v46, v6, v6
	v_add_f32_e32 v39, v39, v42
	v_div_scale_f32 v42, s[42:43], v39, v39, v46
	v_div_scale_f32 v47, vcc, v46, v39, v46
	v_rcp_f32_e32 v48, v42
	v_fma_f32 v49, -v42, v48, 1.0
	v_fmac_f32_e32 v48, v49, v48
	v_mul_f32_e32 v49, v47, v48
	v_fma_f32 v50, -v42, v49, v47
	v_fmac_f32_e32 v49, v50, v48
	v_fma_f32 v42, -v42, v49, v47
	v_div_fmas_f32 v42, v42, v48, v49
	v_div_fixup_f32 v46, v42, v39, v46
.LBB56_639:                             ;   in Loop: Header=BB56_401 Depth=1
	s_or_b64 exec, exec, s[12:13]
	v_cmp_ngt_f32_e32 vcc, 0, v38
	s_and_saveexec_b64 s[12:13], vcc
	s_xor_b64 s[12:13], exec, s[12:13]
	s_cbranch_execz .LBB56_643
; %bb.640:                              ;   in Loop: Header=BB56_401 Depth=1
	v_cmp_neq_f32_e32 vcc, 0, v38
	s_and_saveexec_b64 s[42:43], vcc
	s_cbranch_execz .LBB56_642
; %bb.641:                              ;   in Loop: Header=BB56_401 Depth=1
	v_mul_f32_e32 v39, v6, v6
	v_add_f32_e32 v38, v38, v40
	v_div_scale_f32 v40, s[78:79], v38, v38, v39
	v_div_scale_f32 v41, vcc, v39, v38, v39
	v_rcp_f32_e32 v42, v40
	v_fma_f32 v47, -v40, v42, 1.0
	v_fmac_f32_e32 v42, v47, v42
	v_mul_f32_e32 v47, v41, v42
	v_fma_f32 v48, -v40, v47, v41
	v_fmac_f32_e32 v47, v48, v42
	v_fma_f32 v40, -v40, v47, v41
	v_div_fmas_f32 v40, v40, v42, v47
	v_div_fixup_f32 v41, v40, v38, v39
.LBB56_642:                             ;   in Loop: Header=BB56_401 Depth=1
	s_or_b64 exec, exec, s[42:43]
                                        ; implicit-def: $vgpr40
                                        ; implicit-def: $vgpr38
.LBB56_643:                             ;   in Loop: Header=BB56_401 Depth=1
	s_andn2_saveexec_b64 s[12:13], s[12:13]
; %bb.644:                              ;   in Loop: Header=BB56_401 Depth=1
	v_sub_f32_e32 v41, v40, v38
; %bb.645:                              ;   in Loop: Header=BB56_401 Depth=1
	s_or_b64 exec, exec, s[12:13]
	v_mul_f32_e32 v38, 0.5, v41
	v_fmac_f32_e32 v38, 0.5, v46
	v_add_f32_e64 v37, |v5|, v37
	v_mul_f32_e32 v37, v37, v38
	v_mul_f32_e32 v38, 0x4f800000, v37
	v_cmp_gt_f32_e32 vcc, s56, v37
	v_cndmask_b32_e32 v37, v37, v38, vcc
	v_sqrt_f32_e32 v38, v37
	v_add_u32_e32 v39, -1, v38
	v_fma_f32 v40, -v39, v38, v37
	v_cmp_ge_f32_e64 s[12:13], 0, v40
	v_add_u32_e32 v40, 1, v38
	v_cndmask_b32_e64 v39, v38, v39, s[12:13]
	v_fma_f32 v38, -v40, v38, v37
	v_cmp_lt_f32_e64 s[12:13], 0, v38
	v_cndmask_b32_e64 v38, v39, v40, s[12:13]
	v_mul_f32_e32 v39, 0x37800000, v38
	v_cndmask_b32_e32 v38, v38, v39, vcc
	v_cmp_class_f32_e32 vcc, v37, v18
	v_cndmask_b32_e32 v46, v38, v37, vcc
                                        ; implicit-def: $vgpr39
                                        ; implicit-def: $vgpr38
.LBB56_646:                             ;   in Loop: Header=BB56_401 Depth=1
	s_andn2_saveexec_b64 s[40:41], s[40:41]
	s_cbranch_execz .LBB56_652
; %bb.647:                              ;   in Loop: Header=BB56_401 Depth=1
	v_cmp_ngt_f32_e64 s[12:13], |v5|, 1.0
                                        ; implicit-def: $vgpr46
	s_and_saveexec_b64 s[42:43], s[12:13]
	s_xor_b64 s[42:43], exec, s[42:43]
	s_cbranch_execz .LBB56_649
; %bb.648:                              ;   in Loop: Header=BB56_401 Depth=1
	v_sub_f32_e64 v37, 1.0, |v5|
	v_mul_f32_e32 v37, v37, v39
	v_mul_f32_e32 v38, 0x4f800000, v37
	v_cmp_gt_f32_e32 vcc, s56, v37
	v_cndmask_b32_e32 v37, v37, v38, vcc
	v_sqrt_f32_e32 v38, v37
	v_add_u32_e32 v39, -1, v38
	v_fma_f32 v41, -v39, v38, v37
	v_add_u32_e32 v40, 1, v38
	v_cmp_ge_f32_e64 s[12:13], 0, v41
	v_cndmask_b32_e64 v39, v38, v39, s[12:13]
	v_fma_f32 v38, -v40, v38, v37
	v_cmp_lt_f32_e64 s[12:13], 0, v38
	v_cndmask_b32_e64 v38, v39, v40, s[12:13]
	v_mul_f32_e32 v39, 0x37800000, v38
	v_cndmask_b32_e32 v38, v38, v39, vcc
	v_cmp_class_f32_e32 vcc, v37, v18
	v_cndmask_b32_e32 v46, v38, v37, vcc
                                        ; implicit-def: $vgpr39
                                        ; implicit-def: $vgpr38
.LBB56_649:                             ;   in Loop: Header=BB56_401 Depth=1
	s_andn2_saveexec_b64 s[42:43], s[42:43]
	s_cbranch_execz .LBB56_651
; %bb.650:                              ;   in Loop: Header=BB56_401 Depth=1
	v_mul_f32_e32 v37, v39, v38
	v_mul_f32_e32 v38, 0x4f800000, v37
	v_cmp_gt_f32_e32 vcc, s56, v37
	v_cndmask_b32_e32 v37, v37, v38, vcc
	v_sqrt_f32_e32 v38, v37
	v_mul_f32_e64 v39, |v6|, s69
	v_mul_f32_e64 v39, |v5|, v39
	v_add_u32_e32 v40, -1, v38
	v_fma_f32 v41, -v40, v38, v37
	v_cmp_ge_f32_e64 s[12:13], 0, v41
	v_add_u32_e32 v41, 1, v38
	v_cndmask_b32_e64 v40, v38, v40, s[12:13]
	v_fma_f32 v38, -v41, v38, v37
	v_cmp_lt_f32_e64 s[12:13], 0, v38
	v_cndmask_b32_e64 v38, v40, v41, s[12:13]
	v_mul_f32_e32 v40, 0x37800000, v38
	v_cndmask_b32_e32 v38, v38, v40, vcc
	v_cmp_class_f32_e32 vcc, v37, v18
	v_cndmask_b32_e32 v37, v38, v37, vcc
	v_div_scale_f32 v38, s[12:13], v37, v37, v39
	v_div_scale_f32 v40, vcc, v39, v37, v39
	v_rcp_f32_e32 v41, v38
	v_fma_f32 v42, -v38, v41, 1.0
	v_fmac_f32_e32 v41, v42, v41
	v_mul_f32_e32 v42, v40, v41
	v_fma_f32 v45, -v38, v42, v40
	v_fmac_f32_e32 v42, v45, v41
	v_fma_f32 v38, -v38, v42, v40
	v_div_fmas_f32 v38, v38, v41, v42
	v_mul_f32_e64 v45, |v5|, s69
	v_div_fixup_f32 v46, v38, v37, v39
.LBB56_651:                             ;   in Loop: Header=BB56_401 Depth=1
	s_or_b64 exec, exec, s[42:43]
.LBB56_652:                             ;   in Loop: Header=BB56_401 Depth=1
	s_or_b64 exec, exec, s[40:41]
                                        ; implicit-def: $vgpr37
.LBB56_653:                             ;   in Loop: Header=BB56_401 Depth=1
	s_andn2_saveexec_b64 s[38:39], s[38:39]
	s_cbranch_execz .LBB56_655
; %bb.654:                              ;   in Loop: Header=BB56_401 Depth=1
	v_mul_f32_e64 v38, |v6|, s57
	v_cmp_lt_f32_e64 vcc, |v6|, s56
	v_cndmask_b32_e64 v38, |v6|, v38, vcc
	v_sqrt_f32_e32 v39, v38
	v_add_f32_e32 v37, 1.0, v37
	v_mul_f32_e32 v37, 0.5, v37
	v_mov_b32_e32 v45, 1.0
	v_add_u32_e32 v40, -1, v39
	v_fma_f32 v42, -v40, v39, v38
	v_add_u32_e32 v41, 1, v39
	v_cmp_ge_f32_e64 s[12:13], 0, v42
	v_cndmask_b32_e64 v40, v39, v40, s[12:13]
	v_fma_f32 v39, -v41, v39, v38
	v_cmp_lt_f32_e64 s[12:13], 0, v39
	v_cndmask_b32_e64 v39, v40, v41, s[12:13]
	v_mul_f32_e32 v40, 0x37800000, v39
	v_cndmask_b32_e32 v39, v39, v40, vcc
	v_mul_f32_e32 v40, 0x4f800000, v37
	v_cmp_gt_f32_e32 vcc, s56, v37
	v_cndmask_b32_e32 v37, v37, v40, vcc
	v_sqrt_f32_e32 v40, v37
	v_cmp_class_f32_e64 s[12:13], v38, v18
	v_cndmask_b32_e64 v38, v39, v38, s[12:13]
	v_add_u32_e32 v39, -1, v40
	v_fma_f32 v41, -v39, v40, v37
	v_cmp_ge_f32_e64 s[12:13], 0, v41
	v_add_u32_e32 v41, 1, v40
	v_cndmask_b32_e64 v39, v40, v39, s[12:13]
	v_fma_f32 v40, -v41, v40, v37
	v_cmp_lt_f32_e64 s[12:13], 0, v40
	v_cndmask_b32_e64 v39, v39, v41, s[12:13]
	v_mul_f32_e32 v40, 0x37800000, v39
	v_cndmask_b32_e32 v39, v39, v40, vcc
	v_cmp_class_f32_e32 vcc, v37, v18
	v_cndmask_b32_e32 v37, v39, v37, vcc
	v_mul_f32_e32 v46, v38, v37
.LBB56_655:                             ;   in Loop: Header=BB56_401 Depth=1
	s_or_b64 exec, exec, s[38:39]
	s_mov_b64 s[12:13], exec
.LBB56_656:                             ;   in Loop: Header=BB56_401 Depth=1
	s_or_b64 exec, exec, s[36:37]
                                        ; implicit-def: $vgpr37
.LBB56_657:                             ;   in Loop: Header=BB56_401 Depth=1
	s_andn2_saveexec_b64 s[34:35], s[34:35]
; %bb.658:                              ;   in Loop: Header=BB56_401 Depth=1
	v_mul_f32_e32 v46, 0x4b800000, v37
	v_mul_f32_e64 v45, |v5|, s70
	s_or_b64 s[12:13], s[12:13], exec
                                        ; implicit-def: $vgpr44
; %bb.659:                              ;   in Loop: Header=BB56_401 Depth=1
	s_or_b64 exec, exec, s[34:35]
	s_xor_b64 s[12:13], s[12:13], -1
                                        ; implicit-def: $vgpr37
	s_and_saveexec_b64 s[34:35], s[12:13]
	s_xor_b64 s[12:13], exec, s[34:35]
	s_cbranch_execz .LBB56_661
; %bb.660:                              ;   in Loop: Header=BB56_401 Depth=1
	v_fma_f32 v37, |v44|, -0.5, 0.5
	v_mul_f32_e32 v38, v44, v44
	v_cmp_ge_f32_e64 vcc, |v44|, 0.5
	v_cndmask_b32_e32 v37, v38, v37, vcc
	v_mov_b32_e32 v38, 0x3c5fc5da
	v_fmac_f32_e32 v38, 0x3d1c21a7, v37
	v_fma_f32 v38, v37, v38, v20
	v_fma_f32 v38, v37, v38, v21
	v_sqrt_f32_e32 v39, v37
	v_fma_f32 v38, v37, v38, v22
	v_fma_f32 v38, v37, v38, v23
	v_mul_f32_e32 v37, v37, v38
	v_fmac_f32_e32 v39, v39, v37
	v_add_f32_e32 v38, v39, v39
	v_sub_f32_e32 v38, 0x3fc90fdb, v38
	v_fma_f32 v37, |v44|, v37, |v44|
	v_cmp_lt_f32_e64 vcc, |v44|, 0.5
	v_cndmask_b32_e32 v37, v38, v37, vcc
	v_bfi_b32 v37, s53, v37, v44
                                        ; implicit-def: $vgpr45
                                        ; implicit-def: $vgpr46
.LBB56_661:                             ;   in Loop: Header=BB56_401 Depth=1
	s_andn2_saveexec_b64 s[34:35], s[12:13]
	s_cbranch_execz .LBB56_663
; %bb.662:                              ;   in Loop: Header=BB56_401 Depth=1
	v_max_f32_e32 v37, v45, v45
	v_max_f32_e64 v38, |v46|, |v46|
	v_min_f32_e32 v39, v38, v37
	v_max_f32_e32 v37, v38, v37
	v_frexp_mant_f32_e32 v38, v37
	v_rcp_f32_e32 v38, v38
	v_frexp_exp_i32_f32_e32 v37, v37
	v_frexp_exp_i32_f32_e32 v40, v39
	v_frexp_mant_f32_e32 v39, v39
	v_mul_f32_e32 v38, v39, v38
	v_sub_u32_e32 v37, v40, v37
	v_ldexp_f32 v37, v38, v37
	v_mul_f32_e32 v38, v37, v37
	v_mov_b32_e32 v39, 0xbc7a590c
	v_fmac_f32_e32 v39, 0x3b2d2a58, v38
	v_fma_f32 v39, v38, v39, v24
	v_fma_f32 v39, v38, v39, v25
	;; [unrolled: 1-line block ×6, first 2 shown]
	v_mul_f32_e32 v38, v38, v39
	v_fmac_f32_e32 v37, v37, v38
	v_sub_f32_e32 v38, 0x3fc90fdb, v37
	v_cmp_gt_f32_e64 vcc, v45, |v46|
	v_cndmask_b32_e32 v37, v37, v38, vcc
	v_sub_f32_e32 v38, 0x40490fdb, v37
	v_cmp_gt_f32_e32 vcc, 0, v46
	v_cmp_gt_i32_e64 s[12:13], 0, v46
	v_cndmask_b32_e32 v37, v37, v38, vcc
	v_cndmask_b32_e64 v38, 0, v34, s[12:13]
	v_cndmask_b32_e32 v39, v35, v36, vcc
	v_cmp_class_f32_e64 s[36:37], v46, s71
	v_cmp_eq_f32_e32 vcc, s54, v45
	v_cmp_eq_f32_e64 s[12:13], 0, v45
	v_cndmask_b32_e64 v37, |v37|, v38, s[12:13]
	s_and_b64 vcc, vcc, s[36:37]
	v_cndmask_b32_e32 v37, v37, v39, vcc
	v_cmp_o_f32_e32 vcc, v46, v46
	v_cndmask_b32_e32 v37, v32, v37, vcc
.LBB56_663:                             ;   in Loop: Header=BB56_401 Depth=1
	s_or_b64 exec, exec, s[34:35]
	v_bfi_b32 v6, s53, v43, v6
	v_bfi_b32 v5, s53, v37, v5
.LBB56_664:                             ;   in Loop: Header=BB56_401 Depth=1
	s_or_b64 exec, exec, s[30:31]
.LBB56_665:                             ;   in Loop: Header=BB56_401 Depth=1
	s_or_b64 exec, exec, s[28:29]
                                        ; implicit-def: $vgpr37
                                        ; implicit-def: $vgpr40
                                        ; implicit-def: $vgpr39
.LBB56_666:                             ;   in Loop: Header=BB56_401 Depth=1
	s_andn2_saveexec_b64 s[28:29], s[14:15]
	s_cbranch_execz .LBB56_688
; %bb.667:                              ;   in Loop: Header=BB56_401 Depth=1
	v_cmp_lt_i32_e32 vcc, -1, v6
                                        ; implicit-def: $sgpr30_sgpr31
                                        ; implicit-def: $vgpr38
                                        ; implicit-def: $vgpr41
	s_and_saveexec_b64 s[12:13], vcc
	s_xor_b64 s[34:35], exec, s[12:13]
	s_cbranch_execz .LBB56_677
; %bb.668:                              ;   in Loop: Header=BB56_401 Depth=1
	v_cmp_lt_f32_e64 s[12:13], |v6|, |v5|
	v_cndmask_b32_e64 v42, |v6|, |v5|, s[12:13]
	v_cmp_nlt_f32_e32 vcc, s72, v42
                                        ; implicit-def: $vgpr38
                                        ; implicit-def: $vgpr41
	s_and_saveexec_b64 s[14:15], vcc
	s_xor_b64 s[30:31], exec, s[14:15]
	s_cbranch_execz .LBB56_674
; %bb.669:                              ;   in Loop: Header=BB56_401 Depth=1
	v_cndmask_b32_e64 v43, |v5|, |v6|, s[12:13]
	v_cmp_nlt_f32_e32 vcc, s73, v42
	v_cmp_ngt_f32_e64 s[14:15], s74, v43
	s_and_b64 s[14:15], vcc, s[14:15]
                                        ; implicit-def: $vgpr38
                                        ; implicit-def: $vgpr41
	s_and_saveexec_b64 s[36:37], s[14:15]
	s_xor_b64 s[14:15], exec, s[36:37]
	s_cbranch_execz .LBB56_671
; %bb.670:                              ;   in Loop: Header=BB56_401 Depth=1
	v_mul_f32_e32 v38, v43, v43
	v_fmac_f32_e32 v38, v42, v42
	v_cmp_gt_f32_e32 vcc, s58, v38
	v_cndmask_b32_e64 v41, 0, 32, vcc
	v_ldexp_f32 v38, v38, v41
	v_log_f32_e32 v38, v38
	s_waitcnt lgkmcnt(0)
	v_min_f32_e32 v37, v40, v37
	v_frexp_mant_f32_e32 v40, v39
	v_rcp_f32_e32 v40, v40
	v_mul_f32_e32 v42, 0x3f317217, v38
	v_fma_f32 v42, v38, s59, -v42
	v_fmac_f32_e32 v42, 0x3377d1cf, v38
	v_cndmask_b32_e32 v41, 0, v31, vcc
	v_fmac_f32_e32 v42, 0x3f317217, v38
	v_cmp_lt_f32_e64 vcc, |v38|, s54
	v_cndmask_b32_e32 v38, v38, v42, vcc
	v_sub_f32_e32 v38, v38, v41
	v_frexp_exp_i32_f32_e32 v39, v39
	v_frexp_exp_i32_f32_e32 v41, v37
	v_frexp_mant_f32_e32 v37, v37
	v_mul_f32_e32 v37, v37, v40
	v_sub_u32_e32 v39, v41, v39
	v_ldexp_f32 v41, v37, v39
	v_mul_f32_e32 v37, v41, v41
	v_mov_b32_e32 v39, 0xbc7a590c
	v_fmac_f32_e32 v39, 0x3b2d2a58, v37
	v_fma_f32 v39, v37, v39, v24
	v_fma_f32 v39, v37, v39, v25
	;; [unrolled: 1-line block ×6, first 2 shown]
	v_mul_f32_e32 v37, v37, v39
	v_mul_f32_e32 v38, 0.5, v38
	v_fmac_f32_e32 v41, v41, v37
                                        ; implicit-def: $vgpr39
                                        ; implicit-def: $vgpr40
                                        ; implicit-def: $vgpr37
.LBB56_671:                             ;   in Loop: Header=BB56_401 Depth=1
	s_andn2_saveexec_b64 s[14:15], s[14:15]
	s_cbranch_execz .LBB56_673
; %bb.672:                              ;   in Loop: Header=BB56_401 Depth=1
	v_cvt_f64_f32_e32 v[41:42], v39
	v_cmp_neq_f32_e32 vcc, s54, v39
	s_waitcnt lgkmcnt(0)
	v_min_f32_e32 v37, v40, v37
	v_frexp_exp_i32_f32_e32 v40, v39
	v_frexp_exp_i32_f64_e32 v38, v[41:42]
	v_frexp_mant_f32_e32 v41, v39
	v_rcp_f32_e32 v41, v41
	v_frexp_exp_i32_f32_e32 v43, v37
	v_frexp_mant_f32_e32 v37, v37
	v_sub_u32_e32 v40, v43, v40
	v_mul_f32_e32 v37, v37, v41
	v_ldexp_f32 v41, v37, v40
	v_sub_u32_e32 v44, 0, v38
	v_ldexp_f32 v45, |v6|, v44
	v_ldexp_f32 v44, |v5|, v44
	v_mul_f32_e32 v44, v44, v44
	v_fmac_f32_e32 v44, v45, v45
	v_sqrt_f32_e32 v44, v44
	v_mov_b32_e32 v42, 0xbc7a590c
	v_mul_f32_e32 v37, v41, v41
	v_fmac_f32_e32 v42, 0x3b2d2a58, v37
	v_ldexp_f32 v38, v44, v38
	v_cndmask_b32_e32 v38, v30, v38, vcc
	v_cmp_gt_f32_e32 vcc, s58, v38
	v_cndmask_b32_e64 v39, 0, 32, vcc
	v_ldexp_f32 v38, v38, v39
	v_log_f32_e32 v38, v38
	v_cndmask_b32_e32 v39, 0, v31, vcc
	v_mul_f32_e32 v40, 0x3f317217, v38
	v_fma_f32 v40, v38, s59, -v40
	v_fmac_f32_e32 v40, 0x3377d1cf, v38
	v_fmac_f32_e32 v40, 0x3f317217, v38
	v_cmp_lt_f32_e64 vcc, |v38|, s54
	v_cndmask_b32_e32 v38, v38, v40, vcc
	v_sub_f32_e32 v38, v38, v39
	v_fma_f32 v39, v37, v42, v24
	v_fma_f32 v39, v37, v39, v25
	;; [unrolled: 1-line block ×6, first 2 shown]
	v_mul_f32_e32 v37, v37, v39
	v_fmac_f32_e32 v41, v41, v37
.LBB56_673:                             ;   in Loop: Header=BB56_401 Depth=1
	s_or_b64 exec, exec, s[14:15]
                                        ; implicit-def: $vgpr40
                                        ; implicit-def: $vgpr37
                                        ; implicit-def: $vgpr39
.LBB56_674:                             ;   in Loop: Header=BB56_401 Depth=1
	s_andn2_saveexec_b64 s[30:31], s[30:31]
	s_cbranch_execz .LBB56_676
; %bb.675:                              ;   in Loop: Header=BB56_401 Depth=1
	v_div_scale_f32 v38, s[14:15], s75, s75, v6
	v_div_scale_f32 v41, s[14:15], s75, s75, v5
	v_div_scale_f32 v42, vcc, v6, s75, v6
	v_div_scale_f32 v43, s[14:15], v5, s75, v5
	s_waitcnt lgkmcnt(0)
	v_min_f32_e32 v40, v40, v37
	v_rcp_f32_e32 v44, v38
	v_rcp_f32_e32 v45, v41
	v_fma_f32 v46, -v38, v44, 1.0
	v_fmac_f32_e32 v44, v46, v44
	v_fma_f32 v47, -v41, v45, 1.0
	v_fmac_f32_e32 v45, v47, v45
	v_mul_f32_e32 v46, v42, v44
	v_mul_f32_e32 v47, v43, v45
	v_fma_f32 v48, -v38, v46, v42
	v_fma_f32 v49, -v41, v47, v43
	v_fmac_f32_e32 v46, v48, v44
	v_fmac_f32_e32 v47, v49, v45
	v_fma_f32 v38, -v38, v46, v42
	v_fma_f32 v41, -v41, v47, v43
	v_div_fmas_f32 v38, v38, v44, v46
	s_mov_b64 vcc, s[14:15]
	v_div_fmas_f32 v41, v41, v45, v47
	v_frexp_exp_i32_f32_e32 v42, v39
	v_frexp_mant_f32_e32 v39, v39
	v_rcp_f32_e32 v39, v39
	v_mov_b32_e32 v43, 0xbc7a590c
	v_div_fixup_f32 v44, v38, s75, v6
	v_div_fixup_f32 v45, v41, s75, v5
	v_max_f32_e64 v46, v44, |v45|
	v_cvt_f64_f32_e32 v[37:38], v46
	v_frexp_exp_i32_f32_e32 v41, v40
	v_frexp_mant_f32_e32 v40, v40
	v_mul_f32_e32 v39, v40, v39
	v_frexp_exp_i32_f64_e32 v37, v[37:38]
	v_sub_u32_e32 v38, v41, v42
	v_cmp_neq_f32_e32 vcc, s54, v46
	v_ldexp_f32 v41, v39, v38
	v_mul_f32_e32 v38, v41, v41
	v_fmac_f32_e32 v43, 0x3b2d2a58, v38
	v_fma_f32 v39, v38, v43, v24
	v_fma_f32 v39, v38, v39, v25
	v_sub_u32_e32 v40, 0, v37
	v_ldexp_f32 v42, v44, v40
	v_ldexp_f32 v40, |v45|, v40
	v_mul_f32_e32 v40, v40, v40
	v_fmac_f32_e32 v40, v42, v42
	v_sqrt_f32_e32 v40, v40
	v_fma_f32 v39, v38, v39, v26
	v_fma_f32 v39, v38, v39, v27
	;; [unrolled: 1-line block ×3, first 2 shown]
	v_ldexp_f32 v37, v40, v37
	v_cndmask_b32_e32 v37, v30, v37, vcc
	v_cmp_gt_f32_e32 vcc, s58, v37
	v_cndmask_b32_e64 v40, 0, 32, vcc
	v_ldexp_f32 v37, v37, v40
	v_log_f32_e32 v37, v37
	v_fma_f32 v39, v38, v39, v29
	v_mul_f32_e32 v39, v38, v39
	v_cndmask_b32_e32 v38, 0, v31, vcc
	v_mul_f32_e32 v40, 0x3f317217, v37
	v_fma_f32 v40, v37, s59, -v40
	v_fmac_f32_e32 v40, 0x3377d1cf, v37
	v_fmac_f32_e32 v40, 0x3f317217, v37
	v_cmp_lt_f32_e64 vcc, |v37|, s54
	v_cndmask_b32_e32 v37, v37, v40, vcc
	v_sub_f32_e32 v37, v37, v38
	v_add_f32_e32 v38, 1.0, v37
	v_fmac_f32_e32 v41, v41, v39
.LBB56_676:                             ;   in Loop: Header=BB56_401 Depth=1
	s_or_b64 exec, exec, s[30:31]
	s_waitcnt lgkmcnt(0)
	v_sub_f32_e32 v37, 0x3fc90fdb, v41
	v_cndmask_b32_e64 v37, v41, v37, s[12:13]
	v_cmp_neq_f32_e32 vcc, 0, v5
	v_cndmask_b32_e32 v41, 0, v37, vcc
	v_cmp_class_f32_e64 s[30:31], v6, s71
                                        ; implicit-def: $vgpr37
.LBB56_677:                             ;   in Loop: Header=BB56_401 Depth=1
	s_andn2_saveexec_b64 s[34:35], s[34:35]
	s_cbranch_execz .LBB56_687
; %bb.678:                              ;   in Loop: Header=BB56_401 Depth=1
	v_cmp_gt_f32_e64 s[12:13], |v5|, -v6
	v_cndmask_b32_e64 v40, -v6, |v5|, s[12:13]
	v_cmp_nlt_f32_e32 vcc, s72, v40
                                        ; implicit-def: $vgpr38
                                        ; implicit-def: $vgpr39
	s_and_saveexec_b64 s[14:15], vcc
	s_xor_b64 s[36:37], exec, s[14:15]
	s_cbranch_execz .LBB56_684
; %bb.679:                              ;   in Loop: Header=BB56_401 Depth=1
	v_xor_b32_e32 v38, 0x80000000, v6
	v_cndmask_b32_e64 v41, |v5|, v38, s[12:13]
	v_cmp_nlt_f32_e32 vcc, s73, v40
	v_cmp_ngt_f32_e64 s[14:15], s74, v41
	s_and_b64 s[14:15], vcc, s[14:15]
                                        ; implicit-def: $vgpr38
                                        ; implicit-def: $vgpr39
	s_and_saveexec_b64 s[38:39], s[14:15]
	s_xor_b64 s[14:15], exec, s[38:39]
	s_cbranch_execz .LBB56_681
; %bb.680:                              ;   in Loop: Header=BB56_401 Depth=1
	v_mul_f32_e32 v38, v41, v41
	v_fmac_f32_e32 v38, v40, v40
	v_cmp_gt_f32_e32 vcc, s58, v38
	v_cndmask_b32_e64 v39, 0, 32, vcc
	v_ldexp_f32 v38, v38, v39
	v_log_f32_e32 v38, v38
	v_cndmask_b32_e32 v39, 0, v31, vcc
	v_mul_f32_e32 v40, 0x3f317217, v38
	v_fma_f32 v40, v38, s59, -v40
	v_fmac_f32_e32 v40, 0x3377d1cf, v38
	v_fmac_f32_e32 v40, 0x3f317217, v38
	v_cmp_lt_f32_e64 vcc, |v38|, s54
	v_cndmask_b32_e32 v38, v38, v40, vcc
	v_sub_f32_e32 v38, v38, v39
	v_max_f32_e64 v39, -v6, -v6
	s_waitcnt lgkmcnt(0)
	v_min_f32_e32 v40, v39, v37
	v_max_f32_e32 v37, v39, v37
	v_frexp_mant_f32_e32 v39, v37
	v_rcp_f32_e32 v39, v39
	v_frexp_exp_i32_f32_e32 v37, v37
	v_frexp_exp_i32_f32_e32 v41, v40
	v_frexp_mant_f32_e32 v40, v40
	v_mul_f32_e32 v39, v40, v39
	v_sub_u32_e32 v37, v41, v37
	v_ldexp_f32 v39, v39, v37
	v_mul_f32_e32 v37, v39, v39
	v_mov_b32_e32 v40, 0xbc7a590c
	v_fmac_f32_e32 v40, 0x3b2d2a58, v37
	v_fma_f32 v40, v37, v40, v24
	v_fma_f32 v40, v37, v40, v25
	;; [unrolled: 1-line block ×6, first 2 shown]
	v_mul_f32_e32 v37, v37, v40
	v_mul_f32_e32 v38, 0.5, v38
	v_fmac_f32_e32 v39, v39, v37
                                        ; implicit-def: $vgpr37
.LBB56_681:                             ;   in Loop: Header=BB56_401 Depth=1
	s_andn2_saveexec_b64 s[14:15], s[14:15]
	s_cbranch_execz .LBB56_683
; %bb.682:                              ;   in Loop: Header=BB56_401 Depth=1
	v_max_f32_e64 v40, -v6, -v6
	s_waitcnt lgkmcnt(0)
	v_max_f32_e32 v41, v40, v37
	v_cvt_f64_f32_e32 v[38:39], v41
	v_min_f32_e32 v37, v40, v37
	v_frexp_mant_f32_e32 v40, v41
	v_rcp_f32_e32 v40, v40
	v_frexp_exp_i32_f64_e32 v38, v[38:39]
	v_cmp_neq_f32_e32 vcc, s54, v41
	v_frexp_exp_i32_f32_e32 v43, v37
	v_frexp_mant_f32_e32 v37, v37
	v_mul_f32_e32 v37, v37, v40
	v_frexp_exp_i32_f32_e32 v39, v41
	v_sub_u32_e32 v39, v43, v39
	v_ldexp_f32 v39, v37, v39
	v_sub_u32_e32 v44, 0, v38
	v_ldexp_f32 v45, -v6, v44
	v_ldexp_f32 v44, |v5|, v44
	v_mul_f32_e32 v44, v44, v44
	v_fmac_f32_e32 v44, v45, v45
	v_sqrt_f32_e32 v44, v44
	v_mov_b32_e32 v42, 0xbc7a590c
	v_mul_f32_e32 v37, v39, v39
	v_fmac_f32_e32 v42, 0x3b2d2a58, v37
	v_ldexp_f32 v38, v44, v38
	v_cndmask_b32_e32 v38, v30, v38, vcc
	v_cmp_gt_f32_e32 vcc, s58, v38
	v_cndmask_b32_e64 v40, 0, 32, vcc
	v_ldexp_f32 v38, v38, v40
	v_log_f32_e32 v38, v38
	v_cndmask_b32_e32 v40, 0, v31, vcc
	v_mul_f32_e32 v41, 0x3f317217, v38
	v_fma_f32 v41, v38, s59, -v41
	v_fmac_f32_e32 v41, 0x3377d1cf, v38
	v_fmac_f32_e32 v41, 0x3f317217, v38
	v_cmp_lt_f32_e64 vcc, |v38|, s54
	v_cndmask_b32_e32 v38, v38, v41, vcc
	v_sub_f32_e32 v38, v38, v40
	v_fma_f32 v40, v37, v42, v24
	v_fma_f32 v40, v37, v40, v25
	;; [unrolled: 1-line block ×6, first 2 shown]
	v_mul_f32_e32 v37, v37, v40
	v_fmac_f32_e32 v39, v39, v37
.LBB56_683:                             ;   in Loop: Header=BB56_401 Depth=1
	s_or_b64 exec, exec, s[14:15]
                                        ; implicit-def: $vgpr37
.LBB56_684:                             ;   in Loop: Header=BB56_401 Depth=1
	s_andn2_saveexec_b64 s[36:37], s[36:37]
	s_cbranch_execz .LBB56_686
; %bb.685:                              ;   in Loop: Header=BB56_401 Depth=1
	v_div_scale_f32 v38, s[14:15], s76, s76, v6
	v_div_scale_f32 v39, s[14:15], s76, s76, v5
	v_div_scale_f32 v40, vcc, v6, s76, v6
	v_div_scale_f32 v41, s[14:15], v5, s76, v5
	v_rcp_f32_e32 v42, v38
	v_rcp_f32_e32 v43, v39
	v_fma_f32 v44, -v38, v42, 1.0
	v_fmac_f32_e32 v42, v44, v42
	v_fma_f32 v45, -v39, v43, 1.0
	v_fmac_f32_e32 v43, v45, v43
	v_mul_f32_e32 v44, v40, v42
	v_mul_f32_e32 v45, v41, v43
	v_fma_f32 v46, -v38, v44, v40
	v_fma_f32 v47, -v39, v45, v41
	v_fmac_f32_e32 v44, v46, v42
	v_fmac_f32_e32 v45, v47, v43
	v_fma_f32 v38, -v38, v44, v40
	v_fma_f32 v39, -v39, v45, v41
	v_div_fmas_f32 v38, v38, v42, v44
	s_mov_b64 vcc, s[14:15]
	v_div_fmas_f32 v39, v39, v43, v45
	v_max_f32_e64 v40, -v6, -v6
	s_waitcnt lgkmcnt(0)
	v_min_f32_e32 v42, v40, v37
	v_max_f32_e32 v37, v40, v37
	v_frexp_exp_i32_f32_e32 v40, v37
	v_frexp_mant_f32_e32 v43, v37
	v_rcp_f32_e32 v43, v43
	v_mov_b32_e32 v41, 0xbc7a590c
	v_div_fixup_f32 v44, v38, s76, v6
	v_div_fixup_f32 v45, v39, s76, v5
	v_max_f32_e64 v46, |v44|, |v45|
	v_cvt_f64_f32_e32 v[37:38], v46
	v_frexp_exp_i32_f32_e32 v39, v42
	v_frexp_mant_f32_e32 v42, v42
	v_cmp_neq_f32_e32 vcc, s54, v46
	v_frexp_exp_i32_f64_e32 v37, v[37:38]
	v_sub_u32_e32 v38, v39, v40
	v_mul_f32_e32 v39, v42, v43
	v_ldexp_f32 v39, v39, v38
	v_mul_f32_e32 v38, v39, v39
	v_fmac_f32_e32 v41, 0x3b2d2a58, v38
	v_fma_f32 v40, v38, v41, v24
	v_fma_f32 v40, v38, v40, v25
	v_sub_u32_e32 v41, 0, v37
	v_ldexp_f32 v42, |v44|, v41
	v_ldexp_f32 v41, |v45|, v41
	v_mul_f32_e32 v41, v41, v41
	v_fmac_f32_e32 v41, v42, v42
	v_sqrt_f32_e32 v41, v41
	v_fma_f32 v40, v38, v40, v26
	v_fma_f32 v40, v38, v40, v27
	;; [unrolled: 1-line block ×3, first 2 shown]
	v_ldexp_f32 v37, v41, v37
	v_cndmask_b32_e32 v37, v30, v37, vcc
	v_cmp_gt_f32_e32 vcc, s58, v37
	v_cndmask_b32_e64 v41, 0, 32, vcc
	v_ldexp_f32 v37, v37, v41
	v_log_f32_e32 v37, v37
	v_fma_f32 v40, v38, v40, v29
	v_mul_f32_e32 v40, v38, v40
	v_cndmask_b32_e32 v38, 0, v31, vcc
	v_mul_f32_e32 v41, 0x3f317217, v37
	v_fma_f32 v41, v37, s59, -v41
	v_fmac_f32_e32 v41, 0x3377d1cf, v37
	v_fmac_f32_e32 v41, 0x3f317217, v37
	v_cmp_lt_f32_e64 vcc, |v37|, s54
	v_cndmask_b32_e32 v37, v37, v41, vcc
	v_sub_f32_e32 v37, v37, v38
	v_add_f32_e32 v38, 1.0, v37
	v_fmac_f32_e32 v39, v39, v40
.LBB56_686:                             ;   in Loop: Header=BB56_401 Depth=1
	s_or_b64 exec, exec, s[36:37]
	s_waitcnt lgkmcnt(0)
	v_sub_f32_e32 v37, 0x3fc90fdb, v39
	v_cndmask_b32_e64 v37, v39, v37, s[12:13]
	v_cmp_neq_f32_e32 vcc, 0, v5
	v_cndmask_b32_e32 v41, 0, v37, vcc
	v_cmp_eq_f32_e32 vcc, s64, v6
	s_andn2_b64 s[12:13], s[30:31], exec
	s_and_b64 s[14:15], vcc, exec
	s_or_b64 s[30:31], s[12:13], s[14:15]
.LBB56_687:                             ;   in Loop: Header=BB56_401 Depth=1
	s_or_b64 exec, exec, s[34:35]
	v_cmp_class_f32_e64 s[12:13], v5, s71
	s_and_b64 vcc, s[12:13], s[30:31]
	s_waitcnt lgkmcnt(0)
	v_cndmask_b32_e32 v37, v41, v35, vcc
	v_add_f32_e32 v38, 0x3f317218, v38
	v_bfi_b32 v6, s53, v38, v6
	v_bfi_b32 v5, s53, v37, v5
.LBB56_688:                             ;   in Loop: Header=BB56_401 Depth=1
	s_or_b64 exec, exec, s[28:29]
.LBB56_689:                             ;   in Loop: Header=BB56_401 Depth=1
	s_andn2_saveexec_b64 s[12:13], s[26:27]
	s_cbranch_execz .LBB56_703
; %bb.690:                              ;   in Loop: Header=BB56_401 Depth=1
	v_cmp_neq_f32_e64 s[14:15], |v6|, s54
                                        ; implicit-def: $vgpr37
                                        ; implicit-def: $vgpr38
	s_and_saveexec_b64 s[26:27], s[14:15]
	s_xor_b64 s[14:15], exec, s[26:27]
	s_cbranch_execz .LBB56_700
; %bb.691:                              ;   in Loop: Header=BB56_401 Depth=1
	v_cmp_neq_f32_e64 s[26:27], |v5|, s54
                                        ; implicit-def: $vgpr37
                                        ; implicit-def: $vgpr38
	s_and_saveexec_b64 s[28:29], s[26:27]
	s_xor_b64 s[26:27], exec, s[28:29]
	s_cbranch_execz .LBB56_697
; %bb.692:                              ;   in Loop: Header=BB56_401 Depth=1
	v_cmp_neq_f32_e32 vcc, 0, v5
                                        ; implicit-def: $vgpr37
	s_and_saveexec_b64 s[28:29], vcc
	s_xor_b64 s[28:29], exec, s[28:29]
	s_cbranch_execz .LBB56_694
; %bb.693:                              ;   in Loop: Header=BB56_401 Depth=1
	v_add_f32_e32 v6, 0, v6
	s_waitcnt lgkmcnt(0)
	v_add_f32_e32 v37, v5, v6
                                        ; implicit-def: $vgpr6
.LBB56_694:                             ;   in Loop: Header=BB56_401 Depth=1
	s_or_saveexec_b64 s[28:29], s[28:29]
	s_waitcnt lgkmcnt(0)
	v_mov_b32_e32 v38, v37
	s_xor_b64 exec, exec, s[28:29]
; %bb.695:                              ;   in Loop: Header=BB56_401 Depth=1
	v_add_f32_e32 v38, v6, v6
	v_mov_b32_e32 v37, v5
; %bb.696:                              ;   in Loop: Header=BB56_401 Depth=1
	s_or_b64 exec, exec, s[28:29]
                                        ; implicit-def: $vgpr6
.LBB56_697:                             ;   in Loop: Header=BB56_401 Depth=1
	s_andn2_saveexec_b64 s[26:27], s[26:27]
	s_cbranch_execz .LBB56_699
; %bb.698:                              ;   in Loop: Header=BB56_401 Depth=1
	s_waitcnt lgkmcnt(0)
	v_add_f32_e32 v37, v6, v6
	v_mov_b32_e32 v38, v5
.LBB56_699:                             ;   in Loop: Header=BB56_401 Depth=1
	s_or_b64 exec, exec, s[26:27]
                                        ; implicit-def: $vgpr5
.LBB56_700:                             ;   in Loop: Header=BB56_401 Depth=1
	s_andn2_saveexec_b64 s[14:15], s[14:15]
	s_cbranch_execz .LBB56_702
; %bb.701:                              ;   in Loop: Header=BB56_401 Depth=1
	s_waitcnt lgkmcnt(0)
	v_add_f32_e32 v37, v5, v5
	v_mov_b32_e32 v38, v6
.LBB56_702:                             ;   in Loop: Header=BB56_401 Depth=1
	s_or_b64 exec, exec, s[14:15]
	v_mov_b32_e32 v6, v38
	s_waitcnt lgkmcnt(0)
	v_mov_b32_e32 v5, v37
.LBB56_703:                             ;   in Loop: Header=BB56_401 Depth=1
	s_or_b64 exec, exec, s[12:13]
	v_cmp_o_f32_e32 vcc, v16, v15
	s_and_saveexec_b64 s[12:13], vcc
	s_xor_b64 s[26:27], exec, s[12:13]
	s_cbranch_execnz .LBB56_709
; %bb.704:                              ;   in Loop: Header=BB56_401 Depth=1
	s_andn2_saveexec_b64 s[12:13], s[26:27]
	s_cbranch_execnz .LBB56_792
.LBB56_705:                             ;   in Loop: Header=BB56_401 Depth=1
	s_or_b64 exec, exec, s[12:13]
	s_and_saveexec_b64 s[12:13], s[4:5]
	s_xor_b64 s[4:5], exec, s[12:13]
	s_cbranch_execnz .LBB56_805
.LBB56_706:                             ;   in Loop: Header=BB56_401 Depth=1
	s_or_b64 exec, exec, s[4:5]
	s_and_saveexec_b64 s[4:5], s[6:7]
	s_cbranch_execnz .LBB56_806
.LBB56_707:                             ;   in Loop: Header=BB56_401 Depth=1
	s_or_b64 exec, exec, s[4:5]
	s_and_saveexec_b64 s[4:5], s[8:9]
	s_cbranch_execnz .LBB56_807
.LBB56_708:                             ;   in Loop: Header=BB56_401 Depth=1
	s_or_b64 exec, exec, s[4:5]
	s_and_saveexec_b64 s[4:5], s[10:11]
	s_cbranch_execz .LBB56_400
	s_branch .LBB56_808
.LBB56_709:                             ;   in Loop: Header=BB56_401 Depth=1
	s_waitcnt lgkmcnt(0)
	v_max_f32_e64 v37, |v15|, |v15|
	v_max_f32_e64 v40, |v16|, |v16|
	v_max_f32_e32 v39, v40, v37
	v_cmp_nlt_f32_e32 vcc, s51, v39
	s_and_saveexec_b64 s[12:13], vcc
	s_xor_b64 s[14:15], exec, s[12:13]
	s_cbranch_execz .LBB56_769
; %bb.710:                              ;   in Loop: Header=BB56_401 Depth=1
	v_cmp_neq_f32_e32 vcc, 0, v16
	v_cmp_neq_f32_e64 s[12:13], 0, v15
	s_or_b64 s[12:13], vcc, s[12:13]
	s_and_saveexec_b64 s[28:29], s[12:13]
	s_cbranch_execz .LBB56_768
; %bb.711:                              ;   in Loop: Header=BB56_401 Depth=1
	v_mov_b32_e32 v38, s17
	v_mov_b32_e32 v37, s16
	flat_store_dword v[37:38], v17
	s_waitcnt vmcnt(0)
	flat_load_dword v37, v[37:38] glc
	s_waitcnt vmcnt(0)
	v_cmp_nlt_f32_e64 s[12:13], |v16|, s52
	v_cmp_nlt_f32_e64 s[30:31], |v15|, s52
	s_or_b64 s[12:13], s[12:13], s[30:31]
	s_waitcnt lgkmcnt(0)
	v_add_f32_e32 v39, 1.0, v37
	v_mov_b32_e32 v38, s23
	v_mov_b32_e32 v37, s22
	flat_store_dword v[37:38], v39
	s_waitcnt vmcnt(0)
	flat_load_dword v37, v[37:38] glc
	s_waitcnt vmcnt(0)
	s_and_saveexec_b64 s[30:31], s[12:13]
	s_cbranch_execz .LBB56_767
; %bb.712:                              ;   in Loop: Header=BB56_401 Depth=1
	v_add_f32_e64 v39, |v15|, 1.0
	s_waitcnt lgkmcnt(0)
	v_max_f32_e32 v37, v40, v39
	v_add_f32_e64 v38, |v15|, -1.0
	v_cvt_f64_f32_e32 v[41:42], v37
	v_max_f32_e64 v40, v40, |v38|
	v_cvt_f64_f32_e32 v[43:44], v40
	v_cmp_neq_f32_e32 vcc, s54, v37
	v_frexp_exp_i32_f64_e32 v41, v[41:42]
	v_frexp_exp_i32_f64_e32 v42, v[43:44]
	v_sub_u32_e32 v43, 0, v41
	v_ldexp_f32 v45, |v16|, v43
	v_sub_u32_e32 v44, 0, v42
	v_ldexp_f32 v43, v39, v43
	v_ldexp_f32 v46, |v16|, v44
	v_ldexp_f32 v44, |v38|, v44
	v_mul_f32_e32 v43, v43, v43
	v_mul_f32_e32 v44, v44, v44
	v_fmac_f32_e32 v43, v45, v45
	v_fmac_f32_e32 v44, v46, v46
	v_sqrt_f32_e32 v43, v43
	v_sqrt_f32_e32 v44, v44
	v_ldexp_f32 v41, v43, v41
	v_ldexp_f32 v43, v44, v42
	v_cndmask_b32_e32 v42, v30, v41, vcc
	v_cmp_neq_f32_e32 vcc, s54, v40
	v_cndmask_b32_e32 v40, v30, v43, vcc
	v_add_f32_e32 v37, v42, v40
	v_mul_f32_e32 v37, 0.5, v37
	v_cmp_ngt_f32_e32 vcc, 1.0, v37
	v_cndmask_b32_e32 v37, 1.0, v37, vcc
	v_cmp_ngt_f32_e32 vcc, s55, v37
                                        ; implicit-def: $vgpr43
	s_and_saveexec_b64 s[12:13], vcc
	s_xor_b64 s[34:35], exec, s[12:13]
	s_cbranch_execz .LBB56_714
; %bb.713:                              ;   in Loop: Header=BB56_401 Depth=1
	v_fma_f32 v41, v37, v37, -1.0
	v_mul_f32_e32 v43, 0x4f800000, v41
	v_cmp_gt_f32_e32 vcc, s56, v41
	v_cndmask_b32_e32 v41, v41, v43, vcc
	v_sqrt_f32_e32 v43, v41
	v_add_u32_e32 v44, -1, v43
	v_fma_f32 v46, -v44, v43, v41
	v_add_u32_e32 v45, 1, v43
	v_cmp_ge_f32_e64 s[12:13], 0, v46
	v_cndmask_b32_e64 v44, v43, v44, s[12:13]
	v_fma_f32 v43, -v45, v43, v41
	v_cmp_lt_f32_e64 s[12:13], 0, v43
	v_cndmask_b32_e64 v43, v44, v45, s[12:13]
	v_mul_f32_e32 v44, 0x37800000, v43
	v_cndmask_b32_e32 v43, v43, v44, vcc
	v_cmp_class_f32_e32 vcc, v41, v18
	v_cndmask_b32_e32 v41, v43, v41, vcc
	v_add_f32_e32 v41, v37, v41
	v_cmp_gt_f32_e32 vcc, s58, v41
	v_cndmask_b32_e64 v43, 0, 32, vcc
	v_ldexp_f32 v41, v41, v43
	v_log_f32_e32 v41, v41
	v_mul_f32_e32 v43, 0x3f317217, v41
	v_fma_f32 v43, v41, s59, -v43
	v_fmac_f32_e32 v43, 0x3377d1cf, v41
	v_fmac_f32_e32 v43, 0x3f317217, v41
	v_cmp_lt_f32_e64 s[12:13], |v41|, s54
	v_cndmask_b32_e64 v41, v41, v43, s[12:13]
	v_cndmask_b32_e32 v43, 0, v31, vcc
	v_sub_f32_e32 v43, v41, v43
.LBB56_714:                             ;   in Loop: Header=BB56_401 Depth=1
	s_or_saveexec_b64 s[34:35], s[34:35]
	v_and_b32_e32 v41, 0x7fffffff, v16
	s_xor_b64 exec, exec, s[34:35]
	s_cbranch_execz .LBB56_736
; %bb.715:                              ;   in Loop: Header=BB56_401 Depth=1
	v_cmp_neq_f32_e64 s[12:13], |v15|, 1.0
	v_cmp_nlt_f32_e64 s[36:37], |v16|, s60
	s_or_b64 s[12:13], s[36:37], s[12:13]
                                        ; implicit-def: $vgpr43
	s_and_saveexec_b64 s[36:37], s[12:13]
	s_xor_b64 s[36:37], exec, s[36:37]
	s_cbranch_execz .LBB56_733
; %bb.716:                              ;   in Loop: Header=BB56_401 Depth=1
	v_mul_f32_e64 v43, |v38|, s61
	v_cmp_ge_f32_e64 s[12:13], |v16|, v43
                                        ; implicit-def: $vgpr43
	s_and_saveexec_b64 s[38:39], s[12:13]
	s_xor_b64 s[38:39], exec, s[38:39]
	s_cbranch_execz .LBB56_726
; %bb.717:                              ;   in Loop: Header=BB56_401 Depth=1
	v_cmp_neq_f32_e32 vcc, 0, v39
	v_mov_b32_e32 v43, v41
	s_and_saveexec_b64 s[12:13], vcc
	s_cbranch_execz .LBB56_719
; %bb.718:                              ;   in Loop: Header=BB56_401 Depth=1
	v_mul_f32_e32 v43, v16, v16
	v_add_f32_e32 v44, v39, v42
	v_div_scale_f32 v45, s[40:41], v44, v44, v43
	v_div_scale_f32 v46, vcc, v43, v44, v43
	v_rcp_f32_e32 v47, v45
	v_fma_f32 v48, -v45, v47, 1.0
	v_fmac_f32_e32 v47, v48, v47
	v_mul_f32_e32 v48, v46, v47
	v_fma_f32 v49, -v45, v48, v46
	v_fmac_f32_e32 v48, v49, v47
	v_fma_f32 v45, -v45, v48, v46
	v_div_fmas_f32 v45, v45, v47, v48
	v_div_fixup_f32 v43, v45, v44, v43
.LBB56_719:                             ;   in Loop: Header=BB56_401 Depth=1
	s_or_b64 exec, exec, s[12:13]
	v_sub_f32_e64 v45, 1.0, |v15|
	v_cmp_ngt_f32_e32 vcc, 0, v45
                                        ; implicit-def: $vgpr44
	s_and_saveexec_b64 s[12:13], vcc
	s_xor_b64 s[12:13], exec, s[12:13]
	s_cbranch_execz .LBB56_723
; %bb.720:                              ;   in Loop: Header=BB56_401 Depth=1
	v_cmp_neq_f32_e32 vcc, 0, v45
	v_mov_b32_e32 v44, v41
	s_and_saveexec_b64 s[40:41], vcc
	s_cbranch_execz .LBB56_722
; %bb.721:                              ;   in Loop: Header=BB56_401 Depth=1
	v_mul_f32_e32 v44, v16, v16
	v_add_f32_e32 v45, v45, v40
	v_div_scale_f32 v46, s[42:43], v45, v45, v44
	v_div_scale_f32 v47, vcc, v44, v45, v44
	v_rcp_f32_e32 v48, v46
	v_fma_f32 v49, -v46, v48, 1.0
	v_fmac_f32_e32 v48, v49, v48
	v_mul_f32_e32 v49, v47, v48
	v_fma_f32 v50, -v46, v49, v47
	v_fmac_f32_e32 v49, v50, v48
	v_fma_f32 v46, -v46, v49, v47
	v_div_fmas_f32 v46, v46, v48, v49
	v_div_fixup_f32 v44, v46, v45, v44
.LBB56_722:                             ;   in Loop: Header=BB56_401 Depth=1
	s_or_b64 exec, exec, s[40:41]
                                        ; implicit-def: $vgpr45
.LBB56_723:                             ;   in Loop: Header=BB56_401 Depth=1
	s_andn2_saveexec_b64 s[12:13], s[12:13]
; %bb.724:                              ;   in Loop: Header=BB56_401 Depth=1
	v_sub_f32_e32 v44, v40, v45
; %bb.725:                              ;   in Loop: Header=BB56_401 Depth=1
	s_or_b64 exec, exec, s[12:13]
	v_mul_f32_e32 v44, 0.5, v44
	v_fmac_f32_e32 v44, 0.5, v43
	v_add_f32_e32 v43, 1.0, v37
	v_mul_f32_e32 v43, v43, v44
	v_mul_f32_e32 v45, 0x4f800000, v43
	v_cmp_gt_f32_e32 vcc, s56, v43
	v_cndmask_b32_e32 v43, v43, v45, vcc
	v_sqrt_f32_e32 v45, v43
	v_add_u32_e32 v46, -1, v45
	v_fma_f32 v47, -v46, v45, v43
	v_cmp_ge_f32_e64 s[12:13], 0, v47
	v_add_u32_e32 v47, 1, v45
	v_cndmask_b32_e64 v46, v45, v46, s[12:13]
	v_fma_f32 v45, -v47, v45, v43
	v_cmp_lt_f32_e64 s[12:13], 0, v45
	v_cndmask_b32_e64 v45, v46, v47, s[12:13]
	v_mul_f32_e32 v46, 0x37800000, v45
	v_cndmask_b32_e32 v45, v45, v46, vcc
	v_cmp_class_f32_e32 vcc, v43, v18
	v_cndmask_b32_e32 v43, v45, v43, vcc
	v_add_f32_e32 v45, v44, v43
	v_add_f32_e32 v46, 1.0, v45
	v_cvt_f64_f32_e32 v[43:44], v46
	v_add_f32_e32 v47, -1.0, v46
	v_frexp_exp_i32_f64_e32 v43, v[43:44]
	v_sub_f32_e32 v44, v47, v46
	v_add_f32_e32 v44, 1.0, v44
	v_sub_f32_e32 v47, v45, v47
	v_add_f32_e32 v44, v47, v44
	v_frexp_mant_f32_e32 v47, v46
	v_cmp_gt_f32_e32 vcc, s62, v47
	v_subbrev_co_u32_e32 v43, vcc, 0, v43, vcc
	v_sub_u32_e32 v47, 0, v43
	v_ldexp_f32 v46, v46, v47
	v_ldexp_f32 v44, v44, v47
	v_add_f32_e32 v47, -1.0, v46
	v_add_f32_e32 v50, 1.0, v46
	v_add_f32_e32 v48, 1.0, v47
	v_add_f32_e32 v51, -1.0, v50
	v_sub_f32_e32 v48, v46, v48
	v_sub_f32_e32 v46, v46, v51
	v_add_f32_e32 v48, v44, v48
	v_add_f32_e32 v44, v44, v46
	v_add_f32_e32 v46, v50, v44
	v_rcp_f32_e32 v51, v46
	v_add_f32_e32 v49, v47, v48
	v_sub_f32_e32 v47, v49, v47
	v_sub_f32_e32 v47, v48, v47
	;; [unrolled: 1-line block ×4, first 2 shown]
	v_mul_f32_e32 v48, v49, v51
	v_mul_f32_e32 v50, v46, v48
	v_fma_f32 v52, v48, v46, -v50
	v_fmac_f32_e32 v52, v48, v44
	v_add_f32_e32 v53, v50, v52
	v_sub_f32_e32 v54, v49, v53
	v_sub_f32_e32 v49, v49, v54
	;; [unrolled: 1-line block ×4, first 2 shown]
	v_add_f32_e32 v47, v47, v49
	v_sub_f32_e32 v49, v50, v52
	v_add_f32_e32 v47, v49, v47
	v_add_f32_e32 v49, v54, v47
	v_mul_f32_e32 v50, v51, v49
	v_mul_f32_e32 v52, v46, v50
	v_fma_f32 v46, v50, v46, -v52
	v_fmac_f32_e32 v46, v50, v44
	v_sub_f32_e32 v44, v54, v49
	v_add_f32_e32 v44, v47, v44
	v_add_f32_e32 v47, v52, v46
	v_sub_f32_e32 v53, v49, v47
	v_sub_f32_e32 v49, v49, v53
	;; [unrolled: 1-line block ×4, first 2 shown]
	v_add_f32_e32 v44, v44, v47
	v_sub_f32_e32 v46, v52, v46
	v_cvt_f32_i32_e32 v43, v43
	v_add_f32_e32 v44, v46, v44
	v_add_f32_e32 v46, v48, v50
	;; [unrolled: 1-line block ×3, first 2 shown]
	v_sub_f32_e32 v47, v46, v48
	v_mul_f32_e32 v44, v51, v44
	v_sub_f32_e32 v47, v50, v47
	v_add_f32_e32 v44, v47, v44
	v_mul_f32_e32 v50, 0x3f317218, v43
	v_add_f32_e32 v47, v46, v44
	v_fma_f32 v51, v43, s63, -v50
	v_mul_f32_e32 v48, v47, v47
	v_mov_b32_e32 v49, 0x3ecc95a3
	v_fmac_f32_e32 v51, 0xb102e308, v43
	v_sub_f32_e32 v43, v47, v46
	v_fmac_f32_e32 v49, 0x3e9b6dac, v48
	v_sub_f32_e32 v43, v44, v43
	v_add_f32_e32 v44, v50, v51
	v_fma_f32 v49, v48, v49, v19
	v_sub_f32_e32 v46, v44, v50
	v_ldexp_f32 v50, v47, 1
	v_mul_f32_e32 v47, v47, v48
	v_mul_f32_e32 v47, v47, v49
	v_add_f32_e32 v48, v50, v47
	v_sub_f32_e32 v49, v48, v50
	v_ldexp_f32 v43, v43, 1
	v_sub_f32_e32 v47, v47, v49
	v_add_f32_e32 v43, v43, v47
	v_add_f32_e32 v47, v48, v43
	v_sub_f32_e32 v48, v47, v48
	v_sub_f32_e32 v43, v43, v48
	v_add_f32_e32 v48, v44, v47
	v_sub_f32_e32 v49, v48, v44
	v_sub_f32_e32 v50, v48, v49
	;; [unrolled: 1-line block ×5, first 2 shown]
	v_add_f32_e32 v44, v47, v44
	v_add_f32_e32 v47, v46, v43
	v_sub_f32_e32 v49, v47, v46
	v_sub_f32_e32 v50, v47, v49
	v_sub_f32_e32 v46, v46, v50
	v_sub_f32_e32 v43, v43, v49
	v_add_f32_e32 v44, v47, v44
	v_add_f32_e32 v43, v43, v46
	;; [unrolled: 1-line block ×3, first 2 shown]
	v_sub_f32_e32 v47, v46, v48
	v_sub_f32_e32 v44, v44, v47
	v_add_f32_e32 v43, v43, v44
	v_add_f32_e32 v43, v46, v43
	v_cmp_neq_f32_e32 vcc, s54, v45
	v_cndmask_b32_e32 v43, v30, v43, vcc
	v_cmp_ngt_f32_e32 vcc, -1.0, v45
	v_cndmask_b32_e32 v43, v32, v43, vcc
	v_cmp_neq_f32_e32 vcc, -1.0, v45
	v_cndmask_b32_e32 v43, v33, v43, vcc
	v_cmp_lt_f32_e64 vcc, |v45|, s65
	v_cndmask_b32_e32 v43, v43, v45, vcc
.LBB56_726:                             ;   in Loop: Header=BB56_401 Depth=1
	s_andn2_saveexec_b64 s[38:39], s[38:39]
	s_cbranch_execz .LBB56_732
; %bb.727:                              ;   in Loop: Header=BB56_401 Depth=1
	v_cmp_nlt_f32_e64 s[12:13], |v15|, 1.0
                                        ; implicit-def: $vgpr43
	s_and_saveexec_b64 s[40:41], s[12:13]
	s_xor_b64 s[40:41], exec, s[40:41]
	s_cbranch_execz .LBB56_729
; %bb.728:                              ;   in Loop: Header=BB56_401 Depth=1
	v_mul_f32_e32 v43, v38, v39
	v_mul_f32_e32 v44, 0x4f800000, v43
	v_cmp_gt_f32_e32 vcc, s56, v43
	v_cndmask_b32_e32 v43, v43, v44, vcc
	v_sqrt_f32_e32 v44, v43
	v_add_u32_e32 v45, -1, v44
	v_fma_f32 v47, -v45, v44, v43
	v_add_u32_e32 v46, 1, v44
	v_cmp_ge_f32_e64 s[12:13], 0, v47
	v_cndmask_b32_e64 v45, v44, v45, s[12:13]
	v_fma_f32 v44, -v46, v44, v43
	v_cmp_lt_f32_e64 s[12:13], 0, v44
	v_cndmask_b32_e64 v44, v45, v46, s[12:13]
	v_mul_f32_e32 v45, 0x37800000, v44
	v_cndmask_b32_e32 v44, v44, v45, vcc
	v_cmp_class_f32_e32 vcc, v43, v18
	v_cndmask_b32_e32 v43, v44, v43, vcc
	v_add_f32_e32 v45, v38, v43
	v_add_f32_e32 v46, 1.0, v45
	v_cvt_f64_f32_e32 v[43:44], v46
	v_add_f32_e32 v47, -1.0, v46
	v_frexp_exp_i32_f64_e32 v43, v[43:44]
	v_sub_f32_e32 v44, v47, v46
	v_add_f32_e32 v44, 1.0, v44
	v_sub_f32_e32 v47, v45, v47
	v_add_f32_e32 v44, v47, v44
	v_frexp_mant_f32_e32 v47, v46
	v_cmp_gt_f32_e32 vcc, s62, v47
	v_subbrev_co_u32_e32 v43, vcc, 0, v43, vcc
	v_sub_u32_e32 v47, 0, v43
	v_ldexp_f32 v46, v46, v47
	v_ldexp_f32 v44, v44, v47
	v_add_f32_e32 v47, -1.0, v46
	v_add_f32_e32 v50, 1.0, v46
	v_add_f32_e32 v48, 1.0, v47
	v_add_f32_e32 v51, -1.0, v50
	v_sub_f32_e32 v48, v46, v48
	v_sub_f32_e32 v46, v46, v51
	v_add_f32_e32 v48, v44, v48
	v_add_f32_e32 v44, v44, v46
	;; [unrolled: 1-line block ×3, first 2 shown]
	v_rcp_f32_e32 v51, v46
	v_add_f32_e32 v49, v47, v48
	v_sub_f32_e32 v47, v49, v47
	v_sub_f32_e32 v47, v48, v47
	;; [unrolled: 1-line block ×4, first 2 shown]
	v_mul_f32_e32 v48, v49, v51
	v_mul_f32_e32 v50, v46, v48
	v_fma_f32 v52, v48, v46, -v50
	v_fmac_f32_e32 v52, v48, v44
	v_add_f32_e32 v53, v50, v52
	v_sub_f32_e32 v54, v49, v53
	v_sub_f32_e32 v49, v49, v54
	;; [unrolled: 1-line block ×4, first 2 shown]
	v_add_f32_e32 v47, v47, v49
	v_sub_f32_e32 v49, v50, v52
	v_add_f32_e32 v47, v49, v47
	v_add_f32_e32 v49, v54, v47
	v_mul_f32_e32 v50, v51, v49
	v_mul_f32_e32 v52, v46, v50
	v_fma_f32 v46, v50, v46, -v52
	v_fmac_f32_e32 v46, v50, v44
	v_sub_f32_e32 v44, v54, v49
	v_add_f32_e32 v44, v47, v44
	v_add_f32_e32 v47, v52, v46
	v_sub_f32_e32 v53, v49, v47
	v_sub_f32_e32 v49, v49, v53
	;; [unrolled: 1-line block ×4, first 2 shown]
	v_add_f32_e32 v44, v44, v47
	v_sub_f32_e32 v46, v52, v46
	v_cvt_f32_i32_e32 v43, v43
	v_add_f32_e32 v44, v46, v44
	v_add_f32_e32 v46, v48, v50
	;; [unrolled: 1-line block ×3, first 2 shown]
	v_sub_f32_e32 v47, v46, v48
	v_mul_f32_e32 v44, v51, v44
	v_sub_f32_e32 v47, v50, v47
	v_add_f32_e32 v44, v47, v44
	v_mul_f32_e32 v50, 0x3f317218, v43
	v_add_f32_e32 v47, v46, v44
	v_fma_f32 v51, v43, s63, -v50
	v_mul_f32_e32 v48, v47, v47
	v_mov_b32_e32 v49, 0x3ecc95a3
	v_fmac_f32_e32 v51, 0xb102e308, v43
	v_sub_f32_e32 v43, v47, v46
	v_fmac_f32_e32 v49, 0x3e9b6dac, v48
	v_sub_f32_e32 v43, v44, v43
	v_add_f32_e32 v44, v50, v51
	v_fma_f32 v49, v48, v49, v19
	v_sub_f32_e32 v46, v44, v50
	v_ldexp_f32 v50, v47, 1
	v_mul_f32_e32 v47, v47, v48
	v_mul_f32_e32 v47, v47, v49
	v_add_f32_e32 v48, v50, v47
	v_sub_f32_e32 v49, v48, v50
	v_ldexp_f32 v43, v43, 1
	v_sub_f32_e32 v47, v47, v49
	v_add_f32_e32 v43, v43, v47
	v_add_f32_e32 v47, v48, v43
	v_sub_f32_e32 v48, v47, v48
	v_sub_f32_e32 v43, v43, v48
	v_add_f32_e32 v48, v44, v47
	v_sub_f32_e32 v49, v48, v44
	v_sub_f32_e32 v50, v48, v49
	;; [unrolled: 1-line block ×5, first 2 shown]
	v_add_f32_e32 v44, v47, v44
	v_add_f32_e32 v47, v46, v43
	v_sub_f32_e32 v49, v47, v46
	v_sub_f32_e32 v50, v47, v49
	v_sub_f32_e32 v46, v46, v50
	v_sub_f32_e32 v43, v43, v49
	v_add_f32_e32 v44, v47, v44
	v_add_f32_e32 v43, v43, v46
	;; [unrolled: 1-line block ×3, first 2 shown]
	v_sub_f32_e32 v47, v46, v48
	v_sub_f32_e32 v44, v44, v47
	v_add_f32_e32 v43, v43, v44
	v_add_f32_e32 v43, v46, v43
	v_cmp_neq_f32_e32 vcc, s54, v45
	v_cndmask_b32_e32 v43, v30, v43, vcc
	v_cmp_ngt_f32_e32 vcc, -1.0, v45
	v_cndmask_b32_e32 v43, v32, v43, vcc
	v_cmp_neq_f32_e32 vcc, -1.0, v45
	v_cndmask_b32_e32 v43, v33, v43, vcc
	v_cmp_lt_f32_e64 vcc, |v45|, s65
	v_cndmask_b32_e32 v43, v43, v45, vcc
.LBB56_729:                             ;   in Loop: Header=BB56_401 Depth=1
	s_andn2_saveexec_b64 s[40:41], s[40:41]
	s_cbranch_execz .LBB56_731
; %bb.730:                              ;   in Loop: Header=BB56_401 Depth=1
	v_sub_f32_e64 v43, 1.0, |v15|
	v_mul_f32_e32 v43, v43, v39
	v_mul_f32_e32 v44, 0x4f800000, v43
	v_cmp_gt_f32_e32 vcc, s56, v43
	v_cndmask_b32_e32 v43, v43, v44, vcc
	v_sqrt_f32_e32 v44, v43
	v_add_u32_e32 v45, -1, v44
	v_fma_f32 v47, -v45, v44, v43
	v_add_u32_e32 v46, 1, v44
	v_cmp_ge_f32_e64 s[12:13], 0, v47
	v_cndmask_b32_e64 v45, v44, v45, s[12:13]
	v_fma_f32 v44, -v46, v44, v43
	v_cmp_lt_f32_e64 s[12:13], 0, v44
	v_cndmask_b32_e64 v44, v45, v46, s[12:13]
	v_mul_f32_e32 v45, 0x37800000, v44
	v_cndmask_b32_e32 v44, v44, v45, vcc
	v_cmp_class_f32_e32 vcc, v43, v18
	v_cndmask_b32_e32 v43, v44, v43, vcc
	v_and_b32_e32 v44, 0x7fffffff, v16
	v_div_scale_f32 v45, s[12:13], v43, v43, v44
	v_div_scale_f32 v44, vcc, v44, v43, v44
	v_rcp_f32_e32 v46, v45
	v_fma_f32 v47, -v45, v46, 1.0
	v_fmac_f32_e32 v46, v47, v46
	v_mul_f32_e32 v47, v44, v46
	v_fma_f32 v48, -v45, v47, v44
	v_fmac_f32_e32 v47, v48, v46
	v_fma_f32 v44, -v45, v47, v44
	v_div_fmas_f32 v44, v44, v46, v47
	v_div_fixup_f32 v43, v44, v43, |v16|
.LBB56_731:                             ;   in Loop: Header=BB56_401 Depth=1
	s_or_b64 exec, exec, s[40:41]
.LBB56_732:                             ;   in Loop: Header=BB56_401 Depth=1
	s_or_b64 exec, exec, s[38:39]
.LBB56_733:                             ;   in Loop: Header=BB56_401 Depth=1
	s_andn2_saveexec_b64 s[36:37], s[36:37]
	s_cbranch_execz .LBB56_735
; %bb.734:                              ;   in Loop: Header=BB56_401 Depth=1
	v_mul_f32_e64 v43, |v16|, s57
	v_cmp_lt_f32_e64 vcc, |v16|, s56
	v_cndmask_b32_e64 v43, |v16|, v43, vcc
	v_sqrt_f32_e32 v44, v43
	v_add_u32_e32 v45, -1, v44
	v_fma_f32 v47, -v45, v44, v43
	v_add_u32_e32 v46, 1, v44
	v_cmp_ge_f32_e64 s[12:13], 0, v47
	v_cndmask_b32_e64 v45, v44, v45, s[12:13]
	v_fma_f32 v44, -v46, v44, v43
	v_cmp_lt_f32_e64 s[12:13], 0, v44
	v_cndmask_b32_e64 v44, v45, v46, s[12:13]
	v_mul_f32_e32 v45, 0x37800000, v44
	v_cndmask_b32_e32 v44, v44, v45, vcc
	v_cmp_class_f32_e32 vcc, v43, v18
	v_cndmask_b32_e32 v43, v44, v43, vcc
.LBB56_735:                             ;   in Loop: Header=BB56_401 Depth=1
	s_or_b64 exec, exec, s[36:37]
.LBB56_736:                             ;   in Loop: Header=BB56_401 Depth=1
	s_or_b64 exec, exec, s[34:35]
	v_cmp_nlt_f32_e64 s[34:35], |v15|, s66
                                        ; implicit-def: $sgpr12_sgpr13
                                        ; implicit-def: $vgpr44
                                        ; implicit-def: $vgpr46
                                        ; implicit-def: $vgpr45
	s_and_saveexec_b64 s[36:37], s[34:35]
	s_xor_b64 s[34:35], exec, s[36:37]
	s_cbranch_execz .LBB56_760
; %bb.737:                              ;   in Loop: Header=BB56_401 Depth=1
	v_and_b32_e32 v45, 0x7fffffff, v15
	v_div_scale_f32 v44, s[12:13], v37, v37, v45
	v_div_scale_f32 v46, vcc, v45, v37, v45
	s_mov_b64 s[12:13], 0
	v_rcp_f32_e32 v47, v44
	v_fma_f32 v48, -v44, v47, 1.0
	v_fmac_f32_e32 v47, v48, v47
	v_mul_f32_e32 v48, v46, v47
	v_fma_f32 v49, -v44, v48, v46
	v_fmac_f32_e32 v48, v49, v47
	v_fma_f32 v44, -v44, v48, v46
	v_div_fmas_f32 v44, v44, v47, v48
                                        ; implicit-def: $vgpr46
	v_div_fixup_f32 v44, v44, v37, |v15|
	v_cmp_lt_f32_e32 vcc, s67, v44
	s_and_saveexec_b64 s[36:37], vcc
	s_cbranch_execz .LBB56_759
; %bb.738:                              ;   in Loop: Header=BB56_401 Depth=1
	v_cmp_neq_f32_e64 s[12:13], |v15|, 1.0
	v_cmp_nlt_f32_e64 s[38:39], |v16|, s68
	s_or_b64 s[12:13], s[38:39], s[12:13]
                                        ; implicit-def: $vgpr46
	s_and_saveexec_b64 s[38:39], s[12:13]
	s_xor_b64 s[38:39], exec, s[38:39]
	s_cbranch_execz .LBB56_756
; %bb.739:                              ;   in Loop: Header=BB56_401 Depth=1
	v_mul_f32_e64 v46, |v38|, s61
	v_cmp_ge_f32_e64 s[12:13], |v16|, v46
                                        ; implicit-def: $vgpr46
	s_and_saveexec_b64 s[40:41], s[12:13]
	s_xor_b64 s[40:41], exec, s[40:41]
	s_cbranch_execz .LBB56_749
; %bb.740:                              ;   in Loop: Header=BB56_401 Depth=1
	v_cmp_neq_f32_e32 vcc, 0, v39
	v_mov_b32_e32 v46, v41
	s_and_saveexec_b64 s[12:13], vcc
	s_cbranch_execz .LBB56_742
; %bb.741:                              ;   in Loop: Header=BB56_401 Depth=1
	v_mul_f32_e32 v46, v16, v16
	v_add_f32_e32 v39, v39, v42
	v_div_scale_f32 v42, s[42:43], v39, v39, v46
	v_div_scale_f32 v47, vcc, v46, v39, v46
	v_rcp_f32_e32 v48, v42
	v_fma_f32 v49, -v42, v48, 1.0
	v_fmac_f32_e32 v48, v49, v48
	v_mul_f32_e32 v49, v47, v48
	v_fma_f32 v50, -v42, v49, v47
	v_fmac_f32_e32 v49, v50, v48
	v_fma_f32 v42, -v42, v49, v47
	v_div_fmas_f32 v42, v42, v48, v49
	v_div_fixup_f32 v46, v42, v39, v46
.LBB56_742:                             ;   in Loop: Header=BB56_401 Depth=1
	s_or_b64 exec, exec, s[12:13]
	v_cmp_ngt_f32_e32 vcc, 0, v38
	s_and_saveexec_b64 s[12:13], vcc
	s_xor_b64 s[12:13], exec, s[12:13]
	s_cbranch_execz .LBB56_746
; %bb.743:                              ;   in Loop: Header=BB56_401 Depth=1
	v_cmp_neq_f32_e32 vcc, 0, v38
	s_and_saveexec_b64 s[42:43], vcc
	s_cbranch_execz .LBB56_745
; %bb.744:                              ;   in Loop: Header=BB56_401 Depth=1
	v_mul_f32_e32 v39, v16, v16
	v_add_f32_e32 v38, v38, v40
	v_div_scale_f32 v40, s[78:79], v38, v38, v39
	v_div_scale_f32 v41, vcc, v39, v38, v39
	v_rcp_f32_e32 v42, v40
	v_fma_f32 v47, -v40, v42, 1.0
	v_fmac_f32_e32 v42, v47, v42
	v_mul_f32_e32 v47, v41, v42
	v_fma_f32 v48, -v40, v47, v41
	v_fmac_f32_e32 v47, v48, v42
	v_fma_f32 v40, -v40, v47, v41
	v_div_fmas_f32 v40, v40, v42, v47
	v_div_fixup_f32 v41, v40, v38, v39
.LBB56_745:                             ;   in Loop: Header=BB56_401 Depth=1
	s_or_b64 exec, exec, s[42:43]
                                        ; implicit-def: $vgpr40
                                        ; implicit-def: $vgpr38
.LBB56_746:                             ;   in Loop: Header=BB56_401 Depth=1
	s_andn2_saveexec_b64 s[12:13], s[12:13]
; %bb.747:                              ;   in Loop: Header=BB56_401 Depth=1
	v_sub_f32_e32 v41, v40, v38
; %bb.748:                              ;   in Loop: Header=BB56_401 Depth=1
	s_or_b64 exec, exec, s[12:13]
	v_mul_f32_e32 v38, 0.5, v41
	v_fmac_f32_e32 v38, 0.5, v46
	v_add_f32_e64 v37, |v15|, v37
	v_mul_f32_e32 v37, v37, v38
	v_mul_f32_e32 v38, 0x4f800000, v37
	v_cmp_gt_f32_e32 vcc, s56, v37
	v_cndmask_b32_e32 v37, v37, v38, vcc
	v_sqrt_f32_e32 v38, v37
	v_add_u32_e32 v39, -1, v38
	v_fma_f32 v40, -v39, v38, v37
	v_cmp_ge_f32_e64 s[12:13], 0, v40
	v_add_u32_e32 v40, 1, v38
	v_cndmask_b32_e64 v39, v38, v39, s[12:13]
	v_fma_f32 v38, -v40, v38, v37
	v_cmp_lt_f32_e64 s[12:13], 0, v38
	v_cndmask_b32_e64 v38, v39, v40, s[12:13]
	v_mul_f32_e32 v39, 0x37800000, v38
	v_cndmask_b32_e32 v38, v38, v39, vcc
	v_cmp_class_f32_e32 vcc, v37, v18
	v_cndmask_b32_e32 v46, v38, v37, vcc
                                        ; implicit-def: $vgpr39
                                        ; implicit-def: $vgpr38
.LBB56_749:                             ;   in Loop: Header=BB56_401 Depth=1
	s_andn2_saveexec_b64 s[40:41], s[40:41]
	s_cbranch_execz .LBB56_755
; %bb.750:                              ;   in Loop: Header=BB56_401 Depth=1
	v_cmp_ngt_f32_e64 s[12:13], |v15|, 1.0
                                        ; implicit-def: $vgpr46
	s_and_saveexec_b64 s[42:43], s[12:13]
	s_xor_b64 s[42:43], exec, s[42:43]
	s_cbranch_execz .LBB56_752
; %bb.751:                              ;   in Loop: Header=BB56_401 Depth=1
	v_sub_f32_e64 v37, 1.0, |v15|
	v_mul_f32_e32 v37, v37, v39
	v_mul_f32_e32 v38, 0x4f800000, v37
	v_cmp_gt_f32_e32 vcc, s56, v37
	v_cndmask_b32_e32 v37, v37, v38, vcc
	v_sqrt_f32_e32 v38, v37
	v_add_u32_e32 v39, -1, v38
	v_fma_f32 v41, -v39, v38, v37
	v_add_u32_e32 v40, 1, v38
	v_cmp_ge_f32_e64 s[12:13], 0, v41
	v_cndmask_b32_e64 v39, v38, v39, s[12:13]
	v_fma_f32 v38, -v40, v38, v37
	v_cmp_lt_f32_e64 s[12:13], 0, v38
	v_cndmask_b32_e64 v38, v39, v40, s[12:13]
	v_mul_f32_e32 v39, 0x37800000, v38
	v_cndmask_b32_e32 v38, v38, v39, vcc
	v_cmp_class_f32_e32 vcc, v37, v18
	v_cndmask_b32_e32 v46, v38, v37, vcc
                                        ; implicit-def: $vgpr39
                                        ; implicit-def: $vgpr38
.LBB56_752:                             ;   in Loop: Header=BB56_401 Depth=1
	s_andn2_saveexec_b64 s[42:43], s[42:43]
	s_cbranch_execz .LBB56_754
; %bb.753:                              ;   in Loop: Header=BB56_401 Depth=1
	v_mul_f32_e32 v37, v39, v38
	v_mul_f32_e32 v38, 0x4f800000, v37
	v_cmp_gt_f32_e32 vcc, s56, v37
	v_cndmask_b32_e32 v37, v37, v38, vcc
	v_sqrt_f32_e32 v38, v37
	v_mul_f32_e64 v39, |v16|, s69
	v_mul_f32_e64 v39, |v15|, v39
	v_add_u32_e32 v40, -1, v38
	v_fma_f32 v41, -v40, v38, v37
	v_cmp_ge_f32_e64 s[12:13], 0, v41
	v_add_u32_e32 v41, 1, v38
	v_cndmask_b32_e64 v40, v38, v40, s[12:13]
	v_fma_f32 v38, -v41, v38, v37
	v_cmp_lt_f32_e64 s[12:13], 0, v38
	v_cndmask_b32_e64 v38, v40, v41, s[12:13]
	v_mul_f32_e32 v40, 0x37800000, v38
	v_cndmask_b32_e32 v38, v38, v40, vcc
	v_cmp_class_f32_e32 vcc, v37, v18
	v_cndmask_b32_e32 v37, v38, v37, vcc
	v_div_scale_f32 v38, s[12:13], v37, v37, v39
	v_div_scale_f32 v40, vcc, v39, v37, v39
	v_rcp_f32_e32 v41, v38
	v_fma_f32 v42, -v38, v41, 1.0
	v_fmac_f32_e32 v41, v42, v41
	v_mul_f32_e32 v42, v40, v41
	v_fma_f32 v45, -v38, v42, v40
	v_fmac_f32_e32 v42, v45, v41
	v_fma_f32 v38, -v38, v42, v40
	v_div_fmas_f32 v38, v38, v41, v42
	v_mul_f32_e64 v45, |v15|, s69
	v_div_fixup_f32 v46, v38, v37, v39
.LBB56_754:                             ;   in Loop: Header=BB56_401 Depth=1
	s_or_b64 exec, exec, s[42:43]
.LBB56_755:                             ;   in Loop: Header=BB56_401 Depth=1
	s_or_b64 exec, exec, s[40:41]
                                        ; implicit-def: $vgpr37
.LBB56_756:                             ;   in Loop: Header=BB56_401 Depth=1
	s_andn2_saveexec_b64 s[38:39], s[38:39]
	s_cbranch_execz .LBB56_758
; %bb.757:                              ;   in Loop: Header=BB56_401 Depth=1
	v_mul_f32_e64 v38, |v16|, s57
	v_cmp_lt_f32_e64 vcc, |v16|, s56
	v_cndmask_b32_e64 v38, |v16|, v38, vcc
	v_sqrt_f32_e32 v39, v38
	v_add_f32_e32 v37, 1.0, v37
	v_mul_f32_e32 v37, 0.5, v37
	v_mov_b32_e32 v45, 1.0
	v_add_u32_e32 v40, -1, v39
	v_fma_f32 v42, -v40, v39, v38
	v_add_u32_e32 v41, 1, v39
	v_cmp_ge_f32_e64 s[12:13], 0, v42
	v_cndmask_b32_e64 v40, v39, v40, s[12:13]
	v_fma_f32 v39, -v41, v39, v38
	v_cmp_lt_f32_e64 s[12:13], 0, v39
	v_cndmask_b32_e64 v39, v40, v41, s[12:13]
	v_mul_f32_e32 v40, 0x37800000, v39
	v_cndmask_b32_e32 v39, v39, v40, vcc
	v_mul_f32_e32 v40, 0x4f800000, v37
	v_cmp_gt_f32_e32 vcc, s56, v37
	v_cndmask_b32_e32 v37, v37, v40, vcc
	v_sqrt_f32_e32 v40, v37
	v_cmp_class_f32_e64 s[12:13], v38, v18
	v_cndmask_b32_e64 v38, v39, v38, s[12:13]
	v_add_u32_e32 v39, -1, v40
	v_fma_f32 v41, -v39, v40, v37
	v_cmp_ge_f32_e64 s[12:13], 0, v41
	v_add_u32_e32 v41, 1, v40
	v_cndmask_b32_e64 v39, v40, v39, s[12:13]
	v_fma_f32 v40, -v41, v40, v37
	v_cmp_lt_f32_e64 s[12:13], 0, v40
	v_cndmask_b32_e64 v39, v39, v41, s[12:13]
	v_mul_f32_e32 v40, 0x37800000, v39
	v_cndmask_b32_e32 v39, v39, v40, vcc
	v_cmp_class_f32_e32 vcc, v37, v18
	v_cndmask_b32_e32 v37, v39, v37, vcc
	v_mul_f32_e32 v46, v38, v37
.LBB56_758:                             ;   in Loop: Header=BB56_401 Depth=1
	s_or_b64 exec, exec, s[38:39]
	s_mov_b64 s[12:13], exec
.LBB56_759:                             ;   in Loop: Header=BB56_401 Depth=1
	s_or_b64 exec, exec, s[36:37]
                                        ; implicit-def: $vgpr37
.LBB56_760:                             ;   in Loop: Header=BB56_401 Depth=1
	s_andn2_saveexec_b64 s[34:35], s[34:35]
; %bb.761:                              ;   in Loop: Header=BB56_401 Depth=1
	v_mul_f32_e32 v46, 0x4b800000, v37
	v_mul_f32_e64 v45, |v15|, s70
	s_or_b64 s[12:13], s[12:13], exec
                                        ; implicit-def: $vgpr44
; %bb.762:                              ;   in Loop: Header=BB56_401 Depth=1
	s_or_b64 exec, exec, s[34:35]
	s_xor_b64 s[12:13], s[12:13], -1
                                        ; implicit-def: $vgpr37
	s_and_saveexec_b64 s[34:35], s[12:13]
	s_xor_b64 s[12:13], exec, s[34:35]
	s_cbranch_execz .LBB56_764
; %bb.763:                              ;   in Loop: Header=BB56_401 Depth=1
	v_fma_f32 v37, |v44|, -0.5, 0.5
	v_mul_f32_e32 v38, v44, v44
	v_cmp_ge_f32_e64 vcc, |v44|, 0.5
	v_cndmask_b32_e32 v37, v38, v37, vcc
	v_mov_b32_e32 v38, 0x3c5fc5da
	v_fmac_f32_e32 v38, 0x3d1c21a7, v37
	v_fma_f32 v38, v37, v38, v20
	v_fma_f32 v38, v37, v38, v21
	v_sqrt_f32_e32 v39, v37
	v_fma_f32 v38, v37, v38, v22
	v_fma_f32 v38, v37, v38, v23
	v_mul_f32_e32 v37, v37, v38
	v_fmac_f32_e32 v39, v39, v37
	v_add_f32_e32 v38, v39, v39
	v_sub_f32_e32 v38, 0x3fc90fdb, v38
	v_fma_f32 v37, |v44|, v37, |v44|
	v_cmp_lt_f32_e64 vcc, |v44|, 0.5
	v_cndmask_b32_e32 v37, v38, v37, vcc
	v_bfi_b32 v37, s53, v37, v44
                                        ; implicit-def: $vgpr45
                                        ; implicit-def: $vgpr46
.LBB56_764:                             ;   in Loop: Header=BB56_401 Depth=1
	s_andn2_saveexec_b64 s[34:35], s[12:13]
	s_cbranch_execz .LBB56_766
; %bb.765:                              ;   in Loop: Header=BB56_401 Depth=1
	v_max_f32_e32 v37, v45, v45
	v_max_f32_e64 v38, |v46|, |v46|
	v_min_f32_e32 v39, v38, v37
	v_max_f32_e32 v37, v38, v37
	v_frexp_mant_f32_e32 v38, v37
	v_rcp_f32_e32 v38, v38
	v_frexp_exp_i32_f32_e32 v37, v37
	v_frexp_exp_i32_f32_e32 v40, v39
	v_frexp_mant_f32_e32 v39, v39
	v_mul_f32_e32 v38, v39, v38
	v_sub_u32_e32 v37, v40, v37
	v_ldexp_f32 v37, v38, v37
	v_mul_f32_e32 v38, v37, v37
	v_mov_b32_e32 v39, 0xbc7a590c
	v_fmac_f32_e32 v39, 0x3b2d2a58, v38
	v_fma_f32 v39, v38, v39, v24
	v_fma_f32 v39, v38, v39, v25
	v_fma_f32 v39, v38, v39, v26
	v_fma_f32 v39, v38, v39, v27
	v_fma_f32 v39, v38, v39, v28
	v_fma_f32 v39, v38, v39, v29
	v_mul_f32_e32 v38, v38, v39
	v_fmac_f32_e32 v37, v37, v38
	v_sub_f32_e32 v38, 0x3fc90fdb, v37
	v_cmp_gt_f32_e64 vcc, v45, |v46|
	v_cndmask_b32_e32 v37, v37, v38, vcc
	v_sub_f32_e32 v38, 0x40490fdb, v37
	v_cmp_gt_f32_e32 vcc, 0, v46
	v_cmp_gt_i32_e64 s[12:13], 0, v46
	v_cndmask_b32_e32 v37, v37, v38, vcc
	v_cndmask_b32_e64 v38, 0, v34, s[12:13]
	v_cndmask_b32_e32 v39, v35, v36, vcc
	v_cmp_class_f32_e64 s[36:37], v46, s71
	v_cmp_eq_f32_e32 vcc, s54, v45
	v_cmp_eq_f32_e64 s[12:13], 0, v45
	v_cndmask_b32_e64 v37, |v37|, v38, s[12:13]
	s_and_b64 vcc, vcc, s[36:37]
	v_cndmask_b32_e32 v37, v37, v39, vcc
	v_cmp_o_f32_e32 vcc, v46, v46
	v_cndmask_b32_e32 v37, v32, v37, vcc
.LBB56_766:                             ;   in Loop: Header=BB56_401 Depth=1
	s_or_b64 exec, exec, s[34:35]
	v_bfi_b32 v16, s53, v43, v16
	v_bfi_b32 v15, s53, v37, v15
.LBB56_767:                             ;   in Loop: Header=BB56_401 Depth=1
	s_or_b64 exec, exec, s[30:31]
.LBB56_768:                             ;   in Loop: Header=BB56_401 Depth=1
	s_or_b64 exec, exec, s[28:29]
                                        ; implicit-def: $vgpr37
                                        ; implicit-def: $vgpr40
                                        ; implicit-def: $vgpr39
.LBB56_769:                             ;   in Loop: Header=BB56_401 Depth=1
	s_andn2_saveexec_b64 s[28:29], s[14:15]
	s_cbranch_execz .LBB56_791
; %bb.770:                              ;   in Loop: Header=BB56_401 Depth=1
	v_cmp_lt_i32_e32 vcc, -1, v16
                                        ; implicit-def: $sgpr30_sgpr31
                                        ; implicit-def: $vgpr38
                                        ; implicit-def: $vgpr41
	s_and_saveexec_b64 s[12:13], vcc
	s_xor_b64 s[34:35], exec, s[12:13]
	s_cbranch_execz .LBB56_780
; %bb.771:                              ;   in Loop: Header=BB56_401 Depth=1
	v_cmp_lt_f32_e64 s[12:13], |v16|, |v15|
	v_cndmask_b32_e64 v42, |v16|, |v15|, s[12:13]
	v_cmp_nlt_f32_e32 vcc, s72, v42
                                        ; implicit-def: $vgpr38
                                        ; implicit-def: $vgpr41
	s_and_saveexec_b64 s[14:15], vcc
	s_xor_b64 s[30:31], exec, s[14:15]
	s_cbranch_execz .LBB56_777
; %bb.772:                              ;   in Loop: Header=BB56_401 Depth=1
	v_cndmask_b32_e64 v43, |v15|, |v16|, s[12:13]
	v_cmp_nlt_f32_e32 vcc, s73, v42
	v_cmp_ngt_f32_e64 s[14:15], s74, v43
	s_and_b64 s[14:15], vcc, s[14:15]
                                        ; implicit-def: $vgpr38
                                        ; implicit-def: $vgpr41
	s_and_saveexec_b64 s[36:37], s[14:15]
	s_xor_b64 s[14:15], exec, s[36:37]
	s_cbranch_execz .LBB56_774
; %bb.773:                              ;   in Loop: Header=BB56_401 Depth=1
	v_mul_f32_e32 v38, v43, v43
	v_fmac_f32_e32 v38, v42, v42
	v_cmp_gt_f32_e32 vcc, s58, v38
	v_cndmask_b32_e64 v41, 0, 32, vcc
	v_ldexp_f32 v38, v38, v41
	v_log_f32_e32 v38, v38
	s_waitcnt lgkmcnt(0)
	v_min_f32_e32 v37, v40, v37
	v_frexp_mant_f32_e32 v40, v39
	v_rcp_f32_e32 v40, v40
	v_mul_f32_e32 v42, 0x3f317217, v38
	v_fma_f32 v42, v38, s59, -v42
	v_fmac_f32_e32 v42, 0x3377d1cf, v38
	v_cndmask_b32_e32 v41, 0, v31, vcc
	v_fmac_f32_e32 v42, 0x3f317217, v38
	v_cmp_lt_f32_e64 vcc, |v38|, s54
	v_cndmask_b32_e32 v38, v38, v42, vcc
	v_sub_f32_e32 v38, v38, v41
	v_frexp_exp_i32_f32_e32 v39, v39
	v_frexp_exp_i32_f32_e32 v41, v37
	v_frexp_mant_f32_e32 v37, v37
	v_mul_f32_e32 v37, v37, v40
	v_sub_u32_e32 v39, v41, v39
	v_ldexp_f32 v41, v37, v39
	v_mul_f32_e32 v37, v41, v41
	v_mov_b32_e32 v39, 0xbc7a590c
	v_fmac_f32_e32 v39, 0x3b2d2a58, v37
	v_fma_f32 v39, v37, v39, v24
	v_fma_f32 v39, v37, v39, v25
	;; [unrolled: 1-line block ×6, first 2 shown]
	v_mul_f32_e32 v37, v37, v39
	v_mul_f32_e32 v38, 0.5, v38
	v_fmac_f32_e32 v41, v41, v37
                                        ; implicit-def: $vgpr39
                                        ; implicit-def: $vgpr40
                                        ; implicit-def: $vgpr37
.LBB56_774:                             ;   in Loop: Header=BB56_401 Depth=1
	s_andn2_saveexec_b64 s[14:15], s[14:15]
	s_cbranch_execz .LBB56_776
; %bb.775:                              ;   in Loop: Header=BB56_401 Depth=1
	v_cvt_f64_f32_e32 v[41:42], v39
	v_cmp_neq_f32_e32 vcc, s54, v39
	s_waitcnt lgkmcnt(0)
	v_min_f32_e32 v37, v40, v37
	v_frexp_exp_i32_f32_e32 v40, v39
	v_frexp_exp_i32_f64_e32 v38, v[41:42]
	v_frexp_mant_f32_e32 v41, v39
	v_rcp_f32_e32 v41, v41
	v_frexp_exp_i32_f32_e32 v43, v37
	v_frexp_mant_f32_e32 v37, v37
	v_sub_u32_e32 v40, v43, v40
	v_mul_f32_e32 v37, v37, v41
	v_ldexp_f32 v41, v37, v40
	v_sub_u32_e32 v44, 0, v38
	v_ldexp_f32 v45, |v16|, v44
	v_ldexp_f32 v44, |v15|, v44
	v_mul_f32_e32 v44, v44, v44
	v_fmac_f32_e32 v44, v45, v45
	v_sqrt_f32_e32 v44, v44
	v_mov_b32_e32 v42, 0xbc7a590c
	v_mul_f32_e32 v37, v41, v41
	v_fmac_f32_e32 v42, 0x3b2d2a58, v37
	v_ldexp_f32 v38, v44, v38
	v_cndmask_b32_e32 v38, v30, v38, vcc
	v_cmp_gt_f32_e32 vcc, s58, v38
	v_cndmask_b32_e64 v39, 0, 32, vcc
	v_ldexp_f32 v38, v38, v39
	v_log_f32_e32 v38, v38
	v_cndmask_b32_e32 v39, 0, v31, vcc
	v_mul_f32_e32 v40, 0x3f317217, v38
	v_fma_f32 v40, v38, s59, -v40
	v_fmac_f32_e32 v40, 0x3377d1cf, v38
	v_fmac_f32_e32 v40, 0x3f317217, v38
	v_cmp_lt_f32_e64 vcc, |v38|, s54
	v_cndmask_b32_e32 v38, v38, v40, vcc
	v_sub_f32_e32 v38, v38, v39
	v_fma_f32 v39, v37, v42, v24
	v_fma_f32 v39, v37, v39, v25
	;; [unrolled: 1-line block ×6, first 2 shown]
	v_mul_f32_e32 v37, v37, v39
	v_fmac_f32_e32 v41, v41, v37
.LBB56_776:                             ;   in Loop: Header=BB56_401 Depth=1
	s_or_b64 exec, exec, s[14:15]
                                        ; implicit-def: $vgpr40
                                        ; implicit-def: $vgpr37
                                        ; implicit-def: $vgpr39
.LBB56_777:                             ;   in Loop: Header=BB56_401 Depth=1
	s_andn2_saveexec_b64 s[30:31], s[30:31]
	s_cbranch_execz .LBB56_779
; %bb.778:                              ;   in Loop: Header=BB56_401 Depth=1
	v_div_scale_f32 v38, s[14:15], s75, s75, v16
	v_div_scale_f32 v41, s[14:15], s75, s75, v15
	v_div_scale_f32 v42, vcc, v16, s75, v16
	v_div_scale_f32 v43, s[14:15], v15, s75, v15
	s_waitcnt lgkmcnt(0)
	v_min_f32_e32 v40, v40, v37
	v_rcp_f32_e32 v44, v38
	v_rcp_f32_e32 v45, v41
	v_fma_f32 v46, -v38, v44, 1.0
	v_fmac_f32_e32 v44, v46, v44
	v_fma_f32 v47, -v41, v45, 1.0
	v_fmac_f32_e32 v45, v47, v45
	v_mul_f32_e32 v46, v42, v44
	v_mul_f32_e32 v47, v43, v45
	v_fma_f32 v48, -v38, v46, v42
	v_fma_f32 v49, -v41, v47, v43
	v_fmac_f32_e32 v46, v48, v44
	v_fmac_f32_e32 v47, v49, v45
	v_fma_f32 v38, -v38, v46, v42
	v_fma_f32 v41, -v41, v47, v43
	v_div_fmas_f32 v38, v38, v44, v46
	s_mov_b64 vcc, s[14:15]
	v_div_fmas_f32 v41, v41, v45, v47
	v_frexp_exp_i32_f32_e32 v42, v39
	v_frexp_mant_f32_e32 v39, v39
	v_rcp_f32_e32 v39, v39
	v_mov_b32_e32 v43, 0xbc7a590c
	v_div_fixup_f32 v44, v38, s75, v16
	v_div_fixup_f32 v45, v41, s75, v15
	v_max_f32_e64 v46, v44, |v45|
	v_cvt_f64_f32_e32 v[37:38], v46
	v_frexp_exp_i32_f32_e32 v41, v40
	v_frexp_mant_f32_e32 v40, v40
	v_mul_f32_e32 v39, v40, v39
	v_frexp_exp_i32_f64_e32 v37, v[37:38]
	v_sub_u32_e32 v38, v41, v42
	v_cmp_neq_f32_e32 vcc, s54, v46
	v_ldexp_f32 v41, v39, v38
	v_mul_f32_e32 v38, v41, v41
	v_fmac_f32_e32 v43, 0x3b2d2a58, v38
	v_fma_f32 v39, v38, v43, v24
	v_fma_f32 v39, v38, v39, v25
	v_sub_u32_e32 v40, 0, v37
	v_ldexp_f32 v42, v44, v40
	v_ldexp_f32 v40, |v45|, v40
	v_mul_f32_e32 v40, v40, v40
	v_fmac_f32_e32 v40, v42, v42
	v_sqrt_f32_e32 v40, v40
	v_fma_f32 v39, v38, v39, v26
	v_fma_f32 v39, v38, v39, v27
	;; [unrolled: 1-line block ×3, first 2 shown]
	v_ldexp_f32 v37, v40, v37
	v_cndmask_b32_e32 v37, v30, v37, vcc
	v_cmp_gt_f32_e32 vcc, s58, v37
	v_cndmask_b32_e64 v40, 0, 32, vcc
	v_ldexp_f32 v37, v37, v40
	v_log_f32_e32 v37, v37
	v_fma_f32 v39, v38, v39, v29
	v_mul_f32_e32 v39, v38, v39
	v_cndmask_b32_e32 v38, 0, v31, vcc
	v_mul_f32_e32 v40, 0x3f317217, v37
	v_fma_f32 v40, v37, s59, -v40
	v_fmac_f32_e32 v40, 0x3377d1cf, v37
	v_fmac_f32_e32 v40, 0x3f317217, v37
	v_cmp_lt_f32_e64 vcc, |v37|, s54
	v_cndmask_b32_e32 v37, v37, v40, vcc
	v_sub_f32_e32 v37, v37, v38
	v_add_f32_e32 v38, 1.0, v37
	v_fmac_f32_e32 v41, v41, v39
.LBB56_779:                             ;   in Loop: Header=BB56_401 Depth=1
	s_or_b64 exec, exec, s[30:31]
	s_waitcnt lgkmcnt(0)
	v_sub_f32_e32 v37, 0x3fc90fdb, v41
	v_cndmask_b32_e64 v37, v41, v37, s[12:13]
	v_cmp_neq_f32_e32 vcc, 0, v15
	v_cndmask_b32_e32 v41, 0, v37, vcc
	v_cmp_class_f32_e64 s[30:31], v16, s71
                                        ; implicit-def: $vgpr37
.LBB56_780:                             ;   in Loop: Header=BB56_401 Depth=1
	s_andn2_saveexec_b64 s[34:35], s[34:35]
	s_cbranch_execz .LBB56_790
; %bb.781:                              ;   in Loop: Header=BB56_401 Depth=1
	v_cmp_gt_f32_e64 s[12:13], |v15|, -v16
	v_cndmask_b32_e64 v40, -v16, |v15|, s[12:13]
	v_cmp_nlt_f32_e32 vcc, s72, v40
                                        ; implicit-def: $vgpr38
                                        ; implicit-def: $vgpr39
	s_and_saveexec_b64 s[14:15], vcc
	s_xor_b64 s[36:37], exec, s[14:15]
	s_cbranch_execz .LBB56_787
; %bb.782:                              ;   in Loop: Header=BB56_401 Depth=1
	v_xor_b32_e32 v38, 0x80000000, v16
	v_cndmask_b32_e64 v41, |v15|, v38, s[12:13]
	v_cmp_nlt_f32_e32 vcc, s73, v40
	v_cmp_ngt_f32_e64 s[14:15], s74, v41
	s_and_b64 s[14:15], vcc, s[14:15]
                                        ; implicit-def: $vgpr38
                                        ; implicit-def: $vgpr39
	s_and_saveexec_b64 s[38:39], s[14:15]
	s_xor_b64 s[14:15], exec, s[38:39]
	s_cbranch_execz .LBB56_784
; %bb.783:                              ;   in Loop: Header=BB56_401 Depth=1
	v_mul_f32_e32 v38, v41, v41
	v_fmac_f32_e32 v38, v40, v40
	v_cmp_gt_f32_e32 vcc, s58, v38
	v_cndmask_b32_e64 v39, 0, 32, vcc
	v_ldexp_f32 v38, v38, v39
	v_log_f32_e32 v38, v38
	v_cndmask_b32_e32 v39, 0, v31, vcc
	v_mul_f32_e32 v40, 0x3f317217, v38
	v_fma_f32 v40, v38, s59, -v40
	v_fmac_f32_e32 v40, 0x3377d1cf, v38
	v_fmac_f32_e32 v40, 0x3f317217, v38
	v_cmp_lt_f32_e64 vcc, |v38|, s54
	v_cndmask_b32_e32 v38, v38, v40, vcc
	v_sub_f32_e32 v38, v38, v39
	v_max_f32_e64 v39, -v16, -v16
	s_waitcnt lgkmcnt(0)
	v_min_f32_e32 v40, v39, v37
	v_max_f32_e32 v37, v39, v37
	v_frexp_mant_f32_e32 v39, v37
	v_rcp_f32_e32 v39, v39
	v_frexp_exp_i32_f32_e32 v37, v37
	v_frexp_exp_i32_f32_e32 v41, v40
	v_frexp_mant_f32_e32 v40, v40
	v_mul_f32_e32 v39, v40, v39
	v_sub_u32_e32 v37, v41, v37
	v_ldexp_f32 v39, v39, v37
	v_mul_f32_e32 v37, v39, v39
	v_mov_b32_e32 v40, 0xbc7a590c
	v_fmac_f32_e32 v40, 0x3b2d2a58, v37
	v_fma_f32 v40, v37, v40, v24
	v_fma_f32 v40, v37, v40, v25
	;; [unrolled: 1-line block ×6, first 2 shown]
	v_mul_f32_e32 v37, v37, v40
	v_mul_f32_e32 v38, 0.5, v38
	v_fmac_f32_e32 v39, v39, v37
                                        ; implicit-def: $vgpr37
.LBB56_784:                             ;   in Loop: Header=BB56_401 Depth=1
	s_andn2_saveexec_b64 s[14:15], s[14:15]
	s_cbranch_execz .LBB56_786
; %bb.785:                              ;   in Loop: Header=BB56_401 Depth=1
	v_max_f32_e64 v40, -v16, -v16
	s_waitcnt lgkmcnt(0)
	v_max_f32_e32 v41, v40, v37
	v_cvt_f64_f32_e32 v[38:39], v41
	v_min_f32_e32 v37, v40, v37
	v_frexp_mant_f32_e32 v40, v41
	v_rcp_f32_e32 v40, v40
	v_frexp_exp_i32_f64_e32 v38, v[38:39]
	v_cmp_neq_f32_e32 vcc, s54, v41
	v_frexp_exp_i32_f32_e32 v43, v37
	v_frexp_mant_f32_e32 v37, v37
	v_mul_f32_e32 v37, v37, v40
	v_frexp_exp_i32_f32_e32 v39, v41
	v_sub_u32_e32 v39, v43, v39
	v_ldexp_f32 v39, v37, v39
	v_sub_u32_e32 v44, 0, v38
	v_ldexp_f32 v45, -v16, v44
	v_ldexp_f32 v44, |v15|, v44
	v_mul_f32_e32 v44, v44, v44
	v_fmac_f32_e32 v44, v45, v45
	v_sqrt_f32_e32 v44, v44
	v_mov_b32_e32 v42, 0xbc7a590c
	v_mul_f32_e32 v37, v39, v39
	v_fmac_f32_e32 v42, 0x3b2d2a58, v37
	v_ldexp_f32 v38, v44, v38
	v_cndmask_b32_e32 v38, v30, v38, vcc
	v_cmp_gt_f32_e32 vcc, s58, v38
	v_cndmask_b32_e64 v40, 0, 32, vcc
	v_ldexp_f32 v38, v38, v40
	v_log_f32_e32 v38, v38
	v_cndmask_b32_e32 v40, 0, v31, vcc
	v_mul_f32_e32 v41, 0x3f317217, v38
	v_fma_f32 v41, v38, s59, -v41
	v_fmac_f32_e32 v41, 0x3377d1cf, v38
	v_fmac_f32_e32 v41, 0x3f317217, v38
	v_cmp_lt_f32_e64 vcc, |v38|, s54
	v_cndmask_b32_e32 v38, v38, v41, vcc
	v_sub_f32_e32 v38, v38, v40
	v_fma_f32 v40, v37, v42, v24
	v_fma_f32 v40, v37, v40, v25
	;; [unrolled: 1-line block ×6, first 2 shown]
	v_mul_f32_e32 v37, v37, v40
	v_fmac_f32_e32 v39, v39, v37
.LBB56_786:                             ;   in Loop: Header=BB56_401 Depth=1
	s_or_b64 exec, exec, s[14:15]
                                        ; implicit-def: $vgpr37
.LBB56_787:                             ;   in Loop: Header=BB56_401 Depth=1
	s_andn2_saveexec_b64 s[36:37], s[36:37]
	s_cbranch_execz .LBB56_789
; %bb.788:                              ;   in Loop: Header=BB56_401 Depth=1
	v_div_scale_f32 v38, s[14:15], s76, s76, v16
	v_div_scale_f32 v39, s[14:15], s76, s76, v15
	v_div_scale_f32 v40, vcc, v16, s76, v16
	v_div_scale_f32 v41, s[14:15], v15, s76, v15
	v_rcp_f32_e32 v42, v38
	v_rcp_f32_e32 v43, v39
	v_fma_f32 v44, -v38, v42, 1.0
	v_fmac_f32_e32 v42, v44, v42
	v_fma_f32 v45, -v39, v43, 1.0
	v_fmac_f32_e32 v43, v45, v43
	v_mul_f32_e32 v44, v40, v42
	v_mul_f32_e32 v45, v41, v43
	v_fma_f32 v46, -v38, v44, v40
	v_fma_f32 v47, -v39, v45, v41
	v_fmac_f32_e32 v44, v46, v42
	v_fmac_f32_e32 v45, v47, v43
	v_fma_f32 v38, -v38, v44, v40
	v_fma_f32 v39, -v39, v45, v41
	v_div_fmas_f32 v38, v38, v42, v44
	s_mov_b64 vcc, s[14:15]
	v_div_fmas_f32 v39, v39, v43, v45
	v_max_f32_e64 v40, -v16, -v16
	s_waitcnt lgkmcnt(0)
	v_min_f32_e32 v42, v40, v37
	v_max_f32_e32 v37, v40, v37
	v_frexp_exp_i32_f32_e32 v40, v37
	v_frexp_mant_f32_e32 v43, v37
	v_rcp_f32_e32 v43, v43
	v_mov_b32_e32 v41, 0xbc7a590c
	v_div_fixup_f32 v44, v38, s76, v16
	v_div_fixup_f32 v45, v39, s76, v15
	v_max_f32_e64 v46, |v44|, |v45|
	v_cvt_f64_f32_e32 v[37:38], v46
	v_frexp_exp_i32_f32_e32 v39, v42
	v_frexp_mant_f32_e32 v42, v42
	v_cmp_neq_f32_e32 vcc, s54, v46
	v_frexp_exp_i32_f64_e32 v37, v[37:38]
	v_sub_u32_e32 v38, v39, v40
	v_mul_f32_e32 v39, v42, v43
	v_ldexp_f32 v39, v39, v38
	v_mul_f32_e32 v38, v39, v39
	v_fmac_f32_e32 v41, 0x3b2d2a58, v38
	v_fma_f32 v40, v38, v41, v24
	v_fma_f32 v40, v38, v40, v25
	v_sub_u32_e32 v41, 0, v37
	v_ldexp_f32 v42, |v44|, v41
	v_ldexp_f32 v41, |v45|, v41
	v_mul_f32_e32 v41, v41, v41
	v_fmac_f32_e32 v41, v42, v42
	v_sqrt_f32_e32 v41, v41
	v_fma_f32 v40, v38, v40, v26
	v_fma_f32 v40, v38, v40, v27
	;; [unrolled: 1-line block ×3, first 2 shown]
	v_ldexp_f32 v37, v41, v37
	v_cndmask_b32_e32 v37, v30, v37, vcc
	v_cmp_gt_f32_e32 vcc, s58, v37
	v_cndmask_b32_e64 v41, 0, 32, vcc
	v_ldexp_f32 v37, v37, v41
	v_log_f32_e32 v37, v37
	v_fma_f32 v40, v38, v40, v29
	v_mul_f32_e32 v40, v38, v40
	v_cndmask_b32_e32 v38, 0, v31, vcc
	v_mul_f32_e32 v41, 0x3f317217, v37
	v_fma_f32 v41, v37, s59, -v41
	v_fmac_f32_e32 v41, 0x3377d1cf, v37
	v_fmac_f32_e32 v41, 0x3f317217, v37
	v_cmp_lt_f32_e64 vcc, |v37|, s54
	v_cndmask_b32_e32 v37, v37, v41, vcc
	v_sub_f32_e32 v37, v37, v38
	v_add_f32_e32 v38, 1.0, v37
	v_fmac_f32_e32 v39, v39, v40
.LBB56_789:                             ;   in Loop: Header=BB56_401 Depth=1
	s_or_b64 exec, exec, s[36:37]
	s_waitcnt lgkmcnt(0)
	v_sub_f32_e32 v37, 0x3fc90fdb, v39
	v_cndmask_b32_e64 v37, v39, v37, s[12:13]
	v_cmp_neq_f32_e32 vcc, 0, v15
	v_cndmask_b32_e32 v41, 0, v37, vcc
	v_cmp_eq_f32_e32 vcc, s64, v16
	s_andn2_b64 s[12:13], s[30:31], exec
	s_and_b64 s[14:15], vcc, exec
	s_or_b64 s[30:31], s[12:13], s[14:15]
.LBB56_790:                             ;   in Loop: Header=BB56_401 Depth=1
	s_or_b64 exec, exec, s[34:35]
	v_cmp_class_f32_e64 s[12:13], v15, s71
	s_and_b64 vcc, s[12:13], s[30:31]
	s_waitcnt lgkmcnt(0)
	v_cndmask_b32_e32 v37, v41, v35, vcc
	v_add_f32_e32 v38, 0x3f317218, v38
	v_bfi_b32 v16, s53, v38, v16
	v_bfi_b32 v15, s53, v37, v15
.LBB56_791:                             ;   in Loop: Header=BB56_401 Depth=1
	s_or_b64 exec, exec, s[28:29]
	s_andn2_saveexec_b64 s[12:13], s[26:27]
	s_cbranch_execz .LBB56_705
.LBB56_792:                             ;   in Loop: Header=BB56_401 Depth=1
	v_cmp_neq_f32_e64 s[14:15], |v16|, s54
                                        ; implicit-def: $vgpr37
                                        ; implicit-def: $vgpr38
	s_and_saveexec_b64 s[26:27], s[14:15]
	s_xor_b64 s[14:15], exec, s[26:27]
	s_cbranch_execz .LBB56_802
; %bb.793:                              ;   in Loop: Header=BB56_401 Depth=1
	v_cmp_neq_f32_e64 s[26:27], |v15|, s54
                                        ; implicit-def: $vgpr37
                                        ; implicit-def: $vgpr38
	s_and_saveexec_b64 s[28:29], s[26:27]
	s_xor_b64 s[26:27], exec, s[28:29]
	s_cbranch_execz .LBB56_799
; %bb.794:                              ;   in Loop: Header=BB56_401 Depth=1
	v_cmp_neq_f32_e32 vcc, 0, v15
                                        ; implicit-def: $vgpr37
	s_and_saveexec_b64 s[28:29], vcc
	s_xor_b64 s[28:29], exec, s[28:29]
	s_cbranch_execz .LBB56_796
; %bb.795:                              ;   in Loop: Header=BB56_401 Depth=1
	v_add_f32_e32 v16, 0, v16
	s_waitcnt lgkmcnt(0)
	v_add_f32_e32 v37, v15, v16
                                        ; implicit-def: $vgpr16
.LBB56_796:                             ;   in Loop: Header=BB56_401 Depth=1
	s_or_saveexec_b64 s[28:29], s[28:29]
	s_waitcnt lgkmcnt(0)
	v_mov_b32_e32 v38, v37
	s_xor_b64 exec, exec, s[28:29]
; %bb.797:                              ;   in Loop: Header=BB56_401 Depth=1
	v_add_f32_e32 v38, v16, v16
	v_mov_b32_e32 v37, v15
; %bb.798:                              ;   in Loop: Header=BB56_401 Depth=1
	s_or_b64 exec, exec, s[28:29]
                                        ; implicit-def: $vgpr16
.LBB56_799:                             ;   in Loop: Header=BB56_401 Depth=1
	s_andn2_saveexec_b64 s[26:27], s[26:27]
	s_cbranch_execz .LBB56_801
; %bb.800:                              ;   in Loop: Header=BB56_401 Depth=1
	s_waitcnt lgkmcnt(0)
	v_add_f32_e32 v37, v16, v16
	v_mov_b32_e32 v38, v15
.LBB56_801:                             ;   in Loop: Header=BB56_401 Depth=1
	s_or_b64 exec, exec, s[26:27]
                                        ; implicit-def: $vgpr15
.LBB56_802:                             ;   in Loop: Header=BB56_401 Depth=1
	s_andn2_saveexec_b64 s[14:15], s[14:15]
	s_cbranch_execz .LBB56_804
; %bb.803:                              ;   in Loop: Header=BB56_401 Depth=1
	s_waitcnt lgkmcnt(0)
	v_add_f32_e32 v37, v15, v15
	v_mov_b32_e32 v38, v16
.LBB56_804:                             ;   in Loop: Header=BB56_401 Depth=1
	s_or_b64 exec, exec, s[14:15]
	v_mov_b32_e32 v16, v38
	s_waitcnt lgkmcnt(0)
	v_mov_b32_e32 v15, v37
	s_or_b64 exec, exec, s[12:13]
	s_and_saveexec_b64 s[12:13], s[4:5]
	s_xor_b64 s[4:5], exec, s[12:13]
	s_cbranch_execz .LBB56_706
.LBB56_805:                             ;   in Loop: Header=BB56_401 Depth=1
	v_lshlrev_b64 v[1:2], 3, v[1:2]
	s_waitcnt lgkmcnt(0)
	v_mov_b32_e32 v37, s46
	v_add_co_u32_e32 v1, vcc, s45, v1
	v_addc_co_u32_e32 v2, vcc, v37, v2, vcc
	global_store_dwordx2 v[1:2], v[9:10], off
	s_or_b64 exec, exec, s[4:5]
	s_and_saveexec_b64 s[4:5], s[6:7]
	s_cbranch_execz .LBB56_707
.LBB56_806:                             ;   in Loop: Header=BB56_401 Depth=1
	v_lshlrev_b64 v[1:2], 3, v[3:4]
	v_mov_b32_e32 v3, s46
	v_add_co_u32_e32 v1, vcc, s45, v1
	v_addc_co_u32_e32 v2, vcc, v3, v2, vcc
	global_store_dwordx2 v[1:2], v[13:14], off
	s_or_b64 exec, exec, s[4:5]
	s_and_saveexec_b64 s[4:5], s[8:9]
	s_cbranch_execz .LBB56_708
.LBB56_807:                             ;   in Loop: Header=BB56_401 Depth=1
	v_lshlrev_b64 v[1:2], 3, v[7:8]
	v_mov_b32_e32 v3, s46
	v_add_co_u32_e32 v1, vcc, s45, v1
	v_addc_co_u32_e32 v2, vcc, v3, v2, vcc
	global_store_dwordx2 v[1:2], v[5:6], off
	s_or_b64 exec, exec, s[4:5]
	s_and_saveexec_b64 s[4:5], s[10:11]
	s_cbranch_execz .LBB56_400
.LBB56_808:                             ;   in Loop: Header=BB56_401 Depth=1
	v_lshlrev_b64 v[1:2], 3, v[11:12]
	v_mov_b32_e32 v3, s46
	v_add_co_u32_e32 v1, vcc, s45, v1
	v_addc_co_u32_e32 v2, vcc, v3, v2, vcc
	global_store_dwordx2 v[1:2], v[15:16], off
	s_branch .LBB56_400
.LBB56_809:
	s_endpgm
	.section	.rodata,"a",@progbits
	.p2align	6, 0x0
	.amdhsa_kernel _ZN2at6native12_GLOBAL__N_125multi_tensor_apply_kernelINS1_18TensorListMetadataILi2EEENS1_14UnaryOpFunctorIN3c107complexIfEELi2ELi1ELi1EEEJNS0_4AsinIS8_EEEEEvT_T0_DpT1_
		.amdhsa_group_segment_fixed_size 0
		.amdhsa_private_segment_fixed_size 12
		.amdhsa_kernarg_size 3408
		.amdhsa_user_sgpr_count 8
		.amdhsa_user_sgpr_private_segment_buffer 1
		.amdhsa_user_sgpr_dispatch_ptr 0
		.amdhsa_user_sgpr_queue_ptr 0
		.amdhsa_user_sgpr_kernarg_segment_ptr 1
		.amdhsa_user_sgpr_dispatch_id 0
		.amdhsa_user_sgpr_flat_scratch_init 1
		.amdhsa_user_sgpr_private_segment_size 0
		.amdhsa_uses_dynamic_stack 0
		.amdhsa_system_sgpr_private_segment_wavefront_offset 1
		.amdhsa_system_sgpr_workgroup_id_x 1
		.amdhsa_system_sgpr_workgroup_id_y 0
		.amdhsa_system_sgpr_workgroup_id_z 0
		.amdhsa_system_sgpr_workgroup_info 0
		.amdhsa_system_vgpr_workitem_id 0
		.amdhsa_next_free_vgpr 55
		.amdhsa_next_free_sgpr 80
		.amdhsa_reserve_vcc 1
		.amdhsa_reserve_flat_scratch 1
		.amdhsa_float_round_mode_32 0
		.amdhsa_float_round_mode_16_64 0
		.amdhsa_float_denorm_mode_32 3
		.amdhsa_float_denorm_mode_16_64 3
		.amdhsa_dx10_clamp 1
		.amdhsa_ieee_mode 1
		.amdhsa_fp16_overflow 0
		.amdhsa_exception_fp_ieee_invalid_op 0
		.amdhsa_exception_fp_denorm_src 0
		.amdhsa_exception_fp_ieee_div_zero 0
		.amdhsa_exception_fp_ieee_overflow 0
		.amdhsa_exception_fp_ieee_underflow 0
		.amdhsa_exception_fp_ieee_inexact 0
		.amdhsa_exception_int_div_zero 0
	.end_amdhsa_kernel
	.section	.text._ZN2at6native12_GLOBAL__N_125multi_tensor_apply_kernelINS1_18TensorListMetadataILi2EEENS1_14UnaryOpFunctorIN3c107complexIfEELi2ELi1ELi1EEEJNS0_4AsinIS8_EEEEEvT_T0_DpT1_,"axG",@progbits,_ZN2at6native12_GLOBAL__N_125multi_tensor_apply_kernelINS1_18TensorListMetadataILi2EEENS1_14UnaryOpFunctorIN3c107complexIfEELi2ELi1ELi1EEEJNS0_4AsinIS8_EEEEEvT_T0_DpT1_,comdat
.Lfunc_end56:
	.size	_ZN2at6native12_GLOBAL__N_125multi_tensor_apply_kernelINS1_18TensorListMetadataILi2EEENS1_14UnaryOpFunctorIN3c107complexIfEELi2ELi1ELi1EEEJNS0_4AsinIS8_EEEEEvT_T0_DpT1_, .Lfunc_end56-_ZN2at6native12_GLOBAL__N_125multi_tensor_apply_kernelINS1_18TensorListMetadataILi2EEENS1_14UnaryOpFunctorIN3c107complexIfEELi2ELi1ELi1EEEJNS0_4AsinIS8_EEEEEvT_T0_DpT1_
                                        ; -- End function
	.set _ZN2at6native12_GLOBAL__N_125multi_tensor_apply_kernelINS1_18TensorListMetadataILi2EEENS1_14UnaryOpFunctorIN3c107complexIfEELi2ELi1ELi1EEEJNS0_4AsinIS8_EEEEEvT_T0_DpT1_.num_vgpr, 55
	.set _ZN2at6native12_GLOBAL__N_125multi_tensor_apply_kernelINS1_18TensorListMetadataILi2EEENS1_14UnaryOpFunctorIN3c107complexIfEELi2ELi1ELi1EEEJNS0_4AsinIS8_EEEEEvT_T0_DpT1_.num_agpr, 0
	.set _ZN2at6native12_GLOBAL__N_125multi_tensor_apply_kernelINS1_18TensorListMetadataILi2EEENS1_14UnaryOpFunctorIN3c107complexIfEELi2ELi1ELi1EEEJNS0_4AsinIS8_EEEEEvT_T0_DpT1_.numbered_sgpr, 80
	.set _ZN2at6native12_GLOBAL__N_125multi_tensor_apply_kernelINS1_18TensorListMetadataILi2EEENS1_14UnaryOpFunctorIN3c107complexIfEELi2ELi1ELi1EEEJNS0_4AsinIS8_EEEEEvT_T0_DpT1_.num_named_barrier, 0
	.set _ZN2at6native12_GLOBAL__N_125multi_tensor_apply_kernelINS1_18TensorListMetadataILi2EEENS1_14UnaryOpFunctorIN3c107complexIfEELi2ELi1ELi1EEEJNS0_4AsinIS8_EEEEEvT_T0_DpT1_.private_seg_size, 12
	.set _ZN2at6native12_GLOBAL__N_125multi_tensor_apply_kernelINS1_18TensorListMetadataILi2EEENS1_14UnaryOpFunctorIN3c107complexIfEELi2ELi1ELi1EEEJNS0_4AsinIS8_EEEEEvT_T0_DpT1_.uses_vcc, 1
	.set _ZN2at6native12_GLOBAL__N_125multi_tensor_apply_kernelINS1_18TensorListMetadataILi2EEENS1_14UnaryOpFunctorIN3c107complexIfEELi2ELi1ELi1EEEJNS0_4AsinIS8_EEEEEvT_T0_DpT1_.uses_flat_scratch, 1
	.set _ZN2at6native12_GLOBAL__N_125multi_tensor_apply_kernelINS1_18TensorListMetadataILi2EEENS1_14UnaryOpFunctorIN3c107complexIfEELi2ELi1ELi1EEEJNS0_4AsinIS8_EEEEEvT_T0_DpT1_.has_dyn_sized_stack, 0
	.set _ZN2at6native12_GLOBAL__N_125multi_tensor_apply_kernelINS1_18TensorListMetadataILi2EEENS1_14UnaryOpFunctorIN3c107complexIfEELi2ELi1ELi1EEEJNS0_4AsinIS8_EEEEEvT_T0_DpT1_.has_recursion, 0
	.set _ZN2at6native12_GLOBAL__N_125multi_tensor_apply_kernelINS1_18TensorListMetadataILi2EEENS1_14UnaryOpFunctorIN3c107complexIfEELi2ELi1ELi1EEEJNS0_4AsinIS8_EEEEEvT_T0_DpT1_.has_indirect_call, 0
	.section	.AMDGPU.csdata,"",@progbits
; Kernel info:
; codeLenInByte = 51868
; TotalNumSgprs: 86
; NumVgprs: 55
; ScratchSize: 12
; MemoryBound: 1
; FloatMode: 240
; IeeeMode: 1
; LDSByteSize: 0 bytes/workgroup (compile time only)
; SGPRBlocks: 10
; VGPRBlocks: 13
; NumSGPRsForWavesPerEU: 86
; NumVGPRsForWavesPerEU: 55
; Occupancy: 4
; WaveLimiterHint : 0
; COMPUTE_PGM_RSRC2:SCRATCH_EN: 1
; COMPUTE_PGM_RSRC2:USER_SGPR: 8
; COMPUTE_PGM_RSRC2:TRAP_HANDLER: 0
; COMPUTE_PGM_RSRC2:TGID_X_EN: 1
; COMPUTE_PGM_RSRC2:TGID_Y_EN: 0
; COMPUTE_PGM_RSRC2:TGID_Z_EN: 0
; COMPUTE_PGM_RSRC2:TIDIG_COMP_CNT: 0
	.section	.text._ZN2at6native12_GLOBAL__N_125multi_tensor_apply_kernelINS1_18TensorListMetadataILi2EEENS1_14UnaryOpFunctorIN3c104HalfELi2ELi1ELi1EEEJNS0_4AsinIfEEEEEvT_T0_DpT1_,"axG",@progbits,_ZN2at6native12_GLOBAL__N_125multi_tensor_apply_kernelINS1_18TensorListMetadataILi2EEENS1_14UnaryOpFunctorIN3c104HalfELi2ELi1ELi1EEEJNS0_4AsinIfEEEEEvT_T0_DpT1_,comdat
	.globl	_ZN2at6native12_GLOBAL__N_125multi_tensor_apply_kernelINS1_18TensorListMetadataILi2EEENS1_14UnaryOpFunctorIN3c104HalfELi2ELi1ELi1EEEJNS0_4AsinIfEEEEEvT_T0_DpT1_ ; -- Begin function _ZN2at6native12_GLOBAL__N_125multi_tensor_apply_kernelINS1_18TensorListMetadataILi2EEENS1_14UnaryOpFunctorIN3c104HalfELi2ELi1ELi1EEEJNS0_4AsinIfEEEEEvT_T0_DpT1_
	.p2align	8
	.type	_ZN2at6native12_GLOBAL__N_125multi_tensor_apply_kernelINS1_18TensorListMetadataILi2EEENS1_14UnaryOpFunctorIN3c104HalfELi2ELi1ELi1EEEJNS0_4AsinIfEEEEEvT_T0_DpT1_,@function
_ZN2at6native12_GLOBAL__N_125multi_tensor_apply_kernelINS1_18TensorListMetadataILi2EEENS1_14UnaryOpFunctorIN3c104HalfELi2ELi1ELi1EEEJNS0_4AsinIfEEEEEvT_T0_DpT1_: ; @_ZN2at6native12_GLOBAL__N_125multi_tensor_apply_kernelINS1_18TensorListMetadataILi2EEENS1_14UnaryOpFunctorIN3c104HalfELi2ELi1ELi1EEEJNS0_4AsinIfEEEEEvT_T0_DpT1_
; %bb.0:
	v_mov_b32_e32 v1, s6
	global_load_ubyte v1, v1, s[4:5] offset:1536
	s_add_u32 s0, s4, s6
	s_mul_hi_u32 s3, s6, 3
	s_mul_i32 s6, s6, 3
	s_addc_u32 s7, s5, 0
	s_add_u32 s2, s0, s6
	s_addc_u32 s3, s7, s3
	s_load_dword s12, s[2:3], 0x740
	s_mov_b32 s1, 0
	s_mov_b32 s11, s1
	s_waitcnt lgkmcnt(0)
	s_ashr_i32 s13, s12, 31
	s_lshl_b64 s[8:9], s[12:13], 17
	s_lshl_b64 s[12:13], s[12:13], 16
	s_waitcnt vmcnt(0)
	v_readfirstlane_b32 s0, v1
	s_lshl_b32 s0, s0, 3
	s_load_dwordx2 s[14:15], s[4:5], s0 offset:0x400
	s_load_dwordx2 s[6:7], s[4:5], s0 offset:0x0
	;; [unrolled: 1-line block ×3, first 2 shown]
	s_waitcnt lgkmcnt(0)
	s_add_u32 s0, s6, s8
	s_and_b32 s10, s2, 7
	s_and_b32 s0, s0, 7
	s_sub_u32 s12, s14, s12
	s_subb_u32 s13, s15, s13
	s_and_b32 s14, s14, 3
	s_mov_b32 s15, s1
	s_or_b64 s[10:11], s[10:11], s[14:15]
	s_or_b64 s[0:1], s[10:11], s[0:1]
	s_cmp_eq_u64 s[0:1], 0
	s_mov_b64 s[0:1], -1
	s_cbranch_scc0 .LBB57_5
; %bb.1:
	v_mov_b32_e32 v1, 0x10000
	v_mov_b32_e32 v2, 0
	v_cmp_lt_i64_e32 vcc, s[12:13], v[1:2]
	v_mov_b32_e32 v2, 0
	s_and_b64 s[0:1], vcc, exec
	s_cselect_b32 s11, s13, 0
	s_cselect_b32 s10, s12, 0x10000
	v_lshlrev_b32_e32 v1, 2, v0
	v_cmp_gt_i64_e32 vcc, s[10:11], v[1:2]
	s_and_saveexec_b64 s[14:15], vcc
	s_cbranch_execz .LBB57_4
; %bb.2:
	s_load_dword s0, s[4:5], 0xc5c
	v_mov_b32_e32 v1, v2
	v_lshlrev_b32_e32 v2, 3, v0
	v_mov_b32_e32 v4, s9
	v_add_co_u32_e32 v3, vcc, s8, v2
	s_waitcnt lgkmcnt(0)
	s_and_b32 s18, s0, 0xffff
	v_mov_b32_e32 v2, v1
	v_addc_co_u32_e32 v4, vcc, 0, v4, vcc
	s_lshl_b32 s19, s18, 3
	s_mov_b64 s[16:17], 0
	v_mov_b32_e32 v5, s7
	s_mov_b32 s20, -0.5
	v_mov_b32_e32 v6, 0.5
	v_mov_b32_e32 v7, 0x3d034c3c
	v_mov_b32_e32 v8, 0x3d3641b1
	;; [unrolled: 1-line block ×4, first 2 shown]
	s_movk_i32 s21, 0x7fff
	v_mov_b32_e32 v11, s3
	v_mov_b32_e32 v1, v0
.LBB57_3:                               ; =>This Inner Loop Header: Depth=1
	v_add_co_u32_e32 v12, vcc, s6, v3
	v_addc_co_u32_e32 v13, vcc, v5, v4, vcc
	global_load_dwordx2 v[12:13], v[12:13], off
	v_add_co_u32_e32 v1, vcc, s18, v1
	v_addc_co_u32_e32 v2, vcc, 0, v2, vcc
	v_add_co_u32_e32 v14, vcc, s2, v3
	v_addc_co_u32_e32 v15, vcc, v11, v4, vcc
	v_add_co_u32_e32 v3, vcc, s19, v3
	v_lshlrev_b64 v[16:17], 2, v[1:2]
	v_addc_co_u32_e32 v4, vcc, 0, v4, vcc
	v_cmp_le_i64_e32 vcc, s[10:11], v[16:17]
	v_mov_b32_e32 v18, 0x3c5fc5da
	s_or_b64 s[16:17], vcc, s[16:17]
	v_mov_b32_e32 v19, 0x3c5fc5da
	v_mov_b32_e32 v20, 0x3c5fc5da
	v_mov_b32_e32 v21, 0x3c5fc5da
	s_waitcnt vmcnt(0)
	v_cvt_f32_f16_e32 v22, v12
	v_lshrrev_b32_e32 v16, 16, v12
	v_lshrrev_b32_e32 v17, 16, v13
	v_cvt_f32_f16_e32 v25, v13
	v_cvt_f32_f16_e32 v28, v16
	;; [unrolled: 1-line block ×3, first 2 shown]
	v_fma_mix_f32 v23, |v12|, s20, v6 op_sel_hi:[1,0,0]
	v_mul_f32_e32 v30, v22, v22
	v_cmp_ge_f32_e64 s[0:1], |v22|, 0.5
	v_cndmask_b32_e64 v23, v30, v23, s[0:1]
	v_fma_mix_f32 v26, |v13|, s20, v6 op_sel_hi:[1,0,0]
	v_mul_f32_e32 v31, v25, v25
	v_cmp_ge_f32_e64 vcc, |v25|, 0.5
	v_fmac_f32_e32 v18, 0x3d1c21a7, v23
	v_fma_mix_f32 v24, |v12|, s20, v6 op_sel:[1,0,0] op_sel_hi:[1,0,0]
	v_fma_mix_f32 v27, |v13|, s20, v6 op_sel:[1,0,0] op_sel_hi:[1,0,0]
	v_cndmask_b32_e32 v26, v31, v26, vcc
	v_mul_f32_e32 v30, v28, v28
	v_mul_f32_e32 v31, v29, v29
	v_cmp_ge_f32_e64 vcc, |v29|, 0.5
	v_cmp_ge_f32_e64 s[0:1], |v28|, 0.5
	v_fma_f32 v18, v23, v18, v7
	v_cndmask_b32_e64 v24, v30, v24, s[0:1]
	v_cndmask_b32_e32 v27, v31, v27, vcc
	v_fmac_f32_e32 v19, 0x3d1c21a7, v26
	v_fma_f32 v18, v23, v18, v8
	v_fma_f32 v19, v26, v19, v7
	v_fmac_f32_e32 v20, 0x3d1c21a7, v24
	v_fmac_f32_e32 v21, 0x3d1c21a7, v27
	v_fma_f32 v18, v23, v18, v9
	v_sqrt_f32_e32 v30, v23
	v_sqrt_f32_e32 v31, v26
	v_fma_f32 v18, v23, v18, v10
	v_fma_f32 v19, v26, v19, v8
	;; [unrolled: 1-line block ×4, first 2 shown]
	v_sqrt_f32_e32 v32, v24
	v_mul_f32_e32 v18, v23, v18
	v_sqrt_f32_e32 v23, v27
	v_fma_f32 v19, v26, v19, v9
	v_fma_f32 v20, v24, v20, v8
	;; [unrolled: 1-line block ×6, first 2 shown]
	v_mul_f32_e32 v19, v26, v19
	v_fma_f32 v20, v24, v20, v10
	v_fma_f32 v21, v27, v21, v10
	v_fmac_f32_e32 v30, v30, v18
	v_fmac_f32_e32 v31, v31, v19
	v_mul_f32_e32 v20, v24, v20
	v_mul_f32_e32 v21, v27, v21
	v_add_f32_e32 v24, v30, v30
	v_add_f32_e32 v26, v31, v31
	v_fmac_f32_e32 v32, v32, v20
	v_fmac_f32_e32 v23, v23, v21
	v_fma_mix_f32 v18, |v12|, v18, |v12| op_sel_hi:[1,0,1]
	v_fma_mix_f32 v19, |v13|, v19, |v13| op_sel_hi:[1,0,1]
	v_sub_f32_e32 v24, 0x3fc90fdb, v24
	v_sub_f32_e32 v26, 0x3fc90fdb, v26
	v_cmp_lt_f32_e64 vcc, |v25|, 0.5
	v_add_f32_e32 v25, v32, v32
	v_add_f32_e32 v23, v23, v23
	v_cmp_lt_f32_e64 s[0:1], |v22|, 0.5
	v_fma_mix_f32 v20, |v12|, v20, |v12| op_sel:[1,0,1] op_sel_hi:[1,0,1]
	v_fma_mix_f32 v21, |v13|, v21, |v13| op_sel:[1,0,1] op_sel_hi:[1,0,1]
	v_cndmask_b32_e64 v18, v24, v18, s[0:1]
	v_sub_f32_e32 v22, 0x3fc90fdb, v25
	v_cmp_lt_f32_e64 s[0:1], |v28|, 0.5
	v_cndmask_b32_e32 v19, v26, v19, vcc
	v_sub_f32_e32 v23, 0x3fc90fdb, v23
	v_cmp_lt_f32_e64 vcc, |v29|, 0.5
	v_cndmask_b32_e64 v20, v22, v20, s[0:1]
	v_cndmask_b32_e32 v21, v23, v21, vcc
	v_cvt_f16_f32_e32 v18, v18
	v_cvt_f16_f32_e32 v19, v19
	;; [unrolled: 1-line block ×4, first 2 shown]
	v_bfi_b32 v12, s21, v18, v12
	v_bfi_b32 v13, s21, v19, v13
	;; [unrolled: 1-line block ×4, first 2 shown]
	v_pack_b32_f16 v13, v13, v17
	v_pack_b32_f16 v12, v12, v16
	global_store_dwordx2 v[14:15], v[12:13], off
	s_andn2_b64 exec, exec, s[16:17]
	s_cbranch_execnz .LBB57_3
.LBB57_4:
	s_or_b64 exec, exec, s[14:15]
	s_mov_b64 s[0:1], 0
.LBB57_5:
	s_andn2_b64 vcc, exec, s[0:1]
	s_cbranch_vccnz .LBB57_25
; %bb.6:
	v_cmp_lt_i64_e64 s[0:1], s[12:13], 1
	s_and_b64 vcc, exec, s[0:1]
	s_cbranch_vccnz .LBB57_25
; %bb.7:
	v_mov_b32_e32 v1, 0x10000
	s_load_dword s4, s[4:5], 0xc5c
	v_mov_b32_e32 v2, 0
	v_cmp_lt_i64_e32 vcc, s[12:13], v[1:2]
	v_mov_b32_e32 v10, 0
	s_and_b64 s[0:1], vcc, exec
	v_cmp_lt_u64_e32 vcc, s[12:13], v[1:2]
	s_cselect_b32 s11, s13, 0
	s_cselect_b32 s10, s12, 0x10000
	s_waitcnt lgkmcnt(0)
	s_and_b32 s4, s4, 0xffff
	v_lshlrev_b32_e32 v9, 1, v0
	s_and_b64 s[0:1], vcc, exec
	v_mov_b32_e32 v2, s7
	v_add_co_u32_e32 v1, vcc, s6, v9
	v_mad_u64_u32 v[7:8], s[0:1], s4, 6, v[9:10]
	v_addc_co_u32_e32 v2, vcc, 0, v2, vcc
	v_mov_b32_e32 v4, s3
	v_add_co_u32_e32 v3, vcc, s2, v9
	v_addc_co_u32_e32 v4, vcc, 0, v4, vcc
	v_mov_b32_e32 v6, s7
	v_add_co_u32_e32 v5, vcc, s6, v7
	;; [unrolled: 3-line block ×3, first 2 shown]
	s_cselect_b32 s13, s13, 0
	s_cselect_b32 s12, s12, 0x10000
	s_lshl_b32 s18, s4, 2
	v_addc_co_u32_e32 v8, vcc, v10, v8, vcc
	v_add_co_u32_e32 v11, vcc, s18, v9
	v_addc_co_u32_e64 v12, s[0:1], 0, 0, vcc
	v_mov_b32_e32 v10, s7
	v_add_co_u32_e32 v9, vcc, s6, v11
	v_addc_co_u32_e32 v10, vcc, v10, v12, vcc
	v_mov_b32_e32 v13, s3
	v_add_co_u32_e32 v11, vcc, s2, v11
	v_addc_co_u32_e32 v12, vcc, v13, v12, vcc
	v_add_co_u32_e32 v13, vcc, s4, v0
	v_lshlrev_b32_e32 v17, 1, v13
	v_addc_co_u32_e64 v14, s[0:1], 0, 0, vcc
	v_mov_b32_e32 v16, s7
	v_add_co_u32_e32 v15, vcc, s6, v17
	v_addc_co_u32_e32 v16, vcc, 0, v16, vcc
	v_mov_b32_e32 v18, s3
	v_add_co_u32_e32 v17, vcc, s2, v17
	s_mul_i32 s16, s4, 3
	v_addc_co_u32_e32 v18, vcc, 0, v18, vcc
	s_lshl_b32 s5, s4, 1
	v_add_co_u32_e32 v19, vcc, s16, v0
	v_addc_co_u32_e64 v20, s[0:1], 0, 0, vcc
	v_add_co_u32_e32 v21, vcc, s5, v0
	s_lshl_b32 s19, s4, 3
	s_mov_b64 s[14:15], 0
	s_movk_i32 s20, 0x7fff
	v_addc_co_u32_e64 v22, s[0:1], 0, 0, vcc
	v_mov_b32_e32 v23, 0x3d034c3c
	v_mov_b32_e32 v24, 0x3d3641b1
	;; [unrolled: 1-line block ×4, first 2 shown]
	s_branch .LBB57_9
.LBB57_8:                               ;   in Loop: Header=BB57_9 Depth=1
	s_or_b64 exec, exec, s[0:1]
	v_add_co_u32_e32 v1, vcc, s19, v1
	v_addc_co_u32_e32 v2, vcc, 0, v2, vcc
	v_add_co_u32_e32 v3, vcc, s19, v3
	v_addc_co_u32_e32 v4, vcc, 0, v4, vcc
	;; [unrolled: 2-line block ×6, first 2 shown]
	s_add_u32 s14, s14, s18
	v_add_co_u32_e32 v15, vcc, s19, v15
	v_mov_b32_e32 v28, s11
	s_addc_u32 s15, s15, 0
	v_addc_co_u32_e32 v16, vcc, 0, v16, vcc
	v_mov_b32_e32 v27, s10
	v_cmp_ge_i64_e32 vcc, s[14:15], v[27:28]
	v_add_co_u32_e64 v17, s[0:1], s19, v17
	v_addc_co_u32_e64 v18, s[0:1], 0, v18, s[0:1]
	s_cbranch_vccnz .LBB57_25
.LBB57_9:                               ; =>This Inner Loop Header: Depth=1
	v_mov_b32_e32 v28, s15
	v_add_co_u32_e32 v27, vcc, s14, v0
	v_addc_co_u32_e32 v28, vcc, 0, v28, vcc
	v_cmp_gt_u64_e64 s[4:5], s[12:13], v[27:28]
	v_mov_b32_e32 v30, 0
	s_and_saveexec_b64 s[0:1], s[4:5]
	s_cbranch_execz .LBB57_11
; %bb.10:                               ;   in Loop: Header=BB57_9 Depth=1
	v_mov_b32_e32 v28, s9
	v_add_co_u32_e32 v27, vcc, s8, v1
	v_addc_co_u32_e32 v28, vcc, v2, v28, vcc
	global_load_ushort v27, v[27:28], off
	s_waitcnt vmcnt(0)
	v_cvt_f32_f16_e32 v30, v27
.LBB57_11:                              ;   in Loop: Header=BB57_9 Depth=1
	s_or_b64 exec, exec, s[0:1]
	v_mov_b32_e32 v28, s15
	v_add_co_u32_e32 v27, vcc, s14, v13
	v_addc_co_u32_e32 v28, vcc, v14, v28, vcc
	v_cmp_gt_u64_e64 s[2:3], s[12:13], v[27:28]
	v_mov_b32_e32 v27, 0
	v_mov_b32_e32 v29, 0
	s_and_saveexec_b64 s[0:1], s[2:3]
	s_cbranch_execz .LBB57_13
; %bb.12:                               ;   in Loop: Header=BB57_9 Depth=1
	v_mov_b32_e32 v29, s9
	v_add_co_u32_e32 v28, vcc, s8, v15
	v_addc_co_u32_e32 v29, vcc, v16, v29, vcc
	global_load_ushort v28, v[28:29], off
	s_waitcnt vmcnt(0)
	v_cvt_f32_f16_e32 v29, v28
.LBB57_13:                              ;   in Loop: Header=BB57_9 Depth=1
	s_or_b64 exec, exec, s[0:1]
	v_mov_b32_e32 v28, s15
	v_add_co_u32_e32 v31, vcc, s14, v21
	v_addc_co_u32_e32 v32, vcc, v22, v28, vcc
	v_cmp_gt_u64_e64 s[0:1], s[12:13], v[31:32]
	s_and_saveexec_b64 s[6:7], s[0:1]
	s_cbranch_execz .LBB57_15
; %bb.14:                               ;   in Loop: Header=BB57_9 Depth=1
	v_mov_b32_e32 v28, s9
	v_add_co_u32_e32 v27, vcc, s8, v9
	v_addc_co_u32_e32 v28, vcc, v10, v28, vcc
	global_load_ushort v27, v[27:28], off
	s_waitcnt vmcnt(0)
	v_cvt_f32_f16_e32 v27, v27
.LBB57_15:                              ;   in Loop: Header=BB57_9 Depth=1
	s_or_b64 exec, exec, s[6:7]
	v_mov_b32_e32 v28, s15
	v_add_co_u32_e32 v31, vcc, s14, v19
	v_addc_co_u32_e32 v32, vcc, v20, v28, vcc
	v_cmp_gt_u64_e32 vcc, s[12:13], v[31:32]
	v_mov_b32_e32 v28, 0
	s_and_saveexec_b64 s[16:17], vcc
	s_cbranch_execnz .LBB57_20
; %bb.16:                               ;   in Loop: Header=BB57_9 Depth=1
	s_or_b64 exec, exec, s[16:17]
	s_and_saveexec_b64 s[6:7], s[4:5]
	s_cbranch_execnz .LBB57_21
.LBB57_17:                              ;   in Loop: Header=BB57_9 Depth=1
	s_or_b64 exec, exec, s[6:7]
	s_and_saveexec_b64 s[4:5], s[2:3]
	s_cbranch_execnz .LBB57_22
.LBB57_18:                              ;   in Loop: Header=BB57_9 Depth=1
	s_or_b64 exec, exec, s[4:5]
	s_and_saveexec_b64 s[2:3], s[0:1]
	s_cbranch_execnz .LBB57_23
.LBB57_19:                              ;   in Loop: Header=BB57_9 Depth=1
	s_or_b64 exec, exec, s[2:3]
	s_and_saveexec_b64 s[0:1], vcc
	s_cbranch_execz .LBB57_8
	s_branch .LBB57_24
.LBB57_20:                              ;   in Loop: Header=BB57_9 Depth=1
	v_mov_b32_e32 v28, s9
	v_add_co_u32_e64 v31, s[6:7], s8, v5
	v_addc_co_u32_e64 v32, s[6:7], v6, v28, s[6:7]
	global_load_ushort v28, v[31:32], off
	s_waitcnt vmcnt(0)
	v_cvt_f32_f16_e32 v28, v28
	s_or_b64 exec, exec, s[16:17]
	s_and_saveexec_b64 s[6:7], s[4:5]
	s_cbranch_execz .LBB57_17
.LBB57_21:                              ;   in Loop: Header=BB57_9 Depth=1
	v_fma_f32 v31, |v30|, -0.5, 0.5
	v_mul_f32_e32 v32, v30, v30
	v_cmp_ge_f32_e64 s[4:5], |v30|, 0.5
	v_cndmask_b32_e64 v31, v32, v31, s[4:5]
	v_mov_b32_e32 v32, 0x3c5fc5da
	v_fmac_f32_e32 v32, 0x3d1c21a7, v31
	v_fma_f32 v32, v31, v32, v23
	v_fma_f32 v32, v31, v32, v24
	v_sqrt_f32_e32 v33, v31
	v_fma_f32 v32, v31, v32, v25
	v_fma_f32 v32, v31, v32, v26
	v_mul_f32_e32 v31, v31, v32
	v_fmac_f32_e32 v33, v33, v31
	v_fma_f32 v32, |v30|, v31, |v30|
	v_add_f32_e32 v31, v33, v33
	v_sub_f32_e32 v31, 0x3fc90fdb, v31
	v_cmp_lt_f32_e64 s[4:5], |v30|, 0.5
	v_cndmask_b32_e64 v31, v31, v32, s[4:5]
	v_cvt_f16_f32_e32 v31, v31
	v_lshrrev_b32_e32 v30, 16, v30
	v_bfi_b32 v32, s20, v31, v30
	v_mov_b32_e32 v31, s9
	v_add_co_u32_e64 v30, s[4:5], s8, v3
	v_addc_co_u32_e64 v31, s[4:5], v4, v31, s[4:5]
	global_store_short v[30:31], v32, off
	s_or_b64 exec, exec, s[6:7]
	s_and_saveexec_b64 s[4:5], s[2:3]
	s_cbranch_execz .LBB57_18
.LBB57_22:                              ;   in Loop: Header=BB57_9 Depth=1
	v_fma_f32 v30, |v29|, -0.5, 0.5
	v_mul_f32_e32 v31, v29, v29
	v_cmp_ge_f32_e64 s[2:3], |v29|, 0.5
	v_cndmask_b32_e64 v30, v31, v30, s[2:3]
	v_mov_b32_e32 v31, 0x3c5fc5da
	v_fmac_f32_e32 v31, 0x3d1c21a7, v30
	v_fma_f32 v31, v30, v31, v23
	v_fma_f32 v31, v30, v31, v24
	v_sqrt_f32_e32 v32, v30
	v_fma_f32 v31, v30, v31, v25
	v_fma_f32 v31, v30, v31, v26
	v_mul_f32_e32 v30, v30, v31
	v_fmac_f32_e32 v32, v32, v30
	v_add_f32_e32 v31, v32, v32
	v_sub_f32_e32 v31, 0x3fc90fdb, v31
	v_fma_f32 v30, |v29|, v30, |v29|
	v_cmp_lt_f32_e64 s[2:3], |v29|, 0.5
	v_cndmask_b32_e64 v30, v31, v30, s[2:3]
	v_cvt_f16_f32_e32 v30, v30
	v_lshrrev_b32_e32 v29, 16, v29
	v_bfi_b32 v31, s20, v30, v29
	v_mov_b32_e32 v30, s9
	v_add_co_u32_e64 v29, s[2:3], s8, v17
	v_addc_co_u32_e64 v30, s[2:3], v18, v30, s[2:3]
	global_store_short v[29:30], v31, off
	s_or_b64 exec, exec, s[4:5]
	s_and_saveexec_b64 s[2:3], s[0:1]
	s_cbranch_execz .LBB57_19
.LBB57_23:                              ;   in Loop: Header=BB57_9 Depth=1
	v_fma_f32 v29, |v27|, -0.5, 0.5
	v_mul_f32_e32 v30, v27, v27
	v_cmp_ge_f32_e64 s[0:1], |v27|, 0.5
	v_cndmask_b32_e64 v29, v30, v29, s[0:1]
	v_mov_b32_e32 v30, 0x3c5fc5da
	v_fmac_f32_e32 v30, 0x3d1c21a7, v29
	v_fma_f32 v30, v29, v30, v23
	v_fma_f32 v30, v29, v30, v24
	v_sqrt_f32_e32 v31, v29
	v_fma_f32 v30, v29, v30, v25
	v_fma_f32 v30, v29, v30, v26
	v_mul_f32_e32 v29, v29, v30
	v_fmac_f32_e32 v31, v31, v29
	v_add_f32_e32 v30, v31, v31
	v_sub_f32_e32 v30, 0x3fc90fdb, v30
	v_fma_f32 v29, |v27|, v29, |v27|
	v_cmp_lt_f32_e64 s[0:1], |v27|, 0.5
	v_cndmask_b32_e64 v29, v30, v29, s[0:1]
	v_cvt_f16_f32_e32 v29, v29
	v_lshrrev_b32_e32 v27, 16, v27
	v_mov_b32_e32 v30, s9
	v_bfi_b32 v27, s20, v29, v27
	v_add_co_u32_e64 v29, s[0:1], s8, v11
	v_addc_co_u32_e64 v30, s[0:1], v12, v30, s[0:1]
	global_store_short v[29:30], v27, off
	s_or_b64 exec, exec, s[2:3]
	s_and_saveexec_b64 s[0:1], vcc
	s_cbranch_execz .LBB57_8
.LBB57_24:                              ;   in Loop: Header=BB57_9 Depth=1
	v_fma_f32 v27, |v28|, -0.5, 0.5
	v_mul_f32_e32 v29, v28, v28
	v_cmp_ge_f32_e64 vcc, |v28|, 0.5
	v_cndmask_b32_e32 v27, v29, v27, vcc
	v_mov_b32_e32 v29, 0x3c5fc5da
	v_fmac_f32_e32 v29, 0x3d1c21a7, v27
	v_fma_f32 v29, v27, v29, v23
	v_fma_f32 v29, v27, v29, v24
	v_sqrt_f32_e32 v30, v27
	v_fma_f32 v29, v27, v29, v25
	v_fma_f32 v29, v27, v29, v26
	v_mul_f32_e32 v27, v27, v29
	v_fmac_f32_e32 v30, v30, v27
	v_add_f32_e32 v29, v30, v30
	v_sub_f32_e32 v29, 0x3fc90fdb, v29
	v_fma_f32 v27, |v28|, v27, |v28|
	v_cmp_lt_f32_e64 vcc, |v28|, 0.5
	v_cndmask_b32_e32 v27, v29, v27, vcc
	v_cvt_f16_f32_e32 v27, v27
	v_lshrrev_b32_e32 v28, 16, v28
	v_bfi_b32 v29, s20, v27, v28
	v_mov_b32_e32 v28, s9
	v_add_co_u32_e32 v27, vcc, s8, v7
	v_addc_co_u32_e32 v28, vcc, v8, v28, vcc
	global_store_short v[27:28], v29, off
	s_branch .LBB57_8
.LBB57_25:
	s_endpgm
	.section	.rodata,"a",@progbits
	.p2align	6, 0x0
	.amdhsa_kernel _ZN2at6native12_GLOBAL__N_125multi_tensor_apply_kernelINS1_18TensorListMetadataILi2EEENS1_14UnaryOpFunctorIN3c104HalfELi2ELi1ELi1EEEJNS0_4AsinIfEEEEEvT_T0_DpT1_
		.amdhsa_group_segment_fixed_size 0
		.amdhsa_private_segment_fixed_size 0
		.amdhsa_kernarg_size 3408
		.amdhsa_user_sgpr_count 6
		.amdhsa_user_sgpr_private_segment_buffer 1
		.amdhsa_user_sgpr_dispatch_ptr 0
		.amdhsa_user_sgpr_queue_ptr 0
		.amdhsa_user_sgpr_kernarg_segment_ptr 1
		.amdhsa_user_sgpr_dispatch_id 0
		.amdhsa_user_sgpr_flat_scratch_init 0
		.amdhsa_user_sgpr_private_segment_size 0
		.amdhsa_uses_dynamic_stack 0
		.amdhsa_system_sgpr_private_segment_wavefront_offset 0
		.amdhsa_system_sgpr_workgroup_id_x 1
		.amdhsa_system_sgpr_workgroup_id_y 0
		.amdhsa_system_sgpr_workgroup_id_z 0
		.amdhsa_system_sgpr_workgroup_info 0
		.amdhsa_system_vgpr_workitem_id 0
		.amdhsa_next_free_vgpr 34
		.amdhsa_next_free_sgpr 22
		.amdhsa_reserve_vcc 1
		.amdhsa_reserve_flat_scratch 0
		.amdhsa_float_round_mode_32 0
		.amdhsa_float_round_mode_16_64 0
		.amdhsa_float_denorm_mode_32 3
		.amdhsa_float_denorm_mode_16_64 3
		.amdhsa_dx10_clamp 1
		.amdhsa_ieee_mode 1
		.amdhsa_fp16_overflow 0
		.amdhsa_exception_fp_ieee_invalid_op 0
		.amdhsa_exception_fp_denorm_src 0
		.amdhsa_exception_fp_ieee_div_zero 0
		.amdhsa_exception_fp_ieee_overflow 0
		.amdhsa_exception_fp_ieee_underflow 0
		.amdhsa_exception_fp_ieee_inexact 0
		.amdhsa_exception_int_div_zero 0
	.end_amdhsa_kernel
	.section	.text._ZN2at6native12_GLOBAL__N_125multi_tensor_apply_kernelINS1_18TensorListMetadataILi2EEENS1_14UnaryOpFunctorIN3c104HalfELi2ELi1ELi1EEEJNS0_4AsinIfEEEEEvT_T0_DpT1_,"axG",@progbits,_ZN2at6native12_GLOBAL__N_125multi_tensor_apply_kernelINS1_18TensorListMetadataILi2EEENS1_14UnaryOpFunctorIN3c104HalfELi2ELi1ELi1EEEJNS0_4AsinIfEEEEEvT_T0_DpT1_,comdat
.Lfunc_end57:
	.size	_ZN2at6native12_GLOBAL__N_125multi_tensor_apply_kernelINS1_18TensorListMetadataILi2EEENS1_14UnaryOpFunctorIN3c104HalfELi2ELi1ELi1EEEJNS0_4AsinIfEEEEEvT_T0_DpT1_, .Lfunc_end57-_ZN2at6native12_GLOBAL__N_125multi_tensor_apply_kernelINS1_18TensorListMetadataILi2EEENS1_14UnaryOpFunctorIN3c104HalfELi2ELi1ELi1EEEJNS0_4AsinIfEEEEEvT_T0_DpT1_
                                        ; -- End function
	.set _ZN2at6native12_GLOBAL__N_125multi_tensor_apply_kernelINS1_18TensorListMetadataILi2EEENS1_14UnaryOpFunctorIN3c104HalfELi2ELi1ELi1EEEJNS0_4AsinIfEEEEEvT_T0_DpT1_.num_vgpr, 34
	.set _ZN2at6native12_GLOBAL__N_125multi_tensor_apply_kernelINS1_18TensorListMetadataILi2EEENS1_14UnaryOpFunctorIN3c104HalfELi2ELi1ELi1EEEJNS0_4AsinIfEEEEEvT_T0_DpT1_.num_agpr, 0
	.set _ZN2at6native12_GLOBAL__N_125multi_tensor_apply_kernelINS1_18TensorListMetadataILi2EEENS1_14UnaryOpFunctorIN3c104HalfELi2ELi1ELi1EEEJNS0_4AsinIfEEEEEvT_T0_DpT1_.numbered_sgpr, 22
	.set _ZN2at6native12_GLOBAL__N_125multi_tensor_apply_kernelINS1_18TensorListMetadataILi2EEENS1_14UnaryOpFunctorIN3c104HalfELi2ELi1ELi1EEEJNS0_4AsinIfEEEEEvT_T0_DpT1_.num_named_barrier, 0
	.set _ZN2at6native12_GLOBAL__N_125multi_tensor_apply_kernelINS1_18TensorListMetadataILi2EEENS1_14UnaryOpFunctorIN3c104HalfELi2ELi1ELi1EEEJNS0_4AsinIfEEEEEvT_T0_DpT1_.private_seg_size, 0
	.set _ZN2at6native12_GLOBAL__N_125multi_tensor_apply_kernelINS1_18TensorListMetadataILi2EEENS1_14UnaryOpFunctorIN3c104HalfELi2ELi1ELi1EEEJNS0_4AsinIfEEEEEvT_T0_DpT1_.uses_vcc, 1
	.set _ZN2at6native12_GLOBAL__N_125multi_tensor_apply_kernelINS1_18TensorListMetadataILi2EEENS1_14UnaryOpFunctorIN3c104HalfELi2ELi1ELi1EEEJNS0_4AsinIfEEEEEvT_T0_DpT1_.uses_flat_scratch, 0
	.set _ZN2at6native12_GLOBAL__N_125multi_tensor_apply_kernelINS1_18TensorListMetadataILi2EEENS1_14UnaryOpFunctorIN3c104HalfELi2ELi1ELi1EEEJNS0_4AsinIfEEEEEvT_T0_DpT1_.has_dyn_sized_stack, 0
	.set _ZN2at6native12_GLOBAL__N_125multi_tensor_apply_kernelINS1_18TensorListMetadataILi2EEENS1_14UnaryOpFunctorIN3c104HalfELi2ELi1ELi1EEEJNS0_4AsinIfEEEEEvT_T0_DpT1_.has_recursion, 0
	.set _ZN2at6native12_GLOBAL__N_125multi_tensor_apply_kernelINS1_18TensorListMetadataILi2EEENS1_14UnaryOpFunctorIN3c104HalfELi2ELi1ELi1EEEJNS0_4AsinIfEEEEEvT_T0_DpT1_.has_indirect_call, 0
	.section	.AMDGPU.csdata,"",@progbits
; Kernel info:
; codeLenInByte = 2408
; TotalNumSgprs: 26
; NumVgprs: 34
; ScratchSize: 0
; MemoryBound: 0
; FloatMode: 240
; IeeeMode: 1
; LDSByteSize: 0 bytes/workgroup (compile time only)
; SGPRBlocks: 3
; VGPRBlocks: 8
; NumSGPRsForWavesPerEU: 26
; NumVGPRsForWavesPerEU: 34
; Occupancy: 7
; WaveLimiterHint : 0
; COMPUTE_PGM_RSRC2:SCRATCH_EN: 0
; COMPUTE_PGM_RSRC2:USER_SGPR: 6
; COMPUTE_PGM_RSRC2:TRAP_HANDLER: 0
; COMPUTE_PGM_RSRC2:TGID_X_EN: 1
; COMPUTE_PGM_RSRC2:TGID_Y_EN: 0
; COMPUTE_PGM_RSRC2:TGID_Z_EN: 0
; COMPUTE_PGM_RSRC2:TIDIG_COMP_CNT: 0
	.section	.text._ZN2at6native12_GLOBAL__N_125multi_tensor_apply_kernelINS1_18TensorListMetadataILi2EEENS1_14UnaryOpFunctorIN3c108BFloat16ELi2ELi1ELi1EEEJNS0_4AsinIfEEEEEvT_T0_DpT1_,"axG",@progbits,_ZN2at6native12_GLOBAL__N_125multi_tensor_apply_kernelINS1_18TensorListMetadataILi2EEENS1_14UnaryOpFunctorIN3c108BFloat16ELi2ELi1ELi1EEEJNS0_4AsinIfEEEEEvT_T0_DpT1_,comdat
	.globl	_ZN2at6native12_GLOBAL__N_125multi_tensor_apply_kernelINS1_18TensorListMetadataILi2EEENS1_14UnaryOpFunctorIN3c108BFloat16ELi2ELi1ELi1EEEJNS0_4AsinIfEEEEEvT_T0_DpT1_ ; -- Begin function _ZN2at6native12_GLOBAL__N_125multi_tensor_apply_kernelINS1_18TensorListMetadataILi2EEENS1_14UnaryOpFunctorIN3c108BFloat16ELi2ELi1ELi1EEEJNS0_4AsinIfEEEEEvT_T0_DpT1_
	.p2align	8
	.type	_ZN2at6native12_GLOBAL__N_125multi_tensor_apply_kernelINS1_18TensorListMetadataILi2EEENS1_14UnaryOpFunctorIN3c108BFloat16ELi2ELi1ELi1EEEJNS0_4AsinIfEEEEEvT_T0_DpT1_,@function
_ZN2at6native12_GLOBAL__N_125multi_tensor_apply_kernelINS1_18TensorListMetadataILi2EEENS1_14UnaryOpFunctorIN3c108BFloat16ELi2ELi1ELi1EEEJNS0_4AsinIfEEEEEvT_T0_DpT1_: ; @_ZN2at6native12_GLOBAL__N_125multi_tensor_apply_kernelINS1_18TensorListMetadataILi2EEENS1_14UnaryOpFunctorIN3c108BFloat16ELi2ELi1ELi1EEEJNS0_4AsinIfEEEEEvT_T0_DpT1_
; %bb.0:
	v_mov_b32_e32 v1, s6
	global_load_ubyte v1, v1, s[4:5] offset:1536
	s_add_u32 s0, s4, s6
	s_mul_hi_u32 s2, s6, 3
	s_mul_i32 s6, s6, 3
	s_addc_u32 s7, s5, 0
	s_add_u32 s6, s0, s6
	s_addc_u32 s7, s7, s2
	s_load_dword s12, s[6:7], 0x740
	s_mov_b32 s1, 0
	s_mov_b32 s3, s1
	s_waitcnt lgkmcnt(0)
	s_ashr_i32 s13, s12, 31
	s_lshl_b64 s[8:9], s[12:13], 17
	s_lshl_b64 s[12:13], s[12:13], 16
	s_waitcnt vmcnt(0)
	v_readfirstlane_b32 s0, v1
	s_lshl_b32 s0, s0, 3
	s_load_dwordx2 s[16:17], s[4:5], s0 offset:0x400
	s_load_dwordx2 s[10:11], s[4:5], s0 offset:0x0
	s_load_dwordx2 s[6:7], s[4:5], s0 offset:0x200
	s_waitcnt lgkmcnt(0)
	s_add_u32 s0, s10, s8
	s_and_b32 s2, s6, 7
	s_and_b32 s0, s0, 7
	s_sub_u32 s14, s16, s12
	s_subb_u32 s15, s17, s13
	s_and_b32 s12, s16, 3
	s_mov_b32 s13, s1
	s_or_b64 s[2:3], s[2:3], s[12:13]
	s_or_b64 s[0:1], s[2:3], s[0:1]
	s_cmp_eq_u64 s[0:1], 0
	s_mov_b64 s[0:1], -1
	s_cbranch_scc0 .LBB58_5
; %bb.1:
	v_mov_b32_e32 v1, 0x10000
	v_mov_b32_e32 v2, 0
	v_cmp_lt_i64_e32 vcc, s[14:15], v[1:2]
	v_mov_b32_e32 v2, 0
	s_and_b64 s[0:1], vcc, exec
	s_cselect_b32 s13, s15, 0
	s_cselect_b32 s12, s14, 0x10000
	v_lshlrev_b32_e32 v1, 2, v0
	v_cmp_gt_i64_e32 vcc, s[12:13], v[1:2]
	s_and_saveexec_b64 s[16:17], vcc
	s_cbranch_execz .LBB58_4
; %bb.2:
	s_load_dword s0, s[4:5], 0xc5c
	v_mov_b32_e32 v1, v2
	v_lshlrev_b32_e32 v2, 3, v0
	v_mov_b32_e32 v4, s9
	v_add_co_u32_e32 v3, vcc, s8, v2
	s_waitcnt lgkmcnt(0)
	s_and_b32 s20, s0, 0xffff
	v_mov_b32_e32 v2, v1
	v_addc_co_u32_e32 v4, vcc, 0, v4, vcc
	s_lshl_b32 s21, s20, 3
	s_mov_b64 s[18:19], 0
	v_mov_b32_e32 v5, s11
	v_mov_b32_e32 v6, 0x3d034c3c
	;; [unrolled: 1-line block ×5, first 2 shown]
	s_brev_b32 s22, -2
	s_movk_i32 s23, 0x7fff
	v_mov_b32_e32 v10, s7
	v_mov_b32_e32 v11, 0x7fc00000
	;; [unrolled: 1-line block ×4, first 2 shown]
.LBB58_3:                               ; =>This Inner Loop Header: Depth=1
	v_add_co_u32_e32 v13, vcc, s10, v3
	v_addc_co_u32_e32 v14, vcc, v5, v4, vcc
	global_load_dwordx2 v[13:14], v[13:14], off
	v_add_co_u32_e32 v1, vcc, s20, v1
	v_addc_co_u32_e32 v2, vcc, 0, v2, vcc
	v_add_co_u32_e32 v15, vcc, s6, v3
	v_addc_co_u32_e32 v16, vcc, v10, v4, vcc
	v_add_co_u32_e32 v3, vcc, s21, v3
	v_lshlrev_b64 v[17:18], 2, v[1:2]
	v_addc_co_u32_e32 v4, vcc, 0, v4, vcc
	v_cmp_le_i64_e32 vcc, s[12:13], v[17:18]
	v_mov_b32_e32 v19, 0x3c5fc5da
	s_or_b64 s[18:19], vcc, s[18:19]
	v_mov_b32_e32 v20, 0x3c5fc5da
	v_mov_b32_e32 v22, 0x3c5fc5da
	;; [unrolled: 1-line block ×3, first 2 shown]
	s_waitcnt vmcnt(0)
	v_and_b32_e32 v17, 0xffff0000, v13
	v_lshlrev_b32_e32 v18, 16, v13
	v_alignbit_b32 v13, v14, v13, 16
	v_and_b32_e32 v14, 0xffff0000, v14
	v_fma_f32 v23, |v18|, -0.5, 0.5
	v_mul_f32_e32 v24, v18, v18
	v_fma_f32 v25, |v17|, -0.5, 0.5
	v_mul_f32_e32 v26, v17, v17
	v_and_b32_e32 v13, 0xffff0000, v13
	v_fma_f32 v27, |v14|, -0.5, 0.5
	v_mul_f32_e32 v28, v14, v14
	v_cmp_ge_f32_e64 vcc, |v14|, 0.5
	v_cmp_ge_f32_e64 s[0:1], |v17|, 0.5
	v_cmp_ge_f32_e64 s[2:3], |v18|, 0.5
	v_cndmask_b32_e64 v23, v24, v23, s[2:3]
	v_cndmask_b32_e64 v24, v26, v25, s[0:1]
	v_fma_f32 v25, |v13|, -0.5, 0.5
	v_cndmask_b32_e32 v26, v28, v27, vcc
	v_mul_f32_e32 v27, v13, v13
	v_cmp_ge_f32_e64 vcc, |v13|, 0.5
	v_cndmask_b32_e32 v25, v27, v25, vcc
	v_fmac_f32_e32 v19, 0x3d1c21a7, v23
	v_fmac_f32_e32 v20, 0x3d1c21a7, v24
	;; [unrolled: 1-line block ×3, first 2 shown]
	v_fma_f32 v19, v23, v19, v6
	v_fma_f32 v20, v24, v20, v6
	;; [unrolled: 1-line block ×3, first 2 shown]
	v_fmac_f32_e32 v21, 0x3d1c21a7, v25
	v_sqrt_f32_e32 v27, v23
	v_sqrt_f32_e32 v28, v24
	;; [unrolled: 1-line block ×3, first 2 shown]
	v_fma_f32 v19, v23, v19, v7
	v_fma_f32 v20, v24, v20, v7
	;; [unrolled: 1-line block ×4, first 2 shown]
	v_sqrt_f32_e32 v30, v25
	v_fma_f32 v19, v23, v19, v8
	v_fma_f32 v20, v24, v20, v8
	;; [unrolled: 1-line block ×8, first 2 shown]
	v_mul_f32_e32 v19, v23, v19
	v_mul_f32_e32 v20, v24, v20
	;; [unrolled: 1-line block ×3, first 2 shown]
	v_fma_f32 v21, v25, v21, v9
	v_fmac_f32_e32 v27, v27, v19
	v_fmac_f32_e32 v28, v28, v20
	v_mul_f32_e32 v21, v25, v21
	v_fmac_f32_e32 v29, v29, v22
	v_add_f32_e32 v23, v27, v27
	v_add_f32_e32 v24, v28, v28
	v_fmac_f32_e32 v30, v30, v21
	v_add_f32_e32 v25, v29, v29
	v_fma_f32 v19, |v18|, v19, |v18|
	v_fma_f32 v20, |v17|, v20, |v17|
	v_fma_f32 v22, |v14|, v22, |v14|
	v_sub_f32_e32 v23, 0x3fc90fdb, v23
	v_sub_f32_e32 v24, 0x3fc90fdb, v24
	v_cmp_lt_f32_e64 vcc, |v17|, 0.5
	v_add_f32_e32 v26, v30, v30
	v_sub_f32_e32 v25, 0x3fc90fdb, v25
	v_cmp_lt_f32_e64 s[0:1], |v14|, 0.5
	v_cmp_lt_f32_e64 s[2:3], |v18|, 0.5
	v_fma_f32 v21, |v13|, v21, |v13|
	v_cndmask_b32_e64 v19, v23, v19, s[2:3]
	v_cndmask_b32_e32 v20, v24, v20, vcc
	v_sub_f32_e32 v23, 0x3fc90fdb, v26
	v_cmp_lt_f32_e64 vcc, |v13|, 0.5
	v_cndmask_b32_e64 v22, v25, v22, s[0:1]
	v_bfi_b32 v18, s22, v19, v18
	v_bfi_b32 v17, s22, v20, v17
	v_cndmask_b32_e32 v19, v23, v21, vcc
	v_bfi_b32 v14, s22, v22, v14
	v_bfe_u32 v20, v18, 16, 1
	v_bfe_u32 v21, v17, 16, 1
	v_bfi_b32 v13, s22, v19, v13
	v_bfe_u32 v19, v14, 16, 1
	v_add3_u32 v20, v18, v20, s23
	v_add3_u32 v21, v17, v21, s23
	v_bfe_u32 v22, v13, 16, 1
	v_add3_u32 v19, v14, v19, s23
	v_lshrrev_b32_e32 v20, 16, v20
	v_and_b32_e32 v21, 0xffff0000, v21
	v_add3_u32 v22, v13, v22, s23
	v_and_b32_e32 v19, 0xffff0000, v19
	v_cmp_o_f32_e32 vcc, v14, v14
	v_cmp_o_f32_e64 s[0:1], v17, v17
	v_cmp_o_f32_e64 s[2:3], v18, v18
	v_lshrrev_b32_e32 v14, 16, v22
	v_cndmask_b32_e32 v17, v11, v19, vcc
	v_cndmask_b32_e64 v18, v11, v21, s[0:1]
	v_cndmask_b32_e64 v19, v12, v20, s[2:3]
	v_cmp_o_f32_e32 vcc, v13, v13
	v_cndmask_b32_e32 v13, v12, v14, vcc
	v_or_b32_e32 v18, v19, v18
	v_or3_b32 v14, 0, v13, v17
	v_or3_b32 v13, v18, 0, 0
	global_store_dwordx2 v[15:16], v[13:14], off
	s_andn2_b64 exec, exec, s[18:19]
	s_cbranch_execnz .LBB58_3
.LBB58_4:
	s_or_b64 exec, exec, s[16:17]
	s_mov_b64 s[0:1], 0
.LBB58_5:
	s_andn2_b64 vcc, exec, s[0:1]
	s_cbranch_vccnz .LBB58_25
; %bb.6:
	v_cmp_lt_i64_e64 s[0:1], s[14:15], 1
	s_and_b64 vcc, exec, s[0:1]
	s_cbranch_vccnz .LBB58_25
; %bb.7:
	v_mov_b32_e32 v1, 0x10000
	s_load_dword s2, s[4:5], 0xc5c
	v_mov_b32_e32 v2, 0
	v_cmp_lt_i64_e32 vcc, s[14:15], v[1:2]
	v_mov_b32_e32 v10, 0
	s_and_b64 s[0:1], vcc, exec
	v_cmp_lt_u64_e32 vcc, s[14:15], v[1:2]
	s_cselect_b32 s13, s15, 0
	s_cselect_b32 s12, s14, 0x10000
	s_waitcnt lgkmcnt(0)
	s_and_b32 s2, s2, 0xffff
	v_lshlrev_b32_e32 v9, 1, v0
	s_and_b64 s[0:1], vcc, exec
	v_mov_b32_e32 v2, s11
	v_add_co_u32_e32 v1, vcc, s10, v9
	v_mad_u64_u32 v[7:8], s[0:1], s2, 6, v[9:10]
	v_addc_co_u32_e32 v2, vcc, 0, v2, vcc
	v_mov_b32_e32 v4, s7
	v_add_co_u32_e32 v3, vcc, s6, v9
	v_addc_co_u32_e32 v4, vcc, 0, v4, vcc
	v_mov_b32_e32 v6, s11
	v_add_co_u32_e32 v5, vcc, s10, v7
	;; [unrolled: 3-line block ×3, first 2 shown]
	s_cselect_b32 s15, s15, 0
	s_cselect_b32 s14, s14, 0x10000
	s_lshl_b32 s18, s2, 2
	v_addc_co_u32_e32 v8, vcc, v10, v8, vcc
	v_add_co_u32_e32 v11, vcc, s18, v9
	v_addc_co_u32_e64 v12, s[0:1], 0, 0, vcc
	v_mov_b32_e32 v10, s11
	v_add_co_u32_e32 v9, vcc, s10, v11
	v_addc_co_u32_e32 v10, vcc, v10, v12, vcc
	v_mov_b32_e32 v13, s7
	v_add_co_u32_e32 v11, vcc, s6, v11
	v_addc_co_u32_e32 v12, vcc, v13, v12, vcc
	v_add_co_u32_e32 v13, vcc, s2, v0
	v_lshlrev_b32_e32 v17, 1, v13
	v_addc_co_u32_e64 v14, s[0:1], 0, 0, vcc
	v_mov_b32_e32 v16, s11
	v_add_co_u32_e32 v15, vcc, s10, v17
	v_addc_co_u32_e32 v16, vcc, 0, v16, vcc
	v_mov_b32_e32 v18, s7
	v_add_co_u32_e32 v17, vcc, s6, v17
	s_mul_i32 s4, s2, 3
	v_addc_co_u32_e32 v18, vcc, 0, v18, vcc
	s_lshl_b32 s3, s2, 1
	v_add_co_u32_e32 v19, vcc, s4, v0
	v_addc_co_u32_e64 v20, s[0:1], 0, 0, vcc
	v_add_co_u32_e32 v21, vcc, s3, v0
	s_lshl_b32 s19, s2, 3
	s_mov_b64 s[10:11], 0
	s_brev_b32 s20, -2
	s_movk_i32 s21, 0x7fff
	v_addc_co_u32_e64 v22, s[0:1], 0, 0, vcc
	v_mov_b32_e32 v23, 0x3d034c3c
	v_mov_b32_e32 v24, 0x3d3641b1
	v_mov_b32_e32 v25, 0x3d999bc8
	v_mov_b32_e32 v26, 0x3e2aaaac
	v_mov_b32_e32 v27, 0x7fc0
	s_branch .LBB58_9
.LBB58_8:                               ;   in Loop: Header=BB58_9 Depth=1
	s_or_b64 exec, exec, s[2:3]
	v_add_co_u32_e32 v1, vcc, s19, v1
	v_addc_co_u32_e32 v2, vcc, 0, v2, vcc
	v_add_co_u32_e32 v3, vcc, s19, v3
	v_addc_co_u32_e32 v4, vcc, 0, v4, vcc
	;; [unrolled: 2-line block ×6, first 2 shown]
	s_add_u32 s10, s10, s18
	v_add_co_u32_e32 v15, vcc, s19, v15
	v_mov_b32_e32 v29, s13
	s_addc_u32 s11, s11, 0
	v_addc_co_u32_e32 v16, vcc, 0, v16, vcc
	v_mov_b32_e32 v28, s12
	v_cmp_ge_i64_e32 vcc, s[10:11], v[28:29]
	v_add_co_u32_e64 v17, s[0:1], s19, v17
	v_addc_co_u32_e64 v18, s[0:1], 0, v18, s[0:1]
	s_cbranch_vccnz .LBB58_25
.LBB58_9:                               ; =>This Inner Loop Header: Depth=1
	v_mov_b32_e32 v29, s11
	v_add_co_u32_e32 v28, vcc, s10, v0
	v_addc_co_u32_e32 v29, vcc, 0, v29, vcc
	v_cmp_gt_u64_e32 vcc, s[14:15], v[28:29]
	v_mov_b32_e32 v31, 0
	s_and_saveexec_b64 s[2:3], vcc
	s_cbranch_execz .LBB58_11
; %bb.10:                               ;   in Loop: Header=BB58_9 Depth=1
	v_mov_b32_e32 v29, s9
	v_add_co_u32_e64 v28, s[0:1], s8, v1
	v_addc_co_u32_e64 v29, s[0:1], v2, v29, s[0:1]
	global_load_ushort v28, v[28:29], off
	s_waitcnt vmcnt(0)
	v_lshlrev_b32_e32 v31, 16, v28
.LBB58_11:                              ;   in Loop: Header=BB58_9 Depth=1
	s_or_b64 exec, exec, s[2:3]
	v_mov_b32_e32 v29, s11
	v_add_co_u32_e64 v28, s[0:1], s10, v13
	v_addc_co_u32_e64 v29, s[0:1], v14, v29, s[0:1]
	v_cmp_gt_u64_e64 s[4:5], s[14:15], v[28:29]
	v_mov_b32_e32 v28, 0
	v_mov_b32_e32 v30, 0
	s_and_saveexec_b64 s[2:3], s[4:5]
	s_cbranch_execz .LBB58_13
; %bb.12:                               ;   in Loop: Header=BB58_9 Depth=1
	v_mov_b32_e32 v30, s9
	v_add_co_u32_e64 v29, s[0:1], s8, v15
	v_addc_co_u32_e64 v30, s[0:1], v16, v30, s[0:1]
	global_load_ushort v29, v[29:30], off
	s_waitcnt vmcnt(0)
	v_lshlrev_b32_e32 v30, 16, v29
.LBB58_13:                              ;   in Loop: Header=BB58_9 Depth=1
	s_or_b64 exec, exec, s[2:3]
	v_mov_b32_e32 v29, s11
	v_add_co_u32_e64 v32, s[0:1], s10, v21
	v_addc_co_u32_e64 v33, s[0:1], v22, v29, s[0:1]
	v_cmp_gt_u64_e64 s[2:3], s[14:15], v[32:33]
	s_and_saveexec_b64 s[6:7], s[2:3]
	s_cbranch_execz .LBB58_15
; %bb.14:                               ;   in Loop: Header=BB58_9 Depth=1
	v_mov_b32_e32 v29, s9
	v_add_co_u32_e64 v28, s[0:1], s8, v9
	v_addc_co_u32_e64 v29, s[0:1], v10, v29, s[0:1]
	global_load_ushort v28, v[28:29], off
	s_waitcnt vmcnt(0)
	v_lshlrev_b32_e32 v28, 16, v28
.LBB58_15:                              ;   in Loop: Header=BB58_9 Depth=1
	s_or_b64 exec, exec, s[6:7]
	v_mov_b32_e32 v29, s11
	v_add_co_u32_e64 v32, s[0:1], s10, v19
	v_addc_co_u32_e64 v33, s[0:1], v20, v29, s[0:1]
	v_cmp_gt_u64_e64 s[0:1], s[14:15], v[32:33]
	v_mov_b32_e32 v29, 0
	s_and_saveexec_b64 s[16:17], s[0:1]
	s_cbranch_execnz .LBB58_20
; %bb.16:                               ;   in Loop: Header=BB58_9 Depth=1
	s_or_b64 exec, exec, s[16:17]
	s_and_saveexec_b64 s[6:7], vcc
	s_cbranch_execnz .LBB58_21
.LBB58_17:                              ;   in Loop: Header=BB58_9 Depth=1
	s_or_b64 exec, exec, s[6:7]
	s_and_saveexec_b64 s[6:7], s[4:5]
	s_cbranch_execnz .LBB58_22
.LBB58_18:                              ;   in Loop: Header=BB58_9 Depth=1
	s_or_b64 exec, exec, s[6:7]
	s_and_saveexec_b64 s[4:5], s[2:3]
	s_cbranch_execnz .LBB58_23
.LBB58_19:                              ;   in Loop: Header=BB58_9 Depth=1
	s_or_b64 exec, exec, s[4:5]
	s_and_saveexec_b64 s[2:3], s[0:1]
	s_cbranch_execz .LBB58_8
	s_branch .LBB58_24
.LBB58_20:                              ;   in Loop: Header=BB58_9 Depth=1
	v_mov_b32_e32 v29, s9
	v_add_co_u32_e64 v32, s[6:7], s8, v5
	v_addc_co_u32_e64 v33, s[6:7], v6, v29, s[6:7]
	global_load_ushort v29, v[32:33], off
	s_waitcnt vmcnt(0)
	v_lshlrev_b32_e32 v29, 16, v29
	s_or_b64 exec, exec, s[16:17]
	s_and_saveexec_b64 s[6:7], vcc
	s_cbranch_execz .LBB58_17
.LBB58_21:                              ;   in Loop: Header=BB58_9 Depth=1
	v_fma_f32 v32, |v31|, -0.5, 0.5
	v_mul_f32_e32 v33, v31, v31
	v_cmp_ge_f32_e64 vcc, |v31|, 0.5
	v_cndmask_b32_e32 v32, v33, v32, vcc
	v_mov_b32_e32 v33, 0x3c5fc5da
	v_fmac_f32_e32 v33, 0x3d1c21a7, v32
	v_fma_f32 v33, v32, v33, v23
	v_fma_f32 v33, v32, v33, v24
	v_sqrt_f32_e32 v34, v32
	v_fma_f32 v33, v32, v33, v25
	v_fma_f32 v33, v32, v33, v26
	v_mul_f32_e32 v32, v32, v33
	v_fmac_f32_e32 v34, v34, v32
	v_fma_f32 v33, |v31|, v32, |v31|
	v_add_f32_e32 v32, v34, v34
	v_sub_f32_e32 v32, 0x3fc90fdb, v32
	v_cmp_lt_f32_e64 vcc, |v31|, 0.5
	v_cndmask_b32_e32 v32, v32, v33, vcc
	v_bfi_b32 v31, s20, v32, v31
	v_bfe_u32 v32, v31, 16, 1
	v_add3_u32 v32, v31, v32, s21
	v_cmp_o_f32_e32 vcc, v31, v31
	v_cndmask_b32_sdwa v33, v27, v32, vcc dst_sel:DWORD dst_unused:UNUSED_PAD src0_sel:DWORD src1_sel:WORD_1
	v_mov_b32_e32 v32, s9
	v_add_co_u32_e32 v31, vcc, s8, v3
	v_addc_co_u32_e32 v32, vcc, v4, v32, vcc
	global_store_short v[31:32], v33, off
	s_or_b64 exec, exec, s[6:7]
	s_and_saveexec_b64 s[6:7], s[4:5]
	s_cbranch_execz .LBB58_18
.LBB58_22:                              ;   in Loop: Header=BB58_9 Depth=1
	v_fma_f32 v31, |v30|, -0.5, 0.5
	v_mul_f32_e32 v32, v30, v30
	v_cmp_ge_f32_e64 vcc, |v30|, 0.5
	v_cndmask_b32_e32 v31, v32, v31, vcc
	v_mov_b32_e32 v32, 0x3c5fc5da
	v_fmac_f32_e32 v32, 0x3d1c21a7, v31
	v_fma_f32 v32, v31, v32, v23
	v_fma_f32 v32, v31, v32, v24
	v_sqrt_f32_e32 v33, v31
	v_fma_f32 v32, v31, v32, v25
	v_fma_f32 v32, v31, v32, v26
	v_mul_f32_e32 v31, v31, v32
	v_fmac_f32_e32 v33, v33, v31
	v_add_f32_e32 v32, v33, v33
	v_sub_f32_e32 v32, 0x3fc90fdb, v32
	v_fma_f32 v31, |v30|, v31, |v30|
	v_cmp_lt_f32_e64 vcc, |v30|, 0.5
	v_cndmask_b32_e32 v31, v32, v31, vcc
	v_bfi_b32 v30, s20, v31, v30
	v_bfe_u32 v31, v30, 16, 1
	v_add3_u32 v31, v30, v31, s21
	v_cmp_o_f32_e32 vcc, v30, v30
	v_cndmask_b32_sdwa v32, v27, v31, vcc dst_sel:DWORD dst_unused:UNUSED_PAD src0_sel:DWORD src1_sel:WORD_1
	v_mov_b32_e32 v31, s9
	v_add_co_u32_e32 v30, vcc, s8, v17
	v_addc_co_u32_e32 v31, vcc, v18, v31, vcc
	global_store_short v[30:31], v32, off
	s_or_b64 exec, exec, s[6:7]
	s_and_saveexec_b64 s[4:5], s[2:3]
	s_cbranch_execz .LBB58_19
.LBB58_23:                              ;   in Loop: Header=BB58_9 Depth=1
	v_fma_f32 v30, |v28|, -0.5, 0.5
	v_mul_f32_e32 v31, v28, v28
	v_cmp_ge_f32_e64 vcc, |v28|, 0.5
	v_cndmask_b32_e32 v30, v31, v30, vcc
	v_mov_b32_e32 v31, 0x3c5fc5da
	v_fmac_f32_e32 v31, 0x3d1c21a7, v30
	v_fma_f32 v31, v30, v31, v23
	v_fma_f32 v31, v30, v31, v24
	v_sqrt_f32_e32 v32, v30
	v_fma_f32 v31, v30, v31, v25
	v_fma_f32 v31, v30, v31, v26
	v_mul_f32_e32 v30, v30, v31
	v_fmac_f32_e32 v32, v32, v30
	v_add_f32_e32 v31, v32, v32
	v_sub_f32_e32 v31, 0x3fc90fdb, v31
	v_fma_f32 v30, |v28|, v30, |v28|
	v_cmp_lt_f32_e64 vcc, |v28|, 0.5
	v_cndmask_b32_e32 v30, v31, v30, vcc
	v_bfi_b32 v28, s20, v30, v28
	v_bfe_u32 v30, v28, 16, 1
	v_add3_u32 v30, v28, v30, s21
	v_cmp_o_f32_e32 vcc, v28, v28
	v_cndmask_b32_sdwa v28, v27, v30, vcc dst_sel:DWORD dst_unused:UNUSED_PAD src0_sel:DWORD src1_sel:WORD_1
	v_mov_b32_e32 v31, s9
	v_add_co_u32_e32 v30, vcc, s8, v11
	v_addc_co_u32_e32 v31, vcc, v12, v31, vcc
	global_store_short v[30:31], v28, off
	s_or_b64 exec, exec, s[4:5]
	s_and_saveexec_b64 s[2:3], s[0:1]
	s_cbranch_execz .LBB58_8
.LBB58_24:                              ;   in Loop: Header=BB58_9 Depth=1
	v_fma_f32 v28, |v29|, -0.5, 0.5
	v_mul_f32_e32 v30, v29, v29
	v_cmp_ge_f32_e64 vcc, |v29|, 0.5
	v_cndmask_b32_e32 v28, v30, v28, vcc
	v_mov_b32_e32 v30, 0x3c5fc5da
	v_fmac_f32_e32 v30, 0x3d1c21a7, v28
	v_fma_f32 v30, v28, v30, v23
	v_fma_f32 v30, v28, v30, v24
	v_sqrt_f32_e32 v31, v28
	v_fma_f32 v30, v28, v30, v25
	v_fma_f32 v30, v28, v30, v26
	v_mul_f32_e32 v28, v28, v30
	v_fmac_f32_e32 v31, v31, v28
	v_add_f32_e32 v30, v31, v31
	v_sub_f32_e32 v30, 0x3fc90fdb, v30
	v_fma_f32 v28, |v29|, v28, |v29|
	v_cmp_lt_f32_e64 vcc, |v29|, 0.5
	v_cndmask_b32_e32 v28, v30, v28, vcc
	v_bfi_b32 v28, s20, v28, v29
	v_bfe_u32 v29, v28, 16, 1
	v_add3_u32 v29, v28, v29, s21
	v_cmp_o_f32_e32 vcc, v28, v28
	v_cndmask_b32_sdwa v30, v27, v29, vcc dst_sel:DWORD dst_unused:UNUSED_PAD src0_sel:DWORD src1_sel:WORD_1
	v_mov_b32_e32 v29, s9
	v_add_co_u32_e32 v28, vcc, s8, v7
	v_addc_co_u32_e32 v29, vcc, v8, v29, vcc
	global_store_short v[28:29], v30, off
	s_branch .LBB58_8
.LBB58_25:
	s_endpgm
	.section	.rodata,"a",@progbits
	.p2align	6, 0x0
	.amdhsa_kernel _ZN2at6native12_GLOBAL__N_125multi_tensor_apply_kernelINS1_18TensorListMetadataILi2EEENS1_14UnaryOpFunctorIN3c108BFloat16ELi2ELi1ELi1EEEJNS0_4AsinIfEEEEEvT_T0_DpT1_
		.amdhsa_group_segment_fixed_size 0
		.amdhsa_private_segment_fixed_size 0
		.amdhsa_kernarg_size 3408
		.amdhsa_user_sgpr_count 6
		.amdhsa_user_sgpr_private_segment_buffer 1
		.amdhsa_user_sgpr_dispatch_ptr 0
		.amdhsa_user_sgpr_queue_ptr 0
		.amdhsa_user_sgpr_kernarg_segment_ptr 1
		.amdhsa_user_sgpr_dispatch_id 0
		.amdhsa_user_sgpr_flat_scratch_init 0
		.amdhsa_user_sgpr_private_segment_size 0
		.amdhsa_uses_dynamic_stack 0
		.amdhsa_system_sgpr_private_segment_wavefront_offset 0
		.amdhsa_system_sgpr_workgroup_id_x 1
		.amdhsa_system_sgpr_workgroup_id_y 0
		.amdhsa_system_sgpr_workgroup_id_z 0
		.amdhsa_system_sgpr_workgroup_info 0
		.amdhsa_system_vgpr_workitem_id 0
		.amdhsa_next_free_vgpr 35
		.amdhsa_next_free_sgpr 24
		.amdhsa_reserve_vcc 1
		.amdhsa_reserve_flat_scratch 0
		.amdhsa_float_round_mode_32 0
		.amdhsa_float_round_mode_16_64 0
		.amdhsa_float_denorm_mode_32 3
		.amdhsa_float_denorm_mode_16_64 3
		.amdhsa_dx10_clamp 1
		.amdhsa_ieee_mode 1
		.amdhsa_fp16_overflow 0
		.amdhsa_exception_fp_ieee_invalid_op 0
		.amdhsa_exception_fp_denorm_src 0
		.amdhsa_exception_fp_ieee_div_zero 0
		.amdhsa_exception_fp_ieee_overflow 0
		.amdhsa_exception_fp_ieee_underflow 0
		.amdhsa_exception_fp_ieee_inexact 0
		.amdhsa_exception_int_div_zero 0
	.end_amdhsa_kernel
	.section	.text._ZN2at6native12_GLOBAL__N_125multi_tensor_apply_kernelINS1_18TensorListMetadataILi2EEENS1_14UnaryOpFunctorIN3c108BFloat16ELi2ELi1ELi1EEEJNS0_4AsinIfEEEEEvT_T0_DpT1_,"axG",@progbits,_ZN2at6native12_GLOBAL__N_125multi_tensor_apply_kernelINS1_18TensorListMetadataILi2EEENS1_14UnaryOpFunctorIN3c108BFloat16ELi2ELi1ELi1EEEJNS0_4AsinIfEEEEEvT_T0_DpT1_,comdat
.Lfunc_end58:
	.size	_ZN2at6native12_GLOBAL__N_125multi_tensor_apply_kernelINS1_18TensorListMetadataILi2EEENS1_14UnaryOpFunctorIN3c108BFloat16ELi2ELi1ELi1EEEJNS0_4AsinIfEEEEEvT_T0_DpT1_, .Lfunc_end58-_ZN2at6native12_GLOBAL__N_125multi_tensor_apply_kernelINS1_18TensorListMetadataILi2EEENS1_14UnaryOpFunctorIN3c108BFloat16ELi2ELi1ELi1EEEJNS0_4AsinIfEEEEEvT_T0_DpT1_
                                        ; -- End function
	.set _ZN2at6native12_GLOBAL__N_125multi_tensor_apply_kernelINS1_18TensorListMetadataILi2EEENS1_14UnaryOpFunctorIN3c108BFloat16ELi2ELi1ELi1EEEJNS0_4AsinIfEEEEEvT_T0_DpT1_.num_vgpr, 35
	.set _ZN2at6native12_GLOBAL__N_125multi_tensor_apply_kernelINS1_18TensorListMetadataILi2EEENS1_14UnaryOpFunctorIN3c108BFloat16ELi2ELi1ELi1EEEJNS0_4AsinIfEEEEEvT_T0_DpT1_.num_agpr, 0
	.set _ZN2at6native12_GLOBAL__N_125multi_tensor_apply_kernelINS1_18TensorListMetadataILi2EEENS1_14UnaryOpFunctorIN3c108BFloat16ELi2ELi1ELi1EEEJNS0_4AsinIfEEEEEvT_T0_DpT1_.numbered_sgpr, 24
	.set _ZN2at6native12_GLOBAL__N_125multi_tensor_apply_kernelINS1_18TensorListMetadataILi2EEENS1_14UnaryOpFunctorIN3c108BFloat16ELi2ELi1ELi1EEEJNS0_4AsinIfEEEEEvT_T0_DpT1_.num_named_barrier, 0
	.set _ZN2at6native12_GLOBAL__N_125multi_tensor_apply_kernelINS1_18TensorListMetadataILi2EEENS1_14UnaryOpFunctorIN3c108BFloat16ELi2ELi1ELi1EEEJNS0_4AsinIfEEEEEvT_T0_DpT1_.private_seg_size, 0
	.set _ZN2at6native12_GLOBAL__N_125multi_tensor_apply_kernelINS1_18TensorListMetadataILi2EEENS1_14UnaryOpFunctorIN3c108BFloat16ELi2ELi1ELi1EEEJNS0_4AsinIfEEEEEvT_T0_DpT1_.uses_vcc, 1
	.set _ZN2at6native12_GLOBAL__N_125multi_tensor_apply_kernelINS1_18TensorListMetadataILi2EEENS1_14UnaryOpFunctorIN3c108BFloat16ELi2ELi1ELi1EEEJNS0_4AsinIfEEEEEvT_T0_DpT1_.uses_flat_scratch, 0
	.set _ZN2at6native12_GLOBAL__N_125multi_tensor_apply_kernelINS1_18TensorListMetadataILi2EEENS1_14UnaryOpFunctorIN3c108BFloat16ELi2ELi1ELi1EEEJNS0_4AsinIfEEEEEvT_T0_DpT1_.has_dyn_sized_stack, 0
	.set _ZN2at6native12_GLOBAL__N_125multi_tensor_apply_kernelINS1_18TensorListMetadataILi2EEENS1_14UnaryOpFunctorIN3c108BFloat16ELi2ELi1ELi1EEEJNS0_4AsinIfEEEEEvT_T0_DpT1_.has_recursion, 0
	.set _ZN2at6native12_GLOBAL__N_125multi_tensor_apply_kernelINS1_18TensorListMetadataILi2EEENS1_14UnaryOpFunctorIN3c108BFloat16ELi2ELi1ELi1EEEJNS0_4AsinIfEEEEEvT_T0_DpT1_.has_indirect_call, 0
	.section	.AMDGPU.csdata,"",@progbits
; Kernel info:
; codeLenInByte = 2648
; TotalNumSgprs: 28
; NumVgprs: 35
; ScratchSize: 0
; MemoryBound: 0
; FloatMode: 240
; IeeeMode: 1
; LDSByteSize: 0 bytes/workgroup (compile time only)
; SGPRBlocks: 3
; VGPRBlocks: 8
; NumSGPRsForWavesPerEU: 28
; NumVGPRsForWavesPerEU: 35
; Occupancy: 7
; WaveLimiterHint : 0
; COMPUTE_PGM_RSRC2:SCRATCH_EN: 0
; COMPUTE_PGM_RSRC2:USER_SGPR: 6
; COMPUTE_PGM_RSRC2:TRAP_HANDLER: 0
; COMPUTE_PGM_RSRC2:TGID_X_EN: 1
; COMPUTE_PGM_RSRC2:TGID_Y_EN: 0
; COMPUTE_PGM_RSRC2:TGID_Z_EN: 0
; COMPUTE_PGM_RSRC2:TIDIG_COMP_CNT: 0
	.section	.text._ZN2at6native12_GLOBAL__N_125multi_tensor_apply_kernelINS1_18TensorListMetadataILi1EEENS1_14UnaryOpFunctorIdLi1ELi1ELi0EEEJNS0_4AsinIdEEEEEvT_T0_DpT1_,"axG",@progbits,_ZN2at6native12_GLOBAL__N_125multi_tensor_apply_kernelINS1_18TensorListMetadataILi1EEENS1_14UnaryOpFunctorIdLi1ELi1ELi0EEEJNS0_4AsinIdEEEEEvT_T0_DpT1_,comdat
	.globl	_ZN2at6native12_GLOBAL__N_125multi_tensor_apply_kernelINS1_18TensorListMetadataILi1EEENS1_14UnaryOpFunctorIdLi1ELi1ELi0EEEJNS0_4AsinIdEEEEEvT_T0_DpT1_ ; -- Begin function _ZN2at6native12_GLOBAL__N_125multi_tensor_apply_kernelINS1_18TensorListMetadataILi1EEENS1_14UnaryOpFunctorIdLi1ELi1ELi0EEEJNS0_4AsinIdEEEEEvT_T0_DpT1_
	.p2align	8
	.type	_ZN2at6native12_GLOBAL__N_125multi_tensor_apply_kernelINS1_18TensorListMetadataILi1EEENS1_14UnaryOpFunctorIdLi1ELi1ELi0EEEJNS0_4AsinIdEEEEEvT_T0_DpT1_,@function
_ZN2at6native12_GLOBAL__N_125multi_tensor_apply_kernelINS1_18TensorListMetadataILi1EEENS1_14UnaryOpFunctorIdLi1ELi1ELi0EEEJNS0_4AsinIdEEEEEvT_T0_DpT1_: ; @_ZN2at6native12_GLOBAL__N_125multi_tensor_apply_kernelINS1_18TensorListMetadataILi1EEENS1_14UnaryOpFunctorIdLi1ELi1ELi0EEEJNS0_4AsinIdEEEEEvT_T0_DpT1_
; %bb.0:
	v_mov_b32_e32 v1, s6
	global_load_ubyte v1, v1, s[4:5] offset:1760
	s_add_u32 s0, s4, s6
	s_mul_hi_u32 s1, s6, 3
	s_mul_i32 s6, s6, 3
	s_addc_u32 s2, s5, 0
	s_add_u32 s0, s0, s6
	s_addc_u32 s1, s2, s1
	s_load_dword s0, s[0:1], 0x820
	s_mov_b32 s7, 0
	s_waitcnt vmcnt(0)
	v_readfirstlane_b32 s1, v1
	s_lshl_b32 s1, s1, 3
	s_load_dwordx2 s[2:3], s[4:5], s1 offset:0x370
	s_load_dwordx2 s[10:11], s[4:5], s1 offset:0x0
	s_waitcnt lgkmcnt(0)
	s_ashr_i32 s1, s0, 31
	s_lshl_b64 s[12:13], s[0:1], 19
	s_lshl_b64 s[0:1], s[0:1], 16
	s_and_b32 s6, s10, 31
	s_sub_u32 s14, s2, s0
	s_subb_u32 s15, s3, s1
	s_and_b32 s0, s2, 3
	s_mov_b32 s1, s7
	s_or_b64 s[0:1], s[6:7], s[0:1]
	s_cmp_eq_u64 s[0:1], 0
	s_cbranch_scc1 .LBB59_29
; %bb.1:
	v_cmp_lt_i64_e64 s[0:1], s[14:15], 1
	s_and_b64 vcc, exec, s[0:1]
	s_cbranch_vccnz .LBB59_28
; %bb.2:
	v_mov_b32_e32 v1, 0x10000
	s_load_dword s2, s[4:5], 0xd3c
	v_mov_b32_e32 v2, 0
	v_cmp_lt_i64_e32 vcc, s[14:15], v[1:2]
	s_mov_b32 s22, 0x9fea6a70
	s_and_b64 s[0:1], vcc, exec
	v_cmp_lt_u64_e32 vcc, s[14:15], v[1:2]
	s_cselect_b32 s17, s15, 0
	s_cselect_b32 s16, s14, 0x10000
	s_waitcnt lgkmcnt(0)
	s_and_b32 s2, s2, 0xffff
	s_and_b64 s[0:1], vcc, exec
	s_cselect_b32 s19, s15, 0
	s_cselect_b32 s18, s14, 0x10000
	s_lshl_b32 s3, s2, 1
	s_lshl_b32 s33, s2, 2
	s_add_u32 s6, s10, s12
	v_lshlrev_b32_e32 v1, 3, v0
	s_addc_u32 s7, s11, s13
	v_mov_b32_e32 v2, s7
	v_add_co_u32_e32 v1, vcc, s6, v1
	s_mul_i32 s0, s2, 3
	v_addc_co_u32_e32 v2, vcc, 0, v2, vcc
	v_add_co_u32_e32 v27, vcc, s0, v0
	v_addc_co_u32_e64 v28, s[0:1], 0, 0, vcc
	v_add_co_u32_e32 v29, vcc, s3, v0
	v_addc_co_u32_e64 v30, s[0:1], 0, 0, vcc
	v_add_co_u32_e32 v31, vcc, s2, v0
	v_lshlrev_b32_e32 v3, 3, v31
	v_addc_co_u32_e64 v32, s[0:1], 0, 0, vcc
	v_mov_b32_e32 v4, s7
	v_add_co_u32_e32 v3, vcc, s6, v3
	s_mov_b32 s24, 0x37024d6a
	s_mov_b32 s26, 0x98a70509
	;; [unrolled: 1-line block ×12, first 2 shown]
	s_lshl_b32 s52, s2, 5
	s_mul_i32 s53, s2, 24
	s_lshl_b32 s54, s2, 4
	v_addc_co_u32_e32 v4, vcc, 0, v4, vcc
	s_mov_b64 s[20:21], 0
	s_mov_b32 s23, 0x3fa05985
	s_mov_b32 s25, 0x3f940521
	;; [unrolled: 1-line block ×13, first 2 shown]
	s_brev_b32 s55, -2
	v_mov_b32_e32 v5, 0x78a05eaf
	v_mov_b32_e32 v6, 0xbf90a5a3
	;; [unrolled: 1-line block ×4, first 2 shown]
	s_branch .LBB59_4
.LBB59_3:                               ;   in Loop: Header=BB59_4 Depth=1
	s_or_b64 exec, exec, s[0:1]
	s_add_u32 s20, s20, s33
	v_add_co_u32_e32 v1, vcc, s52, v1
	v_mov_b32_e32 v7, s16
	s_addc_u32 s21, s21, 0
	v_addc_co_u32_e32 v2, vcc, 0, v2, vcc
	v_mov_b32_e32 v8, s17
	v_cmp_ge_i64_e32 vcc, s[20:21], v[7:8]
	v_add_co_u32_e64 v3, s[0:1], s52, v3
	v_addc_co_u32_e64 v4, s[0:1], 0, v4, s[0:1]
	s_cbranch_vccnz .LBB59_28
.LBB59_4:                               ; =>This Inner Loop Header: Depth=1
	v_mov_b32_e32 v8, s21
	v_add_co_u32_e32 v7, vcc, s20, v0
	v_addc_co_u32_e32 v8, vcc, 0, v8, vcc
	v_cmp_gt_u64_e32 vcc, s[18:19], v[7:8]
	v_mov_b32_e32 v7, 0
	v_mov_b32_e32 v9, 0
	;; [unrolled: 1-line block ×4, first 2 shown]
	s_and_saveexec_b64 s[0:1], vcc
	s_cbranch_execz .LBB59_6
; %bb.5:                                ;   in Loop: Header=BB59_4 Depth=1
	global_load_dwordx2 v[9:10], v[1:2], off
.LBB59_6:                               ;   in Loop: Header=BB59_4 Depth=1
	s_or_b64 exec, exec, s[0:1]
	v_mov_b32_e32 v12, s21
	v_add_co_u32_e64 v11, s[0:1], s20, v31
	v_addc_co_u32_e64 v12, s[0:1], v32, v12, s[0:1]
	v_cmp_gt_u64_e64 s[0:1], s[18:19], v[11:12]
	s_and_saveexec_b64 s[2:3], s[0:1]
	s_cbranch_execz .LBB59_8
; %bb.7:                                ;   in Loop: Header=BB59_4 Depth=1
	global_load_dwordx2 v[7:8], v[3:4], off
.LBB59_8:                               ;   in Loop: Header=BB59_4 Depth=1
	s_or_b64 exec, exec, s[2:3]
	v_mov_b32_e32 v12, s21
	v_add_co_u32_e64 v11, s[2:3], s20, v29
	v_addc_co_u32_e64 v12, s[2:3], v30, v12, s[2:3]
	v_cmp_gt_u64_e64 s[2:3], s[18:19], v[11:12]
	v_mov_b32_e32 v11, 0
	v_mov_b32_e32 v13, 0
	v_mov_b32_e32 v12, 0
	v_mov_b32_e32 v14, 0
	s_and_saveexec_b64 s[8:9], s[2:3]
	s_cbranch_execz .LBB59_10
; %bb.9:                                ;   in Loop: Header=BB59_4 Depth=1
	v_add_co_u32_e64 v13, s[6:7], s54, v1
	v_addc_co_u32_e64 v14, s[6:7], 0, v2, s[6:7]
	global_load_dwordx2 v[13:14], v[13:14], off
.LBB59_10:                              ;   in Loop: Header=BB59_4 Depth=1
	s_or_b64 exec, exec, s[8:9]
	v_mov_b32_e32 v16, s21
	v_add_co_u32_e64 v15, s[6:7], s20, v27
	v_addc_co_u32_e64 v16, s[6:7], v28, v16, s[6:7]
	v_cmp_gt_u64_e64 s[6:7], s[18:19], v[15:16]
	s_and_saveexec_b64 s[50:51], s[6:7]
	s_cbranch_execz .LBB59_12
; %bb.11:                               ;   in Loop: Header=BB59_4 Depth=1
	v_add_co_u32_e64 v11, s[8:9], s53, v1
	v_addc_co_u32_e64 v12, s[8:9], 0, v2, s[8:9]
	global_load_dwordx2 v[11:12], v[11:12], off
.LBB59_12:                              ;   in Loop: Header=BB59_4 Depth=1
	s_or_b64 exec, exec, s[50:51]
	s_waitcnt vmcnt(0)
	v_fma_f64 v[19:20], |v[9:10]|, -0.5, 0.5
	v_mul_f64 v[15:16], v[9:10], v[9:10]
	v_cmp_ge_f64_e64 s[8:9], |v[9:10]|, 0.5
	v_cndmask_b32_e64 v16, v16, v20, s[8:9]
	v_cndmask_b32_e64 v15, v15, v19, s[8:9]
	v_fma_f64 v[17:18], v[15:16], s[22:23], v[5:6]
	v_fma_f64 v[17:18], v[15:16], v[17:18], s[24:25]
	;; [unrolled: 1-line block ×11, first 2 shown]
	v_mul_f64 v[17:18], v[15:16], v[17:18]
	v_fma_f64 v[15:16], |v[9:10]|, v[17:18], |v[9:10]|
	s_and_saveexec_b64 s[50:51], s[8:9]
	s_cbranch_execz .LBB59_14
; %bb.13:                               ;   in Loop: Header=BB59_4 Depth=1
	v_rsq_f64_e32 v[15:16], v[19:20]
	v_cmp_eq_f64_e64 s[8:9], 0, v[19:20]
	v_mul_f64 v[21:22], v[19:20], v[15:16]
	v_mul_f64 v[15:16], v[15:16], 0.5
	v_fma_f64 v[23:24], -v[15:16], v[21:22], 0.5
	v_fma_f64 v[21:22], v[21:22], v[23:24], v[21:22]
	v_fma_f64 v[15:16], v[15:16], v[23:24], v[15:16]
	v_fma_f64 v[23:24], -v[21:22], v[21:22], v[19:20]
	v_fma_f64 v[15:16], v[23:24], v[15:16], v[21:22]
	v_cndmask_b32_e64 v16, v16, v20, s[8:9]
	v_cndmask_b32_e64 v15, v15, v19, s[8:9]
	v_mul_f64 v[21:22], v[15:16], v[15:16]
	v_add_f64 v[25:26], v[19:20], -v[21:22]
	v_fma_f64 v[23:24], v[15:16], v[15:16], -v[21:22]
	v_add_f64 v[19:20], v[19:20], -v[25:26]
	v_add_f64 v[19:20], v[19:20], -v[21:22]
	v_add_f64 v[21:22], v[15:16], v[15:16]
	v_add_f64 v[19:20], v[19:20], -v[23:24]
	v_rcp_f64_e32 v[23:24], v[21:22]
	v_add_f64 v[19:20], v[25:26], v[19:20]
	v_fma_f64 v[25:26], -v[21:22], v[23:24], 1.0
	v_fma_f64 v[23:24], v[25:26], v[23:24], v[23:24]
	v_fma_f64 v[25:26], -v[21:22], v[23:24], 1.0
	v_fma_f64 v[23:24], v[25:26], v[23:24], v[23:24]
	v_mul_f64 v[25:26], v[19:20], v[23:24]
	v_fma_f64 v[19:20], -v[21:22], v[25:26], v[19:20]
	v_fma_f64 v[19:20], v[19:20], v[23:24], v[25:26]
	v_cndmask_b32_e64 v20, v20, 0, s[8:9]
	v_cndmask_b32_e64 v19, v19, 0, s[8:9]
	v_add_f64 v[21:22], v[15:16], v[19:20]
	v_cmp_neq_f64_e64 s[8:9], |v[9:10]|, 1.0
	v_add_f64 v[15:16], v[21:22], -v[15:16]
	v_add_f64 v[15:16], v[19:20], -v[15:16]
	v_mul_f64 v[19:20], v[17:18], v[21:22]
	v_fma_f64 v[23:24], v[21:22], v[17:18], -v[19:20]
	v_fma_f64 v[17:18], v[15:16], v[17:18], v[23:24]
	v_add_f64 v[23:24], v[19:20], v[17:18]
	v_add_f64 v[19:20], v[23:24], -v[19:20]
	v_add_f64 v[17:18], v[17:18], -v[19:20]
	v_add_f64 v[19:20], v[21:22], v[23:24]
	v_add_f64 v[15:16], v[15:16], v[17:18]
	v_add_f64 v[21:22], v[19:20], -v[21:22]
	v_add_f64 v[21:22], v[23:24], -v[21:22]
	v_add_f64 v[15:16], v[15:16], v[21:22]
	v_add_f64 v[17:18], v[19:20], v[15:16]
	v_add_f64 v[21:22], -v[17:18], s[46:47]
	v_add_f64 v[19:20], v[17:18], -v[19:20]
	v_add_f64 v[23:24], -v[21:22], s[46:47]
	v_add_f64 v[15:16], v[19:20], -v[15:16]
	v_add_f64 v[17:18], v[23:24], -v[17:18]
	v_add_f64 v[17:18], v[17:18], s[48:49]
	v_add_f64 v[15:16], v[15:16], v[17:18]
	;; [unrolled: 1-line block ×4, first 2 shown]
	v_cndmask_b32_e64 v16, v33, v16, s[8:9]
	v_cndmask_b32_e64 v15, v34, v15, s[8:9]
.LBB59_14:                              ;   in Loop: Header=BB59_4 Depth=1
	s_or_b64 exec, exec, s[50:51]
	v_fma_f64 v[21:22], |v[7:8]|, -0.5, 0.5
	v_mul_f64 v[17:18], v[7:8], v[7:8]
	v_cmp_ge_f64_e64 s[8:9], |v[7:8]|, 0.5
	v_cndmask_b32_e64 v18, v18, v22, s[8:9]
	v_cndmask_b32_e64 v17, v17, v21, s[8:9]
	v_fma_f64 v[19:20], v[17:18], s[22:23], v[5:6]
	v_fma_f64 v[19:20], v[17:18], v[19:20], s[24:25]
	;; [unrolled: 1-line block ×11, first 2 shown]
	v_mul_f64 v[19:20], v[17:18], v[19:20]
	v_fma_f64 v[17:18], |v[7:8]|, v[19:20], |v[7:8]|
	s_and_saveexec_b64 s[50:51], s[8:9]
	s_cbranch_execz .LBB59_16
; %bb.15:                               ;   in Loop: Header=BB59_4 Depth=1
	v_rsq_f64_e32 v[17:18], v[21:22]
	v_cmp_eq_f64_e64 s[8:9], 0, v[21:22]
	v_mul_f64 v[23:24], v[21:22], v[17:18]
	v_mul_f64 v[17:18], v[17:18], 0.5
	v_fma_f64 v[25:26], -v[17:18], v[23:24], 0.5
	v_fma_f64 v[23:24], v[23:24], v[25:26], v[23:24]
	v_fma_f64 v[17:18], v[17:18], v[25:26], v[17:18]
	v_fma_f64 v[25:26], -v[23:24], v[23:24], v[21:22]
	v_fma_f64 v[17:18], v[25:26], v[17:18], v[23:24]
	v_cndmask_b32_e64 v18, v18, v22, s[8:9]
	v_cndmask_b32_e64 v17, v17, v21, s[8:9]
	v_mul_f64 v[23:24], v[17:18], v[17:18]
	v_add_f64 v[35:36], v[21:22], -v[23:24]
	v_fma_f64 v[25:26], v[17:18], v[17:18], -v[23:24]
	v_add_f64 v[21:22], v[21:22], -v[35:36]
	v_add_f64 v[21:22], v[21:22], -v[23:24]
	v_add_f64 v[23:24], v[17:18], v[17:18]
	v_add_f64 v[21:22], v[21:22], -v[25:26]
	v_rcp_f64_e32 v[25:26], v[23:24]
	v_add_f64 v[21:22], v[35:36], v[21:22]
	v_fma_f64 v[35:36], -v[23:24], v[25:26], 1.0
	v_fma_f64 v[25:26], v[35:36], v[25:26], v[25:26]
	v_fma_f64 v[35:36], -v[23:24], v[25:26], 1.0
	v_fma_f64 v[25:26], v[35:36], v[25:26], v[25:26]
	v_mul_f64 v[35:36], v[21:22], v[25:26]
	v_fma_f64 v[21:22], -v[23:24], v[35:36], v[21:22]
	v_fma_f64 v[21:22], v[21:22], v[25:26], v[35:36]
	v_cndmask_b32_e64 v22, v22, 0, s[8:9]
	v_cndmask_b32_e64 v21, v21, 0, s[8:9]
	v_add_f64 v[23:24], v[17:18], v[21:22]
	v_cmp_neq_f64_e64 s[8:9], |v[7:8]|, 1.0
	v_add_f64 v[17:18], v[23:24], -v[17:18]
	v_add_f64 v[17:18], v[21:22], -v[17:18]
	v_mul_f64 v[21:22], v[19:20], v[23:24]
	v_fma_f64 v[25:26], v[23:24], v[19:20], -v[21:22]
	v_fma_f64 v[19:20], v[17:18], v[19:20], v[25:26]
	v_add_f64 v[25:26], v[21:22], v[19:20]
	v_add_f64 v[21:22], v[25:26], -v[21:22]
	v_add_f64 v[19:20], v[19:20], -v[21:22]
	v_add_f64 v[21:22], v[23:24], v[25:26]
	v_add_f64 v[17:18], v[17:18], v[19:20]
	v_add_f64 v[23:24], v[21:22], -v[23:24]
	v_add_f64 v[23:24], v[25:26], -v[23:24]
	v_add_f64 v[17:18], v[17:18], v[23:24]
	v_add_f64 v[19:20], v[21:22], v[17:18]
	v_add_f64 v[23:24], -v[19:20], s[46:47]
	v_add_f64 v[21:22], v[19:20], -v[21:22]
	v_add_f64 v[25:26], -v[23:24], s[46:47]
	v_add_f64 v[17:18], v[21:22], -v[17:18]
	v_add_f64 v[19:20], v[25:26], -v[19:20]
	v_add_f64 v[19:20], v[19:20], s[48:49]
	v_add_f64 v[17:18], v[17:18], v[19:20]
	;; [unrolled: 1-line block ×4, first 2 shown]
	v_cndmask_b32_e64 v18, v33, v18, s[8:9]
	v_cndmask_b32_e64 v17, v34, v17, s[8:9]
.LBB59_16:                              ;   in Loop: Header=BB59_4 Depth=1
	s_or_b64 exec, exec, s[50:51]
	v_fma_f64 v[23:24], |v[13:14]|, -0.5, 0.5
	v_mul_f64 v[19:20], v[13:14], v[13:14]
	v_cmp_ge_f64_e64 s[8:9], |v[13:14]|, 0.5
	v_cndmask_b32_e64 v20, v20, v24, s[8:9]
	v_cndmask_b32_e64 v19, v19, v23, s[8:9]
	v_fma_f64 v[21:22], v[19:20], s[22:23], v[5:6]
	v_fma_f64 v[21:22], v[19:20], v[21:22], s[24:25]
	;; [unrolled: 1-line block ×11, first 2 shown]
	v_mul_f64 v[21:22], v[19:20], v[21:22]
	v_fma_f64 v[19:20], |v[13:14]|, v[21:22], |v[13:14]|
	s_and_saveexec_b64 s[50:51], s[8:9]
	s_cbranch_execz .LBB59_18
; %bb.17:                               ;   in Loop: Header=BB59_4 Depth=1
	v_rsq_f64_e32 v[19:20], v[23:24]
	v_cmp_eq_f64_e64 s[8:9], 0, v[23:24]
	v_mul_f64 v[25:26], v[23:24], v[19:20]
	v_mul_f64 v[19:20], v[19:20], 0.5
	v_fma_f64 v[35:36], -v[19:20], v[25:26], 0.5
	v_fma_f64 v[25:26], v[25:26], v[35:36], v[25:26]
	v_fma_f64 v[19:20], v[19:20], v[35:36], v[19:20]
	v_fma_f64 v[35:36], -v[25:26], v[25:26], v[23:24]
	v_fma_f64 v[19:20], v[35:36], v[19:20], v[25:26]
	v_cndmask_b32_e64 v20, v20, v24, s[8:9]
	v_cndmask_b32_e64 v19, v19, v23, s[8:9]
	v_mul_f64 v[25:26], v[19:20], v[19:20]
	v_add_f64 v[37:38], v[23:24], -v[25:26]
	v_fma_f64 v[35:36], v[19:20], v[19:20], -v[25:26]
	v_add_f64 v[23:24], v[23:24], -v[37:38]
	v_add_f64 v[23:24], v[23:24], -v[25:26]
	v_add_f64 v[25:26], v[19:20], v[19:20]
	v_add_f64 v[23:24], v[23:24], -v[35:36]
	v_rcp_f64_e32 v[35:36], v[25:26]
	v_add_f64 v[23:24], v[37:38], v[23:24]
	v_fma_f64 v[37:38], -v[25:26], v[35:36], 1.0
	v_fma_f64 v[35:36], v[37:38], v[35:36], v[35:36]
	v_fma_f64 v[37:38], -v[25:26], v[35:36], 1.0
	v_fma_f64 v[35:36], v[37:38], v[35:36], v[35:36]
	v_mul_f64 v[37:38], v[23:24], v[35:36]
	v_fma_f64 v[23:24], -v[25:26], v[37:38], v[23:24]
	v_fma_f64 v[23:24], v[23:24], v[35:36], v[37:38]
	v_cndmask_b32_e64 v24, v24, 0, s[8:9]
	v_cndmask_b32_e64 v23, v23, 0, s[8:9]
	v_add_f64 v[25:26], v[19:20], v[23:24]
	v_cmp_neq_f64_e64 s[8:9], |v[13:14]|, 1.0
	v_add_f64 v[19:20], v[25:26], -v[19:20]
	v_add_f64 v[19:20], v[23:24], -v[19:20]
	v_mul_f64 v[23:24], v[21:22], v[25:26]
	v_fma_f64 v[35:36], v[25:26], v[21:22], -v[23:24]
	v_fma_f64 v[21:22], v[19:20], v[21:22], v[35:36]
	v_add_f64 v[35:36], v[23:24], v[21:22]
	v_add_f64 v[23:24], v[35:36], -v[23:24]
	v_add_f64 v[21:22], v[21:22], -v[23:24]
	v_add_f64 v[23:24], v[25:26], v[35:36]
	v_add_f64 v[19:20], v[19:20], v[21:22]
	v_add_f64 v[25:26], v[23:24], -v[25:26]
	v_add_f64 v[25:26], v[35:36], -v[25:26]
	v_add_f64 v[19:20], v[19:20], v[25:26]
	v_add_f64 v[21:22], v[23:24], v[19:20]
	v_add_f64 v[25:26], -v[21:22], s[46:47]
	v_add_f64 v[23:24], v[21:22], -v[23:24]
	v_add_f64 v[35:36], -v[25:26], s[46:47]
	v_add_f64 v[19:20], v[23:24], -v[19:20]
	v_add_f64 v[21:22], v[35:36], -v[21:22]
	v_add_f64 v[21:22], v[21:22], s[48:49]
	v_add_f64 v[19:20], v[19:20], v[21:22]
	;; [unrolled: 1-line block ×4, first 2 shown]
	v_cndmask_b32_e64 v20, v33, v20, s[8:9]
	v_cndmask_b32_e64 v19, v34, v19, s[8:9]
.LBB59_18:                              ;   in Loop: Header=BB59_4 Depth=1
	s_or_b64 exec, exec, s[50:51]
	v_fma_f64 v[25:26], |v[11:12]|, -0.5, 0.5
	v_mul_f64 v[21:22], v[11:12], v[11:12]
	v_cmp_ge_f64_e64 s[8:9], |v[11:12]|, 0.5
	v_cndmask_b32_e64 v22, v22, v26, s[8:9]
	v_cndmask_b32_e64 v21, v21, v25, s[8:9]
	v_fma_f64 v[23:24], v[21:22], s[22:23], v[5:6]
	v_fma_f64 v[23:24], v[21:22], v[23:24], s[24:25]
	;; [unrolled: 1-line block ×11, first 2 shown]
	v_mul_f64 v[23:24], v[21:22], v[23:24]
	v_fma_f64 v[21:22], |v[11:12]|, v[23:24], |v[11:12]|
	s_and_saveexec_b64 s[50:51], s[8:9]
	s_cbranch_execnz .LBB59_23
; %bb.19:                               ;   in Loop: Header=BB59_4 Depth=1
	s_or_b64 exec, exec, s[50:51]
	s_and_saveexec_b64 s[8:9], vcc
	s_xor_b64 s[8:9], exec, s[8:9]
	s_cbranch_execnz .LBB59_24
.LBB59_20:                              ;   in Loop: Header=BB59_4 Depth=1
	s_or_b64 exec, exec, s[8:9]
	s_and_saveexec_b64 s[8:9], s[0:1]
	s_cbranch_execnz .LBB59_25
.LBB59_21:                              ;   in Loop: Header=BB59_4 Depth=1
	s_or_b64 exec, exec, s[8:9]
	s_and_saveexec_b64 s[0:1], s[2:3]
	s_cbranch_execnz .LBB59_26
.LBB59_22:                              ;   in Loop: Header=BB59_4 Depth=1
	s_or_b64 exec, exec, s[0:1]
	s_and_saveexec_b64 s[0:1], s[6:7]
	s_cbranch_execz .LBB59_3
	s_branch .LBB59_27
.LBB59_23:                              ;   in Loop: Header=BB59_4 Depth=1
	v_rsq_f64_e32 v[21:22], v[25:26]
	v_cmp_eq_f64_e64 s[8:9], 0, v[25:26]
	v_mul_f64 v[35:36], v[25:26], v[21:22]
	v_mul_f64 v[21:22], v[21:22], 0.5
	v_fma_f64 v[37:38], -v[21:22], v[35:36], 0.5
	v_fma_f64 v[35:36], v[35:36], v[37:38], v[35:36]
	v_fma_f64 v[21:22], v[21:22], v[37:38], v[21:22]
	v_fma_f64 v[37:38], -v[35:36], v[35:36], v[25:26]
	v_fma_f64 v[21:22], v[37:38], v[21:22], v[35:36]
	v_cndmask_b32_e64 v22, v22, v26, s[8:9]
	v_cndmask_b32_e64 v21, v21, v25, s[8:9]
	v_mul_f64 v[35:36], v[21:22], v[21:22]
	v_add_f64 v[39:40], v[25:26], -v[35:36]
	v_fma_f64 v[37:38], v[21:22], v[21:22], -v[35:36]
	v_add_f64 v[25:26], v[25:26], -v[39:40]
	v_add_f64 v[25:26], v[25:26], -v[35:36]
	v_add_f64 v[35:36], v[21:22], v[21:22]
	v_add_f64 v[25:26], v[25:26], -v[37:38]
	v_rcp_f64_e32 v[37:38], v[35:36]
	v_add_f64 v[25:26], v[39:40], v[25:26]
	v_fma_f64 v[39:40], -v[35:36], v[37:38], 1.0
	v_fma_f64 v[37:38], v[39:40], v[37:38], v[37:38]
	v_fma_f64 v[39:40], -v[35:36], v[37:38], 1.0
	v_fma_f64 v[37:38], v[39:40], v[37:38], v[37:38]
	v_mul_f64 v[39:40], v[25:26], v[37:38]
	v_fma_f64 v[25:26], -v[35:36], v[39:40], v[25:26]
	v_fma_f64 v[25:26], v[25:26], v[37:38], v[39:40]
	v_cndmask_b32_e64 v26, v26, 0, s[8:9]
	v_cndmask_b32_e64 v25, v25, 0, s[8:9]
	v_add_f64 v[35:36], v[21:22], v[25:26]
	v_cmp_neq_f64_e64 s[8:9], |v[11:12]|, 1.0
	v_add_f64 v[21:22], v[35:36], -v[21:22]
	v_add_f64 v[21:22], v[25:26], -v[21:22]
	v_mul_f64 v[25:26], v[23:24], v[35:36]
	v_fma_f64 v[37:38], v[35:36], v[23:24], -v[25:26]
	v_fma_f64 v[23:24], v[21:22], v[23:24], v[37:38]
	v_add_f64 v[37:38], v[25:26], v[23:24]
	v_add_f64 v[25:26], v[37:38], -v[25:26]
	v_add_f64 v[23:24], v[23:24], -v[25:26]
	v_add_f64 v[25:26], v[35:36], v[37:38]
	v_add_f64 v[21:22], v[21:22], v[23:24]
	v_add_f64 v[35:36], v[25:26], -v[35:36]
	v_add_f64 v[35:36], v[37:38], -v[35:36]
	v_add_f64 v[21:22], v[21:22], v[35:36]
	v_add_f64 v[23:24], v[25:26], v[21:22]
	v_add_f64 v[35:36], -v[23:24], s[46:47]
	v_add_f64 v[25:26], v[23:24], -v[25:26]
	v_add_f64 v[37:38], -v[35:36], s[46:47]
	v_add_f64 v[21:22], v[25:26], -v[21:22]
	v_add_f64 v[23:24], v[37:38], -v[23:24]
	v_add_f64 v[23:24], v[23:24], s[48:49]
	v_add_f64 v[21:22], v[21:22], v[23:24]
	;; [unrolled: 1-line block ×4, first 2 shown]
	v_cndmask_b32_e64 v22, v33, v22, s[8:9]
	v_cndmask_b32_e64 v21, v34, v21, s[8:9]
	s_or_b64 exec, exec, s[50:51]
	s_and_saveexec_b64 s[8:9], vcc
	s_xor_b64 s[8:9], exec, s[8:9]
	s_cbranch_execz .LBB59_20
.LBB59_24:                              ;   in Loop: Header=BB59_4 Depth=1
	v_bfi_b32 v16, s55, v16, v10
	global_store_dwordx2 v[1:2], v[15:16], off
	s_or_b64 exec, exec, s[8:9]
	s_and_saveexec_b64 s[8:9], s[0:1]
	s_cbranch_execz .LBB59_21
.LBB59_25:                              ;   in Loop: Header=BB59_4 Depth=1
	v_bfi_b32 v18, s55, v18, v8
	global_store_dwordx2 v[3:4], v[17:18], off
	s_or_b64 exec, exec, s[8:9]
	s_and_saveexec_b64 s[0:1], s[2:3]
	s_cbranch_execz .LBB59_22
.LBB59_26:                              ;   in Loop: Header=BB59_4 Depth=1
	v_add_co_u32_e32 v7, vcc, s54, v1
	v_bfi_b32 v20, s55, v20, v14
	v_addc_co_u32_e32 v8, vcc, 0, v2, vcc
	global_store_dwordx2 v[7:8], v[19:20], off
	s_or_b64 exec, exec, s[0:1]
	s_and_saveexec_b64 s[0:1], s[6:7]
	s_cbranch_execz .LBB59_3
.LBB59_27:                              ;   in Loop: Header=BB59_4 Depth=1
	v_add_co_u32_e32 v7, vcc, s53, v1
	v_bfi_b32 v22, s55, v22, v12
	v_addc_co_u32_e32 v8, vcc, 0, v2, vcc
	global_store_dwordx2 v[7:8], v[21:22], off
	s_branch .LBB59_3
.LBB59_28:
	s_cbranch_execz .LBB59_30
	s_branch .LBB59_41
.LBB59_29:
.LBB59_30:
	v_mov_b32_e32 v1, 0x10000
	v_mov_b32_e32 v2, 0
	v_cmp_lt_i64_e32 vcc, s[14:15], v[1:2]
	v_mov_b32_e32 v2, 0
	s_and_b64 s[0:1], vcc, exec
	s_cselect_b32 s1, s15, 0
	s_cselect_b32 s0, s14, 0x10000
	v_lshlrev_b32_e32 v1, 2, v0
	v_cmp_gt_i64_e32 vcc, s[0:1], v[1:2]
	s_and_saveexec_b64 s[2:3], vcc
	s_cbranch_execz .LBB59_41
; %bb.31:
	s_load_dword s2, s[4:5], 0xd3c
	v_mov_b32_e32 v1, v2
	v_lshlrev_b32_e32 v2, 5, v0
	s_mov_b32 s4, 0x9fea6a70
	s_mov_b32 s6, 0x37024d6a
	s_waitcnt lgkmcnt(0)
	s_and_b32 s33, s2, 0xffff
	s_add_u32 s2, s10, s12
	s_addc_u32 s3, s11, s13
	v_mov_b32_e32 v3, s3
	v_add_co_u32_e32 v2, vcc, s2, v2
	v_addc_co_u32_e32 v3, vcc, 0, v3, vcc
	v_add_co_u32_e32 v18, vcc, 16, v2
	s_mov_b32 s8, 0x98a70509
	s_mov_b32 s10, 0xa300c8d2
	;; [unrolled: 1-line block ×11, first 2 shown]
	v_addc_co_u32_e32 v19, vcc, 0, v3, vcc
	s_lshl_b32 s34, s33, 5
	s_mov_b64 s[2:3], 0
	v_mov_b32_e32 v20, 0x78a05eaf
	v_mov_b32_e32 v21, 0xbf90a5a3
	s_mov_b32 s5, 0x3fa05985
	s_mov_b32 s7, 0x3f940521
	;; [unrolled: 1-line block ×13, first 2 shown]
	s_brev_b32 s35, -2
	v_mov_b32_e32 v26, 0x3ff921fb
	v_mov_b32_e32 v27, 0x54442d18
	s_branch .LBB59_33
.LBB59_32:                              ;   in Loop: Header=BB59_33 Depth=1
	s_or_b64 exec, exec, s[30:31]
	v_add_co_u32_e32 v0, vcc, s33, v0
	v_addc_co_u32_e32 v1, vcc, 0, v1, vcc
	v_bfi_b32 v11, s35, v11, v3
	v_lshlrev_b64 v[2:3], 2, v[0:1]
	v_bfi_b32 v15, s35, v15, v7
	v_cmp_le_i64_e32 vcc, s[0:1], v[2:3]
	v_bfi_b32 v13, s35, v13, v5
	v_bfi_b32 v17, s35, v17, v9
	global_store_dwordx4 v[18:19], v[10:13], off offset:-16
	global_store_dwordx4 v[18:19], v[14:17], off
	s_or_b64 s[2:3], vcc, s[2:3]
	v_add_co_u32_e32 v18, vcc, s34, v18
	v_addc_co_u32_e32 v19, vcc, 0, v19, vcc
	s_andn2_b64 exec, exec, s[2:3]
	s_cbranch_execz .LBB59_41
.LBB59_33:                              ; =>This Inner Loop Header: Depth=1
	global_load_dwordx4 v[2:5], v[18:19], off offset:-16
	s_waitcnt vmcnt(0)
	v_fma_f64 v[14:15], |v[2:3]|, -0.5, 0.5
	v_mul_f64 v[6:7], v[2:3], v[2:3]
	v_cmp_ge_f64_e64 vcc, |v[2:3]|, 0.5
	v_cndmask_b32_e32 v11, v7, v15, vcc
	v_cndmask_b32_e32 v10, v6, v14, vcc
	v_fma_f64 v[6:7], v[10:11], s[4:5], v[20:21]
	v_fma_f64 v[6:7], v[10:11], v[6:7], s[6:7]
	;; [unrolled: 1-line block ×3, first 2 shown]
	global_load_dwordx4 v[6:9], v[18:19], off
	v_fma_f64 v[12:13], v[10:11], v[12:13], s[10:11]
	v_fma_f64 v[12:13], v[10:11], v[12:13], s[12:13]
	;; [unrolled: 1-line block ×8, first 2 shown]
	v_mul_f64 v[12:13], v[10:11], v[12:13]
	v_fma_f64 v[10:11], |v[2:3]|, v[12:13], |v[2:3]|
	s_and_saveexec_b64 s[30:31], vcc
	s_cbranch_execz .LBB59_35
; %bb.34:                               ;   in Loop: Header=BB59_33 Depth=1
	v_rsq_f64_e32 v[10:11], v[14:15]
	v_cmp_eq_f64_e32 vcc, 0, v[14:15]
	v_mul_f64 v[16:17], v[14:15], v[10:11]
	v_mul_f64 v[10:11], v[10:11], 0.5
	v_fma_f64 v[22:23], -v[10:11], v[16:17], 0.5
	v_fma_f64 v[16:17], v[16:17], v[22:23], v[16:17]
	v_fma_f64 v[10:11], v[10:11], v[22:23], v[10:11]
	v_fma_f64 v[22:23], -v[16:17], v[16:17], v[14:15]
	v_fma_f64 v[10:11], v[22:23], v[10:11], v[16:17]
	v_cndmask_b32_e32 v11, v11, v15, vcc
	v_cndmask_b32_e32 v10, v10, v14, vcc
	v_add_f64 v[16:17], v[10:11], v[10:11]
	v_mul_f64 v[22:23], v[10:11], v[10:11]
	v_rcp_f64_e32 v[24:25], v[16:17]
	v_add_f64 v[28:29], v[14:15], -v[22:23]
	v_fma_f64 v[32:33], v[10:11], v[10:11], -v[22:23]
	v_add_f64 v[14:15], v[14:15], -v[28:29]
	v_fma_f64 v[30:31], -v[16:17], v[24:25], 1.0
	v_add_f64 v[14:15], v[14:15], -v[22:23]
	v_fma_f64 v[22:23], v[30:31], v[24:25], v[24:25]
	v_add_f64 v[14:15], v[14:15], -v[32:33]
	v_fma_f64 v[24:25], -v[16:17], v[22:23], 1.0
	v_add_f64 v[14:15], v[28:29], v[14:15]
	v_fma_f64 v[22:23], v[24:25], v[22:23], v[22:23]
	v_mul_f64 v[24:25], v[14:15], v[22:23]
	v_fma_f64 v[14:15], -v[16:17], v[24:25], v[14:15]
	v_fma_f64 v[14:15], v[14:15], v[22:23], v[24:25]
	v_cndmask_b32_e64 v15, v15, 0, vcc
	v_cndmask_b32_e64 v14, v14, 0, vcc
	v_add_f64 v[16:17], v[10:11], v[14:15]
	v_cmp_neq_f64_e64 vcc, |v[2:3]|, 1.0
	v_add_f64 v[10:11], v[16:17], -v[10:11]
	v_mul_f64 v[22:23], v[12:13], v[16:17]
	v_add_f64 v[10:11], v[14:15], -v[10:11]
	v_fma_f64 v[14:15], v[16:17], v[12:13], -v[22:23]
	v_fma_f64 v[12:13], v[10:11], v[12:13], v[14:15]
	v_add_f64 v[14:15], v[22:23], v[12:13]
	v_add_f64 v[24:25], v[16:17], v[14:15]
	v_add_f64 v[22:23], v[14:15], -v[22:23]
	v_add_f64 v[16:17], v[24:25], -v[16:17]
	;; [unrolled: 1-line block ×4, first 2 shown]
	v_add_f64 v[10:11], v[10:11], v[12:13]
	v_add_f64 v[10:11], v[10:11], v[14:15]
	;; [unrolled: 1-line block ×3, first 2 shown]
	v_add_f64 v[14:15], -v[12:13], s[26:27]
	v_add_f64 v[22:23], v[12:13], -v[24:25]
	v_add_f64 v[16:17], -v[14:15], s[26:27]
	v_add_f64 v[10:11], v[22:23], -v[10:11]
	v_add_f64 v[12:13], v[16:17], -v[12:13]
	v_add_f64 v[12:13], v[12:13], s[28:29]
	v_add_f64 v[10:11], v[10:11], v[12:13]
	;; [unrolled: 1-line block ×4, first 2 shown]
	v_cndmask_b32_e32 v11, v26, v11, vcc
	v_cndmask_b32_e32 v10, v27, v10, vcc
.LBB59_35:                              ;   in Loop: Header=BB59_33 Depth=1
	s_or_b64 exec, exec, s[30:31]
	v_fma_f64 v[16:17], |v[4:5]|, -0.5, 0.5
	v_mul_f64 v[12:13], v[4:5], v[4:5]
	v_cmp_ge_f64_e64 vcc, |v[4:5]|, 0.5
	v_cndmask_b32_e32 v13, v13, v17, vcc
	v_cndmask_b32_e32 v12, v12, v16, vcc
	v_fma_f64 v[14:15], v[12:13], s[4:5], v[20:21]
	v_fma_f64 v[14:15], v[12:13], v[14:15], s[6:7]
	;; [unrolled: 1-line block ×11, first 2 shown]
	v_mul_f64 v[14:15], v[12:13], v[14:15]
	v_fma_f64 v[12:13], |v[4:5]|, v[14:15], |v[4:5]|
	s_and_saveexec_b64 s[30:31], vcc
	s_cbranch_execz .LBB59_37
; %bb.36:                               ;   in Loop: Header=BB59_33 Depth=1
	v_rsq_f64_e32 v[12:13], v[16:17]
	v_cmp_eq_f64_e32 vcc, 0, v[16:17]
	v_mul_f64 v[22:23], v[16:17], v[12:13]
	v_mul_f64 v[12:13], v[12:13], 0.5
	v_fma_f64 v[24:25], -v[12:13], v[22:23], 0.5
	v_fma_f64 v[22:23], v[22:23], v[24:25], v[22:23]
	v_fma_f64 v[12:13], v[12:13], v[24:25], v[12:13]
	v_fma_f64 v[24:25], -v[22:23], v[22:23], v[16:17]
	v_fma_f64 v[12:13], v[24:25], v[12:13], v[22:23]
	v_cndmask_b32_e32 v13, v13, v17, vcc
	v_cndmask_b32_e32 v12, v12, v16, vcc
	v_mul_f64 v[22:23], v[12:13], v[12:13]
	v_add_f64 v[28:29], v[16:17], -v[22:23]
	v_fma_f64 v[24:25], v[12:13], v[12:13], -v[22:23]
	v_add_f64 v[16:17], v[16:17], -v[28:29]
	v_add_f64 v[16:17], v[16:17], -v[22:23]
	v_add_f64 v[22:23], v[12:13], v[12:13]
	v_add_f64 v[16:17], v[16:17], -v[24:25]
	v_rcp_f64_e32 v[24:25], v[22:23]
	v_add_f64 v[16:17], v[28:29], v[16:17]
	v_fma_f64 v[28:29], -v[22:23], v[24:25], 1.0
	v_fma_f64 v[24:25], v[28:29], v[24:25], v[24:25]
	v_fma_f64 v[28:29], -v[22:23], v[24:25], 1.0
	v_fma_f64 v[24:25], v[28:29], v[24:25], v[24:25]
	v_mul_f64 v[28:29], v[16:17], v[24:25]
	v_fma_f64 v[16:17], -v[22:23], v[28:29], v[16:17]
	v_fma_f64 v[16:17], v[16:17], v[24:25], v[28:29]
	v_cndmask_b32_e64 v17, v17, 0, vcc
	v_cndmask_b32_e64 v16, v16, 0, vcc
	v_add_f64 v[22:23], v[12:13], v[16:17]
	v_cmp_neq_f64_e64 vcc, |v[4:5]|, 1.0
	v_add_f64 v[12:13], v[22:23], -v[12:13]
	v_add_f64 v[12:13], v[16:17], -v[12:13]
	v_mul_f64 v[16:17], v[14:15], v[22:23]
	v_fma_f64 v[24:25], v[22:23], v[14:15], -v[16:17]
	v_fma_f64 v[14:15], v[12:13], v[14:15], v[24:25]
	v_add_f64 v[24:25], v[16:17], v[14:15]
	v_add_f64 v[16:17], v[24:25], -v[16:17]
	v_add_f64 v[14:15], v[14:15], -v[16:17]
	v_add_f64 v[16:17], v[22:23], v[24:25]
	v_add_f64 v[12:13], v[12:13], v[14:15]
	v_add_f64 v[22:23], v[16:17], -v[22:23]
	v_add_f64 v[22:23], v[24:25], -v[22:23]
	v_add_f64 v[12:13], v[12:13], v[22:23]
	v_add_f64 v[14:15], v[16:17], v[12:13]
	v_add_f64 v[22:23], -v[14:15], s[26:27]
	v_add_f64 v[16:17], v[14:15], -v[16:17]
	v_add_f64 v[24:25], -v[22:23], s[26:27]
	v_add_f64 v[12:13], v[16:17], -v[12:13]
	v_add_f64 v[14:15], v[24:25], -v[14:15]
	v_add_f64 v[14:15], v[14:15], s[28:29]
	v_add_f64 v[12:13], v[12:13], v[14:15]
	;; [unrolled: 1-line block ×4, first 2 shown]
	v_cndmask_b32_e32 v13, v26, v13, vcc
	v_cndmask_b32_e32 v12, v27, v12, vcc
.LBB59_37:                              ;   in Loop: Header=BB59_33 Depth=1
	s_or_b64 exec, exec, s[30:31]
	s_waitcnt vmcnt(0)
	v_fma_f64 v[22:23], |v[6:7]|, -0.5, 0.5
	v_mul_f64 v[14:15], v[6:7], v[6:7]
	v_cmp_ge_f64_e64 vcc, |v[6:7]|, 0.5
	v_cndmask_b32_e32 v15, v15, v23, vcc
	v_cndmask_b32_e32 v14, v14, v22, vcc
	v_fma_f64 v[16:17], v[14:15], s[4:5], v[20:21]
	v_fma_f64 v[16:17], v[14:15], v[16:17], s[6:7]
	;; [unrolled: 1-line block ×11, first 2 shown]
	v_mul_f64 v[16:17], v[14:15], v[16:17]
	v_fma_f64 v[14:15], |v[6:7]|, v[16:17], |v[6:7]|
	s_and_saveexec_b64 s[30:31], vcc
	s_cbranch_execz .LBB59_39
; %bb.38:                               ;   in Loop: Header=BB59_33 Depth=1
	v_rsq_f64_e32 v[14:15], v[22:23]
	v_cmp_eq_f64_e32 vcc, 0, v[22:23]
	v_mul_f64 v[24:25], v[22:23], v[14:15]
	v_mul_f64 v[14:15], v[14:15], 0.5
	v_fma_f64 v[28:29], -v[14:15], v[24:25], 0.5
	v_fma_f64 v[24:25], v[24:25], v[28:29], v[24:25]
	v_fma_f64 v[14:15], v[14:15], v[28:29], v[14:15]
	v_fma_f64 v[28:29], -v[24:25], v[24:25], v[22:23]
	v_fma_f64 v[14:15], v[28:29], v[14:15], v[24:25]
	v_cndmask_b32_e32 v15, v15, v23, vcc
	v_cndmask_b32_e32 v14, v14, v22, vcc
	v_mul_f64 v[24:25], v[14:15], v[14:15]
	v_add_f64 v[30:31], v[22:23], -v[24:25]
	v_fma_f64 v[28:29], v[14:15], v[14:15], -v[24:25]
	v_add_f64 v[22:23], v[22:23], -v[30:31]
	v_add_f64 v[22:23], v[22:23], -v[24:25]
	v_add_f64 v[24:25], v[14:15], v[14:15]
	v_add_f64 v[22:23], v[22:23], -v[28:29]
	v_rcp_f64_e32 v[28:29], v[24:25]
	v_add_f64 v[22:23], v[30:31], v[22:23]
	v_fma_f64 v[30:31], -v[24:25], v[28:29], 1.0
	v_fma_f64 v[28:29], v[30:31], v[28:29], v[28:29]
	v_fma_f64 v[30:31], -v[24:25], v[28:29], 1.0
	v_fma_f64 v[28:29], v[30:31], v[28:29], v[28:29]
	v_mul_f64 v[30:31], v[22:23], v[28:29]
	v_fma_f64 v[22:23], -v[24:25], v[30:31], v[22:23]
	v_fma_f64 v[22:23], v[22:23], v[28:29], v[30:31]
	v_cndmask_b32_e64 v23, v23, 0, vcc
	v_cndmask_b32_e64 v22, v22, 0, vcc
	v_add_f64 v[24:25], v[14:15], v[22:23]
	v_cmp_neq_f64_e64 vcc, |v[6:7]|, 1.0
	v_add_f64 v[14:15], v[24:25], -v[14:15]
	v_add_f64 v[14:15], v[22:23], -v[14:15]
	v_mul_f64 v[22:23], v[16:17], v[24:25]
	v_fma_f64 v[28:29], v[24:25], v[16:17], -v[22:23]
	v_fma_f64 v[16:17], v[14:15], v[16:17], v[28:29]
	v_add_f64 v[28:29], v[22:23], v[16:17]
	v_add_f64 v[22:23], v[28:29], -v[22:23]
	v_add_f64 v[16:17], v[16:17], -v[22:23]
	v_add_f64 v[22:23], v[24:25], v[28:29]
	v_add_f64 v[14:15], v[14:15], v[16:17]
	v_add_f64 v[24:25], v[22:23], -v[24:25]
	v_add_f64 v[24:25], v[28:29], -v[24:25]
	v_add_f64 v[14:15], v[14:15], v[24:25]
	v_add_f64 v[16:17], v[22:23], v[14:15]
	v_add_f64 v[24:25], -v[16:17], s[26:27]
	v_add_f64 v[22:23], v[16:17], -v[22:23]
	v_add_f64 v[28:29], -v[24:25], s[26:27]
	v_add_f64 v[14:15], v[22:23], -v[14:15]
	v_add_f64 v[16:17], v[28:29], -v[16:17]
	v_add_f64 v[16:17], v[16:17], s[28:29]
	v_add_f64 v[14:15], v[14:15], v[16:17]
	;; [unrolled: 1-line block ×4, first 2 shown]
	v_cndmask_b32_e32 v15, v26, v15, vcc
	v_cndmask_b32_e32 v14, v27, v14, vcc
.LBB59_39:                              ;   in Loop: Header=BB59_33 Depth=1
	s_or_b64 exec, exec, s[30:31]
	v_fma_f64 v[24:25], |v[8:9]|, -0.5, 0.5
	v_mul_f64 v[16:17], v[8:9], v[8:9]
	v_cmp_ge_f64_e64 vcc, |v[8:9]|, 0.5
	v_cndmask_b32_e32 v17, v17, v25, vcc
	v_cndmask_b32_e32 v16, v16, v24, vcc
	v_fma_f64 v[22:23], v[16:17], s[4:5], v[20:21]
	v_fma_f64 v[22:23], v[16:17], v[22:23], s[6:7]
	v_fma_f64 v[22:23], v[16:17], v[22:23], s[8:9]
	v_fma_f64 v[22:23], v[16:17], v[22:23], s[10:11]
	v_fma_f64 v[22:23], v[16:17], v[22:23], s[12:13]
	v_fma_f64 v[22:23], v[16:17], v[22:23], s[14:15]
	v_fma_f64 v[22:23], v[16:17], v[22:23], s[16:17]
	v_fma_f64 v[22:23], v[16:17], v[22:23], s[18:19]
	v_fma_f64 v[22:23], v[16:17], v[22:23], s[20:21]
	v_fma_f64 v[22:23], v[16:17], v[22:23], s[22:23]
	v_fma_f64 v[22:23], v[16:17], v[22:23], s[24:25]
	v_mul_f64 v[22:23], v[16:17], v[22:23]
	v_fma_f64 v[16:17], |v[8:9]|, v[22:23], |v[8:9]|
	s_and_saveexec_b64 s[30:31], vcc
	s_cbranch_execz .LBB59_32
; %bb.40:                               ;   in Loop: Header=BB59_33 Depth=1
	v_rsq_f64_e32 v[16:17], v[24:25]
	v_cmp_eq_f64_e32 vcc, 0, v[24:25]
	v_mul_f64 v[28:29], v[24:25], v[16:17]
	v_mul_f64 v[16:17], v[16:17], 0.5
	v_fma_f64 v[30:31], -v[16:17], v[28:29], 0.5
	v_fma_f64 v[28:29], v[28:29], v[30:31], v[28:29]
	v_fma_f64 v[16:17], v[16:17], v[30:31], v[16:17]
	v_fma_f64 v[30:31], -v[28:29], v[28:29], v[24:25]
	v_fma_f64 v[16:17], v[30:31], v[16:17], v[28:29]
	v_cndmask_b32_e32 v17, v17, v25, vcc
	v_cndmask_b32_e32 v16, v16, v24, vcc
	v_mul_f64 v[28:29], v[16:17], v[16:17]
	v_add_f64 v[32:33], v[24:25], -v[28:29]
	v_fma_f64 v[30:31], v[16:17], v[16:17], -v[28:29]
	v_add_f64 v[24:25], v[24:25], -v[32:33]
	v_add_f64 v[24:25], v[24:25], -v[28:29]
	v_add_f64 v[28:29], v[16:17], v[16:17]
	v_add_f64 v[24:25], v[24:25], -v[30:31]
	v_rcp_f64_e32 v[30:31], v[28:29]
	v_add_f64 v[24:25], v[32:33], v[24:25]
	v_fma_f64 v[32:33], -v[28:29], v[30:31], 1.0
	v_fma_f64 v[30:31], v[32:33], v[30:31], v[30:31]
	v_fma_f64 v[32:33], -v[28:29], v[30:31], 1.0
	v_fma_f64 v[30:31], v[32:33], v[30:31], v[30:31]
	v_mul_f64 v[32:33], v[24:25], v[30:31]
	v_fma_f64 v[24:25], -v[28:29], v[32:33], v[24:25]
	v_fma_f64 v[24:25], v[24:25], v[30:31], v[32:33]
	v_cndmask_b32_e64 v25, v25, 0, vcc
	v_cndmask_b32_e64 v24, v24, 0, vcc
	v_add_f64 v[28:29], v[16:17], v[24:25]
	v_cmp_neq_f64_e64 vcc, |v[8:9]|, 1.0
	v_add_f64 v[16:17], v[28:29], -v[16:17]
	v_add_f64 v[16:17], v[24:25], -v[16:17]
	v_mul_f64 v[24:25], v[22:23], v[28:29]
	v_fma_f64 v[30:31], v[28:29], v[22:23], -v[24:25]
	v_fma_f64 v[22:23], v[16:17], v[22:23], v[30:31]
	v_add_f64 v[30:31], v[24:25], v[22:23]
	v_add_f64 v[24:25], v[30:31], -v[24:25]
	v_add_f64 v[22:23], v[22:23], -v[24:25]
	v_add_f64 v[24:25], v[28:29], v[30:31]
	v_add_f64 v[16:17], v[16:17], v[22:23]
	v_add_f64 v[28:29], v[24:25], -v[28:29]
	v_add_f64 v[28:29], v[30:31], -v[28:29]
	v_add_f64 v[16:17], v[16:17], v[28:29]
	v_add_f64 v[22:23], v[24:25], v[16:17]
	v_add_f64 v[28:29], -v[22:23], s[26:27]
	v_add_f64 v[24:25], v[22:23], -v[24:25]
	v_add_f64 v[30:31], -v[28:29], s[26:27]
	v_add_f64 v[16:17], v[24:25], -v[16:17]
	v_add_f64 v[22:23], v[30:31], -v[22:23]
	v_add_f64 v[22:23], v[22:23], s[28:29]
	v_add_f64 v[16:17], v[16:17], v[22:23]
	;; [unrolled: 1-line block ×4, first 2 shown]
	v_cndmask_b32_e32 v17, v26, v17, vcc
	v_cndmask_b32_e32 v16, v27, v16, vcc
	s_branch .LBB59_32
.LBB59_41:
	s_endpgm
	.section	.rodata,"a",@progbits
	.p2align	6, 0x0
	.amdhsa_kernel _ZN2at6native12_GLOBAL__N_125multi_tensor_apply_kernelINS1_18TensorListMetadataILi1EEENS1_14UnaryOpFunctorIdLi1ELi1ELi0EEEJNS0_4AsinIdEEEEEvT_T0_DpT1_
		.amdhsa_group_segment_fixed_size 0
		.amdhsa_private_segment_fixed_size 0
		.amdhsa_kernarg_size 3632
		.amdhsa_user_sgpr_count 6
		.amdhsa_user_sgpr_private_segment_buffer 1
		.amdhsa_user_sgpr_dispatch_ptr 0
		.amdhsa_user_sgpr_queue_ptr 0
		.amdhsa_user_sgpr_kernarg_segment_ptr 1
		.amdhsa_user_sgpr_dispatch_id 0
		.amdhsa_user_sgpr_flat_scratch_init 0
		.amdhsa_user_sgpr_private_segment_size 0
		.amdhsa_uses_dynamic_stack 0
		.amdhsa_system_sgpr_private_segment_wavefront_offset 0
		.amdhsa_system_sgpr_workgroup_id_x 1
		.amdhsa_system_sgpr_workgroup_id_y 0
		.amdhsa_system_sgpr_workgroup_id_z 0
		.amdhsa_system_sgpr_workgroup_info 0
		.amdhsa_system_vgpr_workitem_id 0
		.amdhsa_next_free_vgpr 41
		.amdhsa_next_free_sgpr 56
		.amdhsa_reserve_vcc 1
		.amdhsa_reserve_flat_scratch 0
		.amdhsa_float_round_mode_32 0
		.amdhsa_float_round_mode_16_64 0
		.amdhsa_float_denorm_mode_32 3
		.amdhsa_float_denorm_mode_16_64 3
		.amdhsa_dx10_clamp 1
		.amdhsa_ieee_mode 1
		.amdhsa_fp16_overflow 0
		.amdhsa_exception_fp_ieee_invalid_op 0
		.amdhsa_exception_fp_denorm_src 0
		.amdhsa_exception_fp_ieee_div_zero 0
		.amdhsa_exception_fp_ieee_overflow 0
		.amdhsa_exception_fp_ieee_underflow 0
		.amdhsa_exception_fp_ieee_inexact 0
		.amdhsa_exception_int_div_zero 0
	.end_amdhsa_kernel
	.section	.text._ZN2at6native12_GLOBAL__N_125multi_tensor_apply_kernelINS1_18TensorListMetadataILi1EEENS1_14UnaryOpFunctorIdLi1ELi1ELi0EEEJNS0_4AsinIdEEEEEvT_T0_DpT1_,"axG",@progbits,_ZN2at6native12_GLOBAL__N_125multi_tensor_apply_kernelINS1_18TensorListMetadataILi1EEENS1_14UnaryOpFunctorIdLi1ELi1ELi0EEEJNS0_4AsinIdEEEEEvT_T0_DpT1_,comdat
.Lfunc_end59:
	.size	_ZN2at6native12_GLOBAL__N_125multi_tensor_apply_kernelINS1_18TensorListMetadataILi1EEENS1_14UnaryOpFunctorIdLi1ELi1ELi0EEEJNS0_4AsinIdEEEEEvT_T0_DpT1_, .Lfunc_end59-_ZN2at6native12_GLOBAL__N_125multi_tensor_apply_kernelINS1_18TensorListMetadataILi1EEENS1_14UnaryOpFunctorIdLi1ELi1ELi0EEEJNS0_4AsinIdEEEEEvT_T0_DpT1_
                                        ; -- End function
	.set _ZN2at6native12_GLOBAL__N_125multi_tensor_apply_kernelINS1_18TensorListMetadataILi1EEENS1_14UnaryOpFunctorIdLi1ELi1ELi0EEEJNS0_4AsinIdEEEEEvT_T0_DpT1_.num_vgpr, 41
	.set _ZN2at6native12_GLOBAL__N_125multi_tensor_apply_kernelINS1_18TensorListMetadataILi1EEENS1_14UnaryOpFunctorIdLi1ELi1ELi0EEEJNS0_4AsinIdEEEEEvT_T0_DpT1_.num_agpr, 0
	.set _ZN2at6native12_GLOBAL__N_125multi_tensor_apply_kernelINS1_18TensorListMetadataILi1EEENS1_14UnaryOpFunctorIdLi1ELi1ELi0EEEJNS0_4AsinIdEEEEEvT_T0_DpT1_.numbered_sgpr, 56
	.set _ZN2at6native12_GLOBAL__N_125multi_tensor_apply_kernelINS1_18TensorListMetadataILi1EEENS1_14UnaryOpFunctorIdLi1ELi1ELi0EEEJNS0_4AsinIdEEEEEvT_T0_DpT1_.num_named_barrier, 0
	.set _ZN2at6native12_GLOBAL__N_125multi_tensor_apply_kernelINS1_18TensorListMetadataILi1EEENS1_14UnaryOpFunctorIdLi1ELi1ELi0EEEJNS0_4AsinIdEEEEEvT_T0_DpT1_.private_seg_size, 0
	.set _ZN2at6native12_GLOBAL__N_125multi_tensor_apply_kernelINS1_18TensorListMetadataILi1EEENS1_14UnaryOpFunctorIdLi1ELi1ELi0EEEJNS0_4AsinIdEEEEEvT_T0_DpT1_.uses_vcc, 1
	.set _ZN2at6native12_GLOBAL__N_125multi_tensor_apply_kernelINS1_18TensorListMetadataILi1EEENS1_14UnaryOpFunctorIdLi1ELi1ELi0EEEJNS0_4AsinIdEEEEEvT_T0_DpT1_.uses_flat_scratch, 0
	.set _ZN2at6native12_GLOBAL__N_125multi_tensor_apply_kernelINS1_18TensorListMetadataILi1EEENS1_14UnaryOpFunctorIdLi1ELi1ELi0EEEJNS0_4AsinIdEEEEEvT_T0_DpT1_.has_dyn_sized_stack, 0
	.set _ZN2at6native12_GLOBAL__N_125multi_tensor_apply_kernelINS1_18TensorListMetadataILi1EEENS1_14UnaryOpFunctorIdLi1ELi1ELi0EEEJNS0_4AsinIdEEEEEvT_T0_DpT1_.has_recursion, 0
	.set _ZN2at6native12_GLOBAL__N_125multi_tensor_apply_kernelINS1_18TensorListMetadataILi1EEENS1_14UnaryOpFunctorIdLi1ELi1ELi0EEEJNS0_4AsinIdEEEEEvT_T0_DpT1_.has_indirect_call, 0
	.section	.AMDGPU.csdata,"",@progbits
; Kernel info:
; codeLenInByte = 6200
; TotalNumSgprs: 60
; NumVgprs: 41
; ScratchSize: 0
; MemoryBound: 0
; FloatMode: 240
; IeeeMode: 1
; LDSByteSize: 0 bytes/workgroup (compile time only)
; SGPRBlocks: 7
; VGPRBlocks: 10
; NumSGPRsForWavesPerEU: 60
; NumVGPRsForWavesPerEU: 41
; Occupancy: 5
; WaveLimiterHint : 0
; COMPUTE_PGM_RSRC2:SCRATCH_EN: 0
; COMPUTE_PGM_RSRC2:USER_SGPR: 6
; COMPUTE_PGM_RSRC2:TRAP_HANDLER: 0
; COMPUTE_PGM_RSRC2:TGID_X_EN: 1
; COMPUTE_PGM_RSRC2:TGID_Y_EN: 0
; COMPUTE_PGM_RSRC2:TGID_Z_EN: 0
; COMPUTE_PGM_RSRC2:TIDIG_COMP_CNT: 0
	.section	.text._ZN2at6native12_GLOBAL__N_125multi_tensor_apply_kernelINS1_18TensorListMetadataILi1EEENS1_14UnaryOpFunctorIfLi1ELi1ELi0EEEJNS0_4AsinIfEEEEEvT_T0_DpT1_,"axG",@progbits,_ZN2at6native12_GLOBAL__N_125multi_tensor_apply_kernelINS1_18TensorListMetadataILi1EEENS1_14UnaryOpFunctorIfLi1ELi1ELi0EEEJNS0_4AsinIfEEEEEvT_T0_DpT1_,comdat
	.globl	_ZN2at6native12_GLOBAL__N_125multi_tensor_apply_kernelINS1_18TensorListMetadataILi1EEENS1_14UnaryOpFunctorIfLi1ELi1ELi0EEEJNS0_4AsinIfEEEEEvT_T0_DpT1_ ; -- Begin function _ZN2at6native12_GLOBAL__N_125multi_tensor_apply_kernelINS1_18TensorListMetadataILi1EEENS1_14UnaryOpFunctorIfLi1ELi1ELi0EEEJNS0_4AsinIfEEEEEvT_T0_DpT1_
	.p2align	8
	.type	_ZN2at6native12_GLOBAL__N_125multi_tensor_apply_kernelINS1_18TensorListMetadataILi1EEENS1_14UnaryOpFunctorIfLi1ELi1ELi0EEEJNS0_4AsinIfEEEEEvT_T0_DpT1_,@function
_ZN2at6native12_GLOBAL__N_125multi_tensor_apply_kernelINS1_18TensorListMetadataILi1EEENS1_14UnaryOpFunctorIfLi1ELi1ELi0EEEJNS0_4AsinIfEEEEEvT_T0_DpT1_: ; @_ZN2at6native12_GLOBAL__N_125multi_tensor_apply_kernelINS1_18TensorListMetadataILi1EEENS1_14UnaryOpFunctorIfLi1ELi1ELi0EEEJNS0_4AsinIfEEEEEvT_T0_DpT1_
; %bb.0:
	v_mov_b32_e32 v1, s6
	global_load_ubyte v1, v1, s[4:5] offset:1760
	s_add_u32 s0, s4, s6
	s_mul_hi_u32 s1, s6, 3
	s_mul_i32 s6, s6, 3
	s_addc_u32 s2, s5, 0
	s_add_u32 s0, s0, s6
	s_addc_u32 s1, s2, s1
	s_load_dword s0, s[0:1], 0x820
	s_mov_b32 s7, 0
	s_waitcnt vmcnt(0)
	v_readfirstlane_b32 s1, v1
	s_lshl_b32 s1, s1, 3
	s_load_dwordx2 s[2:3], s[4:5], s1 offset:0x370
	s_load_dwordx2 s[10:11], s[4:5], s1 offset:0x0
	s_waitcnt lgkmcnt(0)
	s_ashr_i32 s1, s0, 31
	s_lshl_b64 s[12:13], s[0:1], 18
	s_lshl_b64 s[0:1], s[0:1], 16
	s_and_b32 s6, s10, 15
	s_sub_u32 s14, s2, s0
	s_subb_u32 s15, s3, s1
	s_and_b32 s0, s2, 3
	s_mov_b32 s1, s7
	s_or_b64 s[0:1], s[6:7], s[0:1]
	s_cmp_eq_u64 s[0:1], 0
	s_cbranch_scc1 .LBB60_21
; %bb.1:
	v_cmp_lt_i64_e64 s[0:1], s[14:15], 1
	s_and_b64 vcc, exec, s[0:1]
	s_cbranch_vccnz .LBB60_20
; %bb.2:
	v_mov_b32_e32 v1, 0x10000
	s_load_dword s2, s[4:5], 0xd3c
	v_mov_b32_e32 v2, 0
	v_cmp_lt_i64_e32 vcc, s[14:15], v[1:2]
	s_mov_b64 s[20:21], 0
	s_and_b64 s[0:1], vcc, exec
	v_cmp_lt_u64_e32 vcc, s[14:15], v[1:2]
	s_cselect_b32 s17, s15, 0
	s_cselect_b32 s16, s14, 0x10000
	s_waitcnt lgkmcnt(0)
	s_and_b32 s2, s2, 0xffff
	s_and_b64 s[0:1], vcc, exec
	s_cselect_b32 s19, s15, 0
	s_cselect_b32 s18, s14, 0x10000
	s_lshl_b32 s3, s2, 1
	s_lshl_b32 s24, s2, 2
	s_add_u32 s6, s10, s12
	v_lshlrev_b32_e32 v1, 2, v0
	s_addc_u32 s7, s11, s13
	v_mov_b32_e32 v2, s7
	v_add_co_u32_e32 v1, vcc, s6, v1
	s_mul_i32 s0, s2, 3
	v_addc_co_u32_e32 v2, vcc, 0, v2, vcc
	v_add_co_u32_e32 v5, vcc, s0, v0
	v_addc_co_u32_e64 v6, s[0:1], 0, 0, vcc
	v_add_co_u32_e32 v7, vcc, s3, v0
	v_addc_co_u32_e64 v8, s[0:1], 0, 0, vcc
	v_add_co_u32_e32 v9, vcc, s2, v0
	v_lshlrev_b32_e32 v3, 2, v9
	v_addc_co_u32_e64 v10, s[0:1], 0, 0, vcc
	v_mov_b32_e32 v4, s7
	v_add_co_u32_e32 v3, vcc, s6, v3
	s_lshl_b32 s25, s2, 4
	s_mul_i32 s26, s2, 12
	s_lshl_b32 s27, s2, 3
	v_addc_co_u32_e32 v4, vcc, 0, v4, vcc
	v_mov_b32_e32 v11, 0x3d034c3c
	v_mov_b32_e32 v12, 0x3d3641b1
	;; [unrolled: 1-line block ×4, first 2 shown]
	s_brev_b32 s28, -2
	s_branch .LBB60_4
.LBB60_3:                               ;   in Loop: Header=BB60_4 Depth=1
	s_or_b64 exec, exec, s[0:1]
	s_add_u32 s20, s20, s24
	v_add_co_u32_e32 v1, vcc, s25, v1
	s_waitcnt vmcnt(0)
	v_mov_b32_e32 v15, s16
	s_addc_u32 s21, s21, 0
	v_addc_co_u32_e32 v2, vcc, 0, v2, vcc
	v_mov_b32_e32 v16, s17
	v_cmp_lt_i64_e32 vcc, s[20:21], v[15:16]
	v_add_co_u32_e64 v3, s[0:1], s25, v3
	v_addc_co_u32_e64 v4, s[0:1], 0, v4, s[0:1]
	s_cbranch_vccz .LBB60_20
.LBB60_4:                               ; =>This Inner Loop Header: Depth=1
	v_mov_b32_e32 v16, s21
	v_add_co_u32_e32 v15, vcc, s20, v0
	v_addc_co_u32_e32 v16, vcc, 0, v16, vcc
	v_cmp_gt_u64_e64 s[6:7], s[18:19], v[15:16]
	v_mov_b32_e32 v18, 0
	s_and_saveexec_b64 s[0:1], s[6:7]
	s_cbranch_execz .LBB60_6
; %bb.5:                                ;   in Loop: Header=BB60_4 Depth=1
	global_load_dword v18, v[1:2], off
.LBB60_6:                               ;   in Loop: Header=BB60_4 Depth=1
	s_or_b64 exec, exec, s[0:1]
	v_mov_b32_e32 v16, s21
	v_add_co_u32_e32 v15, vcc, s20, v9
	v_addc_co_u32_e32 v16, vcc, v10, v16, vcc
	v_cmp_gt_u64_e64 s[2:3], s[18:19], v[15:16]
	v_mov_b32_e32 v15, 0
	v_mov_b32_e32 v17, 0
	s_and_saveexec_b64 s[0:1], s[2:3]
	s_cbranch_execz .LBB60_8
; %bb.7:                                ;   in Loop: Header=BB60_4 Depth=1
	global_load_dword v17, v[3:4], off
.LBB60_8:                               ;   in Loop: Header=BB60_4 Depth=1
	s_or_b64 exec, exec, s[0:1]
	v_mov_b32_e32 v16, s21
	v_add_co_u32_e32 v19, vcc, s20, v7
	v_addc_co_u32_e32 v20, vcc, v8, v16, vcc
	v_cmp_gt_u64_e64 s[0:1], s[18:19], v[19:20]
	s_and_saveexec_b64 s[8:9], s[0:1]
	s_cbranch_execz .LBB60_10
; %bb.9:                                ;   in Loop: Header=BB60_4 Depth=1
	v_add_co_u32_e32 v15, vcc, s27, v1
	v_addc_co_u32_e32 v16, vcc, 0, v2, vcc
	global_load_dword v15, v[15:16], off
.LBB60_10:                              ;   in Loop: Header=BB60_4 Depth=1
	s_or_b64 exec, exec, s[8:9]
	v_mov_b32_e32 v16, s21
	v_add_co_u32_e32 v19, vcc, s20, v5
	v_addc_co_u32_e32 v20, vcc, v6, v16, vcc
	v_cmp_gt_u64_e32 vcc, s[18:19], v[19:20]
	v_mov_b32_e32 v16, 0
	s_and_saveexec_b64 s[22:23], vcc
	s_cbranch_execnz .LBB60_15
; %bb.11:                               ;   in Loop: Header=BB60_4 Depth=1
	s_or_b64 exec, exec, s[22:23]
	s_and_saveexec_b64 s[8:9], s[6:7]
	s_cbranch_execnz .LBB60_16
.LBB60_12:                              ;   in Loop: Header=BB60_4 Depth=1
	s_or_b64 exec, exec, s[8:9]
	s_and_saveexec_b64 s[6:7], s[2:3]
	s_cbranch_execnz .LBB60_17
.LBB60_13:                              ;   in Loop: Header=BB60_4 Depth=1
	s_or_b64 exec, exec, s[6:7]
	s_and_saveexec_b64 s[2:3], s[0:1]
	s_cbranch_execnz .LBB60_18
.LBB60_14:                              ;   in Loop: Header=BB60_4 Depth=1
	s_or_b64 exec, exec, s[2:3]
	s_and_saveexec_b64 s[0:1], vcc
	s_cbranch_execz .LBB60_3
	s_branch .LBB60_19
.LBB60_15:                              ;   in Loop: Header=BB60_4 Depth=1
	v_add_co_u32_e64 v19, s[8:9], s26, v1
	v_addc_co_u32_e64 v20, s[8:9], 0, v2, s[8:9]
	global_load_dword v16, v[19:20], off
	s_or_b64 exec, exec, s[22:23]
	s_and_saveexec_b64 s[8:9], s[6:7]
	s_cbranch_execz .LBB60_12
.LBB60_16:                              ;   in Loop: Header=BB60_4 Depth=1
	s_waitcnt vmcnt(0)
	v_fma_f32 v19, |v18|, -0.5, 0.5
	v_mul_f32_e32 v20, v18, v18
	v_cmp_ge_f32_e64 s[6:7], |v18|, 0.5
	v_cndmask_b32_e64 v19, v20, v19, s[6:7]
	v_mov_b32_e32 v20, 0x3c5fc5da
	v_fmac_f32_e32 v20, 0x3d1c21a7, v19
	v_fma_f32 v20, v19, v20, v11
	v_fma_f32 v20, v19, v20, v12
	v_sqrt_f32_e32 v21, v19
	v_fma_f32 v20, v19, v20, v13
	v_fma_f32 v20, v19, v20, v14
	v_mul_f32_e32 v19, v19, v20
	v_fmac_f32_e32 v21, v21, v19
	v_fma_f32 v20, |v18|, v19, |v18|
	v_add_f32_e32 v19, v21, v21
	v_sub_f32_e32 v19, 0x3fc90fdb, v19
	v_cmp_lt_f32_e64 s[6:7], |v18|, 0.5
	v_cndmask_b32_e64 v19, v19, v20, s[6:7]
	v_bfi_b32 v18, s28, v19, v18
	global_store_dword v[1:2], v18, off
	s_or_b64 exec, exec, s[8:9]
	s_and_saveexec_b64 s[6:7], s[2:3]
	s_cbranch_execz .LBB60_13
.LBB60_17:                              ;   in Loop: Header=BB60_4 Depth=1
	s_waitcnt vmcnt(0)
	v_fma_f32 v18, |v17|, -0.5, 0.5
	v_mul_f32_e32 v19, v17, v17
	v_cmp_ge_f32_e64 s[2:3], |v17|, 0.5
	v_cndmask_b32_e64 v18, v19, v18, s[2:3]
	v_mov_b32_e32 v19, 0x3c5fc5da
	v_fmac_f32_e32 v19, 0x3d1c21a7, v18
	v_fma_f32 v19, v18, v19, v11
	v_fma_f32 v19, v18, v19, v12
	v_sqrt_f32_e32 v20, v18
	v_fma_f32 v19, v18, v19, v13
	v_fma_f32 v19, v18, v19, v14
	v_mul_f32_e32 v18, v18, v19
	v_fmac_f32_e32 v20, v20, v18
	v_add_f32_e32 v19, v20, v20
	v_sub_f32_e32 v19, 0x3fc90fdb, v19
	v_fma_f32 v18, |v17|, v18, |v17|
	v_cmp_lt_f32_e64 s[2:3], |v17|, 0.5
	v_cndmask_b32_e64 v18, v19, v18, s[2:3]
	v_bfi_b32 v17, s28, v18, v17
	global_store_dword v[3:4], v17, off
	s_or_b64 exec, exec, s[6:7]
	s_and_saveexec_b64 s[2:3], s[0:1]
	s_cbranch_execz .LBB60_14
.LBB60_18:                              ;   in Loop: Header=BB60_4 Depth=1
	s_waitcnt vmcnt(0)
	v_fma_f32 v17, |v15|, -0.5, 0.5
	v_mul_f32_e32 v18, v15, v15
	v_cmp_ge_f32_e64 s[0:1], |v15|, 0.5
	v_cndmask_b32_e64 v17, v18, v17, s[0:1]
	v_mov_b32_e32 v18, 0x3c5fc5da
	v_fmac_f32_e32 v18, 0x3d1c21a7, v17
	v_fma_f32 v18, v17, v18, v11
	v_fma_f32 v18, v17, v18, v12
	v_sqrt_f32_e32 v19, v17
	v_fma_f32 v18, v17, v18, v13
	v_fma_f32 v18, v17, v18, v14
	v_mul_f32_e32 v17, v17, v18
	v_fmac_f32_e32 v19, v19, v17
	v_add_f32_e32 v18, v19, v19
	v_sub_f32_e32 v18, 0x3fc90fdb, v18
	v_fma_f32 v17, |v15|, v17, |v15|
	v_cmp_lt_f32_e64 s[0:1], |v15|, 0.5
	v_cndmask_b32_e64 v17, v18, v17, s[0:1]
	v_bfi_b32 v15, s28, v17, v15
	v_add_co_u32_e64 v17, s[0:1], s27, v1
	v_addc_co_u32_e64 v18, s[0:1], 0, v2, s[0:1]
	global_store_dword v[17:18], v15, off
	s_or_b64 exec, exec, s[2:3]
	s_and_saveexec_b64 s[0:1], vcc
	s_cbranch_execz .LBB60_3
.LBB60_19:                              ;   in Loop: Header=BB60_4 Depth=1
	s_waitcnt vmcnt(0)
	v_fma_f32 v15, |v16|, -0.5, 0.5
	v_mul_f32_e32 v17, v16, v16
	v_cmp_ge_f32_e64 vcc, |v16|, 0.5
	v_cndmask_b32_e32 v15, v17, v15, vcc
	v_mov_b32_e32 v17, 0x3c5fc5da
	v_fmac_f32_e32 v17, 0x3d1c21a7, v15
	v_fma_f32 v17, v15, v17, v11
	v_fma_f32 v17, v15, v17, v12
	v_sqrt_f32_e32 v18, v15
	v_fma_f32 v17, v15, v17, v13
	v_fma_f32 v17, v15, v17, v14
	v_mul_f32_e32 v15, v15, v17
	v_fmac_f32_e32 v18, v18, v15
	v_add_f32_e32 v17, v18, v18
	v_sub_f32_e32 v17, 0x3fc90fdb, v17
	v_fma_f32 v15, |v16|, v15, |v16|
	v_cmp_lt_f32_e64 vcc, |v16|, 0.5
	v_cndmask_b32_e32 v15, v17, v15, vcc
	v_bfi_b32 v17, s28, v15, v16
	v_add_co_u32_e32 v15, vcc, s26, v1
	v_addc_co_u32_e32 v16, vcc, 0, v2, vcc
	global_store_dword v[15:16], v17, off
	s_branch .LBB60_3
.LBB60_20:
	s_cbranch_execz .LBB60_22
	s_branch .LBB60_25
.LBB60_21:
.LBB60_22:
	v_mov_b32_e32 v1, 0x10000
	v_mov_b32_e32 v2, 0
	v_cmp_lt_i64_e32 vcc, s[14:15], v[1:2]
	v_mov_b32_e32 v2, 0
	s_and_b64 s[0:1], vcc, exec
	s_cselect_b32 s3, s15, 0
	s_cselect_b32 s2, s14, 0x10000
	v_lshlrev_b32_e32 v1, 2, v0
	v_cmp_gt_i64_e32 vcc, s[2:3], v[1:2]
	s_and_saveexec_b64 s[0:1], vcc
	s_cbranch_execz .LBB60_25
; %bb.23:
	s_load_dword s0, s[4:5], 0xd3c
	v_mov_b32_e32 v1, v2
	v_lshlrev_b32_e32 v2, 4, v0
	s_mov_b64 s[4:5], 0
	v_mov_b32_e32 v4, 0x3d034c3c
	s_waitcnt lgkmcnt(0)
	s_and_b32 s6, s0, 0xffff
	s_add_u32 s0, s10, s12
	s_addc_u32 s1, s11, s13
	v_mov_b32_e32 v3, s1
	v_add_co_u32_e32 v2, vcc, s0, v2
	v_addc_co_u32_e32 v3, vcc, 0, v3, vcc
	v_add_co_u32_e32 v2, vcc, 8, v2
	v_addc_co_u32_e32 v3, vcc, 0, v3, vcc
	s_lshl_b32 s7, s6, 4
	v_mov_b32_e32 v5, 0x3d3641b1
	v_mov_b32_e32 v6, 0x3d999bc8
	;; [unrolled: 1-line block ×3, first 2 shown]
	s_brev_b32 s8, -2
.LBB60_24:                              ; =>This Inner Loop Header: Depth=1
	global_load_dwordx4 v[8:11], v[2:3], off offset:-8
	v_add_co_u32_e32 v0, vcc, s6, v0
	v_addc_co_u32_e32 v1, vcc, 0, v1, vcc
	v_lshlrev_b64 v[12:13], 2, v[0:1]
	v_mov_b32_e32 v14, 0x3c5fc5da
	v_cmp_le_i64_e32 vcc, s[2:3], v[12:13]
	v_mov_b32_e32 v15, 0x3c5fc5da
	v_mov_b32_e32 v16, 0x3c5fc5da
	s_or_b64 s[4:5], vcc, s[4:5]
	s_waitcnt vmcnt(0)
	v_fma_f32 v12, |v8|, -0.5, 0.5
	v_mul_f32_e32 v13, v8, v8
	v_cmp_ge_f32_e64 s[0:1], |v8|, 0.5
	v_fma_f32 v17, |v9|, -0.5, 0.5
	v_mul_f32_e32 v18, v9, v9
	v_cndmask_b32_e64 v12, v13, v12, s[0:1]
	v_cmp_ge_f32_e64 s[0:1], |v9|, 0.5
	v_fma_f32 v19, |v10|, -0.5, 0.5
	v_mul_f32_e32 v13, v10, v10
	v_cndmask_b32_e64 v17, v18, v17, s[0:1]
	v_cmp_ge_f32_e64 s[0:1], |v10|, 0.5
	v_fmac_f32_e32 v14, 0x3d1c21a7, v12
	v_fma_f32 v18, |v11|, -0.5, 0.5
	v_cndmask_b32_e64 v13, v13, v19, s[0:1]
	v_mul_f32_e32 v19, v11, v11
	v_cmp_ge_f32_e64 s[0:1], |v11|, 0.5
	v_fma_f32 v14, v12, v14, v4
	v_fmac_f32_e32 v15, 0x3d1c21a7, v17
	v_cndmask_b32_e64 v18, v19, v18, s[0:1]
	v_mov_b32_e32 v19, 0x3c5fc5da
	v_fma_f32 v14, v12, v14, v5
	v_fma_f32 v15, v17, v15, v4
	v_fmac_f32_e32 v16, 0x3d1c21a7, v13
	v_fma_f32 v14, v12, v14, v6
	v_fma_f32 v15, v17, v15, v5
	;; [unrolled: 1-line block ×3, first 2 shown]
	v_fmac_f32_e32 v19, 0x3d1c21a7, v18
	v_fma_f32 v14, v12, v14, v7
	v_fma_f32 v15, v17, v15, v6
	;; [unrolled: 1-line block ×4, first 2 shown]
	v_mul_f32_e32 v14, v12, v14
	v_sqrt_f32_e32 v12, v12
	v_fma_f32 v15, v17, v15, v7
	v_fma_f32 v16, v13, v16, v6
	;; [unrolled: 1-line block ×3, first 2 shown]
	v_mul_f32_e32 v15, v17, v15
	v_sqrt_f32_e32 v17, v17
	v_fma_f32 v16, v13, v16, v7
	v_fma_f32 v19, v18, v19, v6
	v_mul_f32_e32 v16, v13, v16
	v_sqrt_f32_e32 v13, v13
	v_fma_f32 v19, v18, v19, v7
	v_mul_f32_e32 v19, v18, v19
	v_sqrt_f32_e32 v18, v18
	v_fmac_f32_e32 v12, v12, v14
	v_fmac_f32_e32 v17, v17, v15
	v_add_f32_e32 v12, v12, v12
	v_fma_f32 v14, |v8|, v14, |v8|
	v_fmac_f32_e32 v13, v13, v16
	v_add_f32_e32 v17, v17, v17
	v_sub_f32_e32 v12, 0x3fc90fdb, v12
	v_cmp_lt_f32_e64 vcc, |v8|, 0.5
	v_fma_f32 v15, |v9|, v15, |v9|
	v_fmac_f32_e32 v18, v18, v19
	v_add_f32_e32 v13, v13, v13
	v_sub_f32_e32 v17, 0x3fc90fdb, v17
	v_cndmask_b32_e32 v12, v12, v14, vcc
	v_cmp_lt_f32_e64 vcc, |v9|, 0.5
	v_fma_f32 v16, |v10|, v16, |v10|
	v_add_f32_e32 v18, v18, v18
	v_sub_f32_e32 v13, 0x3fc90fdb, v13
	v_cndmask_b32_e32 v14, v17, v15, vcc
	v_cmp_lt_f32_e64 vcc, |v10|, 0.5
	v_fma_f32 v19, |v11|, v19, |v11|
	v_sub_f32_e32 v18, 0x3fc90fdb, v18
	v_cndmask_b32_e32 v13, v13, v16, vcc
	v_cmp_lt_f32_e64 vcc, |v11|, 0.5
	v_cndmask_b32_e32 v15, v18, v19, vcc
	v_bfi_b32 v8, s8, v12, v8
	v_bfi_b32 v9, s8, v14, v9
	;; [unrolled: 1-line block ×4, first 2 shown]
	global_store_dwordx4 v[2:3], v[8:11], off offset:-8
	v_add_co_u32_e32 v2, vcc, s7, v2
	v_addc_co_u32_e32 v3, vcc, 0, v3, vcc
	s_andn2_b64 exec, exec, s[4:5]
	s_cbranch_execnz .LBB60_24
.LBB60_25:
	s_endpgm
	.section	.rodata,"a",@progbits
	.p2align	6, 0x0
	.amdhsa_kernel _ZN2at6native12_GLOBAL__N_125multi_tensor_apply_kernelINS1_18TensorListMetadataILi1EEENS1_14UnaryOpFunctorIfLi1ELi1ELi0EEEJNS0_4AsinIfEEEEEvT_T0_DpT1_
		.amdhsa_group_segment_fixed_size 0
		.amdhsa_private_segment_fixed_size 0
		.amdhsa_kernarg_size 3632
		.amdhsa_user_sgpr_count 6
		.amdhsa_user_sgpr_private_segment_buffer 1
		.amdhsa_user_sgpr_dispatch_ptr 0
		.amdhsa_user_sgpr_queue_ptr 0
		.amdhsa_user_sgpr_kernarg_segment_ptr 1
		.amdhsa_user_sgpr_dispatch_id 0
		.amdhsa_user_sgpr_flat_scratch_init 0
		.amdhsa_user_sgpr_private_segment_size 0
		.amdhsa_uses_dynamic_stack 0
		.amdhsa_system_sgpr_private_segment_wavefront_offset 0
		.amdhsa_system_sgpr_workgroup_id_x 1
		.amdhsa_system_sgpr_workgroup_id_y 0
		.amdhsa_system_sgpr_workgroup_id_z 0
		.amdhsa_system_sgpr_workgroup_info 0
		.amdhsa_system_vgpr_workitem_id 0
		.amdhsa_next_free_vgpr 22
		.amdhsa_next_free_sgpr 29
		.amdhsa_reserve_vcc 1
		.amdhsa_reserve_flat_scratch 0
		.amdhsa_float_round_mode_32 0
		.amdhsa_float_round_mode_16_64 0
		.amdhsa_float_denorm_mode_32 3
		.amdhsa_float_denorm_mode_16_64 3
		.amdhsa_dx10_clamp 1
		.amdhsa_ieee_mode 1
		.amdhsa_fp16_overflow 0
		.amdhsa_exception_fp_ieee_invalid_op 0
		.amdhsa_exception_fp_denorm_src 0
		.amdhsa_exception_fp_ieee_div_zero 0
		.amdhsa_exception_fp_ieee_overflow 0
		.amdhsa_exception_fp_ieee_underflow 0
		.amdhsa_exception_fp_ieee_inexact 0
		.amdhsa_exception_int_div_zero 0
	.end_amdhsa_kernel
	.section	.text._ZN2at6native12_GLOBAL__N_125multi_tensor_apply_kernelINS1_18TensorListMetadataILi1EEENS1_14UnaryOpFunctorIfLi1ELi1ELi0EEEJNS0_4AsinIfEEEEEvT_T0_DpT1_,"axG",@progbits,_ZN2at6native12_GLOBAL__N_125multi_tensor_apply_kernelINS1_18TensorListMetadataILi1EEENS1_14UnaryOpFunctorIfLi1ELi1ELi0EEEJNS0_4AsinIfEEEEEvT_T0_DpT1_,comdat
.Lfunc_end60:
	.size	_ZN2at6native12_GLOBAL__N_125multi_tensor_apply_kernelINS1_18TensorListMetadataILi1EEENS1_14UnaryOpFunctorIfLi1ELi1ELi0EEEJNS0_4AsinIfEEEEEvT_T0_DpT1_, .Lfunc_end60-_ZN2at6native12_GLOBAL__N_125multi_tensor_apply_kernelINS1_18TensorListMetadataILi1EEENS1_14UnaryOpFunctorIfLi1ELi1ELi0EEEJNS0_4AsinIfEEEEEvT_T0_DpT1_
                                        ; -- End function
	.set _ZN2at6native12_GLOBAL__N_125multi_tensor_apply_kernelINS1_18TensorListMetadataILi1EEENS1_14UnaryOpFunctorIfLi1ELi1ELi0EEEJNS0_4AsinIfEEEEEvT_T0_DpT1_.num_vgpr, 22
	.set _ZN2at6native12_GLOBAL__N_125multi_tensor_apply_kernelINS1_18TensorListMetadataILi1EEENS1_14UnaryOpFunctorIfLi1ELi1ELi0EEEJNS0_4AsinIfEEEEEvT_T0_DpT1_.num_agpr, 0
	.set _ZN2at6native12_GLOBAL__N_125multi_tensor_apply_kernelINS1_18TensorListMetadataILi1EEENS1_14UnaryOpFunctorIfLi1ELi1ELi0EEEJNS0_4AsinIfEEEEEvT_T0_DpT1_.numbered_sgpr, 29
	.set _ZN2at6native12_GLOBAL__N_125multi_tensor_apply_kernelINS1_18TensorListMetadataILi1EEENS1_14UnaryOpFunctorIfLi1ELi1ELi0EEEJNS0_4AsinIfEEEEEvT_T0_DpT1_.num_named_barrier, 0
	.set _ZN2at6native12_GLOBAL__N_125multi_tensor_apply_kernelINS1_18TensorListMetadataILi1EEENS1_14UnaryOpFunctorIfLi1ELi1ELi0EEEJNS0_4AsinIfEEEEEvT_T0_DpT1_.private_seg_size, 0
	.set _ZN2at6native12_GLOBAL__N_125multi_tensor_apply_kernelINS1_18TensorListMetadataILi1EEENS1_14UnaryOpFunctorIfLi1ELi1ELi0EEEJNS0_4AsinIfEEEEEvT_T0_DpT1_.uses_vcc, 1
	.set _ZN2at6native12_GLOBAL__N_125multi_tensor_apply_kernelINS1_18TensorListMetadataILi1EEENS1_14UnaryOpFunctorIfLi1ELi1ELi0EEEJNS0_4AsinIfEEEEEvT_T0_DpT1_.uses_flat_scratch, 0
	.set _ZN2at6native12_GLOBAL__N_125multi_tensor_apply_kernelINS1_18TensorListMetadataILi1EEENS1_14UnaryOpFunctorIfLi1ELi1ELi0EEEJNS0_4AsinIfEEEEEvT_T0_DpT1_.has_dyn_sized_stack, 0
	.set _ZN2at6native12_GLOBAL__N_125multi_tensor_apply_kernelINS1_18TensorListMetadataILi1EEENS1_14UnaryOpFunctorIfLi1ELi1ELi0EEEJNS0_4AsinIfEEEEEvT_T0_DpT1_.has_recursion, 0
	.set _ZN2at6native12_GLOBAL__N_125multi_tensor_apply_kernelINS1_18TensorListMetadataILi1EEENS1_14UnaryOpFunctorIfLi1ELi1ELi0EEEJNS0_4AsinIfEEEEEvT_T0_DpT1_.has_indirect_call, 0
	.section	.AMDGPU.csdata,"",@progbits
; Kernel info:
; codeLenInByte = 2036
; TotalNumSgprs: 33
; NumVgprs: 22
; ScratchSize: 0
; MemoryBound: 0
; FloatMode: 240
; IeeeMode: 1
; LDSByteSize: 0 bytes/workgroup (compile time only)
; SGPRBlocks: 4
; VGPRBlocks: 5
; NumSGPRsForWavesPerEU: 33
; NumVGPRsForWavesPerEU: 22
; Occupancy: 10
; WaveLimiterHint : 0
; COMPUTE_PGM_RSRC2:SCRATCH_EN: 0
; COMPUTE_PGM_RSRC2:USER_SGPR: 6
; COMPUTE_PGM_RSRC2:TRAP_HANDLER: 0
; COMPUTE_PGM_RSRC2:TGID_X_EN: 1
; COMPUTE_PGM_RSRC2:TGID_Y_EN: 0
; COMPUTE_PGM_RSRC2:TGID_Z_EN: 0
; COMPUTE_PGM_RSRC2:TIDIG_COMP_CNT: 0
	.section	.text._ZN2at6native12_GLOBAL__N_125multi_tensor_apply_kernelINS1_18TensorListMetadataILi1EEENS1_14UnaryOpFunctorIN3c107complexIdEELi1ELi1ELi0EEEJNS0_4AsinIS8_EEEEEvT_T0_DpT1_,"axG",@progbits,_ZN2at6native12_GLOBAL__N_125multi_tensor_apply_kernelINS1_18TensorListMetadataILi1EEENS1_14UnaryOpFunctorIN3c107complexIdEELi1ELi1ELi0EEEJNS0_4AsinIS8_EEEEEvT_T0_DpT1_,comdat
	.globl	_ZN2at6native12_GLOBAL__N_125multi_tensor_apply_kernelINS1_18TensorListMetadataILi1EEENS1_14UnaryOpFunctorIN3c107complexIdEELi1ELi1ELi0EEEJNS0_4AsinIS8_EEEEEvT_T0_DpT1_ ; -- Begin function _ZN2at6native12_GLOBAL__N_125multi_tensor_apply_kernelINS1_18TensorListMetadataILi1EEENS1_14UnaryOpFunctorIN3c107complexIdEELi1ELi1ELi0EEEJNS0_4AsinIS8_EEEEEvT_T0_DpT1_
	.p2align	8
	.type	_ZN2at6native12_GLOBAL__N_125multi_tensor_apply_kernelINS1_18TensorListMetadataILi1EEENS1_14UnaryOpFunctorIN3c107complexIdEELi1ELi1ELi0EEEJNS0_4AsinIS8_EEEEEvT_T0_DpT1_,@function
_ZN2at6native12_GLOBAL__N_125multi_tensor_apply_kernelINS1_18TensorListMetadataILi1EEENS1_14UnaryOpFunctorIN3c107complexIdEELi1ELi1ELi0EEEJNS0_4AsinIS8_EEEEEvT_T0_DpT1_: ; @_ZN2at6native12_GLOBAL__N_125multi_tensor_apply_kernelINS1_18TensorListMetadataILi1EEENS1_14UnaryOpFunctorIN3c107complexIdEELi1ELi1ELi0EEEJNS0_4AsinIS8_EEEEEvT_T0_DpT1_
; %bb.0:
	v_mov_b32_e32 v58, v0
	v_mov_b32_e32 v0, s8
	global_load_ubyte v0, v0, s[4:5] offset:1760
	s_add_u32 flat_scratch_lo, s6, s9
	s_addc_u32 flat_scratch_hi, s7, 0
	s_add_u32 s0, s0, s9
	s_addc_u32 s1, s1, 0
	s_mov_b64 s[34:35], s[4:5]
	s_add_u32 s4, s34, s8
	s_mul_hi_u32 s5, s8, 3
	s_mul_i32 s8, s8, 3
	s_addc_u32 s6, s35, 0
	s_add_u32 s4, s4, s8
	s_addc_u32 s5, s6, s5
	s_load_dword s4, s[4:5], 0x820
	s_mov_b32 s11, 0
	s_mov_b32 s32, 0
	s_waitcnt vmcnt(0)
	v_readfirstlane_b32 s5, v0
	s_lshl_b32 s5, s5, 3
	s_load_dwordx2 s[6:7], s[34:35], s5 offset:0x0
	s_load_dwordx2 s[8:9], s[34:35], s5 offset:0x370
	s_waitcnt lgkmcnt(0)
	s_ashr_i32 s5, s4, 31
	s_lshl_b64 s[12:13], s[4:5], 20
	s_add_u32 s46, s6, s12
	s_addc_u32 s47, s7, s13
	s_lshl_b64 s[4:5], s[4:5], 16
	s_and_b32 s10, s46, 63
	s_sub_u32 s48, s8, s4
	s_subb_u32 s49, s9, s5
	s_and_b32 s4, s8, 3
	s_mov_b32 s5, s11
	s_or_b64 s[4:5], s[10:11], s[4:5]
	s_cmp_eq_u64 s[4:5], 0
	s_cbranch_scc1 .LBB61_21
; %bb.1:
	v_cmp_lt_i64_e64 s[4:5], s[48:49], 1
	s_and_b64 vcc, exec, s[4:5]
	s_cbranch_vccnz .LBB61_20
; %bb.2:
	v_mov_b32_e32 v0, 0x10000
	s_load_dword s6, s[34:35], 0xd3c
	v_mov_b32_e32 v1, 0
	v_cmp_lt_i64_e32 vcc, s[48:49], v[0:1]
	v_mov_b32_e32 v60, 0
	s_and_b64 s[4:5], vcc, exec
	v_cmp_lt_u64_e32 vcc, s[48:49], v[0:1]
	s_cselect_b32 s51, s49, 0
	s_cselect_b32 s50, s48, 0x10000
	s_waitcnt lgkmcnt(0)
	s_and_b32 s6, s6, 0xffff
	s_and_b64 s[4:5], vcc, exec
	s_mul_i32 s8, s6, 3
	v_add_co_u32_e32 v47, vcc, s6, v58
	v_lshlrev_b32_e32 v59, 4, v58
	v_addc_co_u32_e64 v62, s[4:5], 0, 0, vcc
	v_add_co_u32_e32 v63, vcc, s8, v58
	v_mad_u64_u32 v[60:61], s[4:5], s6, 48, v[59:60]
	v_addc_co_u32_e64 v64, s[4:5], 0, 0, vcc
	s_cselect_b32 s53, s49, 0
	s_cselect_b32 s52, s48, 0x10000
	s_lshl_b32 s4, s6, 5
	s_lshl_b32 s7, s6, 1
	v_add_co_u32_e32 v0, vcc, s4, v59
	v_addc_co_u32_e64 v66, s[4:5], 0, 0, vcc
	v_add_co_u32_e32 v68, vcc, s7, v58
	s_lshl_b32 s27, s6, 2
	s_lshl_b32 s33, s6, 6
	v_or_b32_e32 v60, 8, v60
	v_lshlrev_b32_e32 v65, 4, v47
	v_or_b32_e32 v67, 8, v0
	v_addc_co_u32_e64 v69, s[4:5], 0, 0, vcc
	s_mov_b64 s[54:55], 0
	s_mov_b64 s[56:57], s[46:47]
	s_branch .LBB61_4
.LBB61_3:                               ;   in Loop: Header=BB61_4 Depth=1
	s_or_b64 exec, exec, s[4:5]
	s_add_u32 s54, s54, s27
	v_mov_b32_e32 v0, s50
	s_addc_u32 s55, s55, 0
	v_mov_b32_e32 v1, s51
	v_cmp_lt_i64_e32 vcc, s[54:55], v[0:1]
	s_add_u32 s56, s56, s33
	s_addc_u32 s57, s57, 0
	s_cbranch_vccz .LBB61_20
.LBB61_4:                               ; =>This Inner Loop Header: Depth=1
	v_mov_b32_e32 v1, s55
	v_add_co_u32_e32 v0, vcc, s54, v58
	v_addc_co_u32_e32 v1, vcc, 0, v1, vcc
	v_cmp_gt_u64_e64 s[36:37], s[52:53], v[0:1]
	v_mov_b32_e32 v6, 0
	v_mov_b32_e32 v2, 0
	;; [unrolled: 1-line block ×6, first 2 shown]
	s_and_saveexec_b64 s[4:5], s[36:37]
	s_cbranch_execz .LBB61_6
; %bb.5:                                ;   in Loop: Header=BB61_4 Depth=1
	v_mov_b32_e32 v1, s57
	v_add_co_u32_e32 v0, vcc, s56, v59
	v_addc_co_u32_e32 v1, vcc, 0, v1, vcc
	global_load_dwordx4 v[0:3], v[0:1], off
.LBB61_6:                               ;   in Loop: Header=BB61_4 Depth=1
	s_or_b64 exec, exec, s[4:5]
	v_mov_b32_e32 v5, s55
	v_add_co_u32_e32 v4, vcc, s54, v47
	v_addc_co_u32_e32 v5, vcc, v62, v5, vcc
	v_cmp_gt_u64_e64 s[38:39], s[52:53], v[4:5]
	v_mov_b32_e32 v4, 0
	v_mov_b32_e32 v5, 0
	s_and_saveexec_b64 s[4:5], s[38:39]
	s_cbranch_execz .LBB61_8
; %bb.7:                                ;   in Loop: Header=BB61_4 Depth=1
	v_mov_b32_e32 v5, s57
	v_add_co_u32_e32 v4, vcc, s56, v65
	v_addc_co_u32_e32 v5, vcc, 0, v5, vcc
	global_load_dwordx4 v[4:7], v[4:5], off
.LBB61_8:                               ;   in Loop: Header=BB61_4 Depth=1
	s_or_b64 exec, exec, s[4:5]
	v_mov_b32_e32 v9, s55
	v_add_co_u32_e32 v8, vcc, s54, v68
	v_addc_co_u32_e32 v9, vcc, v69, v9, vcc
	v_cmp_gt_u64_e64 s[42:43], s[52:53], v[8:9]
	v_mov_b32_e32 v41, 0
	v_mov_b32_e32 v45, 0
	;; [unrolled: 1-line block ×6, first 2 shown]
	s_and_saveexec_b64 s[4:5], s[42:43]
	s_cbranch_execz .LBB61_10
; %bb.9:                                ;   in Loop: Header=BB61_4 Depth=1
	v_mov_b32_e32 v9, s57
	v_add_co_u32_e32 v8, vcc, s56, v67
	v_addc_co_u32_e32 v9, vcc, v9, v66, vcc
	global_load_dwordx4 v[43:46], v[8:9], off offset:-8
.LBB61_10:                              ;   in Loop: Header=BB61_4 Depth=1
	s_or_b64 exec, exec, s[4:5]
	s_waitcnt vmcnt(0)
	v_mov_b32_e32 v53, v7
	v_mov_b32_e32 v52, v6
	;; [unrolled: 1-line block ×5, first 2 shown]
	v_add_co_u32_e32 v4, vcc, s54, v63
	v_addc_co_u32_e32 v5, vcc, v64, v5, vcc
	v_cmp_gt_u64_e64 s[44:45], s[52:53], v[4:5]
	v_mov_b32_e32 v39, 0
	v_mov_b32_e32 v40, 0
	s_and_saveexec_b64 s[4:5], s[44:45]
	s_cbranch_execz .LBB61_12
; %bb.11:                               ;   in Loop: Header=BB61_4 Depth=1
	v_mov_b32_e32 v5, s57
	v_add_co_u32_e32 v4, vcc, s56, v60
	v_addc_co_u32_e32 v5, vcc, v5, v61, vcc
	global_load_dwordx4 v[39:42], v[4:5], off offset:-8
.LBB61_12:                              ;   in Loop: Header=BB61_4 Depth=1
	s_or_b64 exec, exec, s[4:5]
	s_getpc_b64 s[58:59]
	s_add_u32 s58, s58, _ZNK2at6native4AsinIN3c107complexIdEEEclES4_@rel32@lo+4
	s_addc_u32 s59, s59, _ZNK2at6native4AsinIN3c107complexIdEEEclES4_@rel32@hi+12
	s_swappc_b64 s[30:31], s[58:59]
	v_mov_b32_e32 v54, v0
	v_mov_b32_e32 v55, v1
	v_mov_b32_e32 v56, v2
	v_mov_b32_e32 v57, v3
	v_mov_b32_e32 v0, v50
	v_mov_b32_e32 v1, v51
	v_mov_b32_e32 v2, v52
	v_mov_b32_e32 v3, v53
	s_swappc_b64 s[30:31], s[58:59]
	v_mov_b32_e32 v50, v0
	v_mov_b32_e32 v51, v1
	v_mov_b32_e32 v52, v2
	v_mov_b32_e32 v53, v3
	v_mov_b32_e32 v0, v43
	v_mov_b32_e32 v1, v44
	v_mov_b32_e32 v2, v45
	v_mov_b32_e32 v3, v46
	;; [unrolled: 9-line block ×3, first 2 shown]
	s_swappc_b64 s[30:31], s[58:59]
	s_and_saveexec_b64 s[4:5], s[36:37]
	s_cbranch_execnz .LBB61_16
; %bb.13:                               ;   in Loop: Header=BB61_4 Depth=1
	s_or_b64 exec, exec, s[4:5]
	s_and_saveexec_b64 s[4:5], s[38:39]
	s_cbranch_execnz .LBB61_17
.LBB61_14:                              ;   in Loop: Header=BB61_4 Depth=1
	s_or_b64 exec, exec, s[4:5]
	s_and_saveexec_b64 s[4:5], s[42:43]
	s_cbranch_execnz .LBB61_18
.LBB61_15:                              ;   in Loop: Header=BB61_4 Depth=1
	s_or_b64 exec, exec, s[4:5]
	s_and_saveexec_b64 s[4:5], s[44:45]
	s_cbranch_execz .LBB61_3
	s_branch .LBB61_19
.LBB61_16:                              ;   in Loop: Header=BB61_4 Depth=1
	v_mov_b32_e32 v5, s57
	v_add_co_u32_e32 v4, vcc, s56, v59
	v_addc_co_u32_e32 v5, vcc, 0, v5, vcc
	global_store_dwordx4 v[4:5], v[54:57], off
	s_or_b64 exec, exec, s[4:5]
	s_and_saveexec_b64 s[4:5], s[38:39]
	s_cbranch_execz .LBB61_14
.LBB61_17:                              ;   in Loop: Header=BB61_4 Depth=1
	v_mov_b32_e32 v5, s57
	v_add_co_u32_e32 v4, vcc, s56, v65
	v_addc_co_u32_e32 v5, vcc, 0, v5, vcc
	global_store_dwordx4 v[4:5], v[50:53], off
	s_or_b64 exec, exec, s[4:5]
	s_and_saveexec_b64 s[4:5], s[42:43]
	s_cbranch_execz .LBB61_15
.LBB61_18:                              ;   in Loop: Header=BB61_4 Depth=1
	v_mov_b32_e32 v5, s57
	v_add_co_u32_e32 v4, vcc, s56, v67
	v_addc_co_u32_e32 v5, vcc, v5, v66, vcc
	global_store_dwordx4 v[4:5], v[43:46], off offset:-8
	s_or_b64 exec, exec, s[4:5]
	s_and_saveexec_b64 s[4:5], s[44:45]
	s_cbranch_execz .LBB61_3
.LBB61_19:                              ;   in Loop: Header=BB61_4 Depth=1
	v_mov_b32_e32 v5, s57
	v_add_co_u32_e32 v4, vcc, s56, v60
	v_addc_co_u32_e32 v5, vcc, v5, v61, vcc
	global_store_dwordx4 v[4:5], v[0:3], off offset:-8
	s_branch .LBB61_3
.LBB61_20:
	s_cbranch_execz .LBB61_22
	s_branch .LBB61_25
.LBB61_21:
.LBB61_22:
	v_mov_b32_e32 v0, 0x10000
	v_mov_b32_e32 v1, 0
	v_cmp_lt_i64_e32 vcc, s[48:49], v[0:1]
	v_mov_b32_e32 v1, 0
	s_and_b64 s[4:5], vcc, exec
	s_cselect_b32 s37, s49, 0
	s_cselect_b32 s36, s48, 0x10000
	v_lshlrev_b32_e32 v0, 2, v58
	v_cmp_gt_i64_e32 vcc, s[36:37], v[0:1]
	s_and_saveexec_b64 s[4:5], vcc
	s_cbranch_execz .LBB61_25
; %bb.23:
	s_add_u32 s34, s34, 0xd30
	v_mov_b32_e32 v59, v1
	s_addc_u32 s35, s35, 0
	s_mov_b64 s[38:39], 0
	v_mov_b32_e32 v47, s47
.LBB61_24:                              ; =>This Inner Loop Header: Depth=1
	v_lshlrev_b64 v[0:1], 6, v[58:59]
	s_getpc_b64 s[42:43]
	s_add_u32 s42, s42, _ZNK2at6native4AsinIN3c107complexIdEEEclES4_@rel32@lo+4
	s_addc_u32 s43, s43, _ZNK2at6native4AsinIN3c107complexIdEEEclES4_@rel32@hi+12
	v_add_co_u32_e32 v60, vcc, s46, v0
	v_addc_co_u32_e32 v61, vcc, v47, v1, vcc
	global_load_dwordx4 v[0:3], v[60:61], off
	global_load_dwordx4 v[39:42], v[60:61], off offset:16
	global_load_dwordx4 v[43:46], v[60:61], off offset:48
	;; [unrolled: 1-line block ×3, first 2 shown]
	s_swappc_b64 s[30:31], s[42:43]
	v_mov_b32_e32 v54, v0
	v_mov_b32_e32 v55, v1
	v_mov_b32_e32 v56, v2
	v_mov_b32_e32 v57, v3
	v_mov_b32_e32 v0, v39
	v_mov_b32_e32 v1, v40
	v_mov_b32_e32 v2, v41
	v_mov_b32_e32 v3, v42
	s_swappc_b64 s[30:31], s[42:43]
	v_mov_b32_e32 v39, v0
	v_mov_b32_e32 v40, v1
	v_mov_b32_e32 v41, v2
	v_mov_b32_e32 v42, v3
	v_mov_b32_e32 v0, v50
	v_mov_b32_e32 v1, v51
	v_mov_b32_e32 v2, v52
	v_mov_b32_e32 v3, v53
	;; [unrolled: 9-line block ×3, first 2 shown]
	s_swappc_b64 s[30:31], s[42:43]
	global_store_dwordx4 v[60:61], v[54:57], off
	global_store_dwordx4 v[60:61], v[39:42], off offset:16
	global_store_dwordx4 v[60:61], v[50:53], off offset:32
	;; [unrolled: 1-line block ×3, first 2 shown]
	s_load_dword s4, s[34:35], 0xc
	s_waitcnt lgkmcnt(0)
	s_and_b32 s4, s4, 0xffff
	v_add_co_u32_e32 v58, vcc, s4, v58
	v_addc_co_u32_e32 v59, vcc, 0, v59, vcc
	v_lshlrev_b64 v[0:1], 2, v[58:59]
	v_cmp_le_i64_e32 vcc, s[36:37], v[0:1]
	s_or_b64 s[38:39], vcc, s[38:39]
	s_andn2_b64 exec, exec, s[38:39]
	s_cbranch_execnz .LBB61_24
.LBB61_25:
	s_endpgm
	.section	.rodata,"a",@progbits
	.p2align	6, 0x0
	.amdhsa_kernel _ZN2at6native12_GLOBAL__N_125multi_tensor_apply_kernelINS1_18TensorListMetadataILi1EEENS1_14UnaryOpFunctorIN3c107complexIdEELi1ELi1ELi0EEEJNS0_4AsinIS8_EEEEEvT_T0_DpT1_
		.amdhsa_group_segment_fixed_size 0
		.amdhsa_private_segment_fixed_size 12
		.amdhsa_kernarg_size 3632
		.amdhsa_user_sgpr_count 8
		.amdhsa_user_sgpr_private_segment_buffer 1
		.amdhsa_user_sgpr_dispatch_ptr 0
		.amdhsa_user_sgpr_queue_ptr 0
		.amdhsa_user_sgpr_kernarg_segment_ptr 1
		.amdhsa_user_sgpr_dispatch_id 0
		.amdhsa_user_sgpr_flat_scratch_init 1
		.amdhsa_user_sgpr_private_segment_size 0
		.amdhsa_uses_dynamic_stack 0
		.amdhsa_system_sgpr_private_segment_wavefront_offset 1
		.amdhsa_system_sgpr_workgroup_id_x 1
		.amdhsa_system_sgpr_workgroup_id_y 0
		.amdhsa_system_sgpr_workgroup_id_z 0
		.amdhsa_system_sgpr_workgroup_info 0
		.amdhsa_system_vgpr_workitem_id 0
		.amdhsa_next_free_vgpr 70
		.amdhsa_next_free_sgpr 60
		.amdhsa_reserve_vcc 1
		.amdhsa_reserve_flat_scratch 1
		.amdhsa_float_round_mode_32 0
		.amdhsa_float_round_mode_16_64 0
		.amdhsa_float_denorm_mode_32 3
		.amdhsa_float_denorm_mode_16_64 3
		.amdhsa_dx10_clamp 1
		.amdhsa_ieee_mode 1
		.amdhsa_fp16_overflow 0
		.amdhsa_exception_fp_ieee_invalid_op 0
		.amdhsa_exception_fp_denorm_src 0
		.amdhsa_exception_fp_ieee_div_zero 0
		.amdhsa_exception_fp_ieee_overflow 0
		.amdhsa_exception_fp_ieee_underflow 0
		.amdhsa_exception_fp_ieee_inexact 0
		.amdhsa_exception_int_div_zero 0
	.end_amdhsa_kernel
	.section	.text._ZN2at6native12_GLOBAL__N_125multi_tensor_apply_kernelINS1_18TensorListMetadataILi1EEENS1_14UnaryOpFunctorIN3c107complexIdEELi1ELi1ELi0EEEJNS0_4AsinIS8_EEEEEvT_T0_DpT1_,"axG",@progbits,_ZN2at6native12_GLOBAL__N_125multi_tensor_apply_kernelINS1_18TensorListMetadataILi1EEENS1_14UnaryOpFunctorIN3c107complexIdEELi1ELi1ELi0EEEJNS0_4AsinIS8_EEEEEvT_T0_DpT1_,comdat
.Lfunc_end61:
	.size	_ZN2at6native12_GLOBAL__N_125multi_tensor_apply_kernelINS1_18TensorListMetadataILi1EEENS1_14UnaryOpFunctorIN3c107complexIdEELi1ELi1ELi0EEEJNS0_4AsinIS8_EEEEEvT_T0_DpT1_, .Lfunc_end61-_ZN2at6native12_GLOBAL__N_125multi_tensor_apply_kernelINS1_18TensorListMetadataILi1EEENS1_14UnaryOpFunctorIN3c107complexIdEELi1ELi1ELi0EEEJNS0_4AsinIS8_EEEEEvT_T0_DpT1_
                                        ; -- End function
	.set _ZN2at6native12_GLOBAL__N_125multi_tensor_apply_kernelINS1_18TensorListMetadataILi1EEENS1_14UnaryOpFunctorIN3c107complexIdEELi1ELi1ELi0EEEJNS0_4AsinIS8_EEEEEvT_T0_DpT1_.num_vgpr, max(70, .L_ZNK2at6native4AsinIN3c107complexIdEEEclES4_.num_vgpr)
	.set _ZN2at6native12_GLOBAL__N_125multi_tensor_apply_kernelINS1_18TensorListMetadataILi1EEENS1_14UnaryOpFunctorIN3c107complexIdEELi1ELi1ELi0EEEJNS0_4AsinIS8_EEEEEvT_T0_DpT1_.num_agpr, max(0, .L_ZNK2at6native4AsinIN3c107complexIdEEEclES4_.num_agpr)
	.set _ZN2at6native12_GLOBAL__N_125multi_tensor_apply_kernelINS1_18TensorListMetadataILi1EEENS1_14UnaryOpFunctorIN3c107complexIdEELi1ELi1ELi0EEEJNS0_4AsinIS8_EEEEEvT_T0_DpT1_.numbered_sgpr, max(60, .L_ZNK2at6native4AsinIN3c107complexIdEEEclES4_.numbered_sgpr)
	.set _ZN2at6native12_GLOBAL__N_125multi_tensor_apply_kernelINS1_18TensorListMetadataILi1EEENS1_14UnaryOpFunctorIN3c107complexIdEELi1ELi1ELi0EEEJNS0_4AsinIS8_EEEEEvT_T0_DpT1_.num_named_barrier, max(0, .L_ZNK2at6native4AsinIN3c107complexIdEEEclES4_.num_named_barrier)
	.set _ZN2at6native12_GLOBAL__N_125multi_tensor_apply_kernelINS1_18TensorListMetadataILi1EEENS1_14UnaryOpFunctorIN3c107complexIdEELi1ELi1ELi0EEEJNS0_4AsinIS8_EEEEEvT_T0_DpT1_.private_seg_size, 0+max(.L_ZNK2at6native4AsinIN3c107complexIdEEEclES4_.private_seg_size)
	.set _ZN2at6native12_GLOBAL__N_125multi_tensor_apply_kernelINS1_18TensorListMetadataILi1EEENS1_14UnaryOpFunctorIN3c107complexIdEELi1ELi1ELi0EEEJNS0_4AsinIS8_EEEEEvT_T0_DpT1_.uses_vcc, or(1, .L_ZNK2at6native4AsinIN3c107complexIdEEEclES4_.uses_vcc)
	.set _ZN2at6native12_GLOBAL__N_125multi_tensor_apply_kernelINS1_18TensorListMetadataILi1EEENS1_14UnaryOpFunctorIN3c107complexIdEELi1ELi1ELi0EEEJNS0_4AsinIS8_EEEEEvT_T0_DpT1_.uses_flat_scratch, or(1, .L_ZNK2at6native4AsinIN3c107complexIdEEEclES4_.uses_flat_scratch)
	.set _ZN2at6native12_GLOBAL__N_125multi_tensor_apply_kernelINS1_18TensorListMetadataILi1EEENS1_14UnaryOpFunctorIN3c107complexIdEELi1ELi1ELi0EEEJNS0_4AsinIS8_EEEEEvT_T0_DpT1_.has_dyn_sized_stack, or(0, .L_ZNK2at6native4AsinIN3c107complexIdEEEclES4_.has_dyn_sized_stack)
	.set _ZN2at6native12_GLOBAL__N_125multi_tensor_apply_kernelINS1_18TensorListMetadataILi1EEENS1_14UnaryOpFunctorIN3c107complexIdEELi1ELi1ELi0EEEJNS0_4AsinIS8_EEEEEvT_T0_DpT1_.has_recursion, or(0, .L_ZNK2at6native4AsinIN3c107complexIdEEEclES4_.has_recursion)
	.set _ZN2at6native12_GLOBAL__N_125multi_tensor_apply_kernelINS1_18TensorListMetadataILi1EEENS1_14UnaryOpFunctorIN3c107complexIdEELi1ELi1ELi0EEEJNS0_4AsinIS8_EEEEEvT_T0_DpT1_.has_indirect_call, or(0, .L_ZNK2at6native4AsinIN3c107complexIdEEEclES4_.has_indirect_call)
	.section	.AMDGPU.csdata,"",@progbits
; Kernel info:
; codeLenInByte = 1336
; TotalNumSgprs: 66
; NumVgprs: 70
; ScratchSize: 12
; MemoryBound: 1
; FloatMode: 240
; IeeeMode: 1
; LDSByteSize: 0 bytes/workgroup (compile time only)
; SGPRBlocks: 8
; VGPRBlocks: 17
; NumSGPRsForWavesPerEU: 66
; NumVGPRsForWavesPerEU: 70
; Occupancy: 3
; WaveLimiterHint : 0
; COMPUTE_PGM_RSRC2:SCRATCH_EN: 1
; COMPUTE_PGM_RSRC2:USER_SGPR: 8
; COMPUTE_PGM_RSRC2:TRAP_HANDLER: 0
; COMPUTE_PGM_RSRC2:TGID_X_EN: 1
; COMPUTE_PGM_RSRC2:TGID_Y_EN: 0
; COMPUTE_PGM_RSRC2:TGID_Z_EN: 0
; COMPUTE_PGM_RSRC2:TIDIG_COMP_CNT: 0
	.section	.text._ZN2at6native12_GLOBAL__N_125multi_tensor_apply_kernelINS1_18TensorListMetadataILi1EEENS1_14UnaryOpFunctorIN3c107complexIfEELi1ELi1ELi0EEEJNS0_4AsinIS8_EEEEEvT_T0_DpT1_,"axG",@progbits,_ZN2at6native12_GLOBAL__N_125multi_tensor_apply_kernelINS1_18TensorListMetadataILi1EEENS1_14UnaryOpFunctorIN3c107complexIfEELi1ELi1ELi0EEEJNS0_4AsinIS8_EEEEEvT_T0_DpT1_,comdat
	.globl	_ZN2at6native12_GLOBAL__N_125multi_tensor_apply_kernelINS1_18TensorListMetadataILi1EEENS1_14UnaryOpFunctorIN3c107complexIfEELi1ELi1ELi0EEEJNS0_4AsinIS8_EEEEEvT_T0_DpT1_ ; -- Begin function _ZN2at6native12_GLOBAL__N_125multi_tensor_apply_kernelINS1_18TensorListMetadataILi1EEENS1_14UnaryOpFunctorIN3c107complexIfEELi1ELi1ELi0EEEJNS0_4AsinIS8_EEEEEvT_T0_DpT1_
	.p2align	8
	.type	_ZN2at6native12_GLOBAL__N_125multi_tensor_apply_kernelINS1_18TensorListMetadataILi1EEENS1_14UnaryOpFunctorIN3c107complexIfEELi1ELi1ELi0EEEJNS0_4AsinIS8_EEEEEvT_T0_DpT1_,@function
_ZN2at6native12_GLOBAL__N_125multi_tensor_apply_kernelINS1_18TensorListMetadataILi1EEENS1_14UnaryOpFunctorIN3c107complexIfEELi1ELi1ELi0EEEJNS0_4AsinIS8_EEEEEvT_T0_DpT1_: ; @_ZN2at6native12_GLOBAL__N_125multi_tensor_apply_kernelINS1_18TensorListMetadataILi1EEENS1_14UnaryOpFunctorIN3c107complexIfEELi1ELi1ELi0EEEJNS0_4AsinIS8_EEEEEvT_T0_DpT1_
; %bb.0:
	v_mov_b32_e32 v1, s8
	global_load_ubyte v1, v1, s[4:5] offset:1760
	s_add_u32 flat_scratch_lo, s6, s9
	s_addc_u32 flat_scratch_hi, s7, 0
	s_add_u32 s0, s0, s9
	s_addc_u32 s1, s1, 0
	s_add_u32 s6, s4, s8
	s_mul_hi_u32 s7, s8, 3
	s_mul_i32 s8, s8, 3
	s_addc_u32 s9, s5, 0
	s_add_u32 s6, s6, s8
	s_addc_u32 s7, s9, s7
	s_load_dword s6, s[6:7], 0x820
	s_mov_b32 s13, 0
	s_waitcnt vmcnt(0)
	v_readfirstlane_b32 s7, v1
	s_lshl_b32 s7, s7, 3
	s_load_dwordx2 s[8:9], s[4:5], s7 offset:0x0
	s_load_dwordx2 s[10:11], s[4:5], s7 offset:0x370
	s_waitcnt lgkmcnt(0)
	s_ashr_i32 s7, s6, 31
	s_lshl_b64 s[14:15], s[6:7], 19
	s_add_u32 s18, s8, s14
	s_addc_u32 s19, s9, s15
	s_lshl_b64 s[6:7], s[6:7], 16
	s_and_b32 s12, s18, 31
	s_sub_u32 s20, s10, s6
	s_subb_u32 s21, s11, s7
	s_and_b32 s6, s10, 3
	s_mov_b32 s7, s13
	s_or_b64 s[6:7], s[12:13], s[6:7]
	s_cmp_eq_u64 s[6:7], 0
	s_cbranch_scc1 .LBB62_413
; %bb.1:
	v_cmp_lt_i64_e64 s[6:7], s[20:21], 1
	s_and_b64 vcc, exec, s[6:7]
	s_cbranch_vccnz .LBB62_412
; %bb.2:
	v_mov_b32_e32 v3, 0x10000
	s_load_dword s8, s[4:5], 0xd3c
	v_mov_b32_e32 v4, 0
	v_cmp_lt_i64_e32 vcc, s[20:21], v[3:4]
	v_mov_b32_e32 v2, 0
	s_and_b64 s[6:7], vcc, exec
	v_cmp_lt_u64_e32 vcc, s[20:21], v[3:4]
	s_cselect_b32 s25, s21, 0
	s_cselect_b32 s24, s20, 0x10000
	s_waitcnt lgkmcnt(0)
	s_and_b32 s8, s8, 0xffff
	s_and_b64 s[6:7], vcc, exec
	s_mul_i32 s10, s8, 3
	v_add_co_u32_e32 v12, vcc, s8, v0
	v_lshlrev_b32_e32 v1, 3, v0
	v_addc_co_u32_e64 v13, s[6:7], 0, 0, vcc
	v_add_co_u32_e32 v14, vcc, s10, v0
	v_mad_u64_u32 v[2:3], s[6:7], s8, 24, v[1:2]
	v_addc_co_u32_e64 v15, s[6:7], 0, 0, vcc
	s_cselect_b32 s27, s21, 0
	s_cselect_b32 s26, s20, 0x10000
	s_lshl_b32 s6, s8, 4
	s_lshl_b32 s9, s8, 1
	v_add_co_u32_e32 v4, vcc, s6, v1
	s_mov_b64 s[22:23], src_private_base
	v_addc_co_u32_e64 v17, s[6:7], 0, 0, vcc
	v_add_co_u32_e32 v19, vcc, s9, v0
	s_lshl_b32 s33, s8, 2
	s_mov_b32 s22, 0
	s_mov_b32 s28, 4
	;; [unrolled: 1-line block ×3, first 2 shown]
	s_lshl_b32 s52, s8, 5
	v_or_b32_e32 v2, 4, v2
	v_lshlrev_b32_e32 v16, 3, v12
	v_or_b32_e32 v18, 4, v4
	v_addc_co_u32_e64 v20, s[6:7], 0, 0, vcc
	s_mov_b64 s[30:31], 0
	s_mov_b32 s53, 0x4b000000
	v_mov_b32_e32 v21, 0xd800000
	s_mov_b32 s54, 0x395db3d7
	s_brev_b32 s55, -2
	s_mov_b32 s56, 0x7f800000
	s_mov_b32 s57, 0x41200000
	;; [unrolled: 1-line block ×4, first 2 shown]
	v_mov_b32_e32 v22, 0x260
	s_mov_b32 s60, 0x800000
	s_mov_b32 s61, 0x3f317217
	;; [unrolled: 1-line block ×3, first 2 shown]
	s_brev_b32 s63, 44
	s_mov_b32 s64, 0x3f2aaaab
	v_mov_b32_e32 v23, 0x3f2aaada
	s_mov_b32 s65, 0x3f317218
	s_mov_b32 s66, 0xff800000
	;; [unrolled: 1-line block ×8, first 2 shown]
	v_mov_b32_e32 v24, 0x3d034c3c
	v_mov_b32_e32 v25, 0x3d3641b1
	s_movk_i32 s73, 0x204
	s_mov_b32 s74, 0x7effffff
	s_mov_b32 s75, 0x5e000000
	s_brev_b32 s76, 4
	s_mov_b32 s77, 0x402df854
	s_mov_b32 s78, 0xc02df854
	s_mov_b64 s[34:35], s[18:19]
	v_mov_b32_e32 v26, 0x3d999bc8
	v_mov_b32_e32 v27, 0x3e2aaaac
	;; [unrolled: 1-line block ×15, first 2 shown]
	s_branch .LBB62_4
.LBB62_3:                               ;   in Loop: Header=BB62_4 Depth=1
	s_or_b64 exec, exec, s[6:7]
	s_add_u32 s30, s30, s33
	v_mov_b32_e32 v4, s24
	s_addc_u32 s31, s31, 0
	v_mov_b32_e32 v5, s25
	v_cmp_ge_i64_e32 vcc, s[30:31], v[4:5]
	s_add_u32 s34, s34, s52
	s_addc_u32 s35, s35, 0
	s_cbranch_vccnz .LBB62_412
.LBB62_4:                               ; =>This Inner Loop Header: Depth=1
	v_mov_b32_e32 v5, s31
	v_add_co_u32_e32 v4, vcc, s30, v0
	v_addc_co_u32_e32 v5, vcc, 0, v5, vcc
	v_cmp_gt_u64_e64 s[6:7], s[26:27], v[4:5]
	v_mov_b32_e32 v7, 0
	v_mov_b32_e32 v6, 0
	s_and_saveexec_b64 s[8:9], s[6:7]
	s_cbranch_execz .LBB62_6
; %bb.5:                                ;   in Loop: Header=BB62_4 Depth=1
	v_mov_b32_e32 v5, s35
	v_add_co_u32_e32 v4, vcc, s34, v1
	v_addc_co_u32_e32 v5, vcc, 0, v5, vcc
	global_load_dwordx2 v[6:7], v[4:5], off
.LBB62_6:                               ;   in Loop: Header=BB62_4 Depth=1
	s_or_b64 exec, exec, s[8:9]
	v_mov_b32_e32 v5, s31
	v_add_co_u32_e32 v4, vcc, s30, v12
	v_addc_co_u32_e32 v5, vcc, v13, v5, vcc
	v_cmp_gt_u64_e64 s[8:9], s[26:27], v[4:5]
	v_mov_b32_e32 v5, 0
	v_mov_b32_e32 v9, 0
	;; [unrolled: 1-line block ×3, first 2 shown]
	s_and_saveexec_b64 s[10:11], s[8:9]
	s_cbranch_execz .LBB62_8
; %bb.7:                                ;   in Loop: Header=BB62_4 Depth=1
	v_mov_b32_e32 v4, s35
	v_add_co_u32_e32 v8, vcc, s34, v16
	v_addc_co_u32_e32 v9, vcc, 0, v4, vcc
	global_load_dwordx2 v[8:9], v[8:9], off
.LBB62_8:                               ;   in Loop: Header=BB62_4 Depth=1
	s_or_b64 exec, exec, s[10:11]
	v_mov_b32_e32 v4, s31
	v_add_co_u32_e32 v10, vcc, s30, v19
	v_addc_co_u32_e32 v11, vcc, v20, v4, vcc
	v_cmp_gt_u64_e64 s[10:11], s[26:27], v[10:11]
	v_mov_b32_e32 v4, 0
	s_and_saveexec_b64 s[12:13], s[10:11]
	s_cbranch_execz .LBB62_10
; %bb.9:                                ;   in Loop: Header=BB62_4 Depth=1
	v_mov_b32_e32 v5, s35
	v_add_co_u32_e32 v4, vcc, s34, v18
	v_addc_co_u32_e32 v5, vcc, v5, v17, vcc
	global_load_dwordx2 v[4:5], v[4:5], off offset:-4
.LBB62_10:                              ;   in Loop: Header=BB62_4 Depth=1
	s_or_b64 exec, exec, s[12:13]
	v_mov_b32_e32 v11, s31
	v_add_co_u32_e32 v10, vcc, s30, v14
	v_addc_co_u32_e32 v11, vcc, v15, v11, vcc
	v_cmp_gt_u64_e64 s[12:13], s[26:27], v[10:11]
	v_mov_b32_e32 v11, 0
	v_mov_b32_e32 v10, 0
	s_and_saveexec_b64 s[14:15], s[12:13]
	s_cbranch_execz .LBB62_12
; %bb.11:                               ;   in Loop: Header=BB62_4 Depth=1
	v_mov_b32_e32 v11, s35
	v_add_co_u32_e32 v10, vcc, s34, v2
	v_addc_co_u32_e32 v11, vcc, v11, v3, vcc
	global_load_dwordx2 v[10:11], v[10:11], off offset:-4
.LBB62_12:                              ;   in Loop: Header=BB62_4 Depth=1
	s_or_b64 exec, exec, s[14:15]
	s_waitcnt vmcnt(0)
	v_cmp_o_f32_e32 vcc, v7, v6
	s_and_saveexec_b64 s[14:15], vcc
	s_xor_b64 s[36:37], exec, s[14:15]
	s_cbranch_execz .LBB62_96
; %bb.13:                               ;   in Loop: Header=BB62_4 Depth=1
	s_waitcnt lgkmcnt(0)
	v_max_f32_e64 v41, |v6|, |v6|
	v_max_f32_e64 v44, |v7|, |v7|
	v_max_f32_e32 v43, v44, v41
	v_cmp_nlt_f32_e32 vcc, s53, v43
	s_and_saveexec_b64 s[14:15], vcc
	s_xor_b64 s[16:17], exec, s[14:15]
	s_cbranch_execz .LBB62_73
; %bb.14:                               ;   in Loop: Header=BB62_4 Depth=1
	v_cmp_neq_f32_e32 vcc, 0, v7
	v_cmp_neq_f32_e64 s[14:15], 0, v6
	s_or_b64 s[14:15], vcc, s[14:15]
	s_and_saveexec_b64 s[38:39], s[14:15]
	s_cbranch_execz .LBB62_72
; %bb.15:                               ;   in Loop: Header=BB62_4 Depth=1
	v_mov_b32_e32 v42, s23
	v_mov_b32_e32 v41, s22
	flat_store_dword v[41:42], v21
	s_waitcnt vmcnt(0)
	flat_load_dword v41, v[41:42] glc
	s_waitcnt vmcnt(0)
	v_cmp_nlt_f32_e64 s[14:15], |v7|, s54
	v_cmp_nlt_f32_e64 s[40:41], |v6|, s54
	s_or_b64 s[14:15], s[14:15], s[40:41]
	s_waitcnt lgkmcnt(0)
	v_add_f32_e32 v43, 1.0, v41
	v_mov_b32_e32 v42, s29
	v_mov_b32_e32 v41, s28
	flat_store_dword v[41:42], v43
	s_waitcnt vmcnt(0)
	flat_load_dword v41, v[41:42] glc
	s_waitcnt vmcnt(0)
	s_and_saveexec_b64 s[40:41], s[14:15]
	s_cbranch_execz .LBB62_71
; %bb.16:                               ;   in Loop: Header=BB62_4 Depth=1
	v_add_f32_e64 v43, |v6|, 1.0
	s_waitcnt lgkmcnt(0)
	v_max_f32_e32 v41, v44, v43
	v_add_f32_e64 v42, |v6|, -1.0
	v_cvt_f64_f32_e32 v[45:46], v41
	v_max_f32_e64 v44, v44, |v42|
	v_cvt_f64_f32_e32 v[47:48], v44
	v_cmp_neq_f32_e32 vcc, s56, v41
	v_frexp_exp_i32_f64_e32 v45, v[45:46]
	v_frexp_exp_i32_f64_e32 v46, v[47:48]
	v_sub_u32_e32 v47, 0, v45
	v_ldexp_f32 v49, |v7|, v47
	v_sub_u32_e32 v48, 0, v46
	v_ldexp_f32 v47, v43, v47
	v_ldexp_f32 v50, |v7|, v48
	v_ldexp_f32 v48, |v42|, v48
	v_mul_f32_e32 v47, v47, v47
	v_mul_f32_e32 v48, v48, v48
	v_fmac_f32_e32 v47, v49, v49
	v_fmac_f32_e32 v48, v50, v50
	v_sqrt_f32_e32 v47, v47
	v_sqrt_f32_e32 v48, v48
	v_ldexp_f32 v45, v47, v45
	v_ldexp_f32 v47, v48, v46
	v_cndmask_b32_e32 v46, v34, v45, vcc
	v_cmp_neq_f32_e32 vcc, s56, v44
	v_cndmask_b32_e32 v44, v34, v47, vcc
	v_add_f32_e32 v41, v46, v44
	v_mul_f32_e32 v41, 0.5, v41
	v_cmp_ngt_f32_e32 vcc, 1.0, v41
	v_cndmask_b32_e32 v41, 1.0, v41, vcc
	v_cmp_ngt_f32_e32 vcc, s57, v41
                                        ; implicit-def: $vgpr47
	s_and_saveexec_b64 s[14:15], vcc
	s_xor_b64 s[42:43], exec, s[14:15]
	s_cbranch_execz .LBB62_18
; %bb.17:                               ;   in Loop: Header=BB62_4 Depth=1
	v_fma_f32 v45, v41, v41, -1.0
	v_mul_f32_e32 v47, 0x4f800000, v45
	v_cmp_gt_f32_e32 vcc, s58, v45
	v_cndmask_b32_e32 v45, v45, v47, vcc
	v_sqrt_f32_e32 v47, v45
	v_add_u32_e32 v48, -1, v47
	v_fma_f32 v50, -v48, v47, v45
	v_add_u32_e32 v49, 1, v47
	v_cmp_ge_f32_e64 s[14:15], 0, v50
	v_cndmask_b32_e64 v48, v47, v48, s[14:15]
	v_fma_f32 v47, -v49, v47, v45
	v_cmp_lt_f32_e64 s[14:15], 0, v47
	v_cndmask_b32_e64 v47, v48, v49, s[14:15]
	v_mul_f32_e32 v48, 0x37800000, v47
	v_cndmask_b32_e32 v47, v47, v48, vcc
	v_cmp_class_f32_e32 vcc, v45, v22
	v_cndmask_b32_e32 v45, v47, v45, vcc
	v_add_f32_e32 v45, v41, v45
	v_cmp_gt_f32_e32 vcc, s60, v45
	v_cndmask_b32_e64 v47, 0, 32, vcc
	v_ldexp_f32 v45, v45, v47
	v_log_f32_e32 v45, v45
	v_mul_f32_e32 v47, 0x3f317217, v45
	v_fma_f32 v47, v45, s61, -v47
	v_fmac_f32_e32 v47, 0x3377d1cf, v45
	v_fmac_f32_e32 v47, 0x3f317217, v45
	v_cmp_lt_f32_e64 s[14:15], |v45|, s56
	v_cndmask_b32_e64 v45, v45, v47, s[14:15]
	v_cndmask_b32_e32 v47, 0, v35, vcc
	v_sub_f32_e32 v47, v45, v47
.LBB62_18:                              ;   in Loop: Header=BB62_4 Depth=1
	s_or_saveexec_b64 s[42:43], s[42:43]
	v_and_b32_e32 v45, 0x7fffffff, v7
	s_xor_b64 exec, exec, s[42:43]
	s_cbranch_execz .LBB62_40
; %bb.19:                               ;   in Loop: Header=BB62_4 Depth=1
	v_cmp_neq_f32_e64 s[14:15], |v6|, 1.0
	v_cmp_nlt_f32_e64 s[44:45], |v7|, s62
	s_or_b64 s[14:15], s[44:45], s[14:15]
                                        ; implicit-def: $vgpr47
	s_and_saveexec_b64 s[44:45], s[14:15]
	s_xor_b64 s[44:45], exec, s[44:45]
	s_cbranch_execz .LBB62_37
; %bb.20:                               ;   in Loop: Header=BB62_4 Depth=1
	v_mul_f32_e64 v47, |v42|, s63
	v_cmp_ge_f32_e64 s[14:15], |v7|, v47
                                        ; implicit-def: $vgpr47
	s_and_saveexec_b64 s[46:47], s[14:15]
	s_xor_b64 s[46:47], exec, s[46:47]
	s_cbranch_execz .LBB62_30
; %bb.21:                               ;   in Loop: Header=BB62_4 Depth=1
	v_cmp_neq_f32_e32 vcc, 0, v43
	v_mov_b32_e32 v47, v45
	s_and_saveexec_b64 s[14:15], vcc
	s_cbranch_execz .LBB62_23
; %bb.22:                               ;   in Loop: Header=BB62_4 Depth=1
	v_mul_f32_e32 v47, v7, v7
	v_add_f32_e32 v48, v43, v46
	v_div_scale_f32 v49, s[48:49], v48, v48, v47
	v_div_scale_f32 v50, vcc, v47, v48, v47
	v_rcp_f32_e32 v51, v49
	v_fma_f32 v52, -v49, v51, 1.0
	v_fmac_f32_e32 v51, v52, v51
	v_mul_f32_e32 v52, v50, v51
	v_fma_f32 v53, -v49, v52, v50
	v_fmac_f32_e32 v52, v53, v51
	v_fma_f32 v49, -v49, v52, v50
	v_div_fmas_f32 v49, v49, v51, v52
	v_div_fixup_f32 v47, v49, v48, v47
.LBB62_23:                              ;   in Loop: Header=BB62_4 Depth=1
	s_or_b64 exec, exec, s[14:15]
	v_sub_f32_e64 v49, 1.0, |v6|
	v_cmp_ngt_f32_e32 vcc, 0, v49
                                        ; implicit-def: $vgpr48
	s_and_saveexec_b64 s[14:15], vcc
	s_xor_b64 s[14:15], exec, s[14:15]
	s_cbranch_execz .LBB62_27
; %bb.24:                               ;   in Loop: Header=BB62_4 Depth=1
	v_cmp_neq_f32_e32 vcc, 0, v49
	v_mov_b32_e32 v48, v45
	s_and_saveexec_b64 s[48:49], vcc
	s_cbranch_execz .LBB62_26
; %bb.25:                               ;   in Loop: Header=BB62_4 Depth=1
	v_mul_f32_e32 v48, v7, v7
	v_add_f32_e32 v49, v49, v44
	v_div_scale_f32 v50, s[50:51], v49, v49, v48
	v_div_scale_f32 v51, vcc, v48, v49, v48
	v_rcp_f32_e32 v52, v50
	v_fma_f32 v53, -v50, v52, 1.0
	v_fmac_f32_e32 v52, v53, v52
	v_mul_f32_e32 v53, v51, v52
	v_fma_f32 v54, -v50, v53, v51
	v_fmac_f32_e32 v53, v54, v52
	v_fma_f32 v50, -v50, v53, v51
	v_div_fmas_f32 v50, v50, v52, v53
	v_div_fixup_f32 v48, v50, v49, v48
.LBB62_26:                              ;   in Loop: Header=BB62_4 Depth=1
	s_or_b64 exec, exec, s[48:49]
                                        ; implicit-def: $vgpr49
.LBB62_27:                              ;   in Loop: Header=BB62_4 Depth=1
	s_andn2_saveexec_b64 s[14:15], s[14:15]
; %bb.28:                               ;   in Loop: Header=BB62_4 Depth=1
	v_sub_f32_e32 v48, v44, v49
; %bb.29:                               ;   in Loop: Header=BB62_4 Depth=1
	s_or_b64 exec, exec, s[14:15]
	v_mul_f32_e32 v48, 0.5, v48
	v_fmac_f32_e32 v48, 0.5, v47
	v_add_f32_e32 v47, 1.0, v41
	v_mul_f32_e32 v47, v47, v48
	v_mul_f32_e32 v49, 0x4f800000, v47
	v_cmp_gt_f32_e32 vcc, s58, v47
	v_cndmask_b32_e32 v47, v47, v49, vcc
	v_sqrt_f32_e32 v49, v47
	v_add_u32_e32 v50, -1, v49
	v_fma_f32 v51, -v50, v49, v47
	v_cmp_ge_f32_e64 s[14:15], 0, v51
	v_add_u32_e32 v51, 1, v49
	v_cndmask_b32_e64 v50, v49, v50, s[14:15]
	v_fma_f32 v49, -v51, v49, v47
	v_cmp_lt_f32_e64 s[14:15], 0, v49
	v_cndmask_b32_e64 v49, v50, v51, s[14:15]
	v_mul_f32_e32 v50, 0x37800000, v49
	v_cndmask_b32_e32 v49, v49, v50, vcc
	v_cmp_class_f32_e32 vcc, v47, v22
	v_cndmask_b32_e32 v47, v49, v47, vcc
	v_add_f32_e32 v49, v48, v47
	v_add_f32_e32 v50, 1.0, v49
	v_cvt_f64_f32_e32 v[47:48], v50
	v_add_f32_e32 v51, -1.0, v50
	v_frexp_exp_i32_f64_e32 v47, v[47:48]
	v_sub_f32_e32 v48, v51, v50
	v_add_f32_e32 v48, 1.0, v48
	v_sub_f32_e32 v51, v49, v51
	v_add_f32_e32 v48, v51, v48
	v_frexp_mant_f32_e32 v51, v50
	v_cmp_gt_f32_e32 vcc, s64, v51
	v_subbrev_co_u32_e32 v47, vcc, 0, v47, vcc
	v_sub_u32_e32 v51, 0, v47
	v_ldexp_f32 v50, v50, v51
	v_ldexp_f32 v48, v48, v51
	v_add_f32_e32 v51, -1.0, v50
	v_add_f32_e32 v54, 1.0, v50
	v_add_f32_e32 v52, 1.0, v51
	v_add_f32_e32 v55, -1.0, v54
	v_sub_f32_e32 v52, v50, v52
	v_sub_f32_e32 v50, v50, v55
	v_add_f32_e32 v52, v48, v52
	v_add_f32_e32 v48, v48, v50
	;; [unrolled: 1-line block ×3, first 2 shown]
	v_rcp_f32_e32 v55, v50
	v_add_f32_e32 v53, v51, v52
	v_sub_f32_e32 v51, v53, v51
	v_sub_f32_e32 v51, v52, v51
	;; [unrolled: 1-line block ×4, first 2 shown]
	v_mul_f32_e32 v52, v53, v55
	v_mul_f32_e32 v54, v50, v52
	v_fma_f32 v56, v52, v50, -v54
	v_fmac_f32_e32 v56, v52, v48
	v_add_f32_e32 v57, v54, v56
	v_sub_f32_e32 v58, v53, v57
	v_sub_f32_e32 v53, v53, v58
	;; [unrolled: 1-line block ×4, first 2 shown]
	v_add_f32_e32 v51, v51, v53
	v_sub_f32_e32 v53, v54, v56
	v_add_f32_e32 v51, v53, v51
	v_add_f32_e32 v53, v58, v51
	v_mul_f32_e32 v54, v55, v53
	v_mul_f32_e32 v56, v50, v54
	v_fma_f32 v50, v54, v50, -v56
	v_fmac_f32_e32 v50, v54, v48
	v_sub_f32_e32 v48, v58, v53
	v_add_f32_e32 v48, v51, v48
	v_add_f32_e32 v51, v56, v50
	v_sub_f32_e32 v57, v53, v51
	v_sub_f32_e32 v53, v53, v57
	;; [unrolled: 1-line block ×4, first 2 shown]
	v_add_f32_e32 v48, v48, v51
	v_sub_f32_e32 v50, v56, v50
	v_cvt_f32_i32_e32 v47, v47
	v_add_f32_e32 v48, v50, v48
	v_add_f32_e32 v50, v52, v54
	;; [unrolled: 1-line block ×3, first 2 shown]
	v_sub_f32_e32 v51, v50, v52
	v_mul_f32_e32 v48, v55, v48
	v_sub_f32_e32 v51, v54, v51
	v_add_f32_e32 v48, v51, v48
	v_mul_f32_e32 v54, 0x3f317218, v47
	v_add_f32_e32 v51, v50, v48
	v_fma_f32 v55, v47, s65, -v54
	v_mul_f32_e32 v52, v51, v51
	v_mov_b32_e32 v53, 0x3ecc95a3
	v_fmac_f32_e32 v55, 0xb102e308, v47
	v_sub_f32_e32 v47, v51, v50
	v_fmac_f32_e32 v53, 0x3e9b6dac, v52
	v_sub_f32_e32 v47, v48, v47
	v_add_f32_e32 v48, v54, v55
	v_fma_f32 v53, v52, v53, v23
	v_sub_f32_e32 v50, v48, v54
	v_ldexp_f32 v54, v51, 1
	v_mul_f32_e32 v51, v51, v52
	v_mul_f32_e32 v51, v51, v53
	v_add_f32_e32 v52, v54, v51
	v_sub_f32_e32 v53, v52, v54
	v_ldexp_f32 v47, v47, 1
	v_sub_f32_e32 v51, v51, v53
	v_add_f32_e32 v47, v47, v51
	v_add_f32_e32 v51, v52, v47
	v_sub_f32_e32 v52, v51, v52
	v_sub_f32_e32 v47, v47, v52
	v_add_f32_e32 v52, v48, v51
	v_sub_f32_e32 v53, v52, v48
	v_sub_f32_e32 v54, v52, v53
	;; [unrolled: 1-line block ×5, first 2 shown]
	v_add_f32_e32 v48, v51, v48
	v_add_f32_e32 v51, v50, v47
	v_sub_f32_e32 v53, v51, v50
	v_sub_f32_e32 v54, v51, v53
	;; [unrolled: 1-line block ×4, first 2 shown]
	v_add_f32_e32 v48, v51, v48
	v_add_f32_e32 v47, v47, v50
	;; [unrolled: 1-line block ×3, first 2 shown]
	v_sub_f32_e32 v51, v50, v52
	v_sub_f32_e32 v48, v48, v51
	v_add_f32_e32 v47, v47, v48
	v_add_f32_e32 v47, v50, v47
	v_cmp_neq_f32_e32 vcc, s56, v49
	v_cndmask_b32_e32 v47, v34, v47, vcc
	v_cmp_ngt_f32_e32 vcc, -1.0, v49
	v_cndmask_b32_e32 v47, v36, v47, vcc
	v_cmp_neq_f32_e32 vcc, -1.0, v49
	v_cndmask_b32_e32 v47, v37, v47, vcc
	v_cmp_lt_f32_e64 vcc, |v49|, s67
	v_cndmask_b32_e32 v47, v47, v49, vcc
.LBB62_30:                              ;   in Loop: Header=BB62_4 Depth=1
	s_andn2_saveexec_b64 s[46:47], s[46:47]
	s_cbranch_execz .LBB62_36
; %bb.31:                               ;   in Loop: Header=BB62_4 Depth=1
	v_cmp_nlt_f32_e64 s[14:15], |v6|, 1.0
                                        ; implicit-def: $vgpr47
	s_and_saveexec_b64 s[48:49], s[14:15]
	s_xor_b64 s[48:49], exec, s[48:49]
	s_cbranch_execz .LBB62_33
; %bb.32:                               ;   in Loop: Header=BB62_4 Depth=1
	v_mul_f32_e32 v47, v42, v43
	v_mul_f32_e32 v48, 0x4f800000, v47
	v_cmp_gt_f32_e32 vcc, s58, v47
	v_cndmask_b32_e32 v47, v47, v48, vcc
	v_sqrt_f32_e32 v48, v47
	v_add_u32_e32 v49, -1, v48
	v_fma_f32 v51, -v49, v48, v47
	v_add_u32_e32 v50, 1, v48
	v_cmp_ge_f32_e64 s[14:15], 0, v51
	v_cndmask_b32_e64 v49, v48, v49, s[14:15]
	v_fma_f32 v48, -v50, v48, v47
	v_cmp_lt_f32_e64 s[14:15], 0, v48
	v_cndmask_b32_e64 v48, v49, v50, s[14:15]
	v_mul_f32_e32 v49, 0x37800000, v48
	v_cndmask_b32_e32 v48, v48, v49, vcc
	v_cmp_class_f32_e32 vcc, v47, v22
	v_cndmask_b32_e32 v47, v48, v47, vcc
	v_add_f32_e32 v49, v42, v47
	v_add_f32_e32 v50, 1.0, v49
	v_cvt_f64_f32_e32 v[47:48], v50
	v_add_f32_e32 v51, -1.0, v50
	v_frexp_exp_i32_f64_e32 v47, v[47:48]
	v_sub_f32_e32 v48, v51, v50
	v_add_f32_e32 v48, 1.0, v48
	v_sub_f32_e32 v51, v49, v51
	v_add_f32_e32 v48, v51, v48
	v_frexp_mant_f32_e32 v51, v50
	v_cmp_gt_f32_e32 vcc, s64, v51
	v_subbrev_co_u32_e32 v47, vcc, 0, v47, vcc
	v_sub_u32_e32 v51, 0, v47
	v_ldexp_f32 v50, v50, v51
	v_ldexp_f32 v48, v48, v51
	v_add_f32_e32 v51, -1.0, v50
	v_add_f32_e32 v54, 1.0, v50
	v_add_f32_e32 v52, 1.0, v51
	v_add_f32_e32 v55, -1.0, v54
	v_sub_f32_e32 v52, v50, v52
	v_sub_f32_e32 v50, v50, v55
	v_add_f32_e32 v52, v48, v52
	v_add_f32_e32 v48, v48, v50
	;; [unrolled: 1-line block ×3, first 2 shown]
	v_rcp_f32_e32 v55, v50
	v_add_f32_e32 v53, v51, v52
	v_sub_f32_e32 v51, v53, v51
	v_sub_f32_e32 v51, v52, v51
	;; [unrolled: 1-line block ×4, first 2 shown]
	v_mul_f32_e32 v52, v53, v55
	v_mul_f32_e32 v54, v50, v52
	v_fma_f32 v56, v52, v50, -v54
	v_fmac_f32_e32 v56, v52, v48
	v_add_f32_e32 v57, v54, v56
	v_sub_f32_e32 v58, v53, v57
	v_sub_f32_e32 v53, v53, v58
	;; [unrolled: 1-line block ×4, first 2 shown]
	v_add_f32_e32 v51, v51, v53
	v_sub_f32_e32 v53, v54, v56
	v_add_f32_e32 v51, v53, v51
	v_add_f32_e32 v53, v58, v51
	v_mul_f32_e32 v54, v55, v53
	v_mul_f32_e32 v56, v50, v54
	v_fma_f32 v50, v54, v50, -v56
	v_fmac_f32_e32 v50, v54, v48
	v_sub_f32_e32 v48, v58, v53
	v_add_f32_e32 v48, v51, v48
	v_add_f32_e32 v51, v56, v50
	v_sub_f32_e32 v57, v53, v51
	v_sub_f32_e32 v53, v53, v57
	;; [unrolled: 1-line block ×4, first 2 shown]
	v_add_f32_e32 v48, v48, v51
	v_sub_f32_e32 v50, v56, v50
	v_cvt_f32_i32_e32 v47, v47
	v_add_f32_e32 v48, v50, v48
	v_add_f32_e32 v50, v52, v54
	;; [unrolled: 1-line block ×3, first 2 shown]
	v_sub_f32_e32 v51, v50, v52
	v_mul_f32_e32 v48, v55, v48
	v_sub_f32_e32 v51, v54, v51
	v_add_f32_e32 v48, v51, v48
	v_mul_f32_e32 v54, 0x3f317218, v47
	v_add_f32_e32 v51, v50, v48
	v_fma_f32 v55, v47, s65, -v54
	v_mul_f32_e32 v52, v51, v51
	v_mov_b32_e32 v53, 0x3ecc95a3
	v_fmac_f32_e32 v55, 0xb102e308, v47
	v_sub_f32_e32 v47, v51, v50
	v_fmac_f32_e32 v53, 0x3e9b6dac, v52
	v_sub_f32_e32 v47, v48, v47
	v_add_f32_e32 v48, v54, v55
	v_fma_f32 v53, v52, v53, v23
	v_sub_f32_e32 v50, v48, v54
	v_ldexp_f32 v54, v51, 1
	v_mul_f32_e32 v51, v51, v52
	v_mul_f32_e32 v51, v51, v53
	v_add_f32_e32 v52, v54, v51
	v_sub_f32_e32 v53, v52, v54
	v_ldexp_f32 v47, v47, 1
	v_sub_f32_e32 v51, v51, v53
	v_add_f32_e32 v47, v47, v51
	v_add_f32_e32 v51, v52, v47
	v_sub_f32_e32 v52, v51, v52
	v_sub_f32_e32 v47, v47, v52
	v_add_f32_e32 v52, v48, v51
	v_sub_f32_e32 v53, v52, v48
	v_sub_f32_e32 v54, v52, v53
	;; [unrolled: 1-line block ×5, first 2 shown]
	v_add_f32_e32 v48, v51, v48
	v_add_f32_e32 v51, v50, v47
	v_sub_f32_e32 v53, v51, v50
	v_sub_f32_e32 v54, v51, v53
	;; [unrolled: 1-line block ×4, first 2 shown]
	v_add_f32_e32 v48, v51, v48
	v_add_f32_e32 v47, v47, v50
	;; [unrolled: 1-line block ×3, first 2 shown]
	v_sub_f32_e32 v51, v50, v52
	v_sub_f32_e32 v48, v48, v51
	v_add_f32_e32 v47, v47, v48
	v_add_f32_e32 v47, v50, v47
	v_cmp_neq_f32_e32 vcc, s56, v49
	v_cndmask_b32_e32 v47, v34, v47, vcc
	v_cmp_ngt_f32_e32 vcc, -1.0, v49
	v_cndmask_b32_e32 v47, v36, v47, vcc
	v_cmp_neq_f32_e32 vcc, -1.0, v49
	v_cndmask_b32_e32 v47, v37, v47, vcc
	v_cmp_lt_f32_e64 vcc, |v49|, s67
	v_cndmask_b32_e32 v47, v47, v49, vcc
.LBB62_33:                              ;   in Loop: Header=BB62_4 Depth=1
	s_andn2_saveexec_b64 s[48:49], s[48:49]
	s_cbranch_execz .LBB62_35
; %bb.34:                               ;   in Loop: Header=BB62_4 Depth=1
	v_sub_f32_e64 v47, 1.0, |v6|
	v_mul_f32_e32 v47, v47, v43
	v_mul_f32_e32 v48, 0x4f800000, v47
	v_cmp_gt_f32_e32 vcc, s58, v47
	v_cndmask_b32_e32 v47, v47, v48, vcc
	v_sqrt_f32_e32 v48, v47
	v_add_u32_e32 v49, -1, v48
	v_fma_f32 v51, -v49, v48, v47
	v_add_u32_e32 v50, 1, v48
	v_cmp_ge_f32_e64 s[14:15], 0, v51
	v_cndmask_b32_e64 v49, v48, v49, s[14:15]
	v_fma_f32 v48, -v50, v48, v47
	v_cmp_lt_f32_e64 s[14:15], 0, v48
	v_cndmask_b32_e64 v48, v49, v50, s[14:15]
	v_mul_f32_e32 v49, 0x37800000, v48
	v_cndmask_b32_e32 v48, v48, v49, vcc
	v_cmp_class_f32_e32 vcc, v47, v22
	v_cndmask_b32_e32 v47, v48, v47, vcc
	v_and_b32_e32 v48, 0x7fffffff, v7
	v_div_scale_f32 v49, s[14:15], v47, v47, v48
	v_div_scale_f32 v48, vcc, v48, v47, v48
	v_rcp_f32_e32 v50, v49
	v_fma_f32 v51, -v49, v50, 1.0
	v_fmac_f32_e32 v50, v51, v50
	v_mul_f32_e32 v51, v48, v50
	v_fma_f32 v52, -v49, v51, v48
	v_fmac_f32_e32 v51, v52, v50
	v_fma_f32 v48, -v49, v51, v48
	v_div_fmas_f32 v48, v48, v50, v51
	v_div_fixup_f32 v47, v48, v47, |v7|
.LBB62_35:                              ;   in Loop: Header=BB62_4 Depth=1
	s_or_b64 exec, exec, s[48:49]
.LBB62_36:                              ;   in Loop: Header=BB62_4 Depth=1
	s_or_b64 exec, exec, s[46:47]
.LBB62_37:                              ;   in Loop: Header=BB62_4 Depth=1
	s_andn2_saveexec_b64 s[44:45], s[44:45]
	s_cbranch_execz .LBB62_39
; %bb.38:                               ;   in Loop: Header=BB62_4 Depth=1
	v_mul_f32_e64 v47, |v7|, s59
	v_cmp_lt_f32_e64 vcc, |v7|, s58
	v_cndmask_b32_e64 v47, |v7|, v47, vcc
	v_sqrt_f32_e32 v48, v47
	v_add_u32_e32 v49, -1, v48
	v_fma_f32 v51, -v49, v48, v47
	v_add_u32_e32 v50, 1, v48
	v_cmp_ge_f32_e64 s[14:15], 0, v51
	v_cndmask_b32_e64 v49, v48, v49, s[14:15]
	v_fma_f32 v48, -v50, v48, v47
	v_cmp_lt_f32_e64 s[14:15], 0, v48
	v_cndmask_b32_e64 v48, v49, v50, s[14:15]
	v_mul_f32_e32 v49, 0x37800000, v48
	v_cndmask_b32_e32 v48, v48, v49, vcc
	v_cmp_class_f32_e32 vcc, v47, v22
	v_cndmask_b32_e32 v47, v48, v47, vcc
.LBB62_39:                              ;   in Loop: Header=BB62_4 Depth=1
	s_or_b64 exec, exec, s[44:45]
.LBB62_40:                              ;   in Loop: Header=BB62_4 Depth=1
	s_or_b64 exec, exec, s[42:43]
	v_cmp_nlt_f32_e64 s[42:43], |v6|, s68
                                        ; implicit-def: $sgpr14_sgpr15
                                        ; implicit-def: $vgpr48
                                        ; implicit-def: $vgpr50
                                        ; implicit-def: $vgpr49
	s_and_saveexec_b64 s[44:45], s[42:43]
	s_xor_b64 s[42:43], exec, s[44:45]
	s_cbranch_execz .LBB62_64
; %bb.41:                               ;   in Loop: Header=BB62_4 Depth=1
	v_and_b32_e32 v49, 0x7fffffff, v6
	v_div_scale_f32 v48, s[14:15], v41, v41, v49
	v_div_scale_f32 v50, vcc, v49, v41, v49
	s_mov_b64 s[14:15], 0
	v_rcp_f32_e32 v51, v48
	v_fma_f32 v52, -v48, v51, 1.0
	v_fmac_f32_e32 v51, v52, v51
	v_mul_f32_e32 v52, v50, v51
	v_fma_f32 v53, -v48, v52, v50
	v_fmac_f32_e32 v52, v53, v51
	v_fma_f32 v48, -v48, v52, v50
	v_div_fmas_f32 v48, v48, v51, v52
                                        ; implicit-def: $vgpr50
	v_div_fixup_f32 v48, v48, v41, |v6|
	v_cmp_lt_f32_e32 vcc, s69, v48
	s_and_saveexec_b64 s[44:45], vcc
	s_cbranch_execz .LBB62_63
; %bb.42:                               ;   in Loop: Header=BB62_4 Depth=1
	v_cmp_neq_f32_e64 s[14:15], |v6|, 1.0
	v_cmp_nlt_f32_e64 s[46:47], |v7|, s70
	s_or_b64 s[14:15], s[46:47], s[14:15]
                                        ; implicit-def: $vgpr50
	s_and_saveexec_b64 s[46:47], s[14:15]
	s_xor_b64 s[46:47], exec, s[46:47]
	s_cbranch_execz .LBB62_60
; %bb.43:                               ;   in Loop: Header=BB62_4 Depth=1
	v_mul_f32_e64 v50, |v42|, s63
	v_cmp_ge_f32_e64 s[14:15], |v7|, v50
                                        ; implicit-def: $vgpr50
	s_and_saveexec_b64 s[48:49], s[14:15]
	s_xor_b64 s[48:49], exec, s[48:49]
	s_cbranch_execz .LBB62_53
; %bb.44:                               ;   in Loop: Header=BB62_4 Depth=1
	v_cmp_neq_f32_e32 vcc, 0, v43
	v_mov_b32_e32 v50, v45
	s_and_saveexec_b64 s[14:15], vcc
	s_cbranch_execz .LBB62_46
; %bb.45:                               ;   in Loop: Header=BB62_4 Depth=1
	v_mul_f32_e32 v50, v7, v7
	v_add_f32_e32 v43, v43, v46
	v_div_scale_f32 v46, s[50:51], v43, v43, v50
	v_div_scale_f32 v51, vcc, v50, v43, v50
	v_rcp_f32_e32 v52, v46
	v_fma_f32 v53, -v46, v52, 1.0
	v_fmac_f32_e32 v52, v53, v52
	v_mul_f32_e32 v53, v51, v52
	v_fma_f32 v54, -v46, v53, v51
	v_fmac_f32_e32 v53, v54, v52
	v_fma_f32 v46, -v46, v53, v51
	v_div_fmas_f32 v46, v46, v52, v53
	v_div_fixup_f32 v50, v46, v43, v50
.LBB62_46:                              ;   in Loop: Header=BB62_4 Depth=1
	s_or_b64 exec, exec, s[14:15]
	v_cmp_ngt_f32_e32 vcc, 0, v42
	s_and_saveexec_b64 s[14:15], vcc
	s_xor_b64 s[14:15], exec, s[14:15]
	s_cbranch_execz .LBB62_50
; %bb.47:                               ;   in Loop: Header=BB62_4 Depth=1
	v_cmp_neq_f32_e32 vcc, 0, v42
	s_and_saveexec_b64 s[50:51], vcc
	s_cbranch_execz .LBB62_49
; %bb.48:                               ;   in Loop: Header=BB62_4 Depth=1
	v_mul_f32_e32 v43, v7, v7
	v_add_f32_e32 v42, v42, v44
	v_div_scale_f32 v44, s[80:81], v42, v42, v43
	v_div_scale_f32 v45, vcc, v43, v42, v43
	v_rcp_f32_e32 v46, v44
	v_fma_f32 v51, -v44, v46, 1.0
	v_fmac_f32_e32 v46, v51, v46
	v_mul_f32_e32 v51, v45, v46
	v_fma_f32 v52, -v44, v51, v45
	v_fmac_f32_e32 v51, v52, v46
	v_fma_f32 v44, -v44, v51, v45
	v_div_fmas_f32 v44, v44, v46, v51
	v_div_fixup_f32 v45, v44, v42, v43
.LBB62_49:                              ;   in Loop: Header=BB62_4 Depth=1
	s_or_b64 exec, exec, s[50:51]
                                        ; implicit-def: $vgpr44
                                        ; implicit-def: $vgpr42
.LBB62_50:                              ;   in Loop: Header=BB62_4 Depth=1
	s_andn2_saveexec_b64 s[14:15], s[14:15]
; %bb.51:                               ;   in Loop: Header=BB62_4 Depth=1
	v_sub_f32_e32 v45, v44, v42
; %bb.52:                               ;   in Loop: Header=BB62_4 Depth=1
	s_or_b64 exec, exec, s[14:15]
	v_mul_f32_e32 v42, 0.5, v45
	v_fmac_f32_e32 v42, 0.5, v50
	v_add_f32_e64 v41, |v6|, v41
	v_mul_f32_e32 v41, v41, v42
	v_mul_f32_e32 v42, 0x4f800000, v41
	v_cmp_gt_f32_e32 vcc, s58, v41
	v_cndmask_b32_e32 v41, v41, v42, vcc
	v_sqrt_f32_e32 v42, v41
	v_add_u32_e32 v43, -1, v42
	v_fma_f32 v44, -v43, v42, v41
	v_cmp_ge_f32_e64 s[14:15], 0, v44
	v_add_u32_e32 v44, 1, v42
	v_cndmask_b32_e64 v43, v42, v43, s[14:15]
	v_fma_f32 v42, -v44, v42, v41
	v_cmp_lt_f32_e64 s[14:15], 0, v42
	v_cndmask_b32_e64 v42, v43, v44, s[14:15]
	v_mul_f32_e32 v43, 0x37800000, v42
	v_cndmask_b32_e32 v42, v42, v43, vcc
	v_cmp_class_f32_e32 vcc, v41, v22
	v_cndmask_b32_e32 v50, v42, v41, vcc
                                        ; implicit-def: $vgpr43
                                        ; implicit-def: $vgpr42
.LBB62_53:                              ;   in Loop: Header=BB62_4 Depth=1
	s_andn2_saveexec_b64 s[48:49], s[48:49]
	s_cbranch_execz .LBB62_59
; %bb.54:                               ;   in Loop: Header=BB62_4 Depth=1
	v_cmp_ngt_f32_e64 s[14:15], |v6|, 1.0
                                        ; implicit-def: $vgpr50
	s_and_saveexec_b64 s[50:51], s[14:15]
	s_xor_b64 s[50:51], exec, s[50:51]
	s_cbranch_execz .LBB62_56
; %bb.55:                               ;   in Loop: Header=BB62_4 Depth=1
	v_sub_f32_e64 v41, 1.0, |v6|
	v_mul_f32_e32 v41, v41, v43
	v_mul_f32_e32 v42, 0x4f800000, v41
	v_cmp_gt_f32_e32 vcc, s58, v41
	v_cndmask_b32_e32 v41, v41, v42, vcc
	v_sqrt_f32_e32 v42, v41
	v_add_u32_e32 v43, -1, v42
	v_fma_f32 v45, -v43, v42, v41
	v_add_u32_e32 v44, 1, v42
	v_cmp_ge_f32_e64 s[14:15], 0, v45
	v_cndmask_b32_e64 v43, v42, v43, s[14:15]
	v_fma_f32 v42, -v44, v42, v41
	v_cmp_lt_f32_e64 s[14:15], 0, v42
	v_cndmask_b32_e64 v42, v43, v44, s[14:15]
	v_mul_f32_e32 v43, 0x37800000, v42
	v_cndmask_b32_e32 v42, v42, v43, vcc
	v_cmp_class_f32_e32 vcc, v41, v22
	v_cndmask_b32_e32 v50, v42, v41, vcc
                                        ; implicit-def: $vgpr43
                                        ; implicit-def: $vgpr42
.LBB62_56:                              ;   in Loop: Header=BB62_4 Depth=1
	s_andn2_saveexec_b64 s[50:51], s[50:51]
	s_cbranch_execz .LBB62_58
; %bb.57:                               ;   in Loop: Header=BB62_4 Depth=1
	v_mul_f32_e32 v41, v43, v42
	v_mul_f32_e32 v42, 0x4f800000, v41
	v_cmp_gt_f32_e32 vcc, s58, v41
	v_cndmask_b32_e32 v41, v41, v42, vcc
	v_sqrt_f32_e32 v42, v41
	v_mul_f32_e64 v43, |v7|, s71
	v_mul_f32_e64 v43, |v6|, v43
	v_add_u32_e32 v44, -1, v42
	v_fma_f32 v45, -v44, v42, v41
	v_cmp_ge_f32_e64 s[14:15], 0, v45
	v_add_u32_e32 v45, 1, v42
	v_cndmask_b32_e64 v44, v42, v44, s[14:15]
	v_fma_f32 v42, -v45, v42, v41
	v_cmp_lt_f32_e64 s[14:15], 0, v42
	v_cndmask_b32_e64 v42, v44, v45, s[14:15]
	v_mul_f32_e32 v44, 0x37800000, v42
	v_cndmask_b32_e32 v42, v42, v44, vcc
	v_cmp_class_f32_e32 vcc, v41, v22
	v_cndmask_b32_e32 v41, v42, v41, vcc
	v_div_scale_f32 v42, s[14:15], v41, v41, v43
	v_div_scale_f32 v44, vcc, v43, v41, v43
	v_rcp_f32_e32 v45, v42
	v_fma_f32 v46, -v42, v45, 1.0
	v_fmac_f32_e32 v45, v46, v45
	v_mul_f32_e32 v46, v44, v45
	v_fma_f32 v49, -v42, v46, v44
	v_fmac_f32_e32 v46, v49, v45
	v_fma_f32 v42, -v42, v46, v44
	v_div_fmas_f32 v42, v42, v45, v46
	v_mul_f32_e64 v49, |v6|, s71
	v_div_fixup_f32 v50, v42, v41, v43
.LBB62_58:                              ;   in Loop: Header=BB62_4 Depth=1
	s_or_b64 exec, exec, s[50:51]
.LBB62_59:                              ;   in Loop: Header=BB62_4 Depth=1
	s_or_b64 exec, exec, s[48:49]
                                        ; implicit-def: $vgpr41
.LBB62_60:                              ;   in Loop: Header=BB62_4 Depth=1
	s_andn2_saveexec_b64 s[46:47], s[46:47]
	s_cbranch_execz .LBB62_62
; %bb.61:                               ;   in Loop: Header=BB62_4 Depth=1
	v_mul_f32_e64 v42, |v7|, s59
	v_cmp_lt_f32_e64 vcc, |v7|, s58
	v_cndmask_b32_e64 v42, |v7|, v42, vcc
	v_sqrt_f32_e32 v43, v42
	v_add_f32_e32 v41, 1.0, v41
	v_mul_f32_e32 v41, 0.5, v41
	v_mov_b32_e32 v49, 1.0
	v_add_u32_e32 v44, -1, v43
	v_fma_f32 v46, -v44, v43, v42
	v_add_u32_e32 v45, 1, v43
	v_cmp_ge_f32_e64 s[14:15], 0, v46
	v_cndmask_b32_e64 v44, v43, v44, s[14:15]
	v_fma_f32 v43, -v45, v43, v42
	v_cmp_lt_f32_e64 s[14:15], 0, v43
	v_cndmask_b32_e64 v43, v44, v45, s[14:15]
	v_mul_f32_e32 v44, 0x37800000, v43
	v_cndmask_b32_e32 v43, v43, v44, vcc
	v_mul_f32_e32 v44, 0x4f800000, v41
	v_cmp_gt_f32_e32 vcc, s58, v41
	v_cndmask_b32_e32 v41, v41, v44, vcc
	v_sqrt_f32_e32 v44, v41
	v_cmp_class_f32_e64 s[14:15], v42, v22
	v_cndmask_b32_e64 v42, v43, v42, s[14:15]
	v_add_u32_e32 v43, -1, v44
	v_fma_f32 v45, -v43, v44, v41
	v_cmp_ge_f32_e64 s[14:15], 0, v45
	v_add_u32_e32 v45, 1, v44
	v_cndmask_b32_e64 v43, v44, v43, s[14:15]
	v_fma_f32 v44, -v45, v44, v41
	v_cmp_lt_f32_e64 s[14:15], 0, v44
	v_cndmask_b32_e64 v43, v43, v45, s[14:15]
	v_mul_f32_e32 v44, 0x37800000, v43
	v_cndmask_b32_e32 v43, v43, v44, vcc
	v_cmp_class_f32_e32 vcc, v41, v22
	v_cndmask_b32_e32 v41, v43, v41, vcc
	v_mul_f32_e32 v50, v42, v41
.LBB62_62:                              ;   in Loop: Header=BB62_4 Depth=1
	s_or_b64 exec, exec, s[46:47]
	s_mov_b64 s[14:15], exec
.LBB62_63:                              ;   in Loop: Header=BB62_4 Depth=1
	s_or_b64 exec, exec, s[44:45]
                                        ; implicit-def: $vgpr41
.LBB62_64:                              ;   in Loop: Header=BB62_4 Depth=1
	s_andn2_saveexec_b64 s[42:43], s[42:43]
; %bb.65:                               ;   in Loop: Header=BB62_4 Depth=1
	v_mul_f32_e32 v50, 0x4b800000, v41
	v_mul_f32_e64 v49, |v6|, s72
	s_or_b64 s[14:15], s[14:15], exec
                                        ; implicit-def: $vgpr48
; %bb.66:                               ;   in Loop: Header=BB62_4 Depth=1
	s_or_b64 exec, exec, s[42:43]
	s_xor_b64 s[14:15], s[14:15], -1
                                        ; implicit-def: $vgpr41
	s_and_saveexec_b64 s[42:43], s[14:15]
	s_xor_b64 s[14:15], exec, s[42:43]
	s_cbranch_execz .LBB62_68
; %bb.67:                               ;   in Loop: Header=BB62_4 Depth=1
	v_fma_f32 v41, |v48|, -0.5, 0.5
	v_mul_f32_e32 v42, v48, v48
	v_cmp_ge_f32_e64 vcc, |v48|, 0.5
	v_cndmask_b32_e32 v41, v42, v41, vcc
	v_mov_b32_e32 v42, 0x3c5fc5da
	v_fmac_f32_e32 v42, 0x3d1c21a7, v41
	v_fma_f32 v42, v41, v42, v24
	v_fma_f32 v42, v41, v42, v25
	v_sqrt_f32_e32 v43, v41
	v_fma_f32 v42, v41, v42, v26
	v_fma_f32 v42, v41, v42, v27
	v_mul_f32_e32 v41, v41, v42
	v_fmac_f32_e32 v43, v43, v41
	v_add_f32_e32 v42, v43, v43
	v_sub_f32_e32 v42, 0x3fc90fdb, v42
	v_fma_f32 v41, |v48|, v41, |v48|
	v_cmp_lt_f32_e64 vcc, |v48|, 0.5
	v_cndmask_b32_e32 v41, v42, v41, vcc
	v_bfi_b32 v41, s55, v41, v48
                                        ; implicit-def: $vgpr49
                                        ; implicit-def: $vgpr50
.LBB62_68:                              ;   in Loop: Header=BB62_4 Depth=1
	s_andn2_saveexec_b64 s[42:43], s[14:15]
	s_cbranch_execz .LBB62_70
; %bb.69:                               ;   in Loop: Header=BB62_4 Depth=1
	v_max_f32_e32 v41, v49, v49
	v_max_f32_e64 v42, |v50|, |v50|
	v_min_f32_e32 v43, v42, v41
	v_max_f32_e32 v41, v42, v41
	v_frexp_mant_f32_e32 v42, v41
	v_rcp_f32_e32 v42, v42
	v_frexp_exp_i32_f32_e32 v41, v41
	v_frexp_exp_i32_f32_e32 v44, v43
	v_frexp_mant_f32_e32 v43, v43
	v_mul_f32_e32 v42, v43, v42
	v_sub_u32_e32 v41, v44, v41
	v_ldexp_f32 v41, v42, v41
	v_mul_f32_e32 v42, v41, v41
	v_mov_b32_e32 v43, 0xbc7a590c
	v_fmac_f32_e32 v43, 0x3b2d2a58, v42
	v_fma_f32 v43, v42, v43, v28
	v_fma_f32 v43, v42, v43, v29
	;; [unrolled: 1-line block ×6, first 2 shown]
	v_mul_f32_e32 v42, v42, v43
	v_fmac_f32_e32 v41, v41, v42
	v_sub_f32_e32 v42, 0x3fc90fdb, v41
	v_cmp_gt_f32_e64 vcc, v49, |v50|
	v_cndmask_b32_e32 v41, v41, v42, vcc
	v_sub_f32_e32 v42, 0x40490fdb, v41
	v_cmp_gt_f32_e32 vcc, 0, v50
	v_cmp_gt_i32_e64 s[14:15], 0, v50
	v_cndmask_b32_e32 v41, v41, v42, vcc
	v_cndmask_b32_e64 v42, 0, v38, s[14:15]
	v_cndmask_b32_e32 v43, v39, v40, vcc
	v_cmp_class_f32_e64 s[44:45], v50, s73
	v_cmp_eq_f32_e32 vcc, s56, v49
	v_cmp_eq_f32_e64 s[14:15], 0, v49
	v_cndmask_b32_e64 v41, |v41|, v42, s[14:15]
	s_and_b64 vcc, vcc, s[44:45]
	v_cndmask_b32_e32 v41, v41, v43, vcc
	v_cmp_o_f32_e32 vcc, v50, v50
	v_cndmask_b32_e32 v41, v36, v41, vcc
.LBB62_70:                              ;   in Loop: Header=BB62_4 Depth=1
	s_or_b64 exec, exec, s[42:43]
	v_bfi_b32 v7, s55, v47, v7
	v_bfi_b32 v6, s55, v41, v6
.LBB62_71:                              ;   in Loop: Header=BB62_4 Depth=1
	s_or_b64 exec, exec, s[40:41]
.LBB62_72:                              ;   in Loop: Header=BB62_4 Depth=1
	s_or_b64 exec, exec, s[38:39]
                                        ; implicit-def: $vgpr41
                                        ; implicit-def: $vgpr44
                                        ; implicit-def: $vgpr43
.LBB62_73:                              ;   in Loop: Header=BB62_4 Depth=1
	s_andn2_saveexec_b64 s[38:39], s[16:17]
	s_cbranch_execz .LBB62_95
; %bb.74:                               ;   in Loop: Header=BB62_4 Depth=1
	v_cmp_lt_i32_e32 vcc, -1, v7
                                        ; implicit-def: $sgpr40_sgpr41
                                        ; implicit-def: $vgpr42
                                        ; implicit-def: $vgpr45
	s_and_saveexec_b64 s[14:15], vcc
	s_xor_b64 s[42:43], exec, s[14:15]
	s_cbranch_execz .LBB62_84
; %bb.75:                               ;   in Loop: Header=BB62_4 Depth=1
	v_cmp_lt_f32_e64 s[14:15], |v7|, |v6|
	v_cndmask_b32_e64 v46, |v7|, |v6|, s[14:15]
	v_cmp_nlt_f32_e32 vcc, s74, v46
                                        ; implicit-def: $vgpr42
                                        ; implicit-def: $vgpr45
	s_and_saveexec_b64 s[16:17], vcc
	s_xor_b64 s[40:41], exec, s[16:17]
	s_cbranch_execz .LBB62_81
; %bb.76:                               ;   in Loop: Header=BB62_4 Depth=1
	v_cndmask_b32_e64 v47, |v6|, |v7|, s[14:15]
	v_cmp_nlt_f32_e32 vcc, s75, v46
	v_cmp_ngt_f32_e64 s[16:17], s76, v47
	s_and_b64 s[16:17], vcc, s[16:17]
                                        ; implicit-def: $vgpr42
                                        ; implicit-def: $vgpr45
	s_and_saveexec_b64 s[44:45], s[16:17]
	s_xor_b64 s[16:17], exec, s[44:45]
	s_cbranch_execz .LBB62_78
; %bb.77:                               ;   in Loop: Header=BB62_4 Depth=1
	v_mul_f32_e32 v42, v47, v47
	v_fmac_f32_e32 v42, v46, v46
	v_cmp_gt_f32_e32 vcc, s60, v42
	v_cndmask_b32_e64 v45, 0, 32, vcc
	v_ldexp_f32 v42, v42, v45
	v_log_f32_e32 v42, v42
	s_waitcnt lgkmcnt(0)
	v_min_f32_e32 v41, v44, v41
	v_frexp_mant_f32_e32 v44, v43
	v_rcp_f32_e32 v44, v44
	v_mul_f32_e32 v46, 0x3f317217, v42
	v_fma_f32 v46, v42, s61, -v46
	v_fmac_f32_e32 v46, 0x3377d1cf, v42
	v_cndmask_b32_e32 v45, 0, v35, vcc
	v_fmac_f32_e32 v46, 0x3f317217, v42
	v_cmp_lt_f32_e64 vcc, |v42|, s56
	v_cndmask_b32_e32 v42, v42, v46, vcc
	v_sub_f32_e32 v42, v42, v45
	v_frexp_exp_i32_f32_e32 v43, v43
	v_frexp_exp_i32_f32_e32 v45, v41
	v_frexp_mant_f32_e32 v41, v41
	v_mul_f32_e32 v41, v41, v44
	v_sub_u32_e32 v43, v45, v43
	v_ldexp_f32 v45, v41, v43
	v_mul_f32_e32 v41, v45, v45
	v_mov_b32_e32 v43, 0xbc7a590c
	v_fmac_f32_e32 v43, 0x3b2d2a58, v41
	v_fma_f32 v43, v41, v43, v28
	v_fma_f32 v43, v41, v43, v29
	;; [unrolled: 1-line block ×6, first 2 shown]
	v_mul_f32_e32 v41, v41, v43
	v_mul_f32_e32 v42, 0.5, v42
	v_fmac_f32_e32 v45, v45, v41
                                        ; implicit-def: $vgpr43
                                        ; implicit-def: $vgpr44
                                        ; implicit-def: $vgpr41
.LBB62_78:                              ;   in Loop: Header=BB62_4 Depth=1
	s_andn2_saveexec_b64 s[16:17], s[16:17]
	s_cbranch_execz .LBB62_80
; %bb.79:                               ;   in Loop: Header=BB62_4 Depth=1
	v_cvt_f64_f32_e32 v[45:46], v43
	v_cmp_neq_f32_e32 vcc, s56, v43
	s_waitcnt lgkmcnt(0)
	v_min_f32_e32 v41, v44, v41
	v_frexp_exp_i32_f32_e32 v44, v43
	v_frexp_exp_i32_f64_e32 v42, v[45:46]
	v_frexp_mant_f32_e32 v45, v43
	v_rcp_f32_e32 v45, v45
	v_frexp_exp_i32_f32_e32 v47, v41
	v_frexp_mant_f32_e32 v41, v41
	v_sub_u32_e32 v44, v47, v44
	v_mul_f32_e32 v41, v41, v45
	v_ldexp_f32 v45, v41, v44
	v_sub_u32_e32 v48, 0, v42
	v_ldexp_f32 v49, |v7|, v48
	v_ldexp_f32 v48, |v6|, v48
	v_mul_f32_e32 v48, v48, v48
	v_fmac_f32_e32 v48, v49, v49
	v_sqrt_f32_e32 v48, v48
	v_mov_b32_e32 v46, 0xbc7a590c
	v_mul_f32_e32 v41, v45, v45
	v_fmac_f32_e32 v46, 0x3b2d2a58, v41
	v_ldexp_f32 v42, v48, v42
	v_cndmask_b32_e32 v42, v34, v42, vcc
	v_cmp_gt_f32_e32 vcc, s60, v42
	v_cndmask_b32_e64 v43, 0, 32, vcc
	v_ldexp_f32 v42, v42, v43
	v_log_f32_e32 v42, v42
	v_cndmask_b32_e32 v43, 0, v35, vcc
	v_mul_f32_e32 v44, 0x3f317217, v42
	v_fma_f32 v44, v42, s61, -v44
	v_fmac_f32_e32 v44, 0x3377d1cf, v42
	v_fmac_f32_e32 v44, 0x3f317217, v42
	v_cmp_lt_f32_e64 vcc, |v42|, s56
	v_cndmask_b32_e32 v42, v42, v44, vcc
	v_sub_f32_e32 v42, v42, v43
	v_fma_f32 v43, v41, v46, v28
	v_fma_f32 v43, v41, v43, v29
	;; [unrolled: 1-line block ×6, first 2 shown]
	v_mul_f32_e32 v41, v41, v43
	v_fmac_f32_e32 v45, v45, v41
.LBB62_80:                              ;   in Loop: Header=BB62_4 Depth=1
	s_or_b64 exec, exec, s[16:17]
                                        ; implicit-def: $vgpr44
                                        ; implicit-def: $vgpr41
                                        ; implicit-def: $vgpr43
.LBB62_81:                              ;   in Loop: Header=BB62_4 Depth=1
	s_andn2_saveexec_b64 s[40:41], s[40:41]
	s_cbranch_execz .LBB62_83
; %bb.82:                               ;   in Loop: Header=BB62_4 Depth=1
	v_div_scale_f32 v42, s[16:17], s77, s77, v7
	v_div_scale_f32 v45, s[16:17], s77, s77, v6
	v_div_scale_f32 v46, vcc, v7, s77, v7
	v_div_scale_f32 v47, s[16:17], v6, s77, v6
	s_waitcnt lgkmcnt(0)
	v_min_f32_e32 v44, v44, v41
	v_rcp_f32_e32 v48, v42
	v_rcp_f32_e32 v49, v45
	v_fma_f32 v50, -v42, v48, 1.0
	v_fmac_f32_e32 v48, v50, v48
	v_fma_f32 v51, -v45, v49, 1.0
	v_fmac_f32_e32 v49, v51, v49
	v_mul_f32_e32 v50, v46, v48
	v_mul_f32_e32 v51, v47, v49
	v_fma_f32 v52, -v42, v50, v46
	v_fma_f32 v53, -v45, v51, v47
	v_fmac_f32_e32 v50, v52, v48
	v_fmac_f32_e32 v51, v53, v49
	v_fma_f32 v42, -v42, v50, v46
	v_fma_f32 v45, -v45, v51, v47
	v_div_fmas_f32 v42, v42, v48, v50
	s_mov_b64 vcc, s[16:17]
	v_div_fmas_f32 v45, v45, v49, v51
	v_frexp_exp_i32_f32_e32 v46, v43
	v_frexp_mant_f32_e32 v43, v43
	v_rcp_f32_e32 v43, v43
	v_mov_b32_e32 v47, 0xbc7a590c
	v_div_fixup_f32 v48, v42, s77, v7
	v_div_fixup_f32 v49, v45, s77, v6
	v_max_f32_e64 v50, v48, |v49|
	v_cvt_f64_f32_e32 v[41:42], v50
	v_frexp_exp_i32_f32_e32 v45, v44
	v_frexp_mant_f32_e32 v44, v44
	v_mul_f32_e32 v43, v44, v43
	v_frexp_exp_i32_f64_e32 v41, v[41:42]
	v_sub_u32_e32 v42, v45, v46
	v_cmp_neq_f32_e32 vcc, s56, v50
	v_ldexp_f32 v45, v43, v42
	v_mul_f32_e32 v42, v45, v45
	v_fmac_f32_e32 v47, 0x3b2d2a58, v42
	v_fma_f32 v43, v42, v47, v28
	v_fma_f32 v43, v42, v43, v29
	v_sub_u32_e32 v44, 0, v41
	v_ldexp_f32 v46, v48, v44
	v_ldexp_f32 v44, |v49|, v44
	v_mul_f32_e32 v44, v44, v44
	v_fmac_f32_e32 v44, v46, v46
	v_sqrt_f32_e32 v44, v44
	v_fma_f32 v43, v42, v43, v30
	v_fma_f32 v43, v42, v43, v31
	;; [unrolled: 1-line block ×3, first 2 shown]
	v_ldexp_f32 v41, v44, v41
	v_cndmask_b32_e32 v41, v34, v41, vcc
	v_cmp_gt_f32_e32 vcc, s60, v41
	v_cndmask_b32_e64 v44, 0, 32, vcc
	v_ldexp_f32 v41, v41, v44
	v_log_f32_e32 v41, v41
	v_fma_f32 v43, v42, v43, v33
	v_mul_f32_e32 v43, v42, v43
	v_cndmask_b32_e32 v42, 0, v35, vcc
	v_mul_f32_e32 v44, 0x3f317217, v41
	v_fma_f32 v44, v41, s61, -v44
	v_fmac_f32_e32 v44, 0x3377d1cf, v41
	v_fmac_f32_e32 v44, 0x3f317217, v41
	v_cmp_lt_f32_e64 vcc, |v41|, s56
	v_cndmask_b32_e32 v41, v41, v44, vcc
	v_sub_f32_e32 v41, v41, v42
	v_add_f32_e32 v42, 1.0, v41
	v_fmac_f32_e32 v45, v45, v43
.LBB62_83:                              ;   in Loop: Header=BB62_4 Depth=1
	s_or_b64 exec, exec, s[40:41]
	s_waitcnt lgkmcnt(0)
	v_sub_f32_e32 v41, 0x3fc90fdb, v45
	v_cndmask_b32_e64 v41, v45, v41, s[14:15]
	v_cmp_neq_f32_e32 vcc, 0, v6
	v_cndmask_b32_e32 v45, 0, v41, vcc
	v_cmp_class_f32_e64 s[40:41], v7, s73
                                        ; implicit-def: $vgpr41
.LBB62_84:                              ;   in Loop: Header=BB62_4 Depth=1
	s_andn2_saveexec_b64 s[42:43], s[42:43]
	s_cbranch_execz .LBB62_94
; %bb.85:                               ;   in Loop: Header=BB62_4 Depth=1
	v_cmp_gt_f32_e64 s[14:15], |v6|, -v7
	v_cndmask_b32_e64 v44, -v7, |v6|, s[14:15]
	v_cmp_nlt_f32_e32 vcc, s74, v44
                                        ; implicit-def: $vgpr42
                                        ; implicit-def: $vgpr43
	s_and_saveexec_b64 s[16:17], vcc
	s_xor_b64 s[44:45], exec, s[16:17]
	s_cbranch_execz .LBB62_91
; %bb.86:                               ;   in Loop: Header=BB62_4 Depth=1
	v_xor_b32_e32 v42, 0x80000000, v7
	v_cndmask_b32_e64 v45, |v6|, v42, s[14:15]
	v_cmp_nlt_f32_e32 vcc, s75, v44
	v_cmp_ngt_f32_e64 s[16:17], s76, v45
	s_and_b64 s[16:17], vcc, s[16:17]
                                        ; implicit-def: $vgpr42
                                        ; implicit-def: $vgpr43
	s_and_saveexec_b64 s[46:47], s[16:17]
	s_xor_b64 s[16:17], exec, s[46:47]
	s_cbranch_execz .LBB62_88
; %bb.87:                               ;   in Loop: Header=BB62_4 Depth=1
	v_mul_f32_e32 v42, v45, v45
	v_fmac_f32_e32 v42, v44, v44
	v_cmp_gt_f32_e32 vcc, s60, v42
	v_cndmask_b32_e64 v43, 0, 32, vcc
	v_ldexp_f32 v42, v42, v43
	v_log_f32_e32 v42, v42
	v_cndmask_b32_e32 v43, 0, v35, vcc
	v_mul_f32_e32 v44, 0x3f317217, v42
	v_fma_f32 v44, v42, s61, -v44
	v_fmac_f32_e32 v44, 0x3377d1cf, v42
	v_fmac_f32_e32 v44, 0x3f317217, v42
	v_cmp_lt_f32_e64 vcc, |v42|, s56
	v_cndmask_b32_e32 v42, v42, v44, vcc
	v_sub_f32_e32 v42, v42, v43
	v_max_f32_e64 v43, -v7, -v7
	s_waitcnt lgkmcnt(0)
	v_min_f32_e32 v44, v43, v41
	v_max_f32_e32 v41, v43, v41
	v_frexp_mant_f32_e32 v43, v41
	v_rcp_f32_e32 v43, v43
	v_frexp_exp_i32_f32_e32 v41, v41
	v_frexp_exp_i32_f32_e32 v45, v44
	v_frexp_mant_f32_e32 v44, v44
	v_mul_f32_e32 v43, v44, v43
	v_sub_u32_e32 v41, v45, v41
	v_ldexp_f32 v43, v43, v41
	v_mul_f32_e32 v41, v43, v43
	v_mov_b32_e32 v44, 0xbc7a590c
	v_fmac_f32_e32 v44, 0x3b2d2a58, v41
	v_fma_f32 v44, v41, v44, v28
	v_fma_f32 v44, v41, v44, v29
	;; [unrolled: 1-line block ×6, first 2 shown]
	v_mul_f32_e32 v41, v41, v44
	v_mul_f32_e32 v42, 0.5, v42
	v_fmac_f32_e32 v43, v43, v41
                                        ; implicit-def: $vgpr41
.LBB62_88:                              ;   in Loop: Header=BB62_4 Depth=1
	s_andn2_saveexec_b64 s[16:17], s[16:17]
	s_cbranch_execz .LBB62_90
; %bb.89:                               ;   in Loop: Header=BB62_4 Depth=1
	v_max_f32_e64 v44, -v7, -v7
	s_waitcnt lgkmcnt(0)
	v_max_f32_e32 v45, v44, v41
	v_cvt_f64_f32_e32 v[42:43], v45
	v_min_f32_e32 v41, v44, v41
	v_frexp_mant_f32_e32 v44, v45
	v_rcp_f32_e32 v44, v44
	v_frexp_exp_i32_f64_e32 v42, v[42:43]
	v_cmp_neq_f32_e32 vcc, s56, v45
	v_frexp_exp_i32_f32_e32 v47, v41
	v_frexp_mant_f32_e32 v41, v41
	v_mul_f32_e32 v41, v41, v44
	v_frexp_exp_i32_f32_e32 v43, v45
	v_sub_u32_e32 v43, v47, v43
	v_ldexp_f32 v43, v41, v43
	v_sub_u32_e32 v48, 0, v42
	v_ldexp_f32 v49, -v7, v48
	v_ldexp_f32 v48, |v6|, v48
	v_mul_f32_e32 v48, v48, v48
	v_fmac_f32_e32 v48, v49, v49
	v_sqrt_f32_e32 v48, v48
	v_mov_b32_e32 v46, 0xbc7a590c
	v_mul_f32_e32 v41, v43, v43
	v_fmac_f32_e32 v46, 0x3b2d2a58, v41
	v_ldexp_f32 v42, v48, v42
	v_cndmask_b32_e32 v42, v34, v42, vcc
	v_cmp_gt_f32_e32 vcc, s60, v42
	v_cndmask_b32_e64 v44, 0, 32, vcc
	v_ldexp_f32 v42, v42, v44
	v_log_f32_e32 v42, v42
	v_cndmask_b32_e32 v44, 0, v35, vcc
	v_mul_f32_e32 v45, 0x3f317217, v42
	v_fma_f32 v45, v42, s61, -v45
	v_fmac_f32_e32 v45, 0x3377d1cf, v42
	v_fmac_f32_e32 v45, 0x3f317217, v42
	v_cmp_lt_f32_e64 vcc, |v42|, s56
	v_cndmask_b32_e32 v42, v42, v45, vcc
	v_sub_f32_e32 v42, v42, v44
	v_fma_f32 v44, v41, v46, v28
	v_fma_f32 v44, v41, v44, v29
	;; [unrolled: 1-line block ×6, first 2 shown]
	v_mul_f32_e32 v41, v41, v44
	v_fmac_f32_e32 v43, v43, v41
.LBB62_90:                              ;   in Loop: Header=BB62_4 Depth=1
	s_or_b64 exec, exec, s[16:17]
                                        ; implicit-def: $vgpr41
.LBB62_91:                              ;   in Loop: Header=BB62_4 Depth=1
	s_andn2_saveexec_b64 s[44:45], s[44:45]
	s_cbranch_execz .LBB62_93
; %bb.92:                               ;   in Loop: Header=BB62_4 Depth=1
	v_div_scale_f32 v42, s[16:17], s78, s78, v7
	v_div_scale_f32 v43, s[16:17], s78, s78, v6
	v_div_scale_f32 v44, vcc, v7, s78, v7
	v_div_scale_f32 v45, s[16:17], v6, s78, v6
	v_rcp_f32_e32 v46, v42
	v_rcp_f32_e32 v47, v43
	v_fma_f32 v48, -v42, v46, 1.0
	v_fmac_f32_e32 v46, v48, v46
	v_fma_f32 v49, -v43, v47, 1.0
	v_fmac_f32_e32 v47, v49, v47
	v_mul_f32_e32 v48, v44, v46
	v_mul_f32_e32 v49, v45, v47
	v_fma_f32 v50, -v42, v48, v44
	v_fma_f32 v51, -v43, v49, v45
	v_fmac_f32_e32 v48, v50, v46
	v_fmac_f32_e32 v49, v51, v47
	v_fma_f32 v42, -v42, v48, v44
	v_fma_f32 v43, -v43, v49, v45
	v_div_fmas_f32 v42, v42, v46, v48
	s_mov_b64 vcc, s[16:17]
	v_div_fmas_f32 v43, v43, v47, v49
	v_max_f32_e64 v44, -v7, -v7
	s_waitcnt lgkmcnt(0)
	v_min_f32_e32 v46, v44, v41
	v_max_f32_e32 v41, v44, v41
	v_frexp_exp_i32_f32_e32 v44, v41
	v_frexp_mant_f32_e32 v47, v41
	v_rcp_f32_e32 v47, v47
	v_mov_b32_e32 v45, 0xbc7a590c
	v_div_fixup_f32 v48, v42, s78, v7
	v_div_fixup_f32 v49, v43, s78, v6
	v_max_f32_e64 v50, |v48|, |v49|
	v_cvt_f64_f32_e32 v[41:42], v50
	v_frexp_exp_i32_f32_e32 v43, v46
	v_frexp_mant_f32_e32 v46, v46
	v_cmp_neq_f32_e32 vcc, s56, v50
	v_frexp_exp_i32_f64_e32 v41, v[41:42]
	v_sub_u32_e32 v42, v43, v44
	v_mul_f32_e32 v43, v46, v47
	v_ldexp_f32 v43, v43, v42
	v_mul_f32_e32 v42, v43, v43
	v_fmac_f32_e32 v45, 0x3b2d2a58, v42
	v_fma_f32 v44, v42, v45, v28
	v_fma_f32 v44, v42, v44, v29
	v_sub_u32_e32 v45, 0, v41
	v_ldexp_f32 v46, |v48|, v45
	v_ldexp_f32 v45, |v49|, v45
	v_mul_f32_e32 v45, v45, v45
	v_fmac_f32_e32 v45, v46, v46
	v_sqrt_f32_e32 v45, v45
	v_fma_f32 v44, v42, v44, v30
	v_fma_f32 v44, v42, v44, v31
	;; [unrolled: 1-line block ×3, first 2 shown]
	v_ldexp_f32 v41, v45, v41
	v_cndmask_b32_e32 v41, v34, v41, vcc
	v_cmp_gt_f32_e32 vcc, s60, v41
	v_cndmask_b32_e64 v45, 0, 32, vcc
	v_ldexp_f32 v41, v41, v45
	v_log_f32_e32 v41, v41
	v_fma_f32 v44, v42, v44, v33
	v_mul_f32_e32 v44, v42, v44
	v_cndmask_b32_e32 v42, 0, v35, vcc
	v_mul_f32_e32 v45, 0x3f317217, v41
	v_fma_f32 v45, v41, s61, -v45
	v_fmac_f32_e32 v45, 0x3377d1cf, v41
	v_fmac_f32_e32 v45, 0x3f317217, v41
	v_cmp_lt_f32_e64 vcc, |v41|, s56
	v_cndmask_b32_e32 v41, v41, v45, vcc
	v_sub_f32_e32 v41, v41, v42
	v_add_f32_e32 v42, 1.0, v41
	v_fmac_f32_e32 v43, v43, v44
.LBB62_93:                              ;   in Loop: Header=BB62_4 Depth=1
	s_or_b64 exec, exec, s[44:45]
	s_waitcnt lgkmcnt(0)
	v_sub_f32_e32 v41, 0x3fc90fdb, v43
	v_cndmask_b32_e64 v41, v43, v41, s[14:15]
	v_cmp_neq_f32_e32 vcc, 0, v6
	v_cndmask_b32_e32 v45, 0, v41, vcc
	v_cmp_eq_f32_e32 vcc, s66, v7
	s_andn2_b64 s[14:15], s[40:41], exec
	s_and_b64 s[16:17], vcc, exec
	s_or_b64 s[40:41], s[14:15], s[16:17]
.LBB62_94:                              ;   in Loop: Header=BB62_4 Depth=1
	s_or_b64 exec, exec, s[42:43]
	v_cmp_class_f32_e64 s[14:15], v6, s73
	s_and_b64 vcc, s[14:15], s[40:41]
	s_waitcnt lgkmcnt(0)
	v_cndmask_b32_e32 v41, v45, v39, vcc
	v_add_f32_e32 v42, 0x3f317218, v42
	v_bfi_b32 v7, s55, v42, v7
	v_bfi_b32 v6, s55, v41, v6
.LBB62_95:                              ;   in Loop: Header=BB62_4 Depth=1
	s_or_b64 exec, exec, s[38:39]
.LBB62_96:                              ;   in Loop: Header=BB62_4 Depth=1
	s_andn2_saveexec_b64 s[14:15], s[36:37]
	s_cbranch_execz .LBB62_110
; %bb.97:                               ;   in Loop: Header=BB62_4 Depth=1
	v_cmp_neq_f32_e64 s[16:17], |v7|, s56
                                        ; implicit-def: $vgpr41
                                        ; implicit-def: $vgpr42
	s_and_saveexec_b64 s[36:37], s[16:17]
	s_xor_b64 s[16:17], exec, s[36:37]
	s_cbranch_execz .LBB62_107
; %bb.98:                               ;   in Loop: Header=BB62_4 Depth=1
	v_cmp_neq_f32_e64 s[36:37], |v6|, s56
                                        ; implicit-def: $vgpr41
                                        ; implicit-def: $vgpr42
	s_and_saveexec_b64 s[38:39], s[36:37]
	s_xor_b64 s[36:37], exec, s[38:39]
	s_cbranch_execz .LBB62_104
; %bb.99:                               ;   in Loop: Header=BB62_4 Depth=1
	v_cmp_neq_f32_e32 vcc, 0, v6
                                        ; implicit-def: $vgpr41
	s_and_saveexec_b64 s[38:39], vcc
	s_xor_b64 s[38:39], exec, s[38:39]
	s_cbranch_execz .LBB62_101
; %bb.100:                              ;   in Loop: Header=BB62_4 Depth=1
	v_add_f32_e32 v7, 0, v7
	s_waitcnt lgkmcnt(0)
	v_add_f32_e32 v41, v6, v7
                                        ; implicit-def: $vgpr7
.LBB62_101:                             ;   in Loop: Header=BB62_4 Depth=1
	s_or_saveexec_b64 s[38:39], s[38:39]
	s_waitcnt lgkmcnt(0)
	v_mov_b32_e32 v42, v41
	s_xor_b64 exec, exec, s[38:39]
; %bb.102:                              ;   in Loop: Header=BB62_4 Depth=1
	v_add_f32_e32 v42, v7, v7
	v_mov_b32_e32 v41, v6
; %bb.103:                              ;   in Loop: Header=BB62_4 Depth=1
	s_or_b64 exec, exec, s[38:39]
                                        ; implicit-def: $vgpr7
.LBB62_104:                             ;   in Loop: Header=BB62_4 Depth=1
	s_andn2_saveexec_b64 s[36:37], s[36:37]
	s_cbranch_execz .LBB62_106
; %bb.105:                              ;   in Loop: Header=BB62_4 Depth=1
	s_waitcnt lgkmcnt(0)
	v_add_f32_e32 v41, v7, v7
	v_mov_b32_e32 v42, v6
.LBB62_106:                             ;   in Loop: Header=BB62_4 Depth=1
	s_or_b64 exec, exec, s[36:37]
                                        ; implicit-def: $vgpr6
.LBB62_107:                             ;   in Loop: Header=BB62_4 Depth=1
	s_andn2_saveexec_b64 s[16:17], s[16:17]
	s_cbranch_execz .LBB62_109
; %bb.108:                              ;   in Loop: Header=BB62_4 Depth=1
	s_waitcnt lgkmcnt(0)
	v_add_f32_e32 v41, v6, v6
	v_mov_b32_e32 v42, v7
.LBB62_109:                             ;   in Loop: Header=BB62_4 Depth=1
	s_or_b64 exec, exec, s[16:17]
	v_mov_b32_e32 v7, v42
	s_waitcnt lgkmcnt(0)
	v_mov_b32_e32 v6, v41
.LBB62_110:                             ;   in Loop: Header=BB62_4 Depth=1
	s_or_b64 exec, exec, s[14:15]
	v_cmp_o_f32_e32 vcc, v9, v8
	s_and_saveexec_b64 s[14:15], vcc
	s_xor_b64 s[36:37], exec, s[14:15]
	s_cbranch_execz .LBB62_194
; %bb.111:                              ;   in Loop: Header=BB62_4 Depth=1
	s_waitcnt lgkmcnt(0)
	v_max_f32_e64 v41, |v8|, |v8|
	v_max_f32_e64 v44, |v9|, |v9|
	v_max_f32_e32 v43, v44, v41
	v_cmp_nlt_f32_e32 vcc, s53, v43
	s_and_saveexec_b64 s[14:15], vcc
	s_xor_b64 s[16:17], exec, s[14:15]
	s_cbranch_execz .LBB62_171
; %bb.112:                              ;   in Loop: Header=BB62_4 Depth=1
	v_cmp_neq_f32_e32 vcc, 0, v9
	v_cmp_neq_f32_e64 s[14:15], 0, v8
	s_or_b64 s[14:15], vcc, s[14:15]
	s_and_saveexec_b64 s[38:39], s[14:15]
	s_cbranch_execz .LBB62_170
; %bb.113:                              ;   in Loop: Header=BB62_4 Depth=1
	v_mov_b32_e32 v42, s23
	v_mov_b32_e32 v41, s22
	flat_store_dword v[41:42], v21
	s_waitcnt vmcnt(0)
	flat_load_dword v41, v[41:42] glc
	s_waitcnt vmcnt(0)
	v_cmp_nlt_f32_e64 s[14:15], |v9|, s54
	v_cmp_nlt_f32_e64 s[40:41], |v8|, s54
	s_or_b64 s[14:15], s[14:15], s[40:41]
	s_waitcnt lgkmcnt(0)
	v_add_f32_e32 v43, 1.0, v41
	v_mov_b32_e32 v42, s29
	v_mov_b32_e32 v41, s28
	flat_store_dword v[41:42], v43
	s_waitcnt vmcnt(0)
	flat_load_dword v41, v[41:42] glc
	s_waitcnt vmcnt(0)
	s_and_saveexec_b64 s[40:41], s[14:15]
	s_cbranch_execz .LBB62_169
; %bb.114:                              ;   in Loop: Header=BB62_4 Depth=1
	v_add_f32_e64 v43, |v8|, 1.0
	s_waitcnt lgkmcnt(0)
	v_max_f32_e32 v41, v44, v43
	v_add_f32_e64 v42, |v8|, -1.0
	v_cvt_f64_f32_e32 v[45:46], v41
	v_max_f32_e64 v44, v44, |v42|
	v_cvt_f64_f32_e32 v[47:48], v44
	v_cmp_neq_f32_e32 vcc, s56, v41
	v_frexp_exp_i32_f64_e32 v45, v[45:46]
	v_frexp_exp_i32_f64_e32 v46, v[47:48]
	v_sub_u32_e32 v47, 0, v45
	v_ldexp_f32 v49, |v9|, v47
	v_sub_u32_e32 v48, 0, v46
	v_ldexp_f32 v47, v43, v47
	v_ldexp_f32 v50, |v9|, v48
	v_ldexp_f32 v48, |v42|, v48
	v_mul_f32_e32 v47, v47, v47
	v_mul_f32_e32 v48, v48, v48
	v_fmac_f32_e32 v47, v49, v49
	v_fmac_f32_e32 v48, v50, v50
	v_sqrt_f32_e32 v47, v47
	v_sqrt_f32_e32 v48, v48
	v_ldexp_f32 v45, v47, v45
	v_ldexp_f32 v47, v48, v46
	v_cndmask_b32_e32 v46, v34, v45, vcc
	v_cmp_neq_f32_e32 vcc, s56, v44
	v_cndmask_b32_e32 v44, v34, v47, vcc
	v_add_f32_e32 v41, v46, v44
	v_mul_f32_e32 v41, 0.5, v41
	v_cmp_ngt_f32_e32 vcc, 1.0, v41
	v_cndmask_b32_e32 v41, 1.0, v41, vcc
	v_cmp_ngt_f32_e32 vcc, s57, v41
                                        ; implicit-def: $vgpr47
	s_and_saveexec_b64 s[14:15], vcc
	s_xor_b64 s[42:43], exec, s[14:15]
	s_cbranch_execz .LBB62_116
; %bb.115:                              ;   in Loop: Header=BB62_4 Depth=1
	v_fma_f32 v45, v41, v41, -1.0
	v_mul_f32_e32 v47, 0x4f800000, v45
	v_cmp_gt_f32_e32 vcc, s58, v45
	v_cndmask_b32_e32 v45, v45, v47, vcc
	v_sqrt_f32_e32 v47, v45
	v_add_u32_e32 v48, -1, v47
	v_fma_f32 v50, -v48, v47, v45
	v_add_u32_e32 v49, 1, v47
	v_cmp_ge_f32_e64 s[14:15], 0, v50
	v_cndmask_b32_e64 v48, v47, v48, s[14:15]
	v_fma_f32 v47, -v49, v47, v45
	v_cmp_lt_f32_e64 s[14:15], 0, v47
	v_cndmask_b32_e64 v47, v48, v49, s[14:15]
	v_mul_f32_e32 v48, 0x37800000, v47
	v_cndmask_b32_e32 v47, v47, v48, vcc
	v_cmp_class_f32_e32 vcc, v45, v22
	v_cndmask_b32_e32 v45, v47, v45, vcc
	v_add_f32_e32 v45, v41, v45
	v_cmp_gt_f32_e32 vcc, s60, v45
	v_cndmask_b32_e64 v47, 0, 32, vcc
	v_ldexp_f32 v45, v45, v47
	v_log_f32_e32 v45, v45
	v_mul_f32_e32 v47, 0x3f317217, v45
	v_fma_f32 v47, v45, s61, -v47
	v_fmac_f32_e32 v47, 0x3377d1cf, v45
	v_fmac_f32_e32 v47, 0x3f317217, v45
	v_cmp_lt_f32_e64 s[14:15], |v45|, s56
	v_cndmask_b32_e64 v45, v45, v47, s[14:15]
	v_cndmask_b32_e32 v47, 0, v35, vcc
	v_sub_f32_e32 v47, v45, v47
.LBB62_116:                             ;   in Loop: Header=BB62_4 Depth=1
	s_or_saveexec_b64 s[42:43], s[42:43]
	v_and_b32_e32 v45, 0x7fffffff, v9
	s_xor_b64 exec, exec, s[42:43]
	s_cbranch_execz .LBB62_138
; %bb.117:                              ;   in Loop: Header=BB62_4 Depth=1
	v_cmp_neq_f32_e64 s[14:15], |v8|, 1.0
	v_cmp_nlt_f32_e64 s[44:45], |v9|, s62
	s_or_b64 s[14:15], s[44:45], s[14:15]
                                        ; implicit-def: $vgpr47
	s_and_saveexec_b64 s[44:45], s[14:15]
	s_xor_b64 s[44:45], exec, s[44:45]
	s_cbranch_execz .LBB62_135
; %bb.118:                              ;   in Loop: Header=BB62_4 Depth=1
	v_mul_f32_e64 v47, |v42|, s63
	v_cmp_ge_f32_e64 s[14:15], |v9|, v47
                                        ; implicit-def: $vgpr47
	s_and_saveexec_b64 s[46:47], s[14:15]
	s_xor_b64 s[46:47], exec, s[46:47]
	s_cbranch_execz .LBB62_128
; %bb.119:                              ;   in Loop: Header=BB62_4 Depth=1
	v_cmp_neq_f32_e32 vcc, 0, v43
	v_mov_b32_e32 v47, v45
	s_and_saveexec_b64 s[14:15], vcc
	s_cbranch_execz .LBB62_121
; %bb.120:                              ;   in Loop: Header=BB62_4 Depth=1
	v_mul_f32_e32 v47, v9, v9
	v_add_f32_e32 v48, v43, v46
	v_div_scale_f32 v49, s[48:49], v48, v48, v47
	v_div_scale_f32 v50, vcc, v47, v48, v47
	v_rcp_f32_e32 v51, v49
	v_fma_f32 v52, -v49, v51, 1.0
	v_fmac_f32_e32 v51, v52, v51
	v_mul_f32_e32 v52, v50, v51
	v_fma_f32 v53, -v49, v52, v50
	v_fmac_f32_e32 v52, v53, v51
	v_fma_f32 v49, -v49, v52, v50
	v_div_fmas_f32 v49, v49, v51, v52
	v_div_fixup_f32 v47, v49, v48, v47
.LBB62_121:                             ;   in Loop: Header=BB62_4 Depth=1
	s_or_b64 exec, exec, s[14:15]
	v_sub_f32_e64 v49, 1.0, |v8|
	v_cmp_ngt_f32_e32 vcc, 0, v49
                                        ; implicit-def: $vgpr48
	s_and_saveexec_b64 s[14:15], vcc
	s_xor_b64 s[14:15], exec, s[14:15]
	s_cbranch_execz .LBB62_125
; %bb.122:                              ;   in Loop: Header=BB62_4 Depth=1
	v_cmp_neq_f32_e32 vcc, 0, v49
	v_mov_b32_e32 v48, v45
	s_and_saveexec_b64 s[48:49], vcc
	s_cbranch_execz .LBB62_124
; %bb.123:                              ;   in Loop: Header=BB62_4 Depth=1
	v_mul_f32_e32 v48, v9, v9
	v_add_f32_e32 v49, v49, v44
	v_div_scale_f32 v50, s[50:51], v49, v49, v48
	v_div_scale_f32 v51, vcc, v48, v49, v48
	v_rcp_f32_e32 v52, v50
	v_fma_f32 v53, -v50, v52, 1.0
	v_fmac_f32_e32 v52, v53, v52
	v_mul_f32_e32 v53, v51, v52
	v_fma_f32 v54, -v50, v53, v51
	v_fmac_f32_e32 v53, v54, v52
	v_fma_f32 v50, -v50, v53, v51
	v_div_fmas_f32 v50, v50, v52, v53
	v_div_fixup_f32 v48, v50, v49, v48
.LBB62_124:                             ;   in Loop: Header=BB62_4 Depth=1
	s_or_b64 exec, exec, s[48:49]
                                        ; implicit-def: $vgpr49
.LBB62_125:                             ;   in Loop: Header=BB62_4 Depth=1
	s_andn2_saveexec_b64 s[14:15], s[14:15]
; %bb.126:                              ;   in Loop: Header=BB62_4 Depth=1
	v_sub_f32_e32 v48, v44, v49
; %bb.127:                              ;   in Loop: Header=BB62_4 Depth=1
	s_or_b64 exec, exec, s[14:15]
	v_mul_f32_e32 v48, 0.5, v48
	v_fmac_f32_e32 v48, 0.5, v47
	v_add_f32_e32 v47, 1.0, v41
	v_mul_f32_e32 v47, v47, v48
	v_mul_f32_e32 v49, 0x4f800000, v47
	v_cmp_gt_f32_e32 vcc, s58, v47
	v_cndmask_b32_e32 v47, v47, v49, vcc
	v_sqrt_f32_e32 v49, v47
	v_add_u32_e32 v50, -1, v49
	v_fma_f32 v51, -v50, v49, v47
	v_cmp_ge_f32_e64 s[14:15], 0, v51
	v_add_u32_e32 v51, 1, v49
	v_cndmask_b32_e64 v50, v49, v50, s[14:15]
	v_fma_f32 v49, -v51, v49, v47
	v_cmp_lt_f32_e64 s[14:15], 0, v49
	v_cndmask_b32_e64 v49, v50, v51, s[14:15]
	v_mul_f32_e32 v50, 0x37800000, v49
	v_cndmask_b32_e32 v49, v49, v50, vcc
	v_cmp_class_f32_e32 vcc, v47, v22
	v_cndmask_b32_e32 v47, v49, v47, vcc
	v_add_f32_e32 v49, v48, v47
	v_add_f32_e32 v50, 1.0, v49
	v_cvt_f64_f32_e32 v[47:48], v50
	v_add_f32_e32 v51, -1.0, v50
	v_frexp_exp_i32_f64_e32 v47, v[47:48]
	v_sub_f32_e32 v48, v51, v50
	v_add_f32_e32 v48, 1.0, v48
	v_sub_f32_e32 v51, v49, v51
	v_add_f32_e32 v48, v51, v48
	v_frexp_mant_f32_e32 v51, v50
	v_cmp_gt_f32_e32 vcc, s64, v51
	v_subbrev_co_u32_e32 v47, vcc, 0, v47, vcc
	v_sub_u32_e32 v51, 0, v47
	v_ldexp_f32 v50, v50, v51
	v_ldexp_f32 v48, v48, v51
	v_add_f32_e32 v51, -1.0, v50
	v_add_f32_e32 v54, 1.0, v50
	v_add_f32_e32 v52, 1.0, v51
	v_add_f32_e32 v55, -1.0, v54
	v_sub_f32_e32 v52, v50, v52
	v_sub_f32_e32 v50, v50, v55
	v_add_f32_e32 v52, v48, v52
	v_add_f32_e32 v48, v48, v50
	;; [unrolled: 1-line block ×3, first 2 shown]
	v_rcp_f32_e32 v55, v50
	v_add_f32_e32 v53, v51, v52
	v_sub_f32_e32 v51, v53, v51
	v_sub_f32_e32 v51, v52, v51
	;; [unrolled: 1-line block ×4, first 2 shown]
	v_mul_f32_e32 v52, v53, v55
	v_mul_f32_e32 v54, v50, v52
	v_fma_f32 v56, v52, v50, -v54
	v_fmac_f32_e32 v56, v52, v48
	v_add_f32_e32 v57, v54, v56
	v_sub_f32_e32 v58, v53, v57
	v_sub_f32_e32 v53, v53, v58
	;; [unrolled: 1-line block ×4, first 2 shown]
	v_add_f32_e32 v51, v51, v53
	v_sub_f32_e32 v53, v54, v56
	v_add_f32_e32 v51, v53, v51
	v_add_f32_e32 v53, v58, v51
	v_mul_f32_e32 v54, v55, v53
	v_mul_f32_e32 v56, v50, v54
	v_fma_f32 v50, v54, v50, -v56
	v_fmac_f32_e32 v50, v54, v48
	v_sub_f32_e32 v48, v58, v53
	v_add_f32_e32 v48, v51, v48
	v_add_f32_e32 v51, v56, v50
	v_sub_f32_e32 v57, v53, v51
	v_sub_f32_e32 v53, v53, v57
	;; [unrolled: 1-line block ×4, first 2 shown]
	v_add_f32_e32 v48, v48, v51
	v_sub_f32_e32 v50, v56, v50
	v_cvt_f32_i32_e32 v47, v47
	v_add_f32_e32 v48, v50, v48
	v_add_f32_e32 v50, v52, v54
	;; [unrolled: 1-line block ×3, first 2 shown]
	v_sub_f32_e32 v51, v50, v52
	v_mul_f32_e32 v48, v55, v48
	v_sub_f32_e32 v51, v54, v51
	v_add_f32_e32 v48, v51, v48
	v_mul_f32_e32 v54, 0x3f317218, v47
	v_add_f32_e32 v51, v50, v48
	v_fma_f32 v55, v47, s65, -v54
	v_mul_f32_e32 v52, v51, v51
	v_mov_b32_e32 v53, 0x3ecc95a3
	v_fmac_f32_e32 v55, 0xb102e308, v47
	v_sub_f32_e32 v47, v51, v50
	v_fmac_f32_e32 v53, 0x3e9b6dac, v52
	v_sub_f32_e32 v47, v48, v47
	v_add_f32_e32 v48, v54, v55
	v_fma_f32 v53, v52, v53, v23
	v_sub_f32_e32 v50, v48, v54
	v_ldexp_f32 v54, v51, 1
	v_mul_f32_e32 v51, v51, v52
	v_mul_f32_e32 v51, v51, v53
	v_add_f32_e32 v52, v54, v51
	v_sub_f32_e32 v53, v52, v54
	v_ldexp_f32 v47, v47, 1
	v_sub_f32_e32 v51, v51, v53
	v_add_f32_e32 v47, v47, v51
	v_add_f32_e32 v51, v52, v47
	v_sub_f32_e32 v52, v51, v52
	v_sub_f32_e32 v47, v47, v52
	v_add_f32_e32 v52, v48, v51
	v_sub_f32_e32 v53, v52, v48
	v_sub_f32_e32 v54, v52, v53
	;; [unrolled: 1-line block ×5, first 2 shown]
	v_add_f32_e32 v48, v51, v48
	v_add_f32_e32 v51, v50, v47
	v_sub_f32_e32 v53, v51, v50
	v_sub_f32_e32 v54, v51, v53
	;; [unrolled: 1-line block ×4, first 2 shown]
	v_add_f32_e32 v48, v51, v48
	v_add_f32_e32 v47, v47, v50
	v_add_f32_e32 v50, v52, v48
	v_sub_f32_e32 v51, v50, v52
	v_sub_f32_e32 v48, v48, v51
	v_add_f32_e32 v47, v47, v48
	v_add_f32_e32 v47, v50, v47
	v_cmp_neq_f32_e32 vcc, s56, v49
	v_cndmask_b32_e32 v47, v34, v47, vcc
	v_cmp_ngt_f32_e32 vcc, -1.0, v49
	v_cndmask_b32_e32 v47, v36, v47, vcc
	v_cmp_neq_f32_e32 vcc, -1.0, v49
	v_cndmask_b32_e32 v47, v37, v47, vcc
	v_cmp_lt_f32_e64 vcc, |v49|, s67
	v_cndmask_b32_e32 v47, v47, v49, vcc
.LBB62_128:                             ;   in Loop: Header=BB62_4 Depth=1
	s_andn2_saveexec_b64 s[46:47], s[46:47]
	s_cbranch_execz .LBB62_134
; %bb.129:                              ;   in Loop: Header=BB62_4 Depth=1
	v_cmp_nlt_f32_e64 s[14:15], |v8|, 1.0
                                        ; implicit-def: $vgpr47
	s_and_saveexec_b64 s[48:49], s[14:15]
	s_xor_b64 s[48:49], exec, s[48:49]
	s_cbranch_execz .LBB62_131
; %bb.130:                              ;   in Loop: Header=BB62_4 Depth=1
	v_mul_f32_e32 v47, v42, v43
	v_mul_f32_e32 v48, 0x4f800000, v47
	v_cmp_gt_f32_e32 vcc, s58, v47
	v_cndmask_b32_e32 v47, v47, v48, vcc
	v_sqrt_f32_e32 v48, v47
	v_add_u32_e32 v49, -1, v48
	v_fma_f32 v51, -v49, v48, v47
	v_add_u32_e32 v50, 1, v48
	v_cmp_ge_f32_e64 s[14:15], 0, v51
	v_cndmask_b32_e64 v49, v48, v49, s[14:15]
	v_fma_f32 v48, -v50, v48, v47
	v_cmp_lt_f32_e64 s[14:15], 0, v48
	v_cndmask_b32_e64 v48, v49, v50, s[14:15]
	v_mul_f32_e32 v49, 0x37800000, v48
	v_cndmask_b32_e32 v48, v48, v49, vcc
	v_cmp_class_f32_e32 vcc, v47, v22
	v_cndmask_b32_e32 v47, v48, v47, vcc
	v_add_f32_e32 v49, v42, v47
	v_add_f32_e32 v50, 1.0, v49
	v_cvt_f64_f32_e32 v[47:48], v50
	v_add_f32_e32 v51, -1.0, v50
	v_frexp_exp_i32_f64_e32 v47, v[47:48]
	v_sub_f32_e32 v48, v51, v50
	v_add_f32_e32 v48, 1.0, v48
	v_sub_f32_e32 v51, v49, v51
	v_add_f32_e32 v48, v51, v48
	v_frexp_mant_f32_e32 v51, v50
	v_cmp_gt_f32_e32 vcc, s64, v51
	v_subbrev_co_u32_e32 v47, vcc, 0, v47, vcc
	v_sub_u32_e32 v51, 0, v47
	v_ldexp_f32 v50, v50, v51
	v_ldexp_f32 v48, v48, v51
	v_add_f32_e32 v51, -1.0, v50
	v_add_f32_e32 v54, 1.0, v50
	v_add_f32_e32 v52, 1.0, v51
	v_add_f32_e32 v55, -1.0, v54
	v_sub_f32_e32 v52, v50, v52
	v_sub_f32_e32 v50, v50, v55
	v_add_f32_e32 v52, v48, v52
	v_add_f32_e32 v48, v48, v50
	;; [unrolled: 1-line block ×3, first 2 shown]
	v_rcp_f32_e32 v55, v50
	v_add_f32_e32 v53, v51, v52
	v_sub_f32_e32 v51, v53, v51
	v_sub_f32_e32 v51, v52, v51
	;; [unrolled: 1-line block ×4, first 2 shown]
	v_mul_f32_e32 v52, v53, v55
	v_mul_f32_e32 v54, v50, v52
	v_fma_f32 v56, v52, v50, -v54
	v_fmac_f32_e32 v56, v52, v48
	v_add_f32_e32 v57, v54, v56
	v_sub_f32_e32 v58, v53, v57
	v_sub_f32_e32 v53, v53, v58
	v_sub_f32_e32 v54, v57, v54
	v_sub_f32_e32 v53, v53, v57
	v_add_f32_e32 v51, v51, v53
	v_sub_f32_e32 v53, v54, v56
	v_add_f32_e32 v51, v53, v51
	v_add_f32_e32 v53, v58, v51
	v_mul_f32_e32 v54, v55, v53
	v_mul_f32_e32 v56, v50, v54
	v_fma_f32 v50, v54, v50, -v56
	v_fmac_f32_e32 v50, v54, v48
	v_sub_f32_e32 v48, v58, v53
	v_add_f32_e32 v48, v51, v48
	v_add_f32_e32 v51, v56, v50
	v_sub_f32_e32 v57, v53, v51
	v_sub_f32_e32 v53, v53, v57
	;; [unrolled: 1-line block ×4, first 2 shown]
	v_add_f32_e32 v48, v48, v51
	v_sub_f32_e32 v50, v56, v50
	v_cvt_f32_i32_e32 v47, v47
	v_add_f32_e32 v48, v50, v48
	v_add_f32_e32 v50, v52, v54
	;; [unrolled: 1-line block ×3, first 2 shown]
	v_sub_f32_e32 v51, v50, v52
	v_mul_f32_e32 v48, v55, v48
	v_sub_f32_e32 v51, v54, v51
	v_add_f32_e32 v48, v51, v48
	v_mul_f32_e32 v54, 0x3f317218, v47
	v_add_f32_e32 v51, v50, v48
	v_fma_f32 v55, v47, s65, -v54
	v_mul_f32_e32 v52, v51, v51
	v_mov_b32_e32 v53, 0x3ecc95a3
	v_fmac_f32_e32 v55, 0xb102e308, v47
	v_sub_f32_e32 v47, v51, v50
	v_fmac_f32_e32 v53, 0x3e9b6dac, v52
	v_sub_f32_e32 v47, v48, v47
	v_add_f32_e32 v48, v54, v55
	v_fma_f32 v53, v52, v53, v23
	v_sub_f32_e32 v50, v48, v54
	v_ldexp_f32 v54, v51, 1
	v_mul_f32_e32 v51, v51, v52
	v_mul_f32_e32 v51, v51, v53
	v_add_f32_e32 v52, v54, v51
	v_sub_f32_e32 v53, v52, v54
	v_ldexp_f32 v47, v47, 1
	v_sub_f32_e32 v51, v51, v53
	v_add_f32_e32 v47, v47, v51
	v_add_f32_e32 v51, v52, v47
	v_sub_f32_e32 v52, v51, v52
	v_sub_f32_e32 v47, v47, v52
	v_add_f32_e32 v52, v48, v51
	v_sub_f32_e32 v53, v52, v48
	v_sub_f32_e32 v54, v52, v53
	;; [unrolled: 1-line block ×5, first 2 shown]
	v_add_f32_e32 v48, v51, v48
	v_add_f32_e32 v51, v50, v47
	v_sub_f32_e32 v53, v51, v50
	v_sub_f32_e32 v54, v51, v53
	;; [unrolled: 1-line block ×4, first 2 shown]
	v_add_f32_e32 v48, v51, v48
	v_add_f32_e32 v47, v47, v50
	v_add_f32_e32 v50, v52, v48
	v_sub_f32_e32 v51, v50, v52
	v_sub_f32_e32 v48, v48, v51
	v_add_f32_e32 v47, v47, v48
	v_add_f32_e32 v47, v50, v47
	v_cmp_neq_f32_e32 vcc, s56, v49
	v_cndmask_b32_e32 v47, v34, v47, vcc
	v_cmp_ngt_f32_e32 vcc, -1.0, v49
	v_cndmask_b32_e32 v47, v36, v47, vcc
	v_cmp_neq_f32_e32 vcc, -1.0, v49
	v_cndmask_b32_e32 v47, v37, v47, vcc
	v_cmp_lt_f32_e64 vcc, |v49|, s67
	v_cndmask_b32_e32 v47, v47, v49, vcc
.LBB62_131:                             ;   in Loop: Header=BB62_4 Depth=1
	s_andn2_saveexec_b64 s[48:49], s[48:49]
	s_cbranch_execz .LBB62_133
; %bb.132:                              ;   in Loop: Header=BB62_4 Depth=1
	v_sub_f32_e64 v47, 1.0, |v8|
	v_mul_f32_e32 v47, v47, v43
	v_mul_f32_e32 v48, 0x4f800000, v47
	v_cmp_gt_f32_e32 vcc, s58, v47
	v_cndmask_b32_e32 v47, v47, v48, vcc
	v_sqrt_f32_e32 v48, v47
	v_add_u32_e32 v49, -1, v48
	v_fma_f32 v51, -v49, v48, v47
	v_add_u32_e32 v50, 1, v48
	v_cmp_ge_f32_e64 s[14:15], 0, v51
	v_cndmask_b32_e64 v49, v48, v49, s[14:15]
	v_fma_f32 v48, -v50, v48, v47
	v_cmp_lt_f32_e64 s[14:15], 0, v48
	v_cndmask_b32_e64 v48, v49, v50, s[14:15]
	v_mul_f32_e32 v49, 0x37800000, v48
	v_cndmask_b32_e32 v48, v48, v49, vcc
	v_cmp_class_f32_e32 vcc, v47, v22
	v_cndmask_b32_e32 v47, v48, v47, vcc
	v_and_b32_e32 v48, 0x7fffffff, v9
	v_div_scale_f32 v49, s[14:15], v47, v47, v48
	v_div_scale_f32 v48, vcc, v48, v47, v48
	v_rcp_f32_e32 v50, v49
	v_fma_f32 v51, -v49, v50, 1.0
	v_fmac_f32_e32 v50, v51, v50
	v_mul_f32_e32 v51, v48, v50
	v_fma_f32 v52, -v49, v51, v48
	v_fmac_f32_e32 v51, v52, v50
	v_fma_f32 v48, -v49, v51, v48
	v_div_fmas_f32 v48, v48, v50, v51
	v_div_fixup_f32 v47, v48, v47, |v9|
.LBB62_133:                             ;   in Loop: Header=BB62_4 Depth=1
	s_or_b64 exec, exec, s[48:49]
.LBB62_134:                             ;   in Loop: Header=BB62_4 Depth=1
	s_or_b64 exec, exec, s[46:47]
.LBB62_135:                             ;   in Loop: Header=BB62_4 Depth=1
	s_andn2_saveexec_b64 s[44:45], s[44:45]
	s_cbranch_execz .LBB62_137
; %bb.136:                              ;   in Loop: Header=BB62_4 Depth=1
	v_mul_f32_e64 v47, |v9|, s59
	v_cmp_lt_f32_e64 vcc, |v9|, s58
	v_cndmask_b32_e64 v47, |v9|, v47, vcc
	v_sqrt_f32_e32 v48, v47
	v_add_u32_e32 v49, -1, v48
	v_fma_f32 v51, -v49, v48, v47
	v_add_u32_e32 v50, 1, v48
	v_cmp_ge_f32_e64 s[14:15], 0, v51
	v_cndmask_b32_e64 v49, v48, v49, s[14:15]
	v_fma_f32 v48, -v50, v48, v47
	v_cmp_lt_f32_e64 s[14:15], 0, v48
	v_cndmask_b32_e64 v48, v49, v50, s[14:15]
	v_mul_f32_e32 v49, 0x37800000, v48
	v_cndmask_b32_e32 v48, v48, v49, vcc
	v_cmp_class_f32_e32 vcc, v47, v22
	v_cndmask_b32_e32 v47, v48, v47, vcc
.LBB62_137:                             ;   in Loop: Header=BB62_4 Depth=1
	s_or_b64 exec, exec, s[44:45]
.LBB62_138:                             ;   in Loop: Header=BB62_4 Depth=1
	s_or_b64 exec, exec, s[42:43]
	v_cmp_nlt_f32_e64 s[42:43], |v8|, s68
                                        ; implicit-def: $sgpr14_sgpr15
                                        ; implicit-def: $vgpr48
                                        ; implicit-def: $vgpr50
                                        ; implicit-def: $vgpr49
	s_and_saveexec_b64 s[44:45], s[42:43]
	s_xor_b64 s[42:43], exec, s[44:45]
	s_cbranch_execz .LBB62_162
; %bb.139:                              ;   in Loop: Header=BB62_4 Depth=1
	v_and_b32_e32 v49, 0x7fffffff, v8
	v_div_scale_f32 v48, s[14:15], v41, v41, v49
	v_div_scale_f32 v50, vcc, v49, v41, v49
	s_mov_b64 s[14:15], 0
	v_rcp_f32_e32 v51, v48
	v_fma_f32 v52, -v48, v51, 1.0
	v_fmac_f32_e32 v51, v52, v51
	v_mul_f32_e32 v52, v50, v51
	v_fma_f32 v53, -v48, v52, v50
	v_fmac_f32_e32 v52, v53, v51
	v_fma_f32 v48, -v48, v52, v50
	v_div_fmas_f32 v48, v48, v51, v52
                                        ; implicit-def: $vgpr50
	v_div_fixup_f32 v48, v48, v41, |v8|
	v_cmp_lt_f32_e32 vcc, s69, v48
	s_and_saveexec_b64 s[44:45], vcc
	s_cbranch_execz .LBB62_161
; %bb.140:                              ;   in Loop: Header=BB62_4 Depth=1
	v_cmp_neq_f32_e64 s[14:15], |v8|, 1.0
	v_cmp_nlt_f32_e64 s[46:47], |v9|, s70
	s_or_b64 s[14:15], s[46:47], s[14:15]
                                        ; implicit-def: $vgpr50
	s_and_saveexec_b64 s[46:47], s[14:15]
	s_xor_b64 s[46:47], exec, s[46:47]
	s_cbranch_execz .LBB62_158
; %bb.141:                              ;   in Loop: Header=BB62_4 Depth=1
	v_mul_f32_e64 v50, |v42|, s63
	v_cmp_ge_f32_e64 s[14:15], |v9|, v50
                                        ; implicit-def: $vgpr50
	s_and_saveexec_b64 s[48:49], s[14:15]
	s_xor_b64 s[48:49], exec, s[48:49]
	s_cbranch_execz .LBB62_151
; %bb.142:                              ;   in Loop: Header=BB62_4 Depth=1
	v_cmp_neq_f32_e32 vcc, 0, v43
	v_mov_b32_e32 v50, v45
	s_and_saveexec_b64 s[14:15], vcc
	s_cbranch_execz .LBB62_144
; %bb.143:                              ;   in Loop: Header=BB62_4 Depth=1
	v_mul_f32_e32 v50, v9, v9
	v_add_f32_e32 v43, v43, v46
	v_div_scale_f32 v46, s[50:51], v43, v43, v50
	v_div_scale_f32 v51, vcc, v50, v43, v50
	v_rcp_f32_e32 v52, v46
	v_fma_f32 v53, -v46, v52, 1.0
	v_fmac_f32_e32 v52, v53, v52
	v_mul_f32_e32 v53, v51, v52
	v_fma_f32 v54, -v46, v53, v51
	v_fmac_f32_e32 v53, v54, v52
	v_fma_f32 v46, -v46, v53, v51
	v_div_fmas_f32 v46, v46, v52, v53
	v_div_fixup_f32 v50, v46, v43, v50
.LBB62_144:                             ;   in Loop: Header=BB62_4 Depth=1
	s_or_b64 exec, exec, s[14:15]
	v_cmp_ngt_f32_e32 vcc, 0, v42
	s_and_saveexec_b64 s[14:15], vcc
	s_xor_b64 s[14:15], exec, s[14:15]
	s_cbranch_execz .LBB62_148
; %bb.145:                              ;   in Loop: Header=BB62_4 Depth=1
	v_cmp_neq_f32_e32 vcc, 0, v42
	s_and_saveexec_b64 s[50:51], vcc
	s_cbranch_execz .LBB62_147
; %bb.146:                              ;   in Loop: Header=BB62_4 Depth=1
	v_mul_f32_e32 v43, v9, v9
	v_add_f32_e32 v42, v42, v44
	v_div_scale_f32 v44, s[80:81], v42, v42, v43
	v_div_scale_f32 v45, vcc, v43, v42, v43
	v_rcp_f32_e32 v46, v44
	v_fma_f32 v51, -v44, v46, 1.0
	v_fmac_f32_e32 v46, v51, v46
	v_mul_f32_e32 v51, v45, v46
	v_fma_f32 v52, -v44, v51, v45
	v_fmac_f32_e32 v51, v52, v46
	v_fma_f32 v44, -v44, v51, v45
	v_div_fmas_f32 v44, v44, v46, v51
	v_div_fixup_f32 v45, v44, v42, v43
.LBB62_147:                             ;   in Loop: Header=BB62_4 Depth=1
	s_or_b64 exec, exec, s[50:51]
                                        ; implicit-def: $vgpr44
                                        ; implicit-def: $vgpr42
.LBB62_148:                             ;   in Loop: Header=BB62_4 Depth=1
	s_andn2_saveexec_b64 s[14:15], s[14:15]
; %bb.149:                              ;   in Loop: Header=BB62_4 Depth=1
	v_sub_f32_e32 v45, v44, v42
; %bb.150:                              ;   in Loop: Header=BB62_4 Depth=1
	s_or_b64 exec, exec, s[14:15]
	v_mul_f32_e32 v42, 0.5, v45
	v_fmac_f32_e32 v42, 0.5, v50
	v_add_f32_e64 v41, |v8|, v41
	v_mul_f32_e32 v41, v41, v42
	v_mul_f32_e32 v42, 0x4f800000, v41
	v_cmp_gt_f32_e32 vcc, s58, v41
	v_cndmask_b32_e32 v41, v41, v42, vcc
	v_sqrt_f32_e32 v42, v41
	v_add_u32_e32 v43, -1, v42
	v_fma_f32 v44, -v43, v42, v41
	v_cmp_ge_f32_e64 s[14:15], 0, v44
	v_add_u32_e32 v44, 1, v42
	v_cndmask_b32_e64 v43, v42, v43, s[14:15]
	v_fma_f32 v42, -v44, v42, v41
	v_cmp_lt_f32_e64 s[14:15], 0, v42
	v_cndmask_b32_e64 v42, v43, v44, s[14:15]
	v_mul_f32_e32 v43, 0x37800000, v42
	v_cndmask_b32_e32 v42, v42, v43, vcc
	v_cmp_class_f32_e32 vcc, v41, v22
	v_cndmask_b32_e32 v50, v42, v41, vcc
                                        ; implicit-def: $vgpr43
                                        ; implicit-def: $vgpr42
.LBB62_151:                             ;   in Loop: Header=BB62_4 Depth=1
	s_andn2_saveexec_b64 s[48:49], s[48:49]
	s_cbranch_execz .LBB62_157
; %bb.152:                              ;   in Loop: Header=BB62_4 Depth=1
	v_cmp_ngt_f32_e64 s[14:15], |v8|, 1.0
                                        ; implicit-def: $vgpr50
	s_and_saveexec_b64 s[50:51], s[14:15]
	s_xor_b64 s[50:51], exec, s[50:51]
	s_cbranch_execz .LBB62_154
; %bb.153:                              ;   in Loop: Header=BB62_4 Depth=1
	v_sub_f32_e64 v41, 1.0, |v8|
	v_mul_f32_e32 v41, v41, v43
	v_mul_f32_e32 v42, 0x4f800000, v41
	v_cmp_gt_f32_e32 vcc, s58, v41
	v_cndmask_b32_e32 v41, v41, v42, vcc
	v_sqrt_f32_e32 v42, v41
	v_add_u32_e32 v43, -1, v42
	v_fma_f32 v45, -v43, v42, v41
	v_add_u32_e32 v44, 1, v42
	v_cmp_ge_f32_e64 s[14:15], 0, v45
	v_cndmask_b32_e64 v43, v42, v43, s[14:15]
	v_fma_f32 v42, -v44, v42, v41
	v_cmp_lt_f32_e64 s[14:15], 0, v42
	v_cndmask_b32_e64 v42, v43, v44, s[14:15]
	v_mul_f32_e32 v43, 0x37800000, v42
	v_cndmask_b32_e32 v42, v42, v43, vcc
	v_cmp_class_f32_e32 vcc, v41, v22
	v_cndmask_b32_e32 v50, v42, v41, vcc
                                        ; implicit-def: $vgpr43
                                        ; implicit-def: $vgpr42
.LBB62_154:                             ;   in Loop: Header=BB62_4 Depth=1
	s_andn2_saveexec_b64 s[50:51], s[50:51]
	s_cbranch_execz .LBB62_156
; %bb.155:                              ;   in Loop: Header=BB62_4 Depth=1
	v_mul_f32_e32 v41, v43, v42
	v_mul_f32_e32 v42, 0x4f800000, v41
	v_cmp_gt_f32_e32 vcc, s58, v41
	v_cndmask_b32_e32 v41, v41, v42, vcc
	v_sqrt_f32_e32 v42, v41
	v_mul_f32_e64 v43, |v9|, s71
	v_mul_f32_e64 v43, |v8|, v43
	v_add_u32_e32 v44, -1, v42
	v_fma_f32 v45, -v44, v42, v41
	v_cmp_ge_f32_e64 s[14:15], 0, v45
	v_add_u32_e32 v45, 1, v42
	v_cndmask_b32_e64 v44, v42, v44, s[14:15]
	v_fma_f32 v42, -v45, v42, v41
	v_cmp_lt_f32_e64 s[14:15], 0, v42
	v_cndmask_b32_e64 v42, v44, v45, s[14:15]
	v_mul_f32_e32 v44, 0x37800000, v42
	v_cndmask_b32_e32 v42, v42, v44, vcc
	v_cmp_class_f32_e32 vcc, v41, v22
	v_cndmask_b32_e32 v41, v42, v41, vcc
	v_div_scale_f32 v42, s[14:15], v41, v41, v43
	v_div_scale_f32 v44, vcc, v43, v41, v43
	v_rcp_f32_e32 v45, v42
	v_fma_f32 v46, -v42, v45, 1.0
	v_fmac_f32_e32 v45, v46, v45
	v_mul_f32_e32 v46, v44, v45
	v_fma_f32 v49, -v42, v46, v44
	v_fmac_f32_e32 v46, v49, v45
	v_fma_f32 v42, -v42, v46, v44
	v_div_fmas_f32 v42, v42, v45, v46
	v_mul_f32_e64 v49, |v8|, s71
	v_div_fixup_f32 v50, v42, v41, v43
.LBB62_156:                             ;   in Loop: Header=BB62_4 Depth=1
	s_or_b64 exec, exec, s[50:51]
.LBB62_157:                             ;   in Loop: Header=BB62_4 Depth=1
	s_or_b64 exec, exec, s[48:49]
                                        ; implicit-def: $vgpr41
.LBB62_158:                             ;   in Loop: Header=BB62_4 Depth=1
	s_andn2_saveexec_b64 s[46:47], s[46:47]
	s_cbranch_execz .LBB62_160
; %bb.159:                              ;   in Loop: Header=BB62_4 Depth=1
	v_mul_f32_e64 v42, |v9|, s59
	v_cmp_lt_f32_e64 vcc, |v9|, s58
	v_cndmask_b32_e64 v42, |v9|, v42, vcc
	v_sqrt_f32_e32 v43, v42
	v_add_f32_e32 v41, 1.0, v41
	v_mul_f32_e32 v41, 0.5, v41
	v_mov_b32_e32 v49, 1.0
	v_add_u32_e32 v44, -1, v43
	v_fma_f32 v46, -v44, v43, v42
	v_add_u32_e32 v45, 1, v43
	v_cmp_ge_f32_e64 s[14:15], 0, v46
	v_cndmask_b32_e64 v44, v43, v44, s[14:15]
	v_fma_f32 v43, -v45, v43, v42
	v_cmp_lt_f32_e64 s[14:15], 0, v43
	v_cndmask_b32_e64 v43, v44, v45, s[14:15]
	v_mul_f32_e32 v44, 0x37800000, v43
	v_cndmask_b32_e32 v43, v43, v44, vcc
	v_mul_f32_e32 v44, 0x4f800000, v41
	v_cmp_gt_f32_e32 vcc, s58, v41
	v_cndmask_b32_e32 v41, v41, v44, vcc
	v_sqrt_f32_e32 v44, v41
	v_cmp_class_f32_e64 s[14:15], v42, v22
	v_cndmask_b32_e64 v42, v43, v42, s[14:15]
	v_add_u32_e32 v43, -1, v44
	v_fma_f32 v45, -v43, v44, v41
	v_cmp_ge_f32_e64 s[14:15], 0, v45
	v_add_u32_e32 v45, 1, v44
	v_cndmask_b32_e64 v43, v44, v43, s[14:15]
	v_fma_f32 v44, -v45, v44, v41
	v_cmp_lt_f32_e64 s[14:15], 0, v44
	v_cndmask_b32_e64 v43, v43, v45, s[14:15]
	v_mul_f32_e32 v44, 0x37800000, v43
	v_cndmask_b32_e32 v43, v43, v44, vcc
	v_cmp_class_f32_e32 vcc, v41, v22
	v_cndmask_b32_e32 v41, v43, v41, vcc
	v_mul_f32_e32 v50, v42, v41
.LBB62_160:                             ;   in Loop: Header=BB62_4 Depth=1
	s_or_b64 exec, exec, s[46:47]
	s_mov_b64 s[14:15], exec
.LBB62_161:                             ;   in Loop: Header=BB62_4 Depth=1
	s_or_b64 exec, exec, s[44:45]
                                        ; implicit-def: $vgpr41
.LBB62_162:                             ;   in Loop: Header=BB62_4 Depth=1
	s_andn2_saveexec_b64 s[42:43], s[42:43]
; %bb.163:                              ;   in Loop: Header=BB62_4 Depth=1
	v_mul_f32_e32 v50, 0x4b800000, v41
	v_mul_f32_e64 v49, |v8|, s72
	s_or_b64 s[14:15], s[14:15], exec
                                        ; implicit-def: $vgpr48
; %bb.164:                              ;   in Loop: Header=BB62_4 Depth=1
	s_or_b64 exec, exec, s[42:43]
	s_xor_b64 s[14:15], s[14:15], -1
                                        ; implicit-def: $vgpr41
	s_and_saveexec_b64 s[42:43], s[14:15]
	s_xor_b64 s[14:15], exec, s[42:43]
	s_cbranch_execz .LBB62_166
; %bb.165:                              ;   in Loop: Header=BB62_4 Depth=1
	v_fma_f32 v41, |v48|, -0.5, 0.5
	v_mul_f32_e32 v42, v48, v48
	v_cmp_ge_f32_e64 vcc, |v48|, 0.5
	v_cndmask_b32_e32 v41, v42, v41, vcc
	v_mov_b32_e32 v42, 0x3c5fc5da
	v_fmac_f32_e32 v42, 0x3d1c21a7, v41
	v_fma_f32 v42, v41, v42, v24
	v_fma_f32 v42, v41, v42, v25
	v_sqrt_f32_e32 v43, v41
	v_fma_f32 v42, v41, v42, v26
	v_fma_f32 v42, v41, v42, v27
	v_mul_f32_e32 v41, v41, v42
	v_fmac_f32_e32 v43, v43, v41
	v_add_f32_e32 v42, v43, v43
	v_sub_f32_e32 v42, 0x3fc90fdb, v42
	v_fma_f32 v41, |v48|, v41, |v48|
	v_cmp_lt_f32_e64 vcc, |v48|, 0.5
	v_cndmask_b32_e32 v41, v42, v41, vcc
	v_bfi_b32 v41, s55, v41, v48
                                        ; implicit-def: $vgpr49
                                        ; implicit-def: $vgpr50
.LBB62_166:                             ;   in Loop: Header=BB62_4 Depth=1
	s_andn2_saveexec_b64 s[42:43], s[14:15]
	s_cbranch_execz .LBB62_168
; %bb.167:                              ;   in Loop: Header=BB62_4 Depth=1
	v_max_f32_e32 v41, v49, v49
	v_max_f32_e64 v42, |v50|, |v50|
	v_min_f32_e32 v43, v42, v41
	v_max_f32_e32 v41, v42, v41
	v_frexp_mant_f32_e32 v42, v41
	v_rcp_f32_e32 v42, v42
	v_frexp_exp_i32_f32_e32 v41, v41
	v_frexp_exp_i32_f32_e32 v44, v43
	v_frexp_mant_f32_e32 v43, v43
	v_mul_f32_e32 v42, v43, v42
	v_sub_u32_e32 v41, v44, v41
	v_ldexp_f32 v41, v42, v41
	v_mul_f32_e32 v42, v41, v41
	v_mov_b32_e32 v43, 0xbc7a590c
	v_fmac_f32_e32 v43, 0x3b2d2a58, v42
	v_fma_f32 v43, v42, v43, v28
	v_fma_f32 v43, v42, v43, v29
	;; [unrolled: 1-line block ×6, first 2 shown]
	v_mul_f32_e32 v42, v42, v43
	v_fmac_f32_e32 v41, v41, v42
	v_sub_f32_e32 v42, 0x3fc90fdb, v41
	v_cmp_gt_f32_e64 vcc, v49, |v50|
	v_cndmask_b32_e32 v41, v41, v42, vcc
	v_sub_f32_e32 v42, 0x40490fdb, v41
	v_cmp_gt_f32_e32 vcc, 0, v50
	v_cmp_gt_i32_e64 s[14:15], 0, v50
	v_cndmask_b32_e32 v41, v41, v42, vcc
	v_cndmask_b32_e64 v42, 0, v38, s[14:15]
	v_cndmask_b32_e32 v43, v39, v40, vcc
	v_cmp_class_f32_e64 s[44:45], v50, s73
	v_cmp_eq_f32_e32 vcc, s56, v49
	v_cmp_eq_f32_e64 s[14:15], 0, v49
	v_cndmask_b32_e64 v41, |v41|, v42, s[14:15]
	s_and_b64 vcc, vcc, s[44:45]
	v_cndmask_b32_e32 v41, v41, v43, vcc
	v_cmp_o_f32_e32 vcc, v50, v50
	v_cndmask_b32_e32 v41, v36, v41, vcc
.LBB62_168:                             ;   in Loop: Header=BB62_4 Depth=1
	s_or_b64 exec, exec, s[42:43]
	v_bfi_b32 v9, s55, v47, v9
	v_bfi_b32 v8, s55, v41, v8
.LBB62_169:                             ;   in Loop: Header=BB62_4 Depth=1
	s_or_b64 exec, exec, s[40:41]
.LBB62_170:                             ;   in Loop: Header=BB62_4 Depth=1
	s_or_b64 exec, exec, s[38:39]
                                        ; implicit-def: $vgpr41
                                        ; implicit-def: $vgpr44
                                        ; implicit-def: $vgpr43
.LBB62_171:                             ;   in Loop: Header=BB62_4 Depth=1
	s_andn2_saveexec_b64 s[38:39], s[16:17]
	s_cbranch_execz .LBB62_193
; %bb.172:                              ;   in Loop: Header=BB62_4 Depth=1
	v_cmp_lt_i32_e32 vcc, -1, v9
                                        ; implicit-def: $sgpr40_sgpr41
                                        ; implicit-def: $vgpr42
                                        ; implicit-def: $vgpr45
	s_and_saveexec_b64 s[14:15], vcc
	s_xor_b64 s[42:43], exec, s[14:15]
	s_cbranch_execz .LBB62_182
; %bb.173:                              ;   in Loop: Header=BB62_4 Depth=1
	v_cmp_lt_f32_e64 s[14:15], |v9|, |v8|
	v_cndmask_b32_e64 v46, |v9|, |v8|, s[14:15]
	v_cmp_nlt_f32_e32 vcc, s74, v46
                                        ; implicit-def: $vgpr42
                                        ; implicit-def: $vgpr45
	s_and_saveexec_b64 s[16:17], vcc
	s_xor_b64 s[40:41], exec, s[16:17]
	s_cbranch_execz .LBB62_179
; %bb.174:                              ;   in Loop: Header=BB62_4 Depth=1
	v_cndmask_b32_e64 v47, |v8|, |v9|, s[14:15]
	v_cmp_nlt_f32_e32 vcc, s75, v46
	v_cmp_ngt_f32_e64 s[16:17], s76, v47
	s_and_b64 s[16:17], vcc, s[16:17]
                                        ; implicit-def: $vgpr42
                                        ; implicit-def: $vgpr45
	s_and_saveexec_b64 s[44:45], s[16:17]
	s_xor_b64 s[16:17], exec, s[44:45]
	s_cbranch_execz .LBB62_176
; %bb.175:                              ;   in Loop: Header=BB62_4 Depth=1
	v_mul_f32_e32 v42, v47, v47
	v_fmac_f32_e32 v42, v46, v46
	v_cmp_gt_f32_e32 vcc, s60, v42
	v_cndmask_b32_e64 v45, 0, 32, vcc
	v_ldexp_f32 v42, v42, v45
	v_log_f32_e32 v42, v42
	s_waitcnt lgkmcnt(0)
	v_min_f32_e32 v41, v44, v41
	v_frexp_mant_f32_e32 v44, v43
	v_rcp_f32_e32 v44, v44
	v_mul_f32_e32 v46, 0x3f317217, v42
	v_fma_f32 v46, v42, s61, -v46
	v_fmac_f32_e32 v46, 0x3377d1cf, v42
	v_cndmask_b32_e32 v45, 0, v35, vcc
	v_fmac_f32_e32 v46, 0x3f317217, v42
	v_cmp_lt_f32_e64 vcc, |v42|, s56
	v_cndmask_b32_e32 v42, v42, v46, vcc
	v_sub_f32_e32 v42, v42, v45
	v_frexp_exp_i32_f32_e32 v43, v43
	v_frexp_exp_i32_f32_e32 v45, v41
	v_frexp_mant_f32_e32 v41, v41
	v_mul_f32_e32 v41, v41, v44
	v_sub_u32_e32 v43, v45, v43
	v_ldexp_f32 v45, v41, v43
	v_mul_f32_e32 v41, v45, v45
	v_mov_b32_e32 v43, 0xbc7a590c
	v_fmac_f32_e32 v43, 0x3b2d2a58, v41
	v_fma_f32 v43, v41, v43, v28
	v_fma_f32 v43, v41, v43, v29
	;; [unrolled: 1-line block ×6, first 2 shown]
	v_mul_f32_e32 v41, v41, v43
	v_mul_f32_e32 v42, 0.5, v42
	v_fmac_f32_e32 v45, v45, v41
                                        ; implicit-def: $vgpr43
                                        ; implicit-def: $vgpr44
                                        ; implicit-def: $vgpr41
.LBB62_176:                             ;   in Loop: Header=BB62_4 Depth=1
	s_andn2_saveexec_b64 s[16:17], s[16:17]
	s_cbranch_execz .LBB62_178
; %bb.177:                              ;   in Loop: Header=BB62_4 Depth=1
	v_cvt_f64_f32_e32 v[45:46], v43
	v_cmp_neq_f32_e32 vcc, s56, v43
	s_waitcnt lgkmcnt(0)
	v_min_f32_e32 v41, v44, v41
	v_frexp_exp_i32_f32_e32 v44, v43
	v_frexp_exp_i32_f64_e32 v42, v[45:46]
	v_frexp_mant_f32_e32 v45, v43
	v_rcp_f32_e32 v45, v45
	v_frexp_exp_i32_f32_e32 v47, v41
	v_frexp_mant_f32_e32 v41, v41
	v_sub_u32_e32 v44, v47, v44
	v_mul_f32_e32 v41, v41, v45
	v_ldexp_f32 v45, v41, v44
	v_sub_u32_e32 v48, 0, v42
	v_ldexp_f32 v49, |v9|, v48
	v_ldexp_f32 v48, |v8|, v48
	v_mul_f32_e32 v48, v48, v48
	v_fmac_f32_e32 v48, v49, v49
	v_sqrt_f32_e32 v48, v48
	v_mov_b32_e32 v46, 0xbc7a590c
	v_mul_f32_e32 v41, v45, v45
	v_fmac_f32_e32 v46, 0x3b2d2a58, v41
	v_ldexp_f32 v42, v48, v42
	v_cndmask_b32_e32 v42, v34, v42, vcc
	v_cmp_gt_f32_e32 vcc, s60, v42
	v_cndmask_b32_e64 v43, 0, 32, vcc
	v_ldexp_f32 v42, v42, v43
	v_log_f32_e32 v42, v42
	v_cndmask_b32_e32 v43, 0, v35, vcc
	v_mul_f32_e32 v44, 0x3f317217, v42
	v_fma_f32 v44, v42, s61, -v44
	v_fmac_f32_e32 v44, 0x3377d1cf, v42
	v_fmac_f32_e32 v44, 0x3f317217, v42
	v_cmp_lt_f32_e64 vcc, |v42|, s56
	v_cndmask_b32_e32 v42, v42, v44, vcc
	v_sub_f32_e32 v42, v42, v43
	v_fma_f32 v43, v41, v46, v28
	v_fma_f32 v43, v41, v43, v29
	v_fma_f32 v43, v41, v43, v30
	v_fma_f32 v43, v41, v43, v31
	v_fma_f32 v43, v41, v43, v32
	v_fma_f32 v43, v41, v43, v33
	v_mul_f32_e32 v41, v41, v43
	v_fmac_f32_e32 v45, v45, v41
.LBB62_178:                             ;   in Loop: Header=BB62_4 Depth=1
	s_or_b64 exec, exec, s[16:17]
                                        ; implicit-def: $vgpr44
                                        ; implicit-def: $vgpr41
                                        ; implicit-def: $vgpr43
.LBB62_179:                             ;   in Loop: Header=BB62_4 Depth=1
	s_andn2_saveexec_b64 s[40:41], s[40:41]
	s_cbranch_execz .LBB62_181
; %bb.180:                              ;   in Loop: Header=BB62_4 Depth=1
	v_div_scale_f32 v42, s[16:17], s77, s77, v9
	v_div_scale_f32 v45, s[16:17], s77, s77, v8
	v_div_scale_f32 v46, vcc, v9, s77, v9
	v_div_scale_f32 v47, s[16:17], v8, s77, v8
	s_waitcnt lgkmcnt(0)
	v_min_f32_e32 v44, v44, v41
	v_rcp_f32_e32 v48, v42
	v_rcp_f32_e32 v49, v45
	v_fma_f32 v50, -v42, v48, 1.0
	v_fmac_f32_e32 v48, v50, v48
	v_fma_f32 v51, -v45, v49, 1.0
	v_fmac_f32_e32 v49, v51, v49
	v_mul_f32_e32 v50, v46, v48
	v_mul_f32_e32 v51, v47, v49
	v_fma_f32 v52, -v42, v50, v46
	v_fma_f32 v53, -v45, v51, v47
	v_fmac_f32_e32 v50, v52, v48
	v_fmac_f32_e32 v51, v53, v49
	v_fma_f32 v42, -v42, v50, v46
	v_fma_f32 v45, -v45, v51, v47
	v_div_fmas_f32 v42, v42, v48, v50
	s_mov_b64 vcc, s[16:17]
	v_div_fmas_f32 v45, v45, v49, v51
	v_frexp_exp_i32_f32_e32 v46, v43
	v_frexp_mant_f32_e32 v43, v43
	v_rcp_f32_e32 v43, v43
	v_mov_b32_e32 v47, 0xbc7a590c
	v_div_fixup_f32 v48, v42, s77, v9
	v_div_fixup_f32 v49, v45, s77, v8
	v_max_f32_e64 v50, v48, |v49|
	v_cvt_f64_f32_e32 v[41:42], v50
	v_frexp_exp_i32_f32_e32 v45, v44
	v_frexp_mant_f32_e32 v44, v44
	v_mul_f32_e32 v43, v44, v43
	v_frexp_exp_i32_f64_e32 v41, v[41:42]
	v_sub_u32_e32 v42, v45, v46
	v_cmp_neq_f32_e32 vcc, s56, v50
	v_ldexp_f32 v45, v43, v42
	v_mul_f32_e32 v42, v45, v45
	v_fmac_f32_e32 v47, 0x3b2d2a58, v42
	v_fma_f32 v43, v42, v47, v28
	v_fma_f32 v43, v42, v43, v29
	v_sub_u32_e32 v44, 0, v41
	v_ldexp_f32 v46, v48, v44
	v_ldexp_f32 v44, |v49|, v44
	v_mul_f32_e32 v44, v44, v44
	v_fmac_f32_e32 v44, v46, v46
	v_sqrt_f32_e32 v44, v44
	v_fma_f32 v43, v42, v43, v30
	v_fma_f32 v43, v42, v43, v31
	;; [unrolled: 1-line block ×3, first 2 shown]
	v_ldexp_f32 v41, v44, v41
	v_cndmask_b32_e32 v41, v34, v41, vcc
	v_cmp_gt_f32_e32 vcc, s60, v41
	v_cndmask_b32_e64 v44, 0, 32, vcc
	v_ldexp_f32 v41, v41, v44
	v_log_f32_e32 v41, v41
	v_fma_f32 v43, v42, v43, v33
	v_mul_f32_e32 v43, v42, v43
	v_cndmask_b32_e32 v42, 0, v35, vcc
	v_mul_f32_e32 v44, 0x3f317217, v41
	v_fma_f32 v44, v41, s61, -v44
	v_fmac_f32_e32 v44, 0x3377d1cf, v41
	v_fmac_f32_e32 v44, 0x3f317217, v41
	v_cmp_lt_f32_e64 vcc, |v41|, s56
	v_cndmask_b32_e32 v41, v41, v44, vcc
	v_sub_f32_e32 v41, v41, v42
	v_add_f32_e32 v42, 1.0, v41
	v_fmac_f32_e32 v45, v45, v43
.LBB62_181:                             ;   in Loop: Header=BB62_4 Depth=1
	s_or_b64 exec, exec, s[40:41]
	s_waitcnt lgkmcnt(0)
	v_sub_f32_e32 v41, 0x3fc90fdb, v45
	v_cndmask_b32_e64 v41, v45, v41, s[14:15]
	v_cmp_neq_f32_e32 vcc, 0, v8
	v_cndmask_b32_e32 v45, 0, v41, vcc
	v_cmp_class_f32_e64 s[40:41], v9, s73
                                        ; implicit-def: $vgpr41
.LBB62_182:                             ;   in Loop: Header=BB62_4 Depth=1
	s_andn2_saveexec_b64 s[42:43], s[42:43]
	s_cbranch_execz .LBB62_192
; %bb.183:                              ;   in Loop: Header=BB62_4 Depth=1
	v_cmp_gt_f32_e64 s[14:15], |v8|, -v9
	v_cndmask_b32_e64 v44, -v9, |v8|, s[14:15]
	v_cmp_nlt_f32_e32 vcc, s74, v44
                                        ; implicit-def: $vgpr42
                                        ; implicit-def: $vgpr43
	s_and_saveexec_b64 s[16:17], vcc
	s_xor_b64 s[44:45], exec, s[16:17]
	s_cbranch_execz .LBB62_189
; %bb.184:                              ;   in Loop: Header=BB62_4 Depth=1
	v_xor_b32_e32 v42, 0x80000000, v9
	v_cndmask_b32_e64 v45, |v8|, v42, s[14:15]
	v_cmp_nlt_f32_e32 vcc, s75, v44
	v_cmp_ngt_f32_e64 s[16:17], s76, v45
	s_and_b64 s[16:17], vcc, s[16:17]
                                        ; implicit-def: $vgpr42
                                        ; implicit-def: $vgpr43
	s_and_saveexec_b64 s[46:47], s[16:17]
	s_xor_b64 s[16:17], exec, s[46:47]
	s_cbranch_execz .LBB62_186
; %bb.185:                              ;   in Loop: Header=BB62_4 Depth=1
	v_mul_f32_e32 v42, v45, v45
	v_fmac_f32_e32 v42, v44, v44
	v_cmp_gt_f32_e32 vcc, s60, v42
	v_cndmask_b32_e64 v43, 0, 32, vcc
	v_ldexp_f32 v42, v42, v43
	v_log_f32_e32 v42, v42
	v_cndmask_b32_e32 v43, 0, v35, vcc
	v_mul_f32_e32 v44, 0x3f317217, v42
	v_fma_f32 v44, v42, s61, -v44
	v_fmac_f32_e32 v44, 0x3377d1cf, v42
	v_fmac_f32_e32 v44, 0x3f317217, v42
	v_cmp_lt_f32_e64 vcc, |v42|, s56
	v_cndmask_b32_e32 v42, v42, v44, vcc
	v_sub_f32_e32 v42, v42, v43
	v_max_f32_e64 v43, -v9, -v9
	s_waitcnt lgkmcnt(0)
	v_min_f32_e32 v44, v43, v41
	v_max_f32_e32 v41, v43, v41
	v_frexp_mant_f32_e32 v43, v41
	v_rcp_f32_e32 v43, v43
	v_frexp_exp_i32_f32_e32 v41, v41
	v_frexp_exp_i32_f32_e32 v45, v44
	v_frexp_mant_f32_e32 v44, v44
	v_mul_f32_e32 v43, v44, v43
	v_sub_u32_e32 v41, v45, v41
	v_ldexp_f32 v43, v43, v41
	v_mul_f32_e32 v41, v43, v43
	v_mov_b32_e32 v44, 0xbc7a590c
	v_fmac_f32_e32 v44, 0x3b2d2a58, v41
	v_fma_f32 v44, v41, v44, v28
	v_fma_f32 v44, v41, v44, v29
	v_fma_f32 v44, v41, v44, v30
	v_fma_f32 v44, v41, v44, v31
	v_fma_f32 v44, v41, v44, v32
	v_fma_f32 v44, v41, v44, v33
	v_mul_f32_e32 v41, v41, v44
	v_mul_f32_e32 v42, 0.5, v42
	v_fmac_f32_e32 v43, v43, v41
                                        ; implicit-def: $vgpr41
.LBB62_186:                             ;   in Loop: Header=BB62_4 Depth=1
	s_andn2_saveexec_b64 s[16:17], s[16:17]
	s_cbranch_execz .LBB62_188
; %bb.187:                              ;   in Loop: Header=BB62_4 Depth=1
	v_max_f32_e64 v44, -v9, -v9
	s_waitcnt lgkmcnt(0)
	v_max_f32_e32 v45, v44, v41
	v_cvt_f64_f32_e32 v[42:43], v45
	v_min_f32_e32 v41, v44, v41
	v_frexp_mant_f32_e32 v44, v45
	v_rcp_f32_e32 v44, v44
	v_frexp_exp_i32_f64_e32 v42, v[42:43]
	v_cmp_neq_f32_e32 vcc, s56, v45
	v_frexp_exp_i32_f32_e32 v47, v41
	v_frexp_mant_f32_e32 v41, v41
	v_mul_f32_e32 v41, v41, v44
	v_frexp_exp_i32_f32_e32 v43, v45
	v_sub_u32_e32 v43, v47, v43
	v_ldexp_f32 v43, v41, v43
	v_sub_u32_e32 v48, 0, v42
	v_ldexp_f32 v49, -v9, v48
	v_ldexp_f32 v48, |v8|, v48
	v_mul_f32_e32 v48, v48, v48
	v_fmac_f32_e32 v48, v49, v49
	v_sqrt_f32_e32 v48, v48
	v_mov_b32_e32 v46, 0xbc7a590c
	v_mul_f32_e32 v41, v43, v43
	v_fmac_f32_e32 v46, 0x3b2d2a58, v41
	v_ldexp_f32 v42, v48, v42
	v_cndmask_b32_e32 v42, v34, v42, vcc
	v_cmp_gt_f32_e32 vcc, s60, v42
	v_cndmask_b32_e64 v44, 0, 32, vcc
	v_ldexp_f32 v42, v42, v44
	v_log_f32_e32 v42, v42
	v_cndmask_b32_e32 v44, 0, v35, vcc
	v_mul_f32_e32 v45, 0x3f317217, v42
	v_fma_f32 v45, v42, s61, -v45
	v_fmac_f32_e32 v45, 0x3377d1cf, v42
	v_fmac_f32_e32 v45, 0x3f317217, v42
	v_cmp_lt_f32_e64 vcc, |v42|, s56
	v_cndmask_b32_e32 v42, v42, v45, vcc
	v_sub_f32_e32 v42, v42, v44
	v_fma_f32 v44, v41, v46, v28
	v_fma_f32 v44, v41, v44, v29
	;; [unrolled: 1-line block ×6, first 2 shown]
	v_mul_f32_e32 v41, v41, v44
	v_fmac_f32_e32 v43, v43, v41
.LBB62_188:                             ;   in Loop: Header=BB62_4 Depth=1
	s_or_b64 exec, exec, s[16:17]
                                        ; implicit-def: $vgpr41
.LBB62_189:                             ;   in Loop: Header=BB62_4 Depth=1
	s_andn2_saveexec_b64 s[44:45], s[44:45]
	s_cbranch_execz .LBB62_191
; %bb.190:                              ;   in Loop: Header=BB62_4 Depth=1
	v_div_scale_f32 v42, s[16:17], s78, s78, v9
	v_div_scale_f32 v43, s[16:17], s78, s78, v8
	v_div_scale_f32 v44, vcc, v9, s78, v9
	v_div_scale_f32 v45, s[16:17], v8, s78, v8
	v_rcp_f32_e32 v46, v42
	v_rcp_f32_e32 v47, v43
	v_fma_f32 v48, -v42, v46, 1.0
	v_fmac_f32_e32 v46, v48, v46
	v_fma_f32 v49, -v43, v47, 1.0
	v_fmac_f32_e32 v47, v49, v47
	v_mul_f32_e32 v48, v44, v46
	v_mul_f32_e32 v49, v45, v47
	v_fma_f32 v50, -v42, v48, v44
	v_fma_f32 v51, -v43, v49, v45
	v_fmac_f32_e32 v48, v50, v46
	v_fmac_f32_e32 v49, v51, v47
	v_fma_f32 v42, -v42, v48, v44
	v_fma_f32 v43, -v43, v49, v45
	v_div_fmas_f32 v42, v42, v46, v48
	s_mov_b64 vcc, s[16:17]
	v_div_fmas_f32 v43, v43, v47, v49
	v_max_f32_e64 v44, -v9, -v9
	s_waitcnt lgkmcnt(0)
	v_min_f32_e32 v46, v44, v41
	v_max_f32_e32 v41, v44, v41
	v_frexp_exp_i32_f32_e32 v44, v41
	v_frexp_mant_f32_e32 v47, v41
	v_rcp_f32_e32 v47, v47
	v_mov_b32_e32 v45, 0xbc7a590c
	v_div_fixup_f32 v48, v42, s78, v9
	v_div_fixup_f32 v49, v43, s78, v8
	v_max_f32_e64 v50, |v48|, |v49|
	v_cvt_f64_f32_e32 v[41:42], v50
	v_frexp_exp_i32_f32_e32 v43, v46
	v_frexp_mant_f32_e32 v46, v46
	v_cmp_neq_f32_e32 vcc, s56, v50
	v_frexp_exp_i32_f64_e32 v41, v[41:42]
	v_sub_u32_e32 v42, v43, v44
	v_mul_f32_e32 v43, v46, v47
	v_ldexp_f32 v43, v43, v42
	v_mul_f32_e32 v42, v43, v43
	v_fmac_f32_e32 v45, 0x3b2d2a58, v42
	v_fma_f32 v44, v42, v45, v28
	v_fma_f32 v44, v42, v44, v29
	v_sub_u32_e32 v45, 0, v41
	v_ldexp_f32 v46, |v48|, v45
	v_ldexp_f32 v45, |v49|, v45
	v_mul_f32_e32 v45, v45, v45
	v_fmac_f32_e32 v45, v46, v46
	v_sqrt_f32_e32 v45, v45
	v_fma_f32 v44, v42, v44, v30
	v_fma_f32 v44, v42, v44, v31
	;; [unrolled: 1-line block ×3, first 2 shown]
	v_ldexp_f32 v41, v45, v41
	v_cndmask_b32_e32 v41, v34, v41, vcc
	v_cmp_gt_f32_e32 vcc, s60, v41
	v_cndmask_b32_e64 v45, 0, 32, vcc
	v_ldexp_f32 v41, v41, v45
	v_log_f32_e32 v41, v41
	v_fma_f32 v44, v42, v44, v33
	v_mul_f32_e32 v44, v42, v44
	v_cndmask_b32_e32 v42, 0, v35, vcc
	v_mul_f32_e32 v45, 0x3f317217, v41
	v_fma_f32 v45, v41, s61, -v45
	v_fmac_f32_e32 v45, 0x3377d1cf, v41
	v_fmac_f32_e32 v45, 0x3f317217, v41
	v_cmp_lt_f32_e64 vcc, |v41|, s56
	v_cndmask_b32_e32 v41, v41, v45, vcc
	v_sub_f32_e32 v41, v41, v42
	v_add_f32_e32 v42, 1.0, v41
	v_fmac_f32_e32 v43, v43, v44
.LBB62_191:                             ;   in Loop: Header=BB62_4 Depth=1
	s_or_b64 exec, exec, s[44:45]
	s_waitcnt lgkmcnt(0)
	v_sub_f32_e32 v41, 0x3fc90fdb, v43
	v_cndmask_b32_e64 v41, v43, v41, s[14:15]
	v_cmp_neq_f32_e32 vcc, 0, v8
	v_cndmask_b32_e32 v45, 0, v41, vcc
	v_cmp_eq_f32_e32 vcc, s66, v9
	s_andn2_b64 s[14:15], s[40:41], exec
	s_and_b64 s[16:17], vcc, exec
	s_or_b64 s[40:41], s[14:15], s[16:17]
.LBB62_192:                             ;   in Loop: Header=BB62_4 Depth=1
	s_or_b64 exec, exec, s[42:43]
	v_cmp_class_f32_e64 s[14:15], v8, s73
	s_and_b64 vcc, s[14:15], s[40:41]
	s_waitcnt lgkmcnt(0)
	v_cndmask_b32_e32 v41, v45, v39, vcc
	v_add_f32_e32 v42, 0x3f317218, v42
	v_bfi_b32 v9, s55, v42, v9
	v_bfi_b32 v8, s55, v41, v8
.LBB62_193:                             ;   in Loop: Header=BB62_4 Depth=1
	s_or_b64 exec, exec, s[38:39]
.LBB62_194:                             ;   in Loop: Header=BB62_4 Depth=1
	s_andn2_saveexec_b64 s[14:15], s[36:37]
	s_cbranch_execz .LBB62_208
; %bb.195:                              ;   in Loop: Header=BB62_4 Depth=1
	v_cmp_neq_f32_e64 s[16:17], |v9|, s56
                                        ; implicit-def: $vgpr41
                                        ; implicit-def: $vgpr42
	s_and_saveexec_b64 s[36:37], s[16:17]
	s_xor_b64 s[16:17], exec, s[36:37]
	s_cbranch_execz .LBB62_205
; %bb.196:                              ;   in Loop: Header=BB62_4 Depth=1
	v_cmp_neq_f32_e64 s[36:37], |v8|, s56
                                        ; implicit-def: $vgpr41
                                        ; implicit-def: $vgpr42
	s_and_saveexec_b64 s[38:39], s[36:37]
	s_xor_b64 s[36:37], exec, s[38:39]
	s_cbranch_execz .LBB62_202
; %bb.197:                              ;   in Loop: Header=BB62_4 Depth=1
	v_cmp_neq_f32_e32 vcc, 0, v8
                                        ; implicit-def: $vgpr41
	s_and_saveexec_b64 s[38:39], vcc
	s_xor_b64 s[38:39], exec, s[38:39]
	s_cbranch_execz .LBB62_199
; %bb.198:                              ;   in Loop: Header=BB62_4 Depth=1
	v_add_f32_e32 v9, 0, v9
	s_waitcnt lgkmcnt(0)
	v_add_f32_e32 v41, v8, v9
                                        ; implicit-def: $vgpr9
.LBB62_199:                             ;   in Loop: Header=BB62_4 Depth=1
	s_or_saveexec_b64 s[38:39], s[38:39]
	s_waitcnt lgkmcnt(0)
	v_mov_b32_e32 v42, v41
	s_xor_b64 exec, exec, s[38:39]
; %bb.200:                              ;   in Loop: Header=BB62_4 Depth=1
	v_add_f32_e32 v42, v9, v9
	v_mov_b32_e32 v41, v8
; %bb.201:                              ;   in Loop: Header=BB62_4 Depth=1
	s_or_b64 exec, exec, s[38:39]
                                        ; implicit-def: $vgpr9
.LBB62_202:                             ;   in Loop: Header=BB62_4 Depth=1
	s_andn2_saveexec_b64 s[36:37], s[36:37]
	s_cbranch_execz .LBB62_204
; %bb.203:                              ;   in Loop: Header=BB62_4 Depth=1
	s_waitcnt lgkmcnt(0)
	v_add_f32_e32 v41, v9, v9
	v_mov_b32_e32 v42, v8
.LBB62_204:                             ;   in Loop: Header=BB62_4 Depth=1
	s_or_b64 exec, exec, s[36:37]
                                        ; implicit-def: $vgpr8
.LBB62_205:                             ;   in Loop: Header=BB62_4 Depth=1
	s_andn2_saveexec_b64 s[16:17], s[16:17]
	s_cbranch_execz .LBB62_207
; %bb.206:                              ;   in Loop: Header=BB62_4 Depth=1
	s_waitcnt lgkmcnt(0)
	v_add_f32_e32 v41, v8, v8
	v_mov_b32_e32 v42, v9
.LBB62_207:                             ;   in Loop: Header=BB62_4 Depth=1
	s_or_b64 exec, exec, s[16:17]
	v_mov_b32_e32 v9, v42
	s_waitcnt lgkmcnt(0)
	v_mov_b32_e32 v8, v41
.LBB62_208:                             ;   in Loop: Header=BB62_4 Depth=1
	s_or_b64 exec, exec, s[14:15]
	v_cmp_o_f32_e32 vcc, v5, v4
	s_and_saveexec_b64 s[14:15], vcc
	s_xor_b64 s[36:37], exec, s[14:15]
	s_cbranch_execz .LBB62_292
; %bb.209:                              ;   in Loop: Header=BB62_4 Depth=1
	s_waitcnt lgkmcnt(0)
	v_max_f32_e64 v41, |v4|, |v4|
	v_max_f32_e64 v44, |v5|, |v5|
	v_max_f32_e32 v43, v44, v41
	v_cmp_nlt_f32_e32 vcc, s53, v43
	s_and_saveexec_b64 s[14:15], vcc
	s_xor_b64 s[16:17], exec, s[14:15]
	s_cbranch_execz .LBB62_269
; %bb.210:                              ;   in Loop: Header=BB62_4 Depth=1
	v_cmp_neq_f32_e32 vcc, 0, v5
	v_cmp_neq_f32_e64 s[14:15], 0, v4
	s_or_b64 s[14:15], vcc, s[14:15]
	s_and_saveexec_b64 s[38:39], s[14:15]
	s_cbranch_execz .LBB62_268
; %bb.211:                              ;   in Loop: Header=BB62_4 Depth=1
	v_mov_b32_e32 v42, s23
	v_mov_b32_e32 v41, s22
	flat_store_dword v[41:42], v21
	s_waitcnt vmcnt(0)
	flat_load_dword v41, v[41:42] glc
	s_waitcnt vmcnt(0)
	v_cmp_nlt_f32_e64 s[14:15], |v5|, s54
	v_cmp_nlt_f32_e64 s[40:41], |v4|, s54
	s_or_b64 s[14:15], s[14:15], s[40:41]
	s_waitcnt lgkmcnt(0)
	v_add_f32_e32 v43, 1.0, v41
	v_mov_b32_e32 v42, s29
	v_mov_b32_e32 v41, s28
	flat_store_dword v[41:42], v43
	s_waitcnt vmcnt(0)
	flat_load_dword v41, v[41:42] glc
	s_waitcnt vmcnt(0)
	s_and_saveexec_b64 s[40:41], s[14:15]
	s_cbranch_execz .LBB62_267
; %bb.212:                              ;   in Loop: Header=BB62_4 Depth=1
	v_add_f32_e64 v43, |v4|, 1.0
	s_waitcnt lgkmcnt(0)
	v_max_f32_e32 v41, v44, v43
	v_add_f32_e64 v42, |v4|, -1.0
	v_cvt_f64_f32_e32 v[45:46], v41
	v_max_f32_e64 v44, v44, |v42|
	v_cvt_f64_f32_e32 v[47:48], v44
	v_cmp_neq_f32_e32 vcc, s56, v41
	v_frexp_exp_i32_f64_e32 v45, v[45:46]
	v_frexp_exp_i32_f64_e32 v46, v[47:48]
	v_sub_u32_e32 v47, 0, v45
	v_ldexp_f32 v49, |v5|, v47
	v_sub_u32_e32 v48, 0, v46
	v_ldexp_f32 v47, v43, v47
	v_ldexp_f32 v50, |v5|, v48
	v_ldexp_f32 v48, |v42|, v48
	v_mul_f32_e32 v47, v47, v47
	v_mul_f32_e32 v48, v48, v48
	v_fmac_f32_e32 v47, v49, v49
	v_fmac_f32_e32 v48, v50, v50
	v_sqrt_f32_e32 v47, v47
	v_sqrt_f32_e32 v48, v48
	v_ldexp_f32 v45, v47, v45
	v_ldexp_f32 v47, v48, v46
	v_cndmask_b32_e32 v46, v34, v45, vcc
	v_cmp_neq_f32_e32 vcc, s56, v44
	v_cndmask_b32_e32 v44, v34, v47, vcc
	v_add_f32_e32 v41, v46, v44
	v_mul_f32_e32 v41, 0.5, v41
	v_cmp_ngt_f32_e32 vcc, 1.0, v41
	v_cndmask_b32_e32 v41, 1.0, v41, vcc
	v_cmp_ngt_f32_e32 vcc, s57, v41
                                        ; implicit-def: $vgpr47
	s_and_saveexec_b64 s[14:15], vcc
	s_xor_b64 s[42:43], exec, s[14:15]
	s_cbranch_execz .LBB62_214
; %bb.213:                              ;   in Loop: Header=BB62_4 Depth=1
	v_fma_f32 v45, v41, v41, -1.0
	v_mul_f32_e32 v47, 0x4f800000, v45
	v_cmp_gt_f32_e32 vcc, s58, v45
	v_cndmask_b32_e32 v45, v45, v47, vcc
	v_sqrt_f32_e32 v47, v45
	v_add_u32_e32 v48, -1, v47
	v_fma_f32 v50, -v48, v47, v45
	v_add_u32_e32 v49, 1, v47
	v_cmp_ge_f32_e64 s[14:15], 0, v50
	v_cndmask_b32_e64 v48, v47, v48, s[14:15]
	v_fma_f32 v47, -v49, v47, v45
	v_cmp_lt_f32_e64 s[14:15], 0, v47
	v_cndmask_b32_e64 v47, v48, v49, s[14:15]
	v_mul_f32_e32 v48, 0x37800000, v47
	v_cndmask_b32_e32 v47, v47, v48, vcc
	v_cmp_class_f32_e32 vcc, v45, v22
	v_cndmask_b32_e32 v45, v47, v45, vcc
	v_add_f32_e32 v45, v41, v45
	v_cmp_gt_f32_e32 vcc, s60, v45
	v_cndmask_b32_e64 v47, 0, 32, vcc
	v_ldexp_f32 v45, v45, v47
	v_log_f32_e32 v45, v45
	v_mul_f32_e32 v47, 0x3f317217, v45
	v_fma_f32 v47, v45, s61, -v47
	v_fmac_f32_e32 v47, 0x3377d1cf, v45
	v_fmac_f32_e32 v47, 0x3f317217, v45
	v_cmp_lt_f32_e64 s[14:15], |v45|, s56
	v_cndmask_b32_e64 v45, v45, v47, s[14:15]
	v_cndmask_b32_e32 v47, 0, v35, vcc
	v_sub_f32_e32 v47, v45, v47
.LBB62_214:                             ;   in Loop: Header=BB62_4 Depth=1
	s_or_saveexec_b64 s[42:43], s[42:43]
	v_and_b32_e32 v45, 0x7fffffff, v5
	s_xor_b64 exec, exec, s[42:43]
	s_cbranch_execz .LBB62_236
; %bb.215:                              ;   in Loop: Header=BB62_4 Depth=1
	v_cmp_neq_f32_e64 s[14:15], |v4|, 1.0
	v_cmp_nlt_f32_e64 s[44:45], |v5|, s62
	s_or_b64 s[14:15], s[44:45], s[14:15]
                                        ; implicit-def: $vgpr47
	s_and_saveexec_b64 s[44:45], s[14:15]
	s_xor_b64 s[44:45], exec, s[44:45]
	s_cbranch_execz .LBB62_233
; %bb.216:                              ;   in Loop: Header=BB62_4 Depth=1
	v_mul_f32_e64 v47, |v42|, s63
	v_cmp_ge_f32_e64 s[14:15], |v5|, v47
                                        ; implicit-def: $vgpr47
	s_and_saveexec_b64 s[46:47], s[14:15]
	s_xor_b64 s[46:47], exec, s[46:47]
	s_cbranch_execz .LBB62_226
; %bb.217:                              ;   in Loop: Header=BB62_4 Depth=1
	v_cmp_neq_f32_e32 vcc, 0, v43
	v_mov_b32_e32 v47, v45
	s_and_saveexec_b64 s[14:15], vcc
	s_cbranch_execz .LBB62_219
; %bb.218:                              ;   in Loop: Header=BB62_4 Depth=1
	v_mul_f32_e32 v47, v5, v5
	v_add_f32_e32 v48, v43, v46
	v_div_scale_f32 v49, s[48:49], v48, v48, v47
	v_div_scale_f32 v50, vcc, v47, v48, v47
	v_rcp_f32_e32 v51, v49
	v_fma_f32 v52, -v49, v51, 1.0
	v_fmac_f32_e32 v51, v52, v51
	v_mul_f32_e32 v52, v50, v51
	v_fma_f32 v53, -v49, v52, v50
	v_fmac_f32_e32 v52, v53, v51
	v_fma_f32 v49, -v49, v52, v50
	v_div_fmas_f32 v49, v49, v51, v52
	v_div_fixup_f32 v47, v49, v48, v47
.LBB62_219:                             ;   in Loop: Header=BB62_4 Depth=1
	s_or_b64 exec, exec, s[14:15]
	v_sub_f32_e64 v49, 1.0, |v4|
	v_cmp_ngt_f32_e32 vcc, 0, v49
                                        ; implicit-def: $vgpr48
	s_and_saveexec_b64 s[14:15], vcc
	s_xor_b64 s[14:15], exec, s[14:15]
	s_cbranch_execz .LBB62_223
; %bb.220:                              ;   in Loop: Header=BB62_4 Depth=1
	v_cmp_neq_f32_e32 vcc, 0, v49
	v_mov_b32_e32 v48, v45
	s_and_saveexec_b64 s[48:49], vcc
	s_cbranch_execz .LBB62_222
; %bb.221:                              ;   in Loop: Header=BB62_4 Depth=1
	v_mul_f32_e32 v48, v5, v5
	v_add_f32_e32 v49, v49, v44
	v_div_scale_f32 v50, s[50:51], v49, v49, v48
	v_div_scale_f32 v51, vcc, v48, v49, v48
	v_rcp_f32_e32 v52, v50
	v_fma_f32 v53, -v50, v52, 1.0
	v_fmac_f32_e32 v52, v53, v52
	v_mul_f32_e32 v53, v51, v52
	v_fma_f32 v54, -v50, v53, v51
	v_fmac_f32_e32 v53, v54, v52
	v_fma_f32 v50, -v50, v53, v51
	v_div_fmas_f32 v50, v50, v52, v53
	v_div_fixup_f32 v48, v50, v49, v48
.LBB62_222:                             ;   in Loop: Header=BB62_4 Depth=1
	s_or_b64 exec, exec, s[48:49]
                                        ; implicit-def: $vgpr49
.LBB62_223:                             ;   in Loop: Header=BB62_4 Depth=1
	s_andn2_saveexec_b64 s[14:15], s[14:15]
; %bb.224:                              ;   in Loop: Header=BB62_4 Depth=1
	v_sub_f32_e32 v48, v44, v49
; %bb.225:                              ;   in Loop: Header=BB62_4 Depth=1
	s_or_b64 exec, exec, s[14:15]
	v_mul_f32_e32 v48, 0.5, v48
	v_fmac_f32_e32 v48, 0.5, v47
	v_add_f32_e32 v47, 1.0, v41
	v_mul_f32_e32 v47, v47, v48
	v_mul_f32_e32 v49, 0x4f800000, v47
	v_cmp_gt_f32_e32 vcc, s58, v47
	v_cndmask_b32_e32 v47, v47, v49, vcc
	v_sqrt_f32_e32 v49, v47
	v_add_u32_e32 v50, -1, v49
	v_fma_f32 v51, -v50, v49, v47
	v_cmp_ge_f32_e64 s[14:15], 0, v51
	v_add_u32_e32 v51, 1, v49
	v_cndmask_b32_e64 v50, v49, v50, s[14:15]
	v_fma_f32 v49, -v51, v49, v47
	v_cmp_lt_f32_e64 s[14:15], 0, v49
	v_cndmask_b32_e64 v49, v50, v51, s[14:15]
	v_mul_f32_e32 v50, 0x37800000, v49
	v_cndmask_b32_e32 v49, v49, v50, vcc
	v_cmp_class_f32_e32 vcc, v47, v22
	v_cndmask_b32_e32 v47, v49, v47, vcc
	v_add_f32_e32 v49, v48, v47
	v_add_f32_e32 v50, 1.0, v49
	v_cvt_f64_f32_e32 v[47:48], v50
	v_add_f32_e32 v51, -1.0, v50
	v_frexp_exp_i32_f64_e32 v47, v[47:48]
	v_sub_f32_e32 v48, v51, v50
	v_add_f32_e32 v48, 1.0, v48
	v_sub_f32_e32 v51, v49, v51
	v_add_f32_e32 v48, v51, v48
	v_frexp_mant_f32_e32 v51, v50
	v_cmp_gt_f32_e32 vcc, s64, v51
	v_subbrev_co_u32_e32 v47, vcc, 0, v47, vcc
	v_sub_u32_e32 v51, 0, v47
	v_ldexp_f32 v50, v50, v51
	v_ldexp_f32 v48, v48, v51
	v_add_f32_e32 v51, -1.0, v50
	v_add_f32_e32 v54, 1.0, v50
	v_add_f32_e32 v52, 1.0, v51
	v_add_f32_e32 v55, -1.0, v54
	v_sub_f32_e32 v52, v50, v52
	v_sub_f32_e32 v50, v50, v55
	v_add_f32_e32 v52, v48, v52
	v_add_f32_e32 v48, v48, v50
	;; [unrolled: 1-line block ×3, first 2 shown]
	v_rcp_f32_e32 v55, v50
	v_add_f32_e32 v53, v51, v52
	v_sub_f32_e32 v51, v53, v51
	v_sub_f32_e32 v51, v52, v51
	v_sub_f32_e32 v52, v50, v54
	v_sub_f32_e32 v48, v48, v52
	v_mul_f32_e32 v52, v53, v55
	v_mul_f32_e32 v54, v50, v52
	v_fma_f32 v56, v52, v50, -v54
	v_fmac_f32_e32 v56, v52, v48
	v_add_f32_e32 v57, v54, v56
	v_sub_f32_e32 v58, v53, v57
	v_sub_f32_e32 v53, v53, v58
	;; [unrolled: 1-line block ×4, first 2 shown]
	v_add_f32_e32 v51, v51, v53
	v_sub_f32_e32 v53, v54, v56
	v_add_f32_e32 v51, v53, v51
	v_add_f32_e32 v53, v58, v51
	v_mul_f32_e32 v54, v55, v53
	v_mul_f32_e32 v56, v50, v54
	v_fma_f32 v50, v54, v50, -v56
	v_fmac_f32_e32 v50, v54, v48
	v_sub_f32_e32 v48, v58, v53
	v_add_f32_e32 v48, v51, v48
	v_add_f32_e32 v51, v56, v50
	v_sub_f32_e32 v57, v53, v51
	v_sub_f32_e32 v53, v53, v57
	;; [unrolled: 1-line block ×4, first 2 shown]
	v_add_f32_e32 v48, v48, v51
	v_sub_f32_e32 v50, v56, v50
	v_cvt_f32_i32_e32 v47, v47
	v_add_f32_e32 v48, v50, v48
	v_add_f32_e32 v50, v52, v54
	;; [unrolled: 1-line block ×3, first 2 shown]
	v_sub_f32_e32 v51, v50, v52
	v_mul_f32_e32 v48, v55, v48
	v_sub_f32_e32 v51, v54, v51
	v_add_f32_e32 v48, v51, v48
	v_mul_f32_e32 v54, 0x3f317218, v47
	v_add_f32_e32 v51, v50, v48
	v_fma_f32 v55, v47, s65, -v54
	v_mul_f32_e32 v52, v51, v51
	v_mov_b32_e32 v53, 0x3ecc95a3
	v_fmac_f32_e32 v55, 0xb102e308, v47
	v_sub_f32_e32 v47, v51, v50
	v_fmac_f32_e32 v53, 0x3e9b6dac, v52
	v_sub_f32_e32 v47, v48, v47
	v_add_f32_e32 v48, v54, v55
	v_fma_f32 v53, v52, v53, v23
	v_sub_f32_e32 v50, v48, v54
	v_ldexp_f32 v54, v51, 1
	v_mul_f32_e32 v51, v51, v52
	v_mul_f32_e32 v51, v51, v53
	v_add_f32_e32 v52, v54, v51
	v_sub_f32_e32 v53, v52, v54
	v_ldexp_f32 v47, v47, 1
	v_sub_f32_e32 v51, v51, v53
	v_add_f32_e32 v47, v47, v51
	v_add_f32_e32 v51, v52, v47
	v_sub_f32_e32 v52, v51, v52
	v_sub_f32_e32 v47, v47, v52
	v_add_f32_e32 v52, v48, v51
	v_sub_f32_e32 v53, v52, v48
	v_sub_f32_e32 v54, v52, v53
	;; [unrolled: 1-line block ×5, first 2 shown]
	v_add_f32_e32 v48, v51, v48
	v_add_f32_e32 v51, v50, v47
	v_sub_f32_e32 v53, v51, v50
	v_sub_f32_e32 v54, v51, v53
	;; [unrolled: 1-line block ×4, first 2 shown]
	v_add_f32_e32 v48, v51, v48
	v_add_f32_e32 v47, v47, v50
	;; [unrolled: 1-line block ×3, first 2 shown]
	v_sub_f32_e32 v51, v50, v52
	v_sub_f32_e32 v48, v48, v51
	v_add_f32_e32 v47, v47, v48
	v_add_f32_e32 v47, v50, v47
	v_cmp_neq_f32_e32 vcc, s56, v49
	v_cndmask_b32_e32 v47, v34, v47, vcc
	v_cmp_ngt_f32_e32 vcc, -1.0, v49
	v_cndmask_b32_e32 v47, v36, v47, vcc
	v_cmp_neq_f32_e32 vcc, -1.0, v49
	v_cndmask_b32_e32 v47, v37, v47, vcc
	v_cmp_lt_f32_e64 vcc, |v49|, s67
	v_cndmask_b32_e32 v47, v47, v49, vcc
.LBB62_226:                             ;   in Loop: Header=BB62_4 Depth=1
	s_andn2_saveexec_b64 s[46:47], s[46:47]
	s_cbranch_execz .LBB62_232
; %bb.227:                              ;   in Loop: Header=BB62_4 Depth=1
	v_cmp_nlt_f32_e64 s[14:15], |v4|, 1.0
                                        ; implicit-def: $vgpr47
	s_and_saveexec_b64 s[48:49], s[14:15]
	s_xor_b64 s[48:49], exec, s[48:49]
	s_cbranch_execz .LBB62_229
; %bb.228:                              ;   in Loop: Header=BB62_4 Depth=1
	v_mul_f32_e32 v47, v42, v43
	v_mul_f32_e32 v48, 0x4f800000, v47
	v_cmp_gt_f32_e32 vcc, s58, v47
	v_cndmask_b32_e32 v47, v47, v48, vcc
	v_sqrt_f32_e32 v48, v47
	v_add_u32_e32 v49, -1, v48
	v_fma_f32 v51, -v49, v48, v47
	v_add_u32_e32 v50, 1, v48
	v_cmp_ge_f32_e64 s[14:15], 0, v51
	v_cndmask_b32_e64 v49, v48, v49, s[14:15]
	v_fma_f32 v48, -v50, v48, v47
	v_cmp_lt_f32_e64 s[14:15], 0, v48
	v_cndmask_b32_e64 v48, v49, v50, s[14:15]
	v_mul_f32_e32 v49, 0x37800000, v48
	v_cndmask_b32_e32 v48, v48, v49, vcc
	v_cmp_class_f32_e32 vcc, v47, v22
	v_cndmask_b32_e32 v47, v48, v47, vcc
	v_add_f32_e32 v49, v42, v47
	v_add_f32_e32 v50, 1.0, v49
	v_cvt_f64_f32_e32 v[47:48], v50
	v_add_f32_e32 v51, -1.0, v50
	v_frexp_exp_i32_f64_e32 v47, v[47:48]
	v_sub_f32_e32 v48, v51, v50
	v_add_f32_e32 v48, 1.0, v48
	v_sub_f32_e32 v51, v49, v51
	v_add_f32_e32 v48, v51, v48
	v_frexp_mant_f32_e32 v51, v50
	v_cmp_gt_f32_e32 vcc, s64, v51
	v_subbrev_co_u32_e32 v47, vcc, 0, v47, vcc
	v_sub_u32_e32 v51, 0, v47
	v_ldexp_f32 v50, v50, v51
	v_ldexp_f32 v48, v48, v51
	v_add_f32_e32 v51, -1.0, v50
	v_add_f32_e32 v54, 1.0, v50
	v_add_f32_e32 v52, 1.0, v51
	v_add_f32_e32 v55, -1.0, v54
	v_sub_f32_e32 v52, v50, v52
	v_sub_f32_e32 v50, v50, v55
	v_add_f32_e32 v52, v48, v52
	v_add_f32_e32 v48, v48, v50
	;; [unrolled: 1-line block ×3, first 2 shown]
	v_rcp_f32_e32 v55, v50
	v_add_f32_e32 v53, v51, v52
	v_sub_f32_e32 v51, v53, v51
	v_sub_f32_e32 v51, v52, v51
	;; [unrolled: 1-line block ×4, first 2 shown]
	v_mul_f32_e32 v52, v53, v55
	v_mul_f32_e32 v54, v50, v52
	v_fma_f32 v56, v52, v50, -v54
	v_fmac_f32_e32 v56, v52, v48
	v_add_f32_e32 v57, v54, v56
	v_sub_f32_e32 v58, v53, v57
	v_sub_f32_e32 v53, v53, v58
	;; [unrolled: 1-line block ×4, first 2 shown]
	v_add_f32_e32 v51, v51, v53
	v_sub_f32_e32 v53, v54, v56
	v_add_f32_e32 v51, v53, v51
	v_add_f32_e32 v53, v58, v51
	v_mul_f32_e32 v54, v55, v53
	v_mul_f32_e32 v56, v50, v54
	v_fma_f32 v50, v54, v50, -v56
	v_fmac_f32_e32 v50, v54, v48
	v_sub_f32_e32 v48, v58, v53
	v_add_f32_e32 v48, v51, v48
	v_add_f32_e32 v51, v56, v50
	v_sub_f32_e32 v57, v53, v51
	v_sub_f32_e32 v53, v53, v57
	;; [unrolled: 1-line block ×4, first 2 shown]
	v_add_f32_e32 v48, v48, v51
	v_sub_f32_e32 v50, v56, v50
	v_cvt_f32_i32_e32 v47, v47
	v_add_f32_e32 v48, v50, v48
	v_add_f32_e32 v50, v52, v54
	;; [unrolled: 1-line block ×3, first 2 shown]
	v_sub_f32_e32 v51, v50, v52
	v_mul_f32_e32 v48, v55, v48
	v_sub_f32_e32 v51, v54, v51
	v_add_f32_e32 v48, v51, v48
	v_mul_f32_e32 v54, 0x3f317218, v47
	v_add_f32_e32 v51, v50, v48
	v_fma_f32 v55, v47, s65, -v54
	v_mul_f32_e32 v52, v51, v51
	v_mov_b32_e32 v53, 0x3ecc95a3
	v_fmac_f32_e32 v55, 0xb102e308, v47
	v_sub_f32_e32 v47, v51, v50
	v_fmac_f32_e32 v53, 0x3e9b6dac, v52
	v_sub_f32_e32 v47, v48, v47
	v_add_f32_e32 v48, v54, v55
	v_fma_f32 v53, v52, v53, v23
	v_sub_f32_e32 v50, v48, v54
	v_ldexp_f32 v54, v51, 1
	v_mul_f32_e32 v51, v51, v52
	v_mul_f32_e32 v51, v51, v53
	v_add_f32_e32 v52, v54, v51
	v_sub_f32_e32 v53, v52, v54
	v_ldexp_f32 v47, v47, 1
	v_sub_f32_e32 v51, v51, v53
	v_add_f32_e32 v47, v47, v51
	v_add_f32_e32 v51, v52, v47
	v_sub_f32_e32 v52, v51, v52
	v_sub_f32_e32 v47, v47, v52
	v_add_f32_e32 v52, v48, v51
	v_sub_f32_e32 v53, v52, v48
	v_sub_f32_e32 v54, v52, v53
	;; [unrolled: 1-line block ×5, first 2 shown]
	v_add_f32_e32 v48, v51, v48
	v_add_f32_e32 v51, v50, v47
	v_sub_f32_e32 v53, v51, v50
	v_sub_f32_e32 v54, v51, v53
	;; [unrolled: 1-line block ×4, first 2 shown]
	v_add_f32_e32 v48, v51, v48
	v_add_f32_e32 v47, v47, v50
	;; [unrolled: 1-line block ×3, first 2 shown]
	v_sub_f32_e32 v51, v50, v52
	v_sub_f32_e32 v48, v48, v51
	v_add_f32_e32 v47, v47, v48
	v_add_f32_e32 v47, v50, v47
	v_cmp_neq_f32_e32 vcc, s56, v49
	v_cndmask_b32_e32 v47, v34, v47, vcc
	v_cmp_ngt_f32_e32 vcc, -1.0, v49
	v_cndmask_b32_e32 v47, v36, v47, vcc
	v_cmp_neq_f32_e32 vcc, -1.0, v49
	v_cndmask_b32_e32 v47, v37, v47, vcc
	v_cmp_lt_f32_e64 vcc, |v49|, s67
	v_cndmask_b32_e32 v47, v47, v49, vcc
.LBB62_229:                             ;   in Loop: Header=BB62_4 Depth=1
	s_andn2_saveexec_b64 s[48:49], s[48:49]
	s_cbranch_execz .LBB62_231
; %bb.230:                              ;   in Loop: Header=BB62_4 Depth=1
	v_sub_f32_e64 v47, 1.0, |v4|
	v_mul_f32_e32 v47, v47, v43
	v_mul_f32_e32 v48, 0x4f800000, v47
	v_cmp_gt_f32_e32 vcc, s58, v47
	v_cndmask_b32_e32 v47, v47, v48, vcc
	v_sqrt_f32_e32 v48, v47
	v_add_u32_e32 v49, -1, v48
	v_fma_f32 v51, -v49, v48, v47
	v_add_u32_e32 v50, 1, v48
	v_cmp_ge_f32_e64 s[14:15], 0, v51
	v_cndmask_b32_e64 v49, v48, v49, s[14:15]
	v_fma_f32 v48, -v50, v48, v47
	v_cmp_lt_f32_e64 s[14:15], 0, v48
	v_cndmask_b32_e64 v48, v49, v50, s[14:15]
	v_mul_f32_e32 v49, 0x37800000, v48
	v_cndmask_b32_e32 v48, v48, v49, vcc
	v_cmp_class_f32_e32 vcc, v47, v22
	v_cndmask_b32_e32 v47, v48, v47, vcc
	v_and_b32_e32 v48, 0x7fffffff, v5
	v_div_scale_f32 v49, s[14:15], v47, v47, v48
	v_div_scale_f32 v48, vcc, v48, v47, v48
	v_rcp_f32_e32 v50, v49
	v_fma_f32 v51, -v49, v50, 1.0
	v_fmac_f32_e32 v50, v51, v50
	v_mul_f32_e32 v51, v48, v50
	v_fma_f32 v52, -v49, v51, v48
	v_fmac_f32_e32 v51, v52, v50
	v_fma_f32 v48, -v49, v51, v48
	v_div_fmas_f32 v48, v48, v50, v51
	v_div_fixup_f32 v47, v48, v47, |v5|
.LBB62_231:                             ;   in Loop: Header=BB62_4 Depth=1
	s_or_b64 exec, exec, s[48:49]
.LBB62_232:                             ;   in Loop: Header=BB62_4 Depth=1
	s_or_b64 exec, exec, s[46:47]
.LBB62_233:                             ;   in Loop: Header=BB62_4 Depth=1
	s_andn2_saveexec_b64 s[44:45], s[44:45]
	s_cbranch_execz .LBB62_235
; %bb.234:                              ;   in Loop: Header=BB62_4 Depth=1
	v_mul_f32_e64 v47, |v5|, s59
	v_cmp_lt_f32_e64 vcc, |v5|, s58
	v_cndmask_b32_e64 v47, |v5|, v47, vcc
	v_sqrt_f32_e32 v48, v47
	v_add_u32_e32 v49, -1, v48
	v_fma_f32 v51, -v49, v48, v47
	v_add_u32_e32 v50, 1, v48
	v_cmp_ge_f32_e64 s[14:15], 0, v51
	v_cndmask_b32_e64 v49, v48, v49, s[14:15]
	v_fma_f32 v48, -v50, v48, v47
	v_cmp_lt_f32_e64 s[14:15], 0, v48
	v_cndmask_b32_e64 v48, v49, v50, s[14:15]
	v_mul_f32_e32 v49, 0x37800000, v48
	v_cndmask_b32_e32 v48, v48, v49, vcc
	v_cmp_class_f32_e32 vcc, v47, v22
	v_cndmask_b32_e32 v47, v48, v47, vcc
.LBB62_235:                             ;   in Loop: Header=BB62_4 Depth=1
	s_or_b64 exec, exec, s[44:45]
.LBB62_236:                             ;   in Loop: Header=BB62_4 Depth=1
	s_or_b64 exec, exec, s[42:43]
	v_cmp_nlt_f32_e64 s[42:43], |v4|, s68
                                        ; implicit-def: $sgpr14_sgpr15
                                        ; implicit-def: $vgpr48
                                        ; implicit-def: $vgpr50
                                        ; implicit-def: $vgpr49
	s_and_saveexec_b64 s[44:45], s[42:43]
	s_xor_b64 s[42:43], exec, s[44:45]
	s_cbranch_execz .LBB62_260
; %bb.237:                              ;   in Loop: Header=BB62_4 Depth=1
	v_and_b32_e32 v49, 0x7fffffff, v4
	v_div_scale_f32 v48, s[14:15], v41, v41, v49
	v_div_scale_f32 v50, vcc, v49, v41, v49
	s_mov_b64 s[14:15], 0
	v_rcp_f32_e32 v51, v48
	v_fma_f32 v52, -v48, v51, 1.0
	v_fmac_f32_e32 v51, v52, v51
	v_mul_f32_e32 v52, v50, v51
	v_fma_f32 v53, -v48, v52, v50
	v_fmac_f32_e32 v52, v53, v51
	v_fma_f32 v48, -v48, v52, v50
	v_div_fmas_f32 v48, v48, v51, v52
                                        ; implicit-def: $vgpr50
	v_div_fixup_f32 v48, v48, v41, |v4|
	v_cmp_lt_f32_e32 vcc, s69, v48
	s_and_saveexec_b64 s[44:45], vcc
	s_cbranch_execz .LBB62_259
; %bb.238:                              ;   in Loop: Header=BB62_4 Depth=1
	v_cmp_neq_f32_e64 s[14:15], |v4|, 1.0
	v_cmp_nlt_f32_e64 s[46:47], |v5|, s70
	s_or_b64 s[14:15], s[46:47], s[14:15]
                                        ; implicit-def: $vgpr50
	s_and_saveexec_b64 s[46:47], s[14:15]
	s_xor_b64 s[46:47], exec, s[46:47]
	s_cbranch_execz .LBB62_256
; %bb.239:                              ;   in Loop: Header=BB62_4 Depth=1
	v_mul_f32_e64 v50, |v42|, s63
	v_cmp_ge_f32_e64 s[14:15], |v5|, v50
                                        ; implicit-def: $vgpr50
	s_and_saveexec_b64 s[48:49], s[14:15]
	s_xor_b64 s[48:49], exec, s[48:49]
	s_cbranch_execz .LBB62_249
; %bb.240:                              ;   in Loop: Header=BB62_4 Depth=1
	v_cmp_neq_f32_e32 vcc, 0, v43
	v_mov_b32_e32 v50, v45
	s_and_saveexec_b64 s[14:15], vcc
	s_cbranch_execz .LBB62_242
; %bb.241:                              ;   in Loop: Header=BB62_4 Depth=1
	v_mul_f32_e32 v50, v5, v5
	v_add_f32_e32 v43, v43, v46
	v_div_scale_f32 v46, s[50:51], v43, v43, v50
	v_div_scale_f32 v51, vcc, v50, v43, v50
	v_rcp_f32_e32 v52, v46
	v_fma_f32 v53, -v46, v52, 1.0
	v_fmac_f32_e32 v52, v53, v52
	v_mul_f32_e32 v53, v51, v52
	v_fma_f32 v54, -v46, v53, v51
	v_fmac_f32_e32 v53, v54, v52
	v_fma_f32 v46, -v46, v53, v51
	v_div_fmas_f32 v46, v46, v52, v53
	v_div_fixup_f32 v50, v46, v43, v50
.LBB62_242:                             ;   in Loop: Header=BB62_4 Depth=1
	s_or_b64 exec, exec, s[14:15]
	v_cmp_ngt_f32_e32 vcc, 0, v42
	s_and_saveexec_b64 s[14:15], vcc
	s_xor_b64 s[14:15], exec, s[14:15]
	s_cbranch_execz .LBB62_246
; %bb.243:                              ;   in Loop: Header=BB62_4 Depth=1
	v_cmp_neq_f32_e32 vcc, 0, v42
	s_and_saveexec_b64 s[50:51], vcc
	s_cbranch_execz .LBB62_245
; %bb.244:                              ;   in Loop: Header=BB62_4 Depth=1
	v_mul_f32_e32 v43, v5, v5
	v_add_f32_e32 v42, v42, v44
	v_div_scale_f32 v44, s[80:81], v42, v42, v43
	v_div_scale_f32 v45, vcc, v43, v42, v43
	v_rcp_f32_e32 v46, v44
	v_fma_f32 v51, -v44, v46, 1.0
	v_fmac_f32_e32 v46, v51, v46
	v_mul_f32_e32 v51, v45, v46
	v_fma_f32 v52, -v44, v51, v45
	v_fmac_f32_e32 v51, v52, v46
	v_fma_f32 v44, -v44, v51, v45
	v_div_fmas_f32 v44, v44, v46, v51
	v_div_fixup_f32 v45, v44, v42, v43
.LBB62_245:                             ;   in Loop: Header=BB62_4 Depth=1
	s_or_b64 exec, exec, s[50:51]
                                        ; implicit-def: $vgpr44
                                        ; implicit-def: $vgpr42
.LBB62_246:                             ;   in Loop: Header=BB62_4 Depth=1
	s_andn2_saveexec_b64 s[14:15], s[14:15]
; %bb.247:                              ;   in Loop: Header=BB62_4 Depth=1
	v_sub_f32_e32 v45, v44, v42
; %bb.248:                              ;   in Loop: Header=BB62_4 Depth=1
	s_or_b64 exec, exec, s[14:15]
	v_mul_f32_e32 v42, 0.5, v45
	v_fmac_f32_e32 v42, 0.5, v50
	v_add_f32_e64 v41, |v4|, v41
	v_mul_f32_e32 v41, v41, v42
	v_mul_f32_e32 v42, 0x4f800000, v41
	v_cmp_gt_f32_e32 vcc, s58, v41
	v_cndmask_b32_e32 v41, v41, v42, vcc
	v_sqrt_f32_e32 v42, v41
	v_add_u32_e32 v43, -1, v42
	v_fma_f32 v44, -v43, v42, v41
	v_cmp_ge_f32_e64 s[14:15], 0, v44
	v_add_u32_e32 v44, 1, v42
	v_cndmask_b32_e64 v43, v42, v43, s[14:15]
	v_fma_f32 v42, -v44, v42, v41
	v_cmp_lt_f32_e64 s[14:15], 0, v42
	v_cndmask_b32_e64 v42, v43, v44, s[14:15]
	v_mul_f32_e32 v43, 0x37800000, v42
	v_cndmask_b32_e32 v42, v42, v43, vcc
	v_cmp_class_f32_e32 vcc, v41, v22
	v_cndmask_b32_e32 v50, v42, v41, vcc
                                        ; implicit-def: $vgpr43
                                        ; implicit-def: $vgpr42
.LBB62_249:                             ;   in Loop: Header=BB62_4 Depth=1
	s_andn2_saveexec_b64 s[48:49], s[48:49]
	s_cbranch_execz .LBB62_255
; %bb.250:                              ;   in Loop: Header=BB62_4 Depth=1
	v_cmp_ngt_f32_e64 s[14:15], |v4|, 1.0
                                        ; implicit-def: $vgpr50
	s_and_saveexec_b64 s[50:51], s[14:15]
	s_xor_b64 s[50:51], exec, s[50:51]
	s_cbranch_execz .LBB62_252
; %bb.251:                              ;   in Loop: Header=BB62_4 Depth=1
	v_sub_f32_e64 v41, 1.0, |v4|
	v_mul_f32_e32 v41, v41, v43
	v_mul_f32_e32 v42, 0x4f800000, v41
	v_cmp_gt_f32_e32 vcc, s58, v41
	v_cndmask_b32_e32 v41, v41, v42, vcc
	v_sqrt_f32_e32 v42, v41
	v_add_u32_e32 v43, -1, v42
	v_fma_f32 v45, -v43, v42, v41
	v_add_u32_e32 v44, 1, v42
	v_cmp_ge_f32_e64 s[14:15], 0, v45
	v_cndmask_b32_e64 v43, v42, v43, s[14:15]
	v_fma_f32 v42, -v44, v42, v41
	v_cmp_lt_f32_e64 s[14:15], 0, v42
	v_cndmask_b32_e64 v42, v43, v44, s[14:15]
	v_mul_f32_e32 v43, 0x37800000, v42
	v_cndmask_b32_e32 v42, v42, v43, vcc
	v_cmp_class_f32_e32 vcc, v41, v22
	v_cndmask_b32_e32 v50, v42, v41, vcc
                                        ; implicit-def: $vgpr43
                                        ; implicit-def: $vgpr42
.LBB62_252:                             ;   in Loop: Header=BB62_4 Depth=1
	s_andn2_saveexec_b64 s[50:51], s[50:51]
	s_cbranch_execz .LBB62_254
; %bb.253:                              ;   in Loop: Header=BB62_4 Depth=1
	v_mul_f32_e32 v41, v43, v42
	v_mul_f32_e32 v42, 0x4f800000, v41
	v_cmp_gt_f32_e32 vcc, s58, v41
	v_cndmask_b32_e32 v41, v41, v42, vcc
	v_sqrt_f32_e32 v42, v41
	v_mul_f32_e64 v43, |v5|, s71
	v_mul_f32_e64 v43, |v4|, v43
	v_add_u32_e32 v44, -1, v42
	v_fma_f32 v45, -v44, v42, v41
	v_cmp_ge_f32_e64 s[14:15], 0, v45
	v_add_u32_e32 v45, 1, v42
	v_cndmask_b32_e64 v44, v42, v44, s[14:15]
	v_fma_f32 v42, -v45, v42, v41
	v_cmp_lt_f32_e64 s[14:15], 0, v42
	v_cndmask_b32_e64 v42, v44, v45, s[14:15]
	v_mul_f32_e32 v44, 0x37800000, v42
	v_cndmask_b32_e32 v42, v42, v44, vcc
	v_cmp_class_f32_e32 vcc, v41, v22
	v_cndmask_b32_e32 v41, v42, v41, vcc
	v_div_scale_f32 v42, s[14:15], v41, v41, v43
	v_div_scale_f32 v44, vcc, v43, v41, v43
	v_rcp_f32_e32 v45, v42
	v_fma_f32 v46, -v42, v45, 1.0
	v_fmac_f32_e32 v45, v46, v45
	v_mul_f32_e32 v46, v44, v45
	v_fma_f32 v49, -v42, v46, v44
	v_fmac_f32_e32 v46, v49, v45
	v_fma_f32 v42, -v42, v46, v44
	v_div_fmas_f32 v42, v42, v45, v46
	v_mul_f32_e64 v49, |v4|, s71
	v_div_fixup_f32 v50, v42, v41, v43
.LBB62_254:                             ;   in Loop: Header=BB62_4 Depth=1
	s_or_b64 exec, exec, s[50:51]
.LBB62_255:                             ;   in Loop: Header=BB62_4 Depth=1
	s_or_b64 exec, exec, s[48:49]
                                        ; implicit-def: $vgpr41
.LBB62_256:                             ;   in Loop: Header=BB62_4 Depth=1
	s_andn2_saveexec_b64 s[46:47], s[46:47]
	s_cbranch_execz .LBB62_258
; %bb.257:                              ;   in Loop: Header=BB62_4 Depth=1
	v_mul_f32_e64 v42, |v5|, s59
	v_cmp_lt_f32_e64 vcc, |v5|, s58
	v_cndmask_b32_e64 v42, |v5|, v42, vcc
	v_sqrt_f32_e32 v43, v42
	v_add_f32_e32 v41, 1.0, v41
	v_mul_f32_e32 v41, 0.5, v41
	v_mov_b32_e32 v49, 1.0
	v_add_u32_e32 v44, -1, v43
	v_fma_f32 v46, -v44, v43, v42
	v_add_u32_e32 v45, 1, v43
	v_cmp_ge_f32_e64 s[14:15], 0, v46
	v_cndmask_b32_e64 v44, v43, v44, s[14:15]
	v_fma_f32 v43, -v45, v43, v42
	v_cmp_lt_f32_e64 s[14:15], 0, v43
	v_cndmask_b32_e64 v43, v44, v45, s[14:15]
	v_mul_f32_e32 v44, 0x37800000, v43
	v_cndmask_b32_e32 v43, v43, v44, vcc
	v_mul_f32_e32 v44, 0x4f800000, v41
	v_cmp_gt_f32_e32 vcc, s58, v41
	v_cndmask_b32_e32 v41, v41, v44, vcc
	v_sqrt_f32_e32 v44, v41
	v_cmp_class_f32_e64 s[14:15], v42, v22
	v_cndmask_b32_e64 v42, v43, v42, s[14:15]
	v_add_u32_e32 v43, -1, v44
	v_fma_f32 v45, -v43, v44, v41
	v_cmp_ge_f32_e64 s[14:15], 0, v45
	v_add_u32_e32 v45, 1, v44
	v_cndmask_b32_e64 v43, v44, v43, s[14:15]
	v_fma_f32 v44, -v45, v44, v41
	v_cmp_lt_f32_e64 s[14:15], 0, v44
	v_cndmask_b32_e64 v43, v43, v45, s[14:15]
	v_mul_f32_e32 v44, 0x37800000, v43
	v_cndmask_b32_e32 v43, v43, v44, vcc
	v_cmp_class_f32_e32 vcc, v41, v22
	v_cndmask_b32_e32 v41, v43, v41, vcc
	v_mul_f32_e32 v50, v42, v41
.LBB62_258:                             ;   in Loop: Header=BB62_4 Depth=1
	s_or_b64 exec, exec, s[46:47]
	s_mov_b64 s[14:15], exec
.LBB62_259:                             ;   in Loop: Header=BB62_4 Depth=1
	s_or_b64 exec, exec, s[44:45]
                                        ; implicit-def: $vgpr41
.LBB62_260:                             ;   in Loop: Header=BB62_4 Depth=1
	s_andn2_saveexec_b64 s[42:43], s[42:43]
; %bb.261:                              ;   in Loop: Header=BB62_4 Depth=1
	v_mul_f32_e32 v50, 0x4b800000, v41
	v_mul_f32_e64 v49, |v4|, s72
	s_or_b64 s[14:15], s[14:15], exec
                                        ; implicit-def: $vgpr48
; %bb.262:                              ;   in Loop: Header=BB62_4 Depth=1
	s_or_b64 exec, exec, s[42:43]
	s_xor_b64 s[14:15], s[14:15], -1
                                        ; implicit-def: $vgpr41
	s_and_saveexec_b64 s[42:43], s[14:15]
	s_xor_b64 s[14:15], exec, s[42:43]
	s_cbranch_execz .LBB62_264
; %bb.263:                              ;   in Loop: Header=BB62_4 Depth=1
	v_fma_f32 v41, |v48|, -0.5, 0.5
	v_mul_f32_e32 v42, v48, v48
	v_cmp_ge_f32_e64 vcc, |v48|, 0.5
	v_cndmask_b32_e32 v41, v42, v41, vcc
	v_mov_b32_e32 v42, 0x3c5fc5da
	v_fmac_f32_e32 v42, 0x3d1c21a7, v41
	v_fma_f32 v42, v41, v42, v24
	v_fma_f32 v42, v41, v42, v25
	v_sqrt_f32_e32 v43, v41
	v_fma_f32 v42, v41, v42, v26
	v_fma_f32 v42, v41, v42, v27
	v_mul_f32_e32 v41, v41, v42
	v_fmac_f32_e32 v43, v43, v41
	v_add_f32_e32 v42, v43, v43
	v_sub_f32_e32 v42, 0x3fc90fdb, v42
	v_fma_f32 v41, |v48|, v41, |v48|
	v_cmp_lt_f32_e64 vcc, |v48|, 0.5
	v_cndmask_b32_e32 v41, v42, v41, vcc
	v_bfi_b32 v41, s55, v41, v48
                                        ; implicit-def: $vgpr49
                                        ; implicit-def: $vgpr50
.LBB62_264:                             ;   in Loop: Header=BB62_4 Depth=1
	s_andn2_saveexec_b64 s[42:43], s[14:15]
	s_cbranch_execz .LBB62_266
; %bb.265:                              ;   in Loop: Header=BB62_4 Depth=1
	v_max_f32_e32 v41, v49, v49
	v_max_f32_e64 v42, |v50|, |v50|
	v_min_f32_e32 v43, v42, v41
	v_max_f32_e32 v41, v42, v41
	v_frexp_mant_f32_e32 v42, v41
	v_rcp_f32_e32 v42, v42
	v_frexp_exp_i32_f32_e32 v41, v41
	v_frexp_exp_i32_f32_e32 v44, v43
	v_frexp_mant_f32_e32 v43, v43
	v_mul_f32_e32 v42, v43, v42
	v_sub_u32_e32 v41, v44, v41
	v_ldexp_f32 v41, v42, v41
	v_mul_f32_e32 v42, v41, v41
	v_mov_b32_e32 v43, 0xbc7a590c
	v_fmac_f32_e32 v43, 0x3b2d2a58, v42
	v_fma_f32 v43, v42, v43, v28
	v_fma_f32 v43, v42, v43, v29
	;; [unrolled: 1-line block ×6, first 2 shown]
	v_mul_f32_e32 v42, v42, v43
	v_fmac_f32_e32 v41, v41, v42
	v_sub_f32_e32 v42, 0x3fc90fdb, v41
	v_cmp_gt_f32_e64 vcc, v49, |v50|
	v_cndmask_b32_e32 v41, v41, v42, vcc
	v_sub_f32_e32 v42, 0x40490fdb, v41
	v_cmp_gt_f32_e32 vcc, 0, v50
	v_cmp_gt_i32_e64 s[14:15], 0, v50
	v_cndmask_b32_e32 v41, v41, v42, vcc
	v_cndmask_b32_e64 v42, 0, v38, s[14:15]
	v_cndmask_b32_e32 v43, v39, v40, vcc
	v_cmp_class_f32_e64 s[44:45], v50, s73
	v_cmp_eq_f32_e32 vcc, s56, v49
	v_cmp_eq_f32_e64 s[14:15], 0, v49
	v_cndmask_b32_e64 v41, |v41|, v42, s[14:15]
	s_and_b64 vcc, vcc, s[44:45]
	v_cndmask_b32_e32 v41, v41, v43, vcc
	v_cmp_o_f32_e32 vcc, v50, v50
	v_cndmask_b32_e32 v41, v36, v41, vcc
.LBB62_266:                             ;   in Loop: Header=BB62_4 Depth=1
	s_or_b64 exec, exec, s[42:43]
	v_bfi_b32 v5, s55, v47, v5
	v_bfi_b32 v4, s55, v41, v4
.LBB62_267:                             ;   in Loop: Header=BB62_4 Depth=1
	s_or_b64 exec, exec, s[40:41]
.LBB62_268:                             ;   in Loop: Header=BB62_4 Depth=1
	s_or_b64 exec, exec, s[38:39]
                                        ; implicit-def: $vgpr41
                                        ; implicit-def: $vgpr44
                                        ; implicit-def: $vgpr43
.LBB62_269:                             ;   in Loop: Header=BB62_4 Depth=1
	s_andn2_saveexec_b64 s[38:39], s[16:17]
	s_cbranch_execz .LBB62_291
; %bb.270:                              ;   in Loop: Header=BB62_4 Depth=1
	v_cmp_lt_i32_e32 vcc, -1, v5
                                        ; implicit-def: $sgpr40_sgpr41
                                        ; implicit-def: $vgpr42
                                        ; implicit-def: $vgpr45
	s_and_saveexec_b64 s[14:15], vcc
	s_xor_b64 s[42:43], exec, s[14:15]
	s_cbranch_execz .LBB62_280
; %bb.271:                              ;   in Loop: Header=BB62_4 Depth=1
	v_cmp_lt_f32_e64 s[14:15], |v5|, |v4|
	v_cndmask_b32_e64 v46, |v5|, |v4|, s[14:15]
	v_cmp_nlt_f32_e32 vcc, s74, v46
                                        ; implicit-def: $vgpr42
                                        ; implicit-def: $vgpr45
	s_and_saveexec_b64 s[16:17], vcc
	s_xor_b64 s[40:41], exec, s[16:17]
	s_cbranch_execz .LBB62_277
; %bb.272:                              ;   in Loop: Header=BB62_4 Depth=1
	v_cndmask_b32_e64 v47, |v4|, |v5|, s[14:15]
	v_cmp_nlt_f32_e32 vcc, s75, v46
	v_cmp_ngt_f32_e64 s[16:17], s76, v47
	s_and_b64 s[16:17], vcc, s[16:17]
                                        ; implicit-def: $vgpr42
                                        ; implicit-def: $vgpr45
	s_and_saveexec_b64 s[44:45], s[16:17]
	s_xor_b64 s[16:17], exec, s[44:45]
	s_cbranch_execz .LBB62_274
; %bb.273:                              ;   in Loop: Header=BB62_4 Depth=1
	v_mul_f32_e32 v42, v47, v47
	v_fmac_f32_e32 v42, v46, v46
	v_cmp_gt_f32_e32 vcc, s60, v42
	v_cndmask_b32_e64 v45, 0, 32, vcc
	v_ldexp_f32 v42, v42, v45
	v_log_f32_e32 v42, v42
	s_waitcnt lgkmcnt(0)
	v_min_f32_e32 v41, v44, v41
	v_frexp_mant_f32_e32 v44, v43
	v_rcp_f32_e32 v44, v44
	v_mul_f32_e32 v46, 0x3f317217, v42
	v_fma_f32 v46, v42, s61, -v46
	v_fmac_f32_e32 v46, 0x3377d1cf, v42
	v_cndmask_b32_e32 v45, 0, v35, vcc
	v_fmac_f32_e32 v46, 0x3f317217, v42
	v_cmp_lt_f32_e64 vcc, |v42|, s56
	v_cndmask_b32_e32 v42, v42, v46, vcc
	v_sub_f32_e32 v42, v42, v45
	v_frexp_exp_i32_f32_e32 v43, v43
	v_frexp_exp_i32_f32_e32 v45, v41
	v_frexp_mant_f32_e32 v41, v41
	v_mul_f32_e32 v41, v41, v44
	v_sub_u32_e32 v43, v45, v43
	v_ldexp_f32 v45, v41, v43
	v_mul_f32_e32 v41, v45, v45
	v_mov_b32_e32 v43, 0xbc7a590c
	v_fmac_f32_e32 v43, 0x3b2d2a58, v41
	v_fma_f32 v43, v41, v43, v28
	v_fma_f32 v43, v41, v43, v29
	;; [unrolled: 1-line block ×6, first 2 shown]
	v_mul_f32_e32 v41, v41, v43
	v_mul_f32_e32 v42, 0.5, v42
	v_fmac_f32_e32 v45, v45, v41
                                        ; implicit-def: $vgpr43
                                        ; implicit-def: $vgpr44
                                        ; implicit-def: $vgpr41
.LBB62_274:                             ;   in Loop: Header=BB62_4 Depth=1
	s_andn2_saveexec_b64 s[16:17], s[16:17]
	s_cbranch_execz .LBB62_276
; %bb.275:                              ;   in Loop: Header=BB62_4 Depth=1
	v_cvt_f64_f32_e32 v[45:46], v43
	v_cmp_neq_f32_e32 vcc, s56, v43
	s_waitcnt lgkmcnt(0)
	v_min_f32_e32 v41, v44, v41
	v_frexp_exp_i32_f32_e32 v44, v43
	v_frexp_exp_i32_f64_e32 v42, v[45:46]
	v_frexp_mant_f32_e32 v45, v43
	v_rcp_f32_e32 v45, v45
	v_frexp_exp_i32_f32_e32 v47, v41
	v_frexp_mant_f32_e32 v41, v41
	v_sub_u32_e32 v44, v47, v44
	v_mul_f32_e32 v41, v41, v45
	v_ldexp_f32 v45, v41, v44
	v_sub_u32_e32 v48, 0, v42
	v_ldexp_f32 v49, |v5|, v48
	v_ldexp_f32 v48, |v4|, v48
	v_mul_f32_e32 v48, v48, v48
	v_fmac_f32_e32 v48, v49, v49
	v_sqrt_f32_e32 v48, v48
	v_mov_b32_e32 v46, 0xbc7a590c
	v_mul_f32_e32 v41, v45, v45
	v_fmac_f32_e32 v46, 0x3b2d2a58, v41
	v_ldexp_f32 v42, v48, v42
	v_cndmask_b32_e32 v42, v34, v42, vcc
	v_cmp_gt_f32_e32 vcc, s60, v42
	v_cndmask_b32_e64 v43, 0, 32, vcc
	v_ldexp_f32 v42, v42, v43
	v_log_f32_e32 v42, v42
	v_cndmask_b32_e32 v43, 0, v35, vcc
	v_mul_f32_e32 v44, 0x3f317217, v42
	v_fma_f32 v44, v42, s61, -v44
	v_fmac_f32_e32 v44, 0x3377d1cf, v42
	v_fmac_f32_e32 v44, 0x3f317217, v42
	v_cmp_lt_f32_e64 vcc, |v42|, s56
	v_cndmask_b32_e32 v42, v42, v44, vcc
	v_sub_f32_e32 v42, v42, v43
	v_fma_f32 v43, v41, v46, v28
	v_fma_f32 v43, v41, v43, v29
	;; [unrolled: 1-line block ×6, first 2 shown]
	v_mul_f32_e32 v41, v41, v43
	v_fmac_f32_e32 v45, v45, v41
.LBB62_276:                             ;   in Loop: Header=BB62_4 Depth=1
	s_or_b64 exec, exec, s[16:17]
                                        ; implicit-def: $vgpr44
                                        ; implicit-def: $vgpr41
                                        ; implicit-def: $vgpr43
.LBB62_277:                             ;   in Loop: Header=BB62_4 Depth=1
	s_andn2_saveexec_b64 s[40:41], s[40:41]
	s_cbranch_execz .LBB62_279
; %bb.278:                              ;   in Loop: Header=BB62_4 Depth=1
	v_div_scale_f32 v42, s[16:17], s77, s77, v5
	v_div_scale_f32 v45, s[16:17], s77, s77, v4
	v_div_scale_f32 v46, vcc, v5, s77, v5
	v_div_scale_f32 v47, s[16:17], v4, s77, v4
	s_waitcnt lgkmcnt(0)
	v_min_f32_e32 v44, v44, v41
	v_rcp_f32_e32 v48, v42
	v_rcp_f32_e32 v49, v45
	v_fma_f32 v50, -v42, v48, 1.0
	v_fmac_f32_e32 v48, v50, v48
	v_fma_f32 v51, -v45, v49, 1.0
	v_fmac_f32_e32 v49, v51, v49
	v_mul_f32_e32 v50, v46, v48
	v_mul_f32_e32 v51, v47, v49
	v_fma_f32 v52, -v42, v50, v46
	v_fma_f32 v53, -v45, v51, v47
	v_fmac_f32_e32 v50, v52, v48
	v_fmac_f32_e32 v51, v53, v49
	v_fma_f32 v42, -v42, v50, v46
	v_fma_f32 v45, -v45, v51, v47
	v_div_fmas_f32 v42, v42, v48, v50
	s_mov_b64 vcc, s[16:17]
	v_div_fmas_f32 v45, v45, v49, v51
	v_frexp_exp_i32_f32_e32 v46, v43
	v_frexp_mant_f32_e32 v43, v43
	v_rcp_f32_e32 v43, v43
	v_mov_b32_e32 v47, 0xbc7a590c
	v_div_fixup_f32 v48, v42, s77, v5
	v_div_fixup_f32 v49, v45, s77, v4
	v_max_f32_e64 v50, v48, |v49|
	v_cvt_f64_f32_e32 v[41:42], v50
	v_frexp_exp_i32_f32_e32 v45, v44
	v_frexp_mant_f32_e32 v44, v44
	v_mul_f32_e32 v43, v44, v43
	v_frexp_exp_i32_f64_e32 v41, v[41:42]
	v_sub_u32_e32 v42, v45, v46
	v_cmp_neq_f32_e32 vcc, s56, v50
	v_ldexp_f32 v45, v43, v42
	v_mul_f32_e32 v42, v45, v45
	v_fmac_f32_e32 v47, 0x3b2d2a58, v42
	v_fma_f32 v43, v42, v47, v28
	v_fma_f32 v43, v42, v43, v29
	v_sub_u32_e32 v44, 0, v41
	v_ldexp_f32 v46, v48, v44
	v_ldexp_f32 v44, |v49|, v44
	v_mul_f32_e32 v44, v44, v44
	v_fmac_f32_e32 v44, v46, v46
	v_sqrt_f32_e32 v44, v44
	v_fma_f32 v43, v42, v43, v30
	v_fma_f32 v43, v42, v43, v31
	;; [unrolled: 1-line block ×3, first 2 shown]
	v_ldexp_f32 v41, v44, v41
	v_cndmask_b32_e32 v41, v34, v41, vcc
	v_cmp_gt_f32_e32 vcc, s60, v41
	v_cndmask_b32_e64 v44, 0, 32, vcc
	v_ldexp_f32 v41, v41, v44
	v_log_f32_e32 v41, v41
	v_fma_f32 v43, v42, v43, v33
	v_mul_f32_e32 v43, v42, v43
	v_cndmask_b32_e32 v42, 0, v35, vcc
	v_mul_f32_e32 v44, 0x3f317217, v41
	v_fma_f32 v44, v41, s61, -v44
	v_fmac_f32_e32 v44, 0x3377d1cf, v41
	v_fmac_f32_e32 v44, 0x3f317217, v41
	v_cmp_lt_f32_e64 vcc, |v41|, s56
	v_cndmask_b32_e32 v41, v41, v44, vcc
	v_sub_f32_e32 v41, v41, v42
	v_add_f32_e32 v42, 1.0, v41
	v_fmac_f32_e32 v45, v45, v43
.LBB62_279:                             ;   in Loop: Header=BB62_4 Depth=1
	s_or_b64 exec, exec, s[40:41]
	s_waitcnt lgkmcnt(0)
	v_sub_f32_e32 v41, 0x3fc90fdb, v45
	v_cndmask_b32_e64 v41, v45, v41, s[14:15]
	v_cmp_neq_f32_e32 vcc, 0, v4
	v_cndmask_b32_e32 v45, 0, v41, vcc
	v_cmp_class_f32_e64 s[40:41], v5, s73
                                        ; implicit-def: $vgpr41
.LBB62_280:                             ;   in Loop: Header=BB62_4 Depth=1
	s_andn2_saveexec_b64 s[42:43], s[42:43]
	s_cbranch_execz .LBB62_290
; %bb.281:                              ;   in Loop: Header=BB62_4 Depth=1
	v_cmp_gt_f32_e64 s[14:15], |v4|, -v5
	v_cndmask_b32_e64 v44, -v5, |v4|, s[14:15]
	v_cmp_nlt_f32_e32 vcc, s74, v44
                                        ; implicit-def: $vgpr42
                                        ; implicit-def: $vgpr43
	s_and_saveexec_b64 s[16:17], vcc
	s_xor_b64 s[44:45], exec, s[16:17]
	s_cbranch_execz .LBB62_287
; %bb.282:                              ;   in Loop: Header=BB62_4 Depth=1
	v_xor_b32_e32 v42, 0x80000000, v5
	v_cndmask_b32_e64 v45, |v4|, v42, s[14:15]
	v_cmp_nlt_f32_e32 vcc, s75, v44
	v_cmp_ngt_f32_e64 s[16:17], s76, v45
	s_and_b64 s[16:17], vcc, s[16:17]
                                        ; implicit-def: $vgpr42
                                        ; implicit-def: $vgpr43
	s_and_saveexec_b64 s[46:47], s[16:17]
	s_xor_b64 s[16:17], exec, s[46:47]
	s_cbranch_execz .LBB62_284
; %bb.283:                              ;   in Loop: Header=BB62_4 Depth=1
	v_mul_f32_e32 v42, v45, v45
	v_fmac_f32_e32 v42, v44, v44
	v_cmp_gt_f32_e32 vcc, s60, v42
	v_cndmask_b32_e64 v43, 0, 32, vcc
	v_ldexp_f32 v42, v42, v43
	v_log_f32_e32 v42, v42
	v_cndmask_b32_e32 v43, 0, v35, vcc
	v_mul_f32_e32 v44, 0x3f317217, v42
	v_fma_f32 v44, v42, s61, -v44
	v_fmac_f32_e32 v44, 0x3377d1cf, v42
	v_fmac_f32_e32 v44, 0x3f317217, v42
	v_cmp_lt_f32_e64 vcc, |v42|, s56
	v_cndmask_b32_e32 v42, v42, v44, vcc
	v_sub_f32_e32 v42, v42, v43
	v_max_f32_e64 v43, -v5, -v5
	s_waitcnt lgkmcnt(0)
	v_min_f32_e32 v44, v43, v41
	v_max_f32_e32 v41, v43, v41
	v_frexp_mant_f32_e32 v43, v41
	v_rcp_f32_e32 v43, v43
	v_frexp_exp_i32_f32_e32 v41, v41
	v_frexp_exp_i32_f32_e32 v45, v44
	v_frexp_mant_f32_e32 v44, v44
	v_mul_f32_e32 v43, v44, v43
	v_sub_u32_e32 v41, v45, v41
	v_ldexp_f32 v43, v43, v41
	v_mul_f32_e32 v41, v43, v43
	v_mov_b32_e32 v44, 0xbc7a590c
	v_fmac_f32_e32 v44, 0x3b2d2a58, v41
	v_fma_f32 v44, v41, v44, v28
	v_fma_f32 v44, v41, v44, v29
	;; [unrolled: 1-line block ×6, first 2 shown]
	v_mul_f32_e32 v41, v41, v44
	v_mul_f32_e32 v42, 0.5, v42
	v_fmac_f32_e32 v43, v43, v41
                                        ; implicit-def: $vgpr41
.LBB62_284:                             ;   in Loop: Header=BB62_4 Depth=1
	s_andn2_saveexec_b64 s[16:17], s[16:17]
	s_cbranch_execz .LBB62_286
; %bb.285:                              ;   in Loop: Header=BB62_4 Depth=1
	v_max_f32_e64 v44, -v5, -v5
	s_waitcnt lgkmcnt(0)
	v_max_f32_e32 v45, v44, v41
	v_cvt_f64_f32_e32 v[42:43], v45
	v_min_f32_e32 v41, v44, v41
	v_frexp_mant_f32_e32 v44, v45
	v_rcp_f32_e32 v44, v44
	v_frexp_exp_i32_f64_e32 v42, v[42:43]
	v_cmp_neq_f32_e32 vcc, s56, v45
	v_frexp_exp_i32_f32_e32 v47, v41
	v_frexp_mant_f32_e32 v41, v41
	v_mul_f32_e32 v41, v41, v44
	v_frexp_exp_i32_f32_e32 v43, v45
	v_sub_u32_e32 v43, v47, v43
	v_ldexp_f32 v43, v41, v43
	v_sub_u32_e32 v48, 0, v42
	v_ldexp_f32 v49, -v5, v48
	v_ldexp_f32 v48, |v4|, v48
	v_mul_f32_e32 v48, v48, v48
	v_fmac_f32_e32 v48, v49, v49
	v_sqrt_f32_e32 v48, v48
	v_mov_b32_e32 v46, 0xbc7a590c
	v_mul_f32_e32 v41, v43, v43
	v_fmac_f32_e32 v46, 0x3b2d2a58, v41
	v_ldexp_f32 v42, v48, v42
	v_cndmask_b32_e32 v42, v34, v42, vcc
	v_cmp_gt_f32_e32 vcc, s60, v42
	v_cndmask_b32_e64 v44, 0, 32, vcc
	v_ldexp_f32 v42, v42, v44
	v_log_f32_e32 v42, v42
	v_cndmask_b32_e32 v44, 0, v35, vcc
	v_mul_f32_e32 v45, 0x3f317217, v42
	v_fma_f32 v45, v42, s61, -v45
	v_fmac_f32_e32 v45, 0x3377d1cf, v42
	v_fmac_f32_e32 v45, 0x3f317217, v42
	v_cmp_lt_f32_e64 vcc, |v42|, s56
	v_cndmask_b32_e32 v42, v42, v45, vcc
	v_sub_f32_e32 v42, v42, v44
	v_fma_f32 v44, v41, v46, v28
	v_fma_f32 v44, v41, v44, v29
	;; [unrolled: 1-line block ×6, first 2 shown]
	v_mul_f32_e32 v41, v41, v44
	v_fmac_f32_e32 v43, v43, v41
.LBB62_286:                             ;   in Loop: Header=BB62_4 Depth=1
	s_or_b64 exec, exec, s[16:17]
                                        ; implicit-def: $vgpr41
.LBB62_287:                             ;   in Loop: Header=BB62_4 Depth=1
	s_andn2_saveexec_b64 s[44:45], s[44:45]
	s_cbranch_execz .LBB62_289
; %bb.288:                              ;   in Loop: Header=BB62_4 Depth=1
	v_div_scale_f32 v42, s[16:17], s78, s78, v5
	v_div_scale_f32 v43, s[16:17], s78, s78, v4
	v_div_scale_f32 v44, vcc, v5, s78, v5
	v_div_scale_f32 v45, s[16:17], v4, s78, v4
	v_rcp_f32_e32 v46, v42
	v_rcp_f32_e32 v47, v43
	v_fma_f32 v48, -v42, v46, 1.0
	v_fmac_f32_e32 v46, v48, v46
	v_fma_f32 v49, -v43, v47, 1.0
	v_fmac_f32_e32 v47, v49, v47
	v_mul_f32_e32 v48, v44, v46
	v_mul_f32_e32 v49, v45, v47
	v_fma_f32 v50, -v42, v48, v44
	v_fma_f32 v51, -v43, v49, v45
	v_fmac_f32_e32 v48, v50, v46
	v_fmac_f32_e32 v49, v51, v47
	v_fma_f32 v42, -v42, v48, v44
	v_fma_f32 v43, -v43, v49, v45
	v_div_fmas_f32 v42, v42, v46, v48
	s_mov_b64 vcc, s[16:17]
	v_div_fmas_f32 v43, v43, v47, v49
	v_max_f32_e64 v44, -v5, -v5
	s_waitcnt lgkmcnt(0)
	v_min_f32_e32 v46, v44, v41
	v_max_f32_e32 v41, v44, v41
	v_frexp_exp_i32_f32_e32 v44, v41
	v_frexp_mant_f32_e32 v47, v41
	v_rcp_f32_e32 v47, v47
	v_mov_b32_e32 v45, 0xbc7a590c
	v_div_fixup_f32 v48, v42, s78, v5
	v_div_fixup_f32 v49, v43, s78, v4
	v_max_f32_e64 v50, |v48|, |v49|
	v_cvt_f64_f32_e32 v[41:42], v50
	v_frexp_exp_i32_f32_e32 v43, v46
	v_frexp_mant_f32_e32 v46, v46
	v_cmp_neq_f32_e32 vcc, s56, v50
	v_frexp_exp_i32_f64_e32 v41, v[41:42]
	v_sub_u32_e32 v42, v43, v44
	v_mul_f32_e32 v43, v46, v47
	v_ldexp_f32 v43, v43, v42
	v_mul_f32_e32 v42, v43, v43
	v_fmac_f32_e32 v45, 0x3b2d2a58, v42
	v_fma_f32 v44, v42, v45, v28
	v_fma_f32 v44, v42, v44, v29
	v_sub_u32_e32 v45, 0, v41
	v_ldexp_f32 v46, |v48|, v45
	v_ldexp_f32 v45, |v49|, v45
	v_mul_f32_e32 v45, v45, v45
	v_fmac_f32_e32 v45, v46, v46
	v_sqrt_f32_e32 v45, v45
	v_fma_f32 v44, v42, v44, v30
	v_fma_f32 v44, v42, v44, v31
	;; [unrolled: 1-line block ×3, first 2 shown]
	v_ldexp_f32 v41, v45, v41
	v_cndmask_b32_e32 v41, v34, v41, vcc
	v_cmp_gt_f32_e32 vcc, s60, v41
	v_cndmask_b32_e64 v45, 0, 32, vcc
	v_ldexp_f32 v41, v41, v45
	v_log_f32_e32 v41, v41
	v_fma_f32 v44, v42, v44, v33
	v_mul_f32_e32 v44, v42, v44
	v_cndmask_b32_e32 v42, 0, v35, vcc
	v_mul_f32_e32 v45, 0x3f317217, v41
	v_fma_f32 v45, v41, s61, -v45
	v_fmac_f32_e32 v45, 0x3377d1cf, v41
	v_fmac_f32_e32 v45, 0x3f317217, v41
	v_cmp_lt_f32_e64 vcc, |v41|, s56
	v_cndmask_b32_e32 v41, v41, v45, vcc
	v_sub_f32_e32 v41, v41, v42
	v_add_f32_e32 v42, 1.0, v41
	v_fmac_f32_e32 v43, v43, v44
.LBB62_289:                             ;   in Loop: Header=BB62_4 Depth=1
	s_or_b64 exec, exec, s[44:45]
	s_waitcnt lgkmcnt(0)
	v_sub_f32_e32 v41, 0x3fc90fdb, v43
	v_cndmask_b32_e64 v41, v43, v41, s[14:15]
	v_cmp_neq_f32_e32 vcc, 0, v4
	v_cndmask_b32_e32 v45, 0, v41, vcc
	v_cmp_eq_f32_e32 vcc, s66, v5
	s_andn2_b64 s[14:15], s[40:41], exec
	s_and_b64 s[16:17], vcc, exec
	s_or_b64 s[40:41], s[14:15], s[16:17]
.LBB62_290:                             ;   in Loop: Header=BB62_4 Depth=1
	s_or_b64 exec, exec, s[42:43]
	v_cmp_class_f32_e64 s[14:15], v4, s73
	s_and_b64 vcc, s[14:15], s[40:41]
	s_waitcnt lgkmcnt(0)
	v_cndmask_b32_e32 v41, v45, v39, vcc
	v_add_f32_e32 v42, 0x3f317218, v42
	v_bfi_b32 v5, s55, v42, v5
	v_bfi_b32 v4, s55, v41, v4
.LBB62_291:                             ;   in Loop: Header=BB62_4 Depth=1
	s_or_b64 exec, exec, s[38:39]
.LBB62_292:                             ;   in Loop: Header=BB62_4 Depth=1
	s_andn2_saveexec_b64 s[14:15], s[36:37]
	s_cbranch_execz .LBB62_306
; %bb.293:                              ;   in Loop: Header=BB62_4 Depth=1
	v_cmp_neq_f32_e64 s[16:17], |v5|, s56
                                        ; implicit-def: $vgpr41
                                        ; implicit-def: $vgpr42
	s_and_saveexec_b64 s[36:37], s[16:17]
	s_xor_b64 s[16:17], exec, s[36:37]
	s_cbranch_execz .LBB62_303
; %bb.294:                              ;   in Loop: Header=BB62_4 Depth=1
	v_cmp_neq_f32_e64 s[36:37], |v4|, s56
                                        ; implicit-def: $vgpr41
                                        ; implicit-def: $vgpr42
	s_and_saveexec_b64 s[38:39], s[36:37]
	s_xor_b64 s[36:37], exec, s[38:39]
	s_cbranch_execz .LBB62_300
; %bb.295:                              ;   in Loop: Header=BB62_4 Depth=1
	v_cmp_neq_f32_e32 vcc, 0, v4
                                        ; implicit-def: $vgpr41
	s_and_saveexec_b64 s[38:39], vcc
	s_xor_b64 s[38:39], exec, s[38:39]
	s_cbranch_execz .LBB62_297
; %bb.296:                              ;   in Loop: Header=BB62_4 Depth=1
	v_add_f32_e32 v5, 0, v5
	s_waitcnt lgkmcnt(0)
	v_add_f32_e32 v41, v4, v5
                                        ; implicit-def: $vgpr5
.LBB62_297:                             ;   in Loop: Header=BB62_4 Depth=1
	s_or_saveexec_b64 s[38:39], s[38:39]
	s_waitcnt lgkmcnt(0)
	v_mov_b32_e32 v42, v41
	s_xor_b64 exec, exec, s[38:39]
; %bb.298:                              ;   in Loop: Header=BB62_4 Depth=1
	v_add_f32_e32 v42, v5, v5
	v_mov_b32_e32 v41, v4
; %bb.299:                              ;   in Loop: Header=BB62_4 Depth=1
	s_or_b64 exec, exec, s[38:39]
                                        ; implicit-def: $vgpr5
.LBB62_300:                             ;   in Loop: Header=BB62_4 Depth=1
	s_andn2_saveexec_b64 s[36:37], s[36:37]
	s_cbranch_execz .LBB62_302
; %bb.301:                              ;   in Loop: Header=BB62_4 Depth=1
	s_waitcnt lgkmcnt(0)
	v_add_f32_e32 v41, v5, v5
	v_mov_b32_e32 v42, v4
.LBB62_302:                             ;   in Loop: Header=BB62_4 Depth=1
	s_or_b64 exec, exec, s[36:37]
                                        ; implicit-def: $vgpr4
.LBB62_303:                             ;   in Loop: Header=BB62_4 Depth=1
	s_andn2_saveexec_b64 s[16:17], s[16:17]
	s_cbranch_execz .LBB62_305
; %bb.304:                              ;   in Loop: Header=BB62_4 Depth=1
	s_waitcnt lgkmcnt(0)
	v_add_f32_e32 v41, v4, v4
	v_mov_b32_e32 v42, v5
.LBB62_305:                             ;   in Loop: Header=BB62_4 Depth=1
	s_or_b64 exec, exec, s[16:17]
	v_mov_b32_e32 v5, v42
	s_waitcnt lgkmcnt(0)
	v_mov_b32_e32 v4, v41
.LBB62_306:                             ;   in Loop: Header=BB62_4 Depth=1
	s_or_b64 exec, exec, s[14:15]
	v_cmp_o_f32_e32 vcc, v11, v10
	s_and_saveexec_b64 s[14:15], vcc
	s_xor_b64 s[36:37], exec, s[14:15]
	s_cbranch_execnz .LBB62_312
; %bb.307:                              ;   in Loop: Header=BB62_4 Depth=1
	s_andn2_saveexec_b64 s[14:15], s[36:37]
	s_cbranch_execnz .LBB62_395
.LBB62_308:                             ;   in Loop: Header=BB62_4 Depth=1
	s_or_b64 exec, exec, s[14:15]
	s_and_saveexec_b64 s[14:15], s[6:7]
	s_xor_b64 s[6:7], exec, s[14:15]
	s_cbranch_execnz .LBB62_408
.LBB62_309:                             ;   in Loop: Header=BB62_4 Depth=1
	s_or_b64 exec, exec, s[6:7]
	s_and_saveexec_b64 s[6:7], s[8:9]
	s_cbranch_execnz .LBB62_409
.LBB62_310:                             ;   in Loop: Header=BB62_4 Depth=1
	s_or_b64 exec, exec, s[6:7]
	s_and_saveexec_b64 s[6:7], s[10:11]
	s_cbranch_execnz .LBB62_410
.LBB62_311:                             ;   in Loop: Header=BB62_4 Depth=1
	s_or_b64 exec, exec, s[6:7]
	s_and_saveexec_b64 s[6:7], s[12:13]
	s_cbranch_execz .LBB62_3
	s_branch .LBB62_411
.LBB62_312:                             ;   in Loop: Header=BB62_4 Depth=1
	s_waitcnt lgkmcnt(0)
	v_max_f32_e64 v41, |v10|, |v10|
	v_max_f32_e64 v44, |v11|, |v11|
	v_max_f32_e32 v43, v44, v41
	v_cmp_nlt_f32_e32 vcc, s53, v43
	s_and_saveexec_b64 s[14:15], vcc
	s_xor_b64 s[16:17], exec, s[14:15]
	s_cbranch_execz .LBB62_372
; %bb.313:                              ;   in Loop: Header=BB62_4 Depth=1
	v_cmp_neq_f32_e32 vcc, 0, v11
	v_cmp_neq_f32_e64 s[14:15], 0, v10
	s_or_b64 s[14:15], vcc, s[14:15]
	s_and_saveexec_b64 s[38:39], s[14:15]
	s_cbranch_execz .LBB62_371
; %bb.314:                              ;   in Loop: Header=BB62_4 Depth=1
	v_mov_b32_e32 v42, s23
	v_mov_b32_e32 v41, s22
	flat_store_dword v[41:42], v21
	s_waitcnt vmcnt(0)
	flat_load_dword v41, v[41:42] glc
	s_waitcnt vmcnt(0)
	v_cmp_nlt_f32_e64 s[14:15], |v11|, s54
	v_cmp_nlt_f32_e64 s[40:41], |v10|, s54
	s_or_b64 s[14:15], s[14:15], s[40:41]
	s_waitcnt lgkmcnt(0)
	v_add_f32_e32 v43, 1.0, v41
	v_mov_b32_e32 v42, s29
	v_mov_b32_e32 v41, s28
	flat_store_dword v[41:42], v43
	s_waitcnt vmcnt(0)
	flat_load_dword v41, v[41:42] glc
	s_waitcnt vmcnt(0)
	s_and_saveexec_b64 s[40:41], s[14:15]
	s_cbranch_execz .LBB62_370
; %bb.315:                              ;   in Loop: Header=BB62_4 Depth=1
	v_add_f32_e64 v43, |v10|, 1.0
	s_waitcnt lgkmcnt(0)
	v_max_f32_e32 v41, v44, v43
	v_add_f32_e64 v42, |v10|, -1.0
	v_cvt_f64_f32_e32 v[45:46], v41
	v_max_f32_e64 v44, v44, |v42|
	v_cvt_f64_f32_e32 v[47:48], v44
	v_cmp_neq_f32_e32 vcc, s56, v41
	v_frexp_exp_i32_f64_e32 v45, v[45:46]
	v_frexp_exp_i32_f64_e32 v46, v[47:48]
	v_sub_u32_e32 v47, 0, v45
	v_ldexp_f32 v49, |v11|, v47
	v_sub_u32_e32 v48, 0, v46
	v_ldexp_f32 v47, v43, v47
	v_ldexp_f32 v50, |v11|, v48
	v_ldexp_f32 v48, |v42|, v48
	v_mul_f32_e32 v47, v47, v47
	v_mul_f32_e32 v48, v48, v48
	v_fmac_f32_e32 v47, v49, v49
	v_fmac_f32_e32 v48, v50, v50
	v_sqrt_f32_e32 v47, v47
	v_sqrt_f32_e32 v48, v48
	v_ldexp_f32 v45, v47, v45
	v_ldexp_f32 v47, v48, v46
	v_cndmask_b32_e32 v46, v34, v45, vcc
	v_cmp_neq_f32_e32 vcc, s56, v44
	v_cndmask_b32_e32 v44, v34, v47, vcc
	v_add_f32_e32 v41, v46, v44
	v_mul_f32_e32 v41, 0.5, v41
	v_cmp_ngt_f32_e32 vcc, 1.0, v41
	v_cndmask_b32_e32 v41, 1.0, v41, vcc
	v_cmp_ngt_f32_e32 vcc, s57, v41
                                        ; implicit-def: $vgpr47
	s_and_saveexec_b64 s[14:15], vcc
	s_xor_b64 s[42:43], exec, s[14:15]
	s_cbranch_execz .LBB62_317
; %bb.316:                              ;   in Loop: Header=BB62_4 Depth=1
	v_fma_f32 v45, v41, v41, -1.0
	v_mul_f32_e32 v47, 0x4f800000, v45
	v_cmp_gt_f32_e32 vcc, s58, v45
	v_cndmask_b32_e32 v45, v45, v47, vcc
	v_sqrt_f32_e32 v47, v45
	v_add_u32_e32 v48, -1, v47
	v_fma_f32 v50, -v48, v47, v45
	v_add_u32_e32 v49, 1, v47
	v_cmp_ge_f32_e64 s[14:15], 0, v50
	v_cndmask_b32_e64 v48, v47, v48, s[14:15]
	v_fma_f32 v47, -v49, v47, v45
	v_cmp_lt_f32_e64 s[14:15], 0, v47
	v_cndmask_b32_e64 v47, v48, v49, s[14:15]
	v_mul_f32_e32 v48, 0x37800000, v47
	v_cndmask_b32_e32 v47, v47, v48, vcc
	v_cmp_class_f32_e32 vcc, v45, v22
	v_cndmask_b32_e32 v45, v47, v45, vcc
	v_add_f32_e32 v45, v41, v45
	v_cmp_gt_f32_e32 vcc, s60, v45
	v_cndmask_b32_e64 v47, 0, 32, vcc
	v_ldexp_f32 v45, v45, v47
	v_log_f32_e32 v45, v45
	v_mul_f32_e32 v47, 0x3f317217, v45
	v_fma_f32 v47, v45, s61, -v47
	v_fmac_f32_e32 v47, 0x3377d1cf, v45
	v_fmac_f32_e32 v47, 0x3f317217, v45
	v_cmp_lt_f32_e64 s[14:15], |v45|, s56
	v_cndmask_b32_e64 v45, v45, v47, s[14:15]
	v_cndmask_b32_e32 v47, 0, v35, vcc
	v_sub_f32_e32 v47, v45, v47
.LBB62_317:                             ;   in Loop: Header=BB62_4 Depth=1
	s_or_saveexec_b64 s[42:43], s[42:43]
	v_and_b32_e32 v45, 0x7fffffff, v11
	s_xor_b64 exec, exec, s[42:43]
	s_cbranch_execz .LBB62_339
; %bb.318:                              ;   in Loop: Header=BB62_4 Depth=1
	v_cmp_neq_f32_e64 s[14:15], |v10|, 1.0
	v_cmp_nlt_f32_e64 s[44:45], |v11|, s62
	s_or_b64 s[14:15], s[44:45], s[14:15]
                                        ; implicit-def: $vgpr47
	s_and_saveexec_b64 s[44:45], s[14:15]
	s_xor_b64 s[44:45], exec, s[44:45]
	s_cbranch_execz .LBB62_336
; %bb.319:                              ;   in Loop: Header=BB62_4 Depth=1
	v_mul_f32_e64 v47, |v42|, s63
	v_cmp_ge_f32_e64 s[14:15], |v11|, v47
                                        ; implicit-def: $vgpr47
	s_and_saveexec_b64 s[46:47], s[14:15]
	s_xor_b64 s[46:47], exec, s[46:47]
	s_cbranch_execz .LBB62_329
; %bb.320:                              ;   in Loop: Header=BB62_4 Depth=1
	v_cmp_neq_f32_e32 vcc, 0, v43
	v_mov_b32_e32 v47, v45
	s_and_saveexec_b64 s[14:15], vcc
	s_cbranch_execz .LBB62_322
; %bb.321:                              ;   in Loop: Header=BB62_4 Depth=1
	v_mul_f32_e32 v47, v11, v11
	v_add_f32_e32 v48, v43, v46
	v_div_scale_f32 v49, s[48:49], v48, v48, v47
	v_div_scale_f32 v50, vcc, v47, v48, v47
	v_rcp_f32_e32 v51, v49
	v_fma_f32 v52, -v49, v51, 1.0
	v_fmac_f32_e32 v51, v52, v51
	v_mul_f32_e32 v52, v50, v51
	v_fma_f32 v53, -v49, v52, v50
	v_fmac_f32_e32 v52, v53, v51
	v_fma_f32 v49, -v49, v52, v50
	v_div_fmas_f32 v49, v49, v51, v52
	v_div_fixup_f32 v47, v49, v48, v47
.LBB62_322:                             ;   in Loop: Header=BB62_4 Depth=1
	s_or_b64 exec, exec, s[14:15]
	v_sub_f32_e64 v49, 1.0, |v10|
	v_cmp_ngt_f32_e32 vcc, 0, v49
                                        ; implicit-def: $vgpr48
	s_and_saveexec_b64 s[14:15], vcc
	s_xor_b64 s[14:15], exec, s[14:15]
	s_cbranch_execz .LBB62_326
; %bb.323:                              ;   in Loop: Header=BB62_4 Depth=1
	v_cmp_neq_f32_e32 vcc, 0, v49
	v_mov_b32_e32 v48, v45
	s_and_saveexec_b64 s[48:49], vcc
	s_cbranch_execz .LBB62_325
; %bb.324:                              ;   in Loop: Header=BB62_4 Depth=1
	v_mul_f32_e32 v48, v11, v11
	v_add_f32_e32 v49, v49, v44
	v_div_scale_f32 v50, s[50:51], v49, v49, v48
	v_div_scale_f32 v51, vcc, v48, v49, v48
	v_rcp_f32_e32 v52, v50
	v_fma_f32 v53, -v50, v52, 1.0
	v_fmac_f32_e32 v52, v53, v52
	v_mul_f32_e32 v53, v51, v52
	v_fma_f32 v54, -v50, v53, v51
	v_fmac_f32_e32 v53, v54, v52
	v_fma_f32 v50, -v50, v53, v51
	v_div_fmas_f32 v50, v50, v52, v53
	v_div_fixup_f32 v48, v50, v49, v48
.LBB62_325:                             ;   in Loop: Header=BB62_4 Depth=1
	s_or_b64 exec, exec, s[48:49]
                                        ; implicit-def: $vgpr49
.LBB62_326:                             ;   in Loop: Header=BB62_4 Depth=1
	s_andn2_saveexec_b64 s[14:15], s[14:15]
; %bb.327:                              ;   in Loop: Header=BB62_4 Depth=1
	v_sub_f32_e32 v48, v44, v49
; %bb.328:                              ;   in Loop: Header=BB62_4 Depth=1
	s_or_b64 exec, exec, s[14:15]
	v_mul_f32_e32 v48, 0.5, v48
	v_fmac_f32_e32 v48, 0.5, v47
	v_add_f32_e32 v47, 1.0, v41
	v_mul_f32_e32 v47, v47, v48
	v_mul_f32_e32 v49, 0x4f800000, v47
	v_cmp_gt_f32_e32 vcc, s58, v47
	v_cndmask_b32_e32 v47, v47, v49, vcc
	v_sqrt_f32_e32 v49, v47
	v_add_u32_e32 v50, -1, v49
	v_fma_f32 v51, -v50, v49, v47
	v_cmp_ge_f32_e64 s[14:15], 0, v51
	v_add_u32_e32 v51, 1, v49
	v_cndmask_b32_e64 v50, v49, v50, s[14:15]
	v_fma_f32 v49, -v51, v49, v47
	v_cmp_lt_f32_e64 s[14:15], 0, v49
	v_cndmask_b32_e64 v49, v50, v51, s[14:15]
	v_mul_f32_e32 v50, 0x37800000, v49
	v_cndmask_b32_e32 v49, v49, v50, vcc
	v_cmp_class_f32_e32 vcc, v47, v22
	v_cndmask_b32_e32 v47, v49, v47, vcc
	v_add_f32_e32 v49, v48, v47
	v_add_f32_e32 v50, 1.0, v49
	v_cvt_f64_f32_e32 v[47:48], v50
	v_add_f32_e32 v51, -1.0, v50
	v_frexp_exp_i32_f64_e32 v47, v[47:48]
	v_sub_f32_e32 v48, v51, v50
	v_add_f32_e32 v48, 1.0, v48
	v_sub_f32_e32 v51, v49, v51
	v_add_f32_e32 v48, v51, v48
	v_frexp_mant_f32_e32 v51, v50
	v_cmp_gt_f32_e32 vcc, s64, v51
	v_subbrev_co_u32_e32 v47, vcc, 0, v47, vcc
	v_sub_u32_e32 v51, 0, v47
	v_ldexp_f32 v50, v50, v51
	v_ldexp_f32 v48, v48, v51
	v_add_f32_e32 v51, -1.0, v50
	v_add_f32_e32 v54, 1.0, v50
	v_add_f32_e32 v52, 1.0, v51
	v_add_f32_e32 v55, -1.0, v54
	v_sub_f32_e32 v52, v50, v52
	v_sub_f32_e32 v50, v50, v55
	v_add_f32_e32 v52, v48, v52
	v_add_f32_e32 v48, v48, v50
	;; [unrolled: 1-line block ×3, first 2 shown]
	v_rcp_f32_e32 v55, v50
	v_add_f32_e32 v53, v51, v52
	v_sub_f32_e32 v51, v53, v51
	v_sub_f32_e32 v51, v52, v51
	;; [unrolled: 1-line block ×4, first 2 shown]
	v_mul_f32_e32 v52, v53, v55
	v_mul_f32_e32 v54, v50, v52
	v_fma_f32 v56, v52, v50, -v54
	v_fmac_f32_e32 v56, v52, v48
	v_add_f32_e32 v57, v54, v56
	v_sub_f32_e32 v58, v53, v57
	v_sub_f32_e32 v53, v53, v58
	;; [unrolled: 1-line block ×4, first 2 shown]
	v_add_f32_e32 v51, v51, v53
	v_sub_f32_e32 v53, v54, v56
	v_add_f32_e32 v51, v53, v51
	v_add_f32_e32 v53, v58, v51
	v_mul_f32_e32 v54, v55, v53
	v_mul_f32_e32 v56, v50, v54
	v_fma_f32 v50, v54, v50, -v56
	v_fmac_f32_e32 v50, v54, v48
	v_sub_f32_e32 v48, v58, v53
	v_add_f32_e32 v48, v51, v48
	v_add_f32_e32 v51, v56, v50
	v_sub_f32_e32 v57, v53, v51
	v_sub_f32_e32 v53, v53, v57
	;; [unrolled: 1-line block ×4, first 2 shown]
	v_add_f32_e32 v48, v48, v51
	v_sub_f32_e32 v50, v56, v50
	v_cvt_f32_i32_e32 v47, v47
	v_add_f32_e32 v48, v50, v48
	v_add_f32_e32 v50, v52, v54
	;; [unrolled: 1-line block ×3, first 2 shown]
	v_sub_f32_e32 v51, v50, v52
	v_mul_f32_e32 v48, v55, v48
	v_sub_f32_e32 v51, v54, v51
	v_add_f32_e32 v48, v51, v48
	v_mul_f32_e32 v54, 0x3f317218, v47
	v_add_f32_e32 v51, v50, v48
	v_fma_f32 v55, v47, s65, -v54
	v_mul_f32_e32 v52, v51, v51
	v_mov_b32_e32 v53, 0x3ecc95a3
	v_fmac_f32_e32 v55, 0xb102e308, v47
	v_sub_f32_e32 v47, v51, v50
	v_fmac_f32_e32 v53, 0x3e9b6dac, v52
	v_sub_f32_e32 v47, v48, v47
	v_add_f32_e32 v48, v54, v55
	v_fma_f32 v53, v52, v53, v23
	v_sub_f32_e32 v50, v48, v54
	v_ldexp_f32 v54, v51, 1
	v_mul_f32_e32 v51, v51, v52
	v_mul_f32_e32 v51, v51, v53
	v_add_f32_e32 v52, v54, v51
	v_sub_f32_e32 v53, v52, v54
	v_ldexp_f32 v47, v47, 1
	v_sub_f32_e32 v51, v51, v53
	v_add_f32_e32 v47, v47, v51
	v_add_f32_e32 v51, v52, v47
	v_sub_f32_e32 v52, v51, v52
	v_sub_f32_e32 v47, v47, v52
	v_add_f32_e32 v52, v48, v51
	v_sub_f32_e32 v53, v52, v48
	v_sub_f32_e32 v54, v52, v53
	;; [unrolled: 1-line block ×5, first 2 shown]
	v_add_f32_e32 v48, v51, v48
	v_add_f32_e32 v51, v50, v47
	v_sub_f32_e32 v53, v51, v50
	v_sub_f32_e32 v54, v51, v53
	;; [unrolled: 1-line block ×4, first 2 shown]
	v_add_f32_e32 v48, v51, v48
	v_add_f32_e32 v47, v47, v50
	;; [unrolled: 1-line block ×3, first 2 shown]
	v_sub_f32_e32 v51, v50, v52
	v_sub_f32_e32 v48, v48, v51
	v_add_f32_e32 v47, v47, v48
	v_add_f32_e32 v47, v50, v47
	v_cmp_neq_f32_e32 vcc, s56, v49
	v_cndmask_b32_e32 v47, v34, v47, vcc
	v_cmp_ngt_f32_e32 vcc, -1.0, v49
	v_cndmask_b32_e32 v47, v36, v47, vcc
	v_cmp_neq_f32_e32 vcc, -1.0, v49
	v_cndmask_b32_e32 v47, v37, v47, vcc
	v_cmp_lt_f32_e64 vcc, |v49|, s67
	v_cndmask_b32_e32 v47, v47, v49, vcc
.LBB62_329:                             ;   in Loop: Header=BB62_4 Depth=1
	s_andn2_saveexec_b64 s[46:47], s[46:47]
	s_cbranch_execz .LBB62_335
; %bb.330:                              ;   in Loop: Header=BB62_4 Depth=1
	v_cmp_nlt_f32_e64 s[14:15], |v10|, 1.0
                                        ; implicit-def: $vgpr47
	s_and_saveexec_b64 s[48:49], s[14:15]
	s_xor_b64 s[48:49], exec, s[48:49]
	s_cbranch_execz .LBB62_332
; %bb.331:                              ;   in Loop: Header=BB62_4 Depth=1
	v_mul_f32_e32 v47, v42, v43
	v_mul_f32_e32 v48, 0x4f800000, v47
	v_cmp_gt_f32_e32 vcc, s58, v47
	v_cndmask_b32_e32 v47, v47, v48, vcc
	v_sqrt_f32_e32 v48, v47
	v_add_u32_e32 v49, -1, v48
	v_fma_f32 v51, -v49, v48, v47
	v_add_u32_e32 v50, 1, v48
	v_cmp_ge_f32_e64 s[14:15], 0, v51
	v_cndmask_b32_e64 v49, v48, v49, s[14:15]
	v_fma_f32 v48, -v50, v48, v47
	v_cmp_lt_f32_e64 s[14:15], 0, v48
	v_cndmask_b32_e64 v48, v49, v50, s[14:15]
	v_mul_f32_e32 v49, 0x37800000, v48
	v_cndmask_b32_e32 v48, v48, v49, vcc
	v_cmp_class_f32_e32 vcc, v47, v22
	v_cndmask_b32_e32 v47, v48, v47, vcc
	v_add_f32_e32 v49, v42, v47
	v_add_f32_e32 v50, 1.0, v49
	v_cvt_f64_f32_e32 v[47:48], v50
	v_add_f32_e32 v51, -1.0, v50
	v_frexp_exp_i32_f64_e32 v47, v[47:48]
	v_sub_f32_e32 v48, v51, v50
	v_add_f32_e32 v48, 1.0, v48
	v_sub_f32_e32 v51, v49, v51
	v_add_f32_e32 v48, v51, v48
	v_frexp_mant_f32_e32 v51, v50
	v_cmp_gt_f32_e32 vcc, s64, v51
	v_subbrev_co_u32_e32 v47, vcc, 0, v47, vcc
	v_sub_u32_e32 v51, 0, v47
	v_ldexp_f32 v50, v50, v51
	v_ldexp_f32 v48, v48, v51
	v_add_f32_e32 v51, -1.0, v50
	v_add_f32_e32 v54, 1.0, v50
	v_add_f32_e32 v52, 1.0, v51
	v_add_f32_e32 v55, -1.0, v54
	v_sub_f32_e32 v52, v50, v52
	v_sub_f32_e32 v50, v50, v55
	v_add_f32_e32 v52, v48, v52
	v_add_f32_e32 v48, v48, v50
	;; [unrolled: 1-line block ×3, first 2 shown]
	v_rcp_f32_e32 v55, v50
	v_add_f32_e32 v53, v51, v52
	v_sub_f32_e32 v51, v53, v51
	v_sub_f32_e32 v51, v52, v51
	;; [unrolled: 1-line block ×4, first 2 shown]
	v_mul_f32_e32 v52, v53, v55
	v_mul_f32_e32 v54, v50, v52
	v_fma_f32 v56, v52, v50, -v54
	v_fmac_f32_e32 v56, v52, v48
	v_add_f32_e32 v57, v54, v56
	v_sub_f32_e32 v58, v53, v57
	v_sub_f32_e32 v53, v53, v58
	;; [unrolled: 1-line block ×4, first 2 shown]
	v_add_f32_e32 v51, v51, v53
	v_sub_f32_e32 v53, v54, v56
	v_add_f32_e32 v51, v53, v51
	v_add_f32_e32 v53, v58, v51
	v_mul_f32_e32 v54, v55, v53
	v_mul_f32_e32 v56, v50, v54
	v_fma_f32 v50, v54, v50, -v56
	v_fmac_f32_e32 v50, v54, v48
	v_sub_f32_e32 v48, v58, v53
	v_add_f32_e32 v48, v51, v48
	v_add_f32_e32 v51, v56, v50
	v_sub_f32_e32 v57, v53, v51
	v_sub_f32_e32 v53, v53, v57
	;; [unrolled: 1-line block ×4, first 2 shown]
	v_add_f32_e32 v48, v48, v51
	v_sub_f32_e32 v50, v56, v50
	v_cvt_f32_i32_e32 v47, v47
	v_add_f32_e32 v48, v50, v48
	v_add_f32_e32 v50, v52, v54
	;; [unrolled: 1-line block ×3, first 2 shown]
	v_sub_f32_e32 v51, v50, v52
	v_mul_f32_e32 v48, v55, v48
	v_sub_f32_e32 v51, v54, v51
	v_add_f32_e32 v48, v51, v48
	v_mul_f32_e32 v54, 0x3f317218, v47
	v_add_f32_e32 v51, v50, v48
	v_fma_f32 v55, v47, s65, -v54
	v_mul_f32_e32 v52, v51, v51
	v_mov_b32_e32 v53, 0x3ecc95a3
	v_fmac_f32_e32 v55, 0xb102e308, v47
	v_sub_f32_e32 v47, v51, v50
	v_fmac_f32_e32 v53, 0x3e9b6dac, v52
	v_sub_f32_e32 v47, v48, v47
	v_add_f32_e32 v48, v54, v55
	v_fma_f32 v53, v52, v53, v23
	v_sub_f32_e32 v50, v48, v54
	v_ldexp_f32 v54, v51, 1
	v_mul_f32_e32 v51, v51, v52
	v_mul_f32_e32 v51, v51, v53
	v_add_f32_e32 v52, v54, v51
	v_sub_f32_e32 v53, v52, v54
	v_ldexp_f32 v47, v47, 1
	v_sub_f32_e32 v51, v51, v53
	v_add_f32_e32 v47, v47, v51
	v_add_f32_e32 v51, v52, v47
	v_sub_f32_e32 v52, v51, v52
	v_sub_f32_e32 v47, v47, v52
	v_add_f32_e32 v52, v48, v51
	v_sub_f32_e32 v53, v52, v48
	v_sub_f32_e32 v54, v52, v53
	;; [unrolled: 1-line block ×5, first 2 shown]
	v_add_f32_e32 v48, v51, v48
	v_add_f32_e32 v51, v50, v47
	v_sub_f32_e32 v53, v51, v50
	v_sub_f32_e32 v54, v51, v53
	;; [unrolled: 1-line block ×4, first 2 shown]
	v_add_f32_e32 v48, v51, v48
	v_add_f32_e32 v47, v47, v50
	;; [unrolled: 1-line block ×3, first 2 shown]
	v_sub_f32_e32 v51, v50, v52
	v_sub_f32_e32 v48, v48, v51
	v_add_f32_e32 v47, v47, v48
	v_add_f32_e32 v47, v50, v47
	v_cmp_neq_f32_e32 vcc, s56, v49
	v_cndmask_b32_e32 v47, v34, v47, vcc
	v_cmp_ngt_f32_e32 vcc, -1.0, v49
	v_cndmask_b32_e32 v47, v36, v47, vcc
	v_cmp_neq_f32_e32 vcc, -1.0, v49
	v_cndmask_b32_e32 v47, v37, v47, vcc
	v_cmp_lt_f32_e64 vcc, |v49|, s67
	v_cndmask_b32_e32 v47, v47, v49, vcc
.LBB62_332:                             ;   in Loop: Header=BB62_4 Depth=1
	s_andn2_saveexec_b64 s[48:49], s[48:49]
	s_cbranch_execz .LBB62_334
; %bb.333:                              ;   in Loop: Header=BB62_4 Depth=1
	v_sub_f32_e64 v47, 1.0, |v10|
	v_mul_f32_e32 v47, v47, v43
	v_mul_f32_e32 v48, 0x4f800000, v47
	v_cmp_gt_f32_e32 vcc, s58, v47
	v_cndmask_b32_e32 v47, v47, v48, vcc
	v_sqrt_f32_e32 v48, v47
	v_add_u32_e32 v49, -1, v48
	v_fma_f32 v51, -v49, v48, v47
	v_add_u32_e32 v50, 1, v48
	v_cmp_ge_f32_e64 s[14:15], 0, v51
	v_cndmask_b32_e64 v49, v48, v49, s[14:15]
	v_fma_f32 v48, -v50, v48, v47
	v_cmp_lt_f32_e64 s[14:15], 0, v48
	v_cndmask_b32_e64 v48, v49, v50, s[14:15]
	v_mul_f32_e32 v49, 0x37800000, v48
	v_cndmask_b32_e32 v48, v48, v49, vcc
	v_cmp_class_f32_e32 vcc, v47, v22
	v_cndmask_b32_e32 v47, v48, v47, vcc
	v_and_b32_e32 v48, 0x7fffffff, v11
	v_div_scale_f32 v49, s[14:15], v47, v47, v48
	v_div_scale_f32 v48, vcc, v48, v47, v48
	v_rcp_f32_e32 v50, v49
	v_fma_f32 v51, -v49, v50, 1.0
	v_fmac_f32_e32 v50, v51, v50
	v_mul_f32_e32 v51, v48, v50
	v_fma_f32 v52, -v49, v51, v48
	v_fmac_f32_e32 v51, v52, v50
	v_fma_f32 v48, -v49, v51, v48
	v_div_fmas_f32 v48, v48, v50, v51
	v_div_fixup_f32 v47, v48, v47, |v11|
.LBB62_334:                             ;   in Loop: Header=BB62_4 Depth=1
	s_or_b64 exec, exec, s[48:49]
.LBB62_335:                             ;   in Loop: Header=BB62_4 Depth=1
	s_or_b64 exec, exec, s[46:47]
.LBB62_336:                             ;   in Loop: Header=BB62_4 Depth=1
	s_andn2_saveexec_b64 s[44:45], s[44:45]
	s_cbranch_execz .LBB62_338
; %bb.337:                              ;   in Loop: Header=BB62_4 Depth=1
	v_mul_f32_e64 v47, |v11|, s59
	v_cmp_lt_f32_e64 vcc, |v11|, s58
	v_cndmask_b32_e64 v47, |v11|, v47, vcc
	v_sqrt_f32_e32 v48, v47
	v_add_u32_e32 v49, -1, v48
	v_fma_f32 v51, -v49, v48, v47
	v_add_u32_e32 v50, 1, v48
	v_cmp_ge_f32_e64 s[14:15], 0, v51
	v_cndmask_b32_e64 v49, v48, v49, s[14:15]
	v_fma_f32 v48, -v50, v48, v47
	v_cmp_lt_f32_e64 s[14:15], 0, v48
	v_cndmask_b32_e64 v48, v49, v50, s[14:15]
	v_mul_f32_e32 v49, 0x37800000, v48
	v_cndmask_b32_e32 v48, v48, v49, vcc
	v_cmp_class_f32_e32 vcc, v47, v22
	v_cndmask_b32_e32 v47, v48, v47, vcc
.LBB62_338:                             ;   in Loop: Header=BB62_4 Depth=1
	s_or_b64 exec, exec, s[44:45]
.LBB62_339:                             ;   in Loop: Header=BB62_4 Depth=1
	s_or_b64 exec, exec, s[42:43]
	v_cmp_nlt_f32_e64 s[42:43], |v10|, s68
                                        ; implicit-def: $sgpr14_sgpr15
                                        ; implicit-def: $vgpr48
                                        ; implicit-def: $vgpr50
                                        ; implicit-def: $vgpr49
	s_and_saveexec_b64 s[44:45], s[42:43]
	s_xor_b64 s[42:43], exec, s[44:45]
	s_cbranch_execz .LBB62_363
; %bb.340:                              ;   in Loop: Header=BB62_4 Depth=1
	v_and_b32_e32 v49, 0x7fffffff, v10
	v_div_scale_f32 v48, s[14:15], v41, v41, v49
	v_div_scale_f32 v50, vcc, v49, v41, v49
	s_mov_b64 s[14:15], 0
	v_rcp_f32_e32 v51, v48
	v_fma_f32 v52, -v48, v51, 1.0
	v_fmac_f32_e32 v51, v52, v51
	v_mul_f32_e32 v52, v50, v51
	v_fma_f32 v53, -v48, v52, v50
	v_fmac_f32_e32 v52, v53, v51
	v_fma_f32 v48, -v48, v52, v50
	v_div_fmas_f32 v48, v48, v51, v52
                                        ; implicit-def: $vgpr50
	v_div_fixup_f32 v48, v48, v41, |v10|
	v_cmp_lt_f32_e32 vcc, s69, v48
	s_and_saveexec_b64 s[44:45], vcc
	s_cbranch_execz .LBB62_362
; %bb.341:                              ;   in Loop: Header=BB62_4 Depth=1
	v_cmp_neq_f32_e64 s[14:15], |v10|, 1.0
	v_cmp_nlt_f32_e64 s[46:47], |v11|, s70
	s_or_b64 s[14:15], s[46:47], s[14:15]
                                        ; implicit-def: $vgpr50
	s_and_saveexec_b64 s[46:47], s[14:15]
	s_xor_b64 s[46:47], exec, s[46:47]
	s_cbranch_execz .LBB62_359
; %bb.342:                              ;   in Loop: Header=BB62_4 Depth=1
	v_mul_f32_e64 v50, |v42|, s63
	v_cmp_ge_f32_e64 s[14:15], |v11|, v50
                                        ; implicit-def: $vgpr50
	s_and_saveexec_b64 s[48:49], s[14:15]
	s_xor_b64 s[48:49], exec, s[48:49]
	s_cbranch_execz .LBB62_352
; %bb.343:                              ;   in Loop: Header=BB62_4 Depth=1
	v_cmp_neq_f32_e32 vcc, 0, v43
	v_mov_b32_e32 v50, v45
	s_and_saveexec_b64 s[14:15], vcc
	s_cbranch_execz .LBB62_345
; %bb.344:                              ;   in Loop: Header=BB62_4 Depth=1
	v_mul_f32_e32 v50, v11, v11
	v_add_f32_e32 v43, v43, v46
	v_div_scale_f32 v46, s[50:51], v43, v43, v50
	v_div_scale_f32 v51, vcc, v50, v43, v50
	v_rcp_f32_e32 v52, v46
	v_fma_f32 v53, -v46, v52, 1.0
	v_fmac_f32_e32 v52, v53, v52
	v_mul_f32_e32 v53, v51, v52
	v_fma_f32 v54, -v46, v53, v51
	v_fmac_f32_e32 v53, v54, v52
	v_fma_f32 v46, -v46, v53, v51
	v_div_fmas_f32 v46, v46, v52, v53
	v_div_fixup_f32 v50, v46, v43, v50
.LBB62_345:                             ;   in Loop: Header=BB62_4 Depth=1
	s_or_b64 exec, exec, s[14:15]
	v_cmp_ngt_f32_e32 vcc, 0, v42
	s_and_saveexec_b64 s[14:15], vcc
	s_xor_b64 s[14:15], exec, s[14:15]
	s_cbranch_execz .LBB62_349
; %bb.346:                              ;   in Loop: Header=BB62_4 Depth=1
	v_cmp_neq_f32_e32 vcc, 0, v42
	s_and_saveexec_b64 s[50:51], vcc
	s_cbranch_execz .LBB62_348
; %bb.347:                              ;   in Loop: Header=BB62_4 Depth=1
	v_mul_f32_e32 v43, v11, v11
	v_add_f32_e32 v42, v42, v44
	v_div_scale_f32 v44, s[80:81], v42, v42, v43
	v_div_scale_f32 v45, vcc, v43, v42, v43
	v_rcp_f32_e32 v46, v44
	v_fma_f32 v51, -v44, v46, 1.0
	v_fmac_f32_e32 v46, v51, v46
	v_mul_f32_e32 v51, v45, v46
	v_fma_f32 v52, -v44, v51, v45
	v_fmac_f32_e32 v51, v52, v46
	v_fma_f32 v44, -v44, v51, v45
	v_div_fmas_f32 v44, v44, v46, v51
	v_div_fixup_f32 v45, v44, v42, v43
.LBB62_348:                             ;   in Loop: Header=BB62_4 Depth=1
	s_or_b64 exec, exec, s[50:51]
                                        ; implicit-def: $vgpr44
                                        ; implicit-def: $vgpr42
.LBB62_349:                             ;   in Loop: Header=BB62_4 Depth=1
	s_andn2_saveexec_b64 s[14:15], s[14:15]
; %bb.350:                              ;   in Loop: Header=BB62_4 Depth=1
	v_sub_f32_e32 v45, v44, v42
; %bb.351:                              ;   in Loop: Header=BB62_4 Depth=1
	s_or_b64 exec, exec, s[14:15]
	v_mul_f32_e32 v42, 0.5, v45
	v_fmac_f32_e32 v42, 0.5, v50
	v_add_f32_e64 v41, |v10|, v41
	v_mul_f32_e32 v41, v41, v42
	v_mul_f32_e32 v42, 0x4f800000, v41
	v_cmp_gt_f32_e32 vcc, s58, v41
	v_cndmask_b32_e32 v41, v41, v42, vcc
	v_sqrt_f32_e32 v42, v41
	v_add_u32_e32 v43, -1, v42
	v_fma_f32 v44, -v43, v42, v41
	v_cmp_ge_f32_e64 s[14:15], 0, v44
	v_add_u32_e32 v44, 1, v42
	v_cndmask_b32_e64 v43, v42, v43, s[14:15]
	v_fma_f32 v42, -v44, v42, v41
	v_cmp_lt_f32_e64 s[14:15], 0, v42
	v_cndmask_b32_e64 v42, v43, v44, s[14:15]
	v_mul_f32_e32 v43, 0x37800000, v42
	v_cndmask_b32_e32 v42, v42, v43, vcc
	v_cmp_class_f32_e32 vcc, v41, v22
	v_cndmask_b32_e32 v50, v42, v41, vcc
                                        ; implicit-def: $vgpr43
                                        ; implicit-def: $vgpr42
.LBB62_352:                             ;   in Loop: Header=BB62_4 Depth=1
	s_andn2_saveexec_b64 s[48:49], s[48:49]
	s_cbranch_execz .LBB62_358
; %bb.353:                              ;   in Loop: Header=BB62_4 Depth=1
	v_cmp_ngt_f32_e64 s[14:15], |v10|, 1.0
                                        ; implicit-def: $vgpr50
	s_and_saveexec_b64 s[50:51], s[14:15]
	s_xor_b64 s[50:51], exec, s[50:51]
	s_cbranch_execz .LBB62_355
; %bb.354:                              ;   in Loop: Header=BB62_4 Depth=1
	v_sub_f32_e64 v41, 1.0, |v10|
	v_mul_f32_e32 v41, v41, v43
	v_mul_f32_e32 v42, 0x4f800000, v41
	v_cmp_gt_f32_e32 vcc, s58, v41
	v_cndmask_b32_e32 v41, v41, v42, vcc
	v_sqrt_f32_e32 v42, v41
	v_add_u32_e32 v43, -1, v42
	v_fma_f32 v45, -v43, v42, v41
	v_add_u32_e32 v44, 1, v42
	v_cmp_ge_f32_e64 s[14:15], 0, v45
	v_cndmask_b32_e64 v43, v42, v43, s[14:15]
	v_fma_f32 v42, -v44, v42, v41
	v_cmp_lt_f32_e64 s[14:15], 0, v42
	v_cndmask_b32_e64 v42, v43, v44, s[14:15]
	v_mul_f32_e32 v43, 0x37800000, v42
	v_cndmask_b32_e32 v42, v42, v43, vcc
	v_cmp_class_f32_e32 vcc, v41, v22
	v_cndmask_b32_e32 v50, v42, v41, vcc
                                        ; implicit-def: $vgpr43
                                        ; implicit-def: $vgpr42
.LBB62_355:                             ;   in Loop: Header=BB62_4 Depth=1
	s_andn2_saveexec_b64 s[50:51], s[50:51]
	s_cbranch_execz .LBB62_357
; %bb.356:                              ;   in Loop: Header=BB62_4 Depth=1
	v_mul_f32_e32 v41, v43, v42
	v_mul_f32_e32 v42, 0x4f800000, v41
	v_cmp_gt_f32_e32 vcc, s58, v41
	v_cndmask_b32_e32 v41, v41, v42, vcc
	v_sqrt_f32_e32 v42, v41
	v_mul_f32_e64 v43, |v11|, s71
	v_mul_f32_e64 v43, |v10|, v43
	v_add_u32_e32 v44, -1, v42
	v_fma_f32 v45, -v44, v42, v41
	v_cmp_ge_f32_e64 s[14:15], 0, v45
	v_add_u32_e32 v45, 1, v42
	v_cndmask_b32_e64 v44, v42, v44, s[14:15]
	v_fma_f32 v42, -v45, v42, v41
	v_cmp_lt_f32_e64 s[14:15], 0, v42
	v_cndmask_b32_e64 v42, v44, v45, s[14:15]
	v_mul_f32_e32 v44, 0x37800000, v42
	v_cndmask_b32_e32 v42, v42, v44, vcc
	v_cmp_class_f32_e32 vcc, v41, v22
	v_cndmask_b32_e32 v41, v42, v41, vcc
	v_div_scale_f32 v42, s[14:15], v41, v41, v43
	v_div_scale_f32 v44, vcc, v43, v41, v43
	v_rcp_f32_e32 v45, v42
	v_fma_f32 v46, -v42, v45, 1.0
	v_fmac_f32_e32 v45, v46, v45
	v_mul_f32_e32 v46, v44, v45
	v_fma_f32 v49, -v42, v46, v44
	v_fmac_f32_e32 v46, v49, v45
	v_fma_f32 v42, -v42, v46, v44
	v_div_fmas_f32 v42, v42, v45, v46
	v_mul_f32_e64 v49, |v10|, s71
	v_div_fixup_f32 v50, v42, v41, v43
.LBB62_357:                             ;   in Loop: Header=BB62_4 Depth=1
	s_or_b64 exec, exec, s[50:51]
.LBB62_358:                             ;   in Loop: Header=BB62_4 Depth=1
	s_or_b64 exec, exec, s[48:49]
                                        ; implicit-def: $vgpr41
.LBB62_359:                             ;   in Loop: Header=BB62_4 Depth=1
	s_andn2_saveexec_b64 s[46:47], s[46:47]
	s_cbranch_execz .LBB62_361
; %bb.360:                              ;   in Loop: Header=BB62_4 Depth=1
	v_mul_f32_e64 v42, |v11|, s59
	v_cmp_lt_f32_e64 vcc, |v11|, s58
	v_cndmask_b32_e64 v42, |v11|, v42, vcc
	v_sqrt_f32_e32 v43, v42
	v_add_f32_e32 v41, 1.0, v41
	v_mul_f32_e32 v41, 0.5, v41
	v_mov_b32_e32 v49, 1.0
	v_add_u32_e32 v44, -1, v43
	v_fma_f32 v46, -v44, v43, v42
	v_add_u32_e32 v45, 1, v43
	v_cmp_ge_f32_e64 s[14:15], 0, v46
	v_cndmask_b32_e64 v44, v43, v44, s[14:15]
	v_fma_f32 v43, -v45, v43, v42
	v_cmp_lt_f32_e64 s[14:15], 0, v43
	v_cndmask_b32_e64 v43, v44, v45, s[14:15]
	v_mul_f32_e32 v44, 0x37800000, v43
	v_cndmask_b32_e32 v43, v43, v44, vcc
	v_mul_f32_e32 v44, 0x4f800000, v41
	v_cmp_gt_f32_e32 vcc, s58, v41
	v_cndmask_b32_e32 v41, v41, v44, vcc
	v_sqrt_f32_e32 v44, v41
	v_cmp_class_f32_e64 s[14:15], v42, v22
	v_cndmask_b32_e64 v42, v43, v42, s[14:15]
	v_add_u32_e32 v43, -1, v44
	v_fma_f32 v45, -v43, v44, v41
	v_cmp_ge_f32_e64 s[14:15], 0, v45
	v_add_u32_e32 v45, 1, v44
	v_cndmask_b32_e64 v43, v44, v43, s[14:15]
	v_fma_f32 v44, -v45, v44, v41
	v_cmp_lt_f32_e64 s[14:15], 0, v44
	v_cndmask_b32_e64 v43, v43, v45, s[14:15]
	v_mul_f32_e32 v44, 0x37800000, v43
	v_cndmask_b32_e32 v43, v43, v44, vcc
	v_cmp_class_f32_e32 vcc, v41, v22
	v_cndmask_b32_e32 v41, v43, v41, vcc
	v_mul_f32_e32 v50, v42, v41
.LBB62_361:                             ;   in Loop: Header=BB62_4 Depth=1
	s_or_b64 exec, exec, s[46:47]
	s_mov_b64 s[14:15], exec
.LBB62_362:                             ;   in Loop: Header=BB62_4 Depth=1
	s_or_b64 exec, exec, s[44:45]
                                        ; implicit-def: $vgpr41
.LBB62_363:                             ;   in Loop: Header=BB62_4 Depth=1
	s_andn2_saveexec_b64 s[42:43], s[42:43]
; %bb.364:                              ;   in Loop: Header=BB62_4 Depth=1
	v_mul_f32_e32 v50, 0x4b800000, v41
	v_mul_f32_e64 v49, |v10|, s72
	s_or_b64 s[14:15], s[14:15], exec
                                        ; implicit-def: $vgpr48
; %bb.365:                              ;   in Loop: Header=BB62_4 Depth=1
	s_or_b64 exec, exec, s[42:43]
	s_xor_b64 s[14:15], s[14:15], -1
                                        ; implicit-def: $vgpr41
	s_and_saveexec_b64 s[42:43], s[14:15]
	s_xor_b64 s[14:15], exec, s[42:43]
	s_cbranch_execz .LBB62_367
; %bb.366:                              ;   in Loop: Header=BB62_4 Depth=1
	v_fma_f32 v41, |v48|, -0.5, 0.5
	v_mul_f32_e32 v42, v48, v48
	v_cmp_ge_f32_e64 vcc, |v48|, 0.5
	v_cndmask_b32_e32 v41, v42, v41, vcc
	v_mov_b32_e32 v42, 0x3c5fc5da
	v_fmac_f32_e32 v42, 0x3d1c21a7, v41
	v_fma_f32 v42, v41, v42, v24
	v_fma_f32 v42, v41, v42, v25
	v_sqrt_f32_e32 v43, v41
	v_fma_f32 v42, v41, v42, v26
	v_fma_f32 v42, v41, v42, v27
	v_mul_f32_e32 v41, v41, v42
	v_fmac_f32_e32 v43, v43, v41
	v_add_f32_e32 v42, v43, v43
	v_sub_f32_e32 v42, 0x3fc90fdb, v42
	v_fma_f32 v41, |v48|, v41, |v48|
	v_cmp_lt_f32_e64 vcc, |v48|, 0.5
	v_cndmask_b32_e32 v41, v42, v41, vcc
	v_bfi_b32 v41, s55, v41, v48
                                        ; implicit-def: $vgpr49
                                        ; implicit-def: $vgpr50
.LBB62_367:                             ;   in Loop: Header=BB62_4 Depth=1
	s_andn2_saveexec_b64 s[42:43], s[14:15]
	s_cbranch_execz .LBB62_369
; %bb.368:                              ;   in Loop: Header=BB62_4 Depth=1
	v_max_f32_e32 v41, v49, v49
	v_max_f32_e64 v42, |v50|, |v50|
	v_min_f32_e32 v43, v42, v41
	v_max_f32_e32 v41, v42, v41
	v_frexp_mant_f32_e32 v42, v41
	v_rcp_f32_e32 v42, v42
	v_frexp_exp_i32_f32_e32 v41, v41
	v_frexp_exp_i32_f32_e32 v44, v43
	v_frexp_mant_f32_e32 v43, v43
	v_mul_f32_e32 v42, v43, v42
	v_sub_u32_e32 v41, v44, v41
	v_ldexp_f32 v41, v42, v41
	v_mul_f32_e32 v42, v41, v41
	v_mov_b32_e32 v43, 0xbc7a590c
	v_fmac_f32_e32 v43, 0x3b2d2a58, v42
	v_fma_f32 v43, v42, v43, v28
	v_fma_f32 v43, v42, v43, v29
	;; [unrolled: 1-line block ×6, first 2 shown]
	v_mul_f32_e32 v42, v42, v43
	v_fmac_f32_e32 v41, v41, v42
	v_sub_f32_e32 v42, 0x3fc90fdb, v41
	v_cmp_gt_f32_e64 vcc, v49, |v50|
	v_cndmask_b32_e32 v41, v41, v42, vcc
	v_sub_f32_e32 v42, 0x40490fdb, v41
	v_cmp_gt_f32_e32 vcc, 0, v50
	v_cmp_gt_i32_e64 s[14:15], 0, v50
	v_cndmask_b32_e32 v41, v41, v42, vcc
	v_cndmask_b32_e64 v42, 0, v38, s[14:15]
	v_cndmask_b32_e32 v43, v39, v40, vcc
	v_cmp_class_f32_e64 s[44:45], v50, s73
	v_cmp_eq_f32_e32 vcc, s56, v49
	v_cmp_eq_f32_e64 s[14:15], 0, v49
	v_cndmask_b32_e64 v41, |v41|, v42, s[14:15]
	s_and_b64 vcc, vcc, s[44:45]
	v_cndmask_b32_e32 v41, v41, v43, vcc
	v_cmp_o_f32_e32 vcc, v50, v50
	v_cndmask_b32_e32 v41, v36, v41, vcc
.LBB62_369:                             ;   in Loop: Header=BB62_4 Depth=1
	s_or_b64 exec, exec, s[42:43]
	v_bfi_b32 v11, s55, v47, v11
	v_bfi_b32 v10, s55, v41, v10
.LBB62_370:                             ;   in Loop: Header=BB62_4 Depth=1
	s_or_b64 exec, exec, s[40:41]
.LBB62_371:                             ;   in Loop: Header=BB62_4 Depth=1
	s_or_b64 exec, exec, s[38:39]
                                        ; implicit-def: $vgpr41
                                        ; implicit-def: $vgpr44
                                        ; implicit-def: $vgpr43
.LBB62_372:                             ;   in Loop: Header=BB62_4 Depth=1
	s_andn2_saveexec_b64 s[38:39], s[16:17]
	s_cbranch_execz .LBB62_394
; %bb.373:                              ;   in Loop: Header=BB62_4 Depth=1
	v_cmp_lt_i32_e32 vcc, -1, v11
                                        ; implicit-def: $sgpr40_sgpr41
                                        ; implicit-def: $vgpr42
                                        ; implicit-def: $vgpr45
	s_and_saveexec_b64 s[14:15], vcc
	s_xor_b64 s[42:43], exec, s[14:15]
	s_cbranch_execz .LBB62_383
; %bb.374:                              ;   in Loop: Header=BB62_4 Depth=1
	v_cmp_lt_f32_e64 s[14:15], |v11|, |v10|
	v_cndmask_b32_e64 v46, |v11|, |v10|, s[14:15]
	v_cmp_nlt_f32_e32 vcc, s74, v46
                                        ; implicit-def: $vgpr42
                                        ; implicit-def: $vgpr45
	s_and_saveexec_b64 s[16:17], vcc
	s_xor_b64 s[40:41], exec, s[16:17]
	s_cbranch_execz .LBB62_380
; %bb.375:                              ;   in Loop: Header=BB62_4 Depth=1
	v_cndmask_b32_e64 v47, |v10|, |v11|, s[14:15]
	v_cmp_nlt_f32_e32 vcc, s75, v46
	v_cmp_ngt_f32_e64 s[16:17], s76, v47
	s_and_b64 s[16:17], vcc, s[16:17]
                                        ; implicit-def: $vgpr42
                                        ; implicit-def: $vgpr45
	s_and_saveexec_b64 s[44:45], s[16:17]
	s_xor_b64 s[16:17], exec, s[44:45]
	s_cbranch_execz .LBB62_377
; %bb.376:                              ;   in Loop: Header=BB62_4 Depth=1
	v_mul_f32_e32 v42, v47, v47
	v_fmac_f32_e32 v42, v46, v46
	v_cmp_gt_f32_e32 vcc, s60, v42
	v_cndmask_b32_e64 v45, 0, 32, vcc
	v_ldexp_f32 v42, v42, v45
	v_log_f32_e32 v42, v42
	s_waitcnt lgkmcnt(0)
	v_min_f32_e32 v41, v44, v41
	v_frexp_mant_f32_e32 v44, v43
	v_rcp_f32_e32 v44, v44
	v_mul_f32_e32 v46, 0x3f317217, v42
	v_fma_f32 v46, v42, s61, -v46
	v_fmac_f32_e32 v46, 0x3377d1cf, v42
	v_cndmask_b32_e32 v45, 0, v35, vcc
	v_fmac_f32_e32 v46, 0x3f317217, v42
	v_cmp_lt_f32_e64 vcc, |v42|, s56
	v_cndmask_b32_e32 v42, v42, v46, vcc
	v_sub_f32_e32 v42, v42, v45
	v_frexp_exp_i32_f32_e32 v43, v43
	v_frexp_exp_i32_f32_e32 v45, v41
	v_frexp_mant_f32_e32 v41, v41
	v_mul_f32_e32 v41, v41, v44
	v_sub_u32_e32 v43, v45, v43
	v_ldexp_f32 v45, v41, v43
	v_mul_f32_e32 v41, v45, v45
	v_mov_b32_e32 v43, 0xbc7a590c
	v_fmac_f32_e32 v43, 0x3b2d2a58, v41
	v_fma_f32 v43, v41, v43, v28
	v_fma_f32 v43, v41, v43, v29
	v_fma_f32 v43, v41, v43, v30
	v_fma_f32 v43, v41, v43, v31
	v_fma_f32 v43, v41, v43, v32
	v_fma_f32 v43, v41, v43, v33
	v_mul_f32_e32 v41, v41, v43
	v_mul_f32_e32 v42, 0.5, v42
	v_fmac_f32_e32 v45, v45, v41
                                        ; implicit-def: $vgpr43
                                        ; implicit-def: $vgpr44
                                        ; implicit-def: $vgpr41
.LBB62_377:                             ;   in Loop: Header=BB62_4 Depth=1
	s_andn2_saveexec_b64 s[16:17], s[16:17]
	s_cbranch_execz .LBB62_379
; %bb.378:                              ;   in Loop: Header=BB62_4 Depth=1
	v_cvt_f64_f32_e32 v[45:46], v43
	v_cmp_neq_f32_e32 vcc, s56, v43
	s_waitcnt lgkmcnt(0)
	v_min_f32_e32 v41, v44, v41
	v_frexp_exp_i32_f32_e32 v44, v43
	v_frexp_exp_i32_f64_e32 v42, v[45:46]
	v_frexp_mant_f32_e32 v45, v43
	v_rcp_f32_e32 v45, v45
	v_frexp_exp_i32_f32_e32 v47, v41
	v_frexp_mant_f32_e32 v41, v41
	v_sub_u32_e32 v44, v47, v44
	v_mul_f32_e32 v41, v41, v45
	v_ldexp_f32 v45, v41, v44
	v_sub_u32_e32 v48, 0, v42
	v_ldexp_f32 v49, |v11|, v48
	v_ldexp_f32 v48, |v10|, v48
	v_mul_f32_e32 v48, v48, v48
	v_fmac_f32_e32 v48, v49, v49
	v_sqrt_f32_e32 v48, v48
	v_mov_b32_e32 v46, 0xbc7a590c
	v_mul_f32_e32 v41, v45, v45
	v_fmac_f32_e32 v46, 0x3b2d2a58, v41
	v_ldexp_f32 v42, v48, v42
	v_cndmask_b32_e32 v42, v34, v42, vcc
	v_cmp_gt_f32_e32 vcc, s60, v42
	v_cndmask_b32_e64 v43, 0, 32, vcc
	v_ldexp_f32 v42, v42, v43
	v_log_f32_e32 v42, v42
	v_cndmask_b32_e32 v43, 0, v35, vcc
	v_mul_f32_e32 v44, 0x3f317217, v42
	v_fma_f32 v44, v42, s61, -v44
	v_fmac_f32_e32 v44, 0x3377d1cf, v42
	v_fmac_f32_e32 v44, 0x3f317217, v42
	v_cmp_lt_f32_e64 vcc, |v42|, s56
	v_cndmask_b32_e32 v42, v42, v44, vcc
	v_sub_f32_e32 v42, v42, v43
	v_fma_f32 v43, v41, v46, v28
	v_fma_f32 v43, v41, v43, v29
	;; [unrolled: 1-line block ×6, first 2 shown]
	v_mul_f32_e32 v41, v41, v43
	v_fmac_f32_e32 v45, v45, v41
.LBB62_379:                             ;   in Loop: Header=BB62_4 Depth=1
	s_or_b64 exec, exec, s[16:17]
                                        ; implicit-def: $vgpr44
                                        ; implicit-def: $vgpr41
                                        ; implicit-def: $vgpr43
.LBB62_380:                             ;   in Loop: Header=BB62_4 Depth=1
	s_andn2_saveexec_b64 s[40:41], s[40:41]
	s_cbranch_execz .LBB62_382
; %bb.381:                              ;   in Loop: Header=BB62_4 Depth=1
	v_div_scale_f32 v42, s[16:17], s77, s77, v11
	v_div_scale_f32 v45, s[16:17], s77, s77, v10
	v_div_scale_f32 v46, vcc, v11, s77, v11
	v_div_scale_f32 v47, s[16:17], v10, s77, v10
	s_waitcnt lgkmcnt(0)
	v_min_f32_e32 v44, v44, v41
	v_rcp_f32_e32 v48, v42
	v_rcp_f32_e32 v49, v45
	v_fma_f32 v50, -v42, v48, 1.0
	v_fmac_f32_e32 v48, v50, v48
	v_fma_f32 v51, -v45, v49, 1.0
	v_fmac_f32_e32 v49, v51, v49
	v_mul_f32_e32 v50, v46, v48
	v_mul_f32_e32 v51, v47, v49
	v_fma_f32 v52, -v42, v50, v46
	v_fma_f32 v53, -v45, v51, v47
	v_fmac_f32_e32 v50, v52, v48
	v_fmac_f32_e32 v51, v53, v49
	v_fma_f32 v42, -v42, v50, v46
	v_fma_f32 v45, -v45, v51, v47
	v_div_fmas_f32 v42, v42, v48, v50
	s_mov_b64 vcc, s[16:17]
	v_div_fmas_f32 v45, v45, v49, v51
	v_frexp_exp_i32_f32_e32 v46, v43
	v_frexp_mant_f32_e32 v43, v43
	v_rcp_f32_e32 v43, v43
	v_mov_b32_e32 v47, 0xbc7a590c
	v_div_fixup_f32 v48, v42, s77, v11
	v_div_fixup_f32 v49, v45, s77, v10
	v_max_f32_e64 v50, v48, |v49|
	v_cvt_f64_f32_e32 v[41:42], v50
	v_frexp_exp_i32_f32_e32 v45, v44
	v_frexp_mant_f32_e32 v44, v44
	v_mul_f32_e32 v43, v44, v43
	v_frexp_exp_i32_f64_e32 v41, v[41:42]
	v_sub_u32_e32 v42, v45, v46
	v_cmp_neq_f32_e32 vcc, s56, v50
	v_ldexp_f32 v45, v43, v42
	v_mul_f32_e32 v42, v45, v45
	v_fmac_f32_e32 v47, 0x3b2d2a58, v42
	v_fma_f32 v43, v42, v47, v28
	v_fma_f32 v43, v42, v43, v29
	v_sub_u32_e32 v44, 0, v41
	v_ldexp_f32 v46, v48, v44
	v_ldexp_f32 v44, |v49|, v44
	v_mul_f32_e32 v44, v44, v44
	v_fmac_f32_e32 v44, v46, v46
	v_sqrt_f32_e32 v44, v44
	v_fma_f32 v43, v42, v43, v30
	v_fma_f32 v43, v42, v43, v31
	v_fma_f32 v43, v42, v43, v32
	v_ldexp_f32 v41, v44, v41
	v_cndmask_b32_e32 v41, v34, v41, vcc
	v_cmp_gt_f32_e32 vcc, s60, v41
	v_cndmask_b32_e64 v44, 0, 32, vcc
	v_ldexp_f32 v41, v41, v44
	v_log_f32_e32 v41, v41
	v_fma_f32 v43, v42, v43, v33
	v_mul_f32_e32 v43, v42, v43
	v_cndmask_b32_e32 v42, 0, v35, vcc
	v_mul_f32_e32 v44, 0x3f317217, v41
	v_fma_f32 v44, v41, s61, -v44
	v_fmac_f32_e32 v44, 0x3377d1cf, v41
	v_fmac_f32_e32 v44, 0x3f317217, v41
	v_cmp_lt_f32_e64 vcc, |v41|, s56
	v_cndmask_b32_e32 v41, v41, v44, vcc
	v_sub_f32_e32 v41, v41, v42
	v_add_f32_e32 v42, 1.0, v41
	v_fmac_f32_e32 v45, v45, v43
.LBB62_382:                             ;   in Loop: Header=BB62_4 Depth=1
	s_or_b64 exec, exec, s[40:41]
	s_waitcnt lgkmcnt(0)
	v_sub_f32_e32 v41, 0x3fc90fdb, v45
	v_cndmask_b32_e64 v41, v45, v41, s[14:15]
	v_cmp_neq_f32_e32 vcc, 0, v10
	v_cndmask_b32_e32 v45, 0, v41, vcc
	v_cmp_class_f32_e64 s[40:41], v11, s73
                                        ; implicit-def: $vgpr41
.LBB62_383:                             ;   in Loop: Header=BB62_4 Depth=1
	s_andn2_saveexec_b64 s[42:43], s[42:43]
	s_cbranch_execz .LBB62_393
; %bb.384:                              ;   in Loop: Header=BB62_4 Depth=1
	v_cmp_gt_f32_e64 s[14:15], |v10|, -v11
	v_cndmask_b32_e64 v44, -v11, |v10|, s[14:15]
	v_cmp_nlt_f32_e32 vcc, s74, v44
                                        ; implicit-def: $vgpr42
                                        ; implicit-def: $vgpr43
	s_and_saveexec_b64 s[16:17], vcc
	s_xor_b64 s[44:45], exec, s[16:17]
	s_cbranch_execz .LBB62_390
; %bb.385:                              ;   in Loop: Header=BB62_4 Depth=1
	v_xor_b32_e32 v42, 0x80000000, v11
	v_cndmask_b32_e64 v45, |v10|, v42, s[14:15]
	v_cmp_nlt_f32_e32 vcc, s75, v44
	v_cmp_ngt_f32_e64 s[16:17], s76, v45
	s_and_b64 s[16:17], vcc, s[16:17]
                                        ; implicit-def: $vgpr42
                                        ; implicit-def: $vgpr43
	s_and_saveexec_b64 s[46:47], s[16:17]
	s_xor_b64 s[16:17], exec, s[46:47]
	s_cbranch_execz .LBB62_387
; %bb.386:                              ;   in Loop: Header=BB62_4 Depth=1
	v_mul_f32_e32 v42, v45, v45
	v_fmac_f32_e32 v42, v44, v44
	v_cmp_gt_f32_e32 vcc, s60, v42
	v_cndmask_b32_e64 v43, 0, 32, vcc
	v_ldexp_f32 v42, v42, v43
	v_log_f32_e32 v42, v42
	v_cndmask_b32_e32 v43, 0, v35, vcc
	v_mul_f32_e32 v44, 0x3f317217, v42
	v_fma_f32 v44, v42, s61, -v44
	v_fmac_f32_e32 v44, 0x3377d1cf, v42
	v_fmac_f32_e32 v44, 0x3f317217, v42
	v_cmp_lt_f32_e64 vcc, |v42|, s56
	v_cndmask_b32_e32 v42, v42, v44, vcc
	v_sub_f32_e32 v42, v42, v43
	v_max_f32_e64 v43, -v11, -v11
	s_waitcnt lgkmcnt(0)
	v_min_f32_e32 v44, v43, v41
	v_max_f32_e32 v41, v43, v41
	v_frexp_mant_f32_e32 v43, v41
	v_rcp_f32_e32 v43, v43
	v_frexp_exp_i32_f32_e32 v41, v41
	v_frexp_exp_i32_f32_e32 v45, v44
	v_frexp_mant_f32_e32 v44, v44
	v_mul_f32_e32 v43, v44, v43
	v_sub_u32_e32 v41, v45, v41
	v_ldexp_f32 v43, v43, v41
	v_mul_f32_e32 v41, v43, v43
	v_mov_b32_e32 v44, 0xbc7a590c
	v_fmac_f32_e32 v44, 0x3b2d2a58, v41
	v_fma_f32 v44, v41, v44, v28
	v_fma_f32 v44, v41, v44, v29
	;; [unrolled: 1-line block ×6, first 2 shown]
	v_mul_f32_e32 v41, v41, v44
	v_mul_f32_e32 v42, 0.5, v42
	v_fmac_f32_e32 v43, v43, v41
                                        ; implicit-def: $vgpr41
.LBB62_387:                             ;   in Loop: Header=BB62_4 Depth=1
	s_andn2_saveexec_b64 s[16:17], s[16:17]
	s_cbranch_execz .LBB62_389
; %bb.388:                              ;   in Loop: Header=BB62_4 Depth=1
	v_max_f32_e64 v44, -v11, -v11
	s_waitcnt lgkmcnt(0)
	v_max_f32_e32 v45, v44, v41
	v_cvt_f64_f32_e32 v[42:43], v45
	v_min_f32_e32 v41, v44, v41
	v_frexp_mant_f32_e32 v44, v45
	v_rcp_f32_e32 v44, v44
	v_frexp_exp_i32_f64_e32 v42, v[42:43]
	v_cmp_neq_f32_e32 vcc, s56, v45
	v_frexp_exp_i32_f32_e32 v47, v41
	v_frexp_mant_f32_e32 v41, v41
	v_mul_f32_e32 v41, v41, v44
	v_frexp_exp_i32_f32_e32 v43, v45
	v_sub_u32_e32 v43, v47, v43
	v_ldexp_f32 v43, v41, v43
	v_sub_u32_e32 v48, 0, v42
	v_ldexp_f32 v49, -v11, v48
	v_ldexp_f32 v48, |v10|, v48
	v_mul_f32_e32 v48, v48, v48
	v_fmac_f32_e32 v48, v49, v49
	v_sqrt_f32_e32 v48, v48
	v_mov_b32_e32 v46, 0xbc7a590c
	v_mul_f32_e32 v41, v43, v43
	v_fmac_f32_e32 v46, 0x3b2d2a58, v41
	v_ldexp_f32 v42, v48, v42
	v_cndmask_b32_e32 v42, v34, v42, vcc
	v_cmp_gt_f32_e32 vcc, s60, v42
	v_cndmask_b32_e64 v44, 0, 32, vcc
	v_ldexp_f32 v42, v42, v44
	v_log_f32_e32 v42, v42
	v_cndmask_b32_e32 v44, 0, v35, vcc
	v_mul_f32_e32 v45, 0x3f317217, v42
	v_fma_f32 v45, v42, s61, -v45
	v_fmac_f32_e32 v45, 0x3377d1cf, v42
	v_fmac_f32_e32 v45, 0x3f317217, v42
	v_cmp_lt_f32_e64 vcc, |v42|, s56
	v_cndmask_b32_e32 v42, v42, v45, vcc
	v_sub_f32_e32 v42, v42, v44
	v_fma_f32 v44, v41, v46, v28
	v_fma_f32 v44, v41, v44, v29
	;; [unrolled: 1-line block ×6, first 2 shown]
	v_mul_f32_e32 v41, v41, v44
	v_fmac_f32_e32 v43, v43, v41
.LBB62_389:                             ;   in Loop: Header=BB62_4 Depth=1
	s_or_b64 exec, exec, s[16:17]
                                        ; implicit-def: $vgpr41
.LBB62_390:                             ;   in Loop: Header=BB62_4 Depth=1
	s_andn2_saveexec_b64 s[44:45], s[44:45]
	s_cbranch_execz .LBB62_392
; %bb.391:                              ;   in Loop: Header=BB62_4 Depth=1
	v_div_scale_f32 v42, s[16:17], s78, s78, v11
	v_div_scale_f32 v43, s[16:17], s78, s78, v10
	v_div_scale_f32 v44, vcc, v11, s78, v11
	v_div_scale_f32 v45, s[16:17], v10, s78, v10
	v_rcp_f32_e32 v46, v42
	v_rcp_f32_e32 v47, v43
	v_fma_f32 v48, -v42, v46, 1.0
	v_fmac_f32_e32 v46, v48, v46
	v_fma_f32 v49, -v43, v47, 1.0
	v_fmac_f32_e32 v47, v49, v47
	v_mul_f32_e32 v48, v44, v46
	v_mul_f32_e32 v49, v45, v47
	v_fma_f32 v50, -v42, v48, v44
	v_fma_f32 v51, -v43, v49, v45
	v_fmac_f32_e32 v48, v50, v46
	v_fmac_f32_e32 v49, v51, v47
	v_fma_f32 v42, -v42, v48, v44
	v_fma_f32 v43, -v43, v49, v45
	v_div_fmas_f32 v42, v42, v46, v48
	s_mov_b64 vcc, s[16:17]
	v_div_fmas_f32 v43, v43, v47, v49
	v_max_f32_e64 v44, -v11, -v11
	s_waitcnt lgkmcnt(0)
	v_min_f32_e32 v46, v44, v41
	v_max_f32_e32 v41, v44, v41
	v_frexp_exp_i32_f32_e32 v44, v41
	v_frexp_mant_f32_e32 v47, v41
	v_rcp_f32_e32 v47, v47
	v_mov_b32_e32 v45, 0xbc7a590c
	v_div_fixup_f32 v48, v42, s78, v11
	v_div_fixup_f32 v49, v43, s78, v10
	v_max_f32_e64 v50, |v48|, |v49|
	v_cvt_f64_f32_e32 v[41:42], v50
	v_frexp_exp_i32_f32_e32 v43, v46
	v_frexp_mant_f32_e32 v46, v46
	v_cmp_neq_f32_e32 vcc, s56, v50
	v_frexp_exp_i32_f64_e32 v41, v[41:42]
	v_sub_u32_e32 v42, v43, v44
	v_mul_f32_e32 v43, v46, v47
	v_ldexp_f32 v43, v43, v42
	v_mul_f32_e32 v42, v43, v43
	v_fmac_f32_e32 v45, 0x3b2d2a58, v42
	v_fma_f32 v44, v42, v45, v28
	v_fma_f32 v44, v42, v44, v29
	v_sub_u32_e32 v45, 0, v41
	v_ldexp_f32 v46, |v48|, v45
	v_ldexp_f32 v45, |v49|, v45
	v_mul_f32_e32 v45, v45, v45
	v_fmac_f32_e32 v45, v46, v46
	v_sqrt_f32_e32 v45, v45
	v_fma_f32 v44, v42, v44, v30
	v_fma_f32 v44, v42, v44, v31
	;; [unrolled: 1-line block ×3, first 2 shown]
	v_ldexp_f32 v41, v45, v41
	v_cndmask_b32_e32 v41, v34, v41, vcc
	v_cmp_gt_f32_e32 vcc, s60, v41
	v_cndmask_b32_e64 v45, 0, 32, vcc
	v_ldexp_f32 v41, v41, v45
	v_log_f32_e32 v41, v41
	v_fma_f32 v44, v42, v44, v33
	v_mul_f32_e32 v44, v42, v44
	v_cndmask_b32_e32 v42, 0, v35, vcc
	v_mul_f32_e32 v45, 0x3f317217, v41
	v_fma_f32 v45, v41, s61, -v45
	v_fmac_f32_e32 v45, 0x3377d1cf, v41
	v_fmac_f32_e32 v45, 0x3f317217, v41
	v_cmp_lt_f32_e64 vcc, |v41|, s56
	v_cndmask_b32_e32 v41, v41, v45, vcc
	v_sub_f32_e32 v41, v41, v42
	v_add_f32_e32 v42, 1.0, v41
	v_fmac_f32_e32 v43, v43, v44
.LBB62_392:                             ;   in Loop: Header=BB62_4 Depth=1
	s_or_b64 exec, exec, s[44:45]
	s_waitcnt lgkmcnt(0)
	v_sub_f32_e32 v41, 0x3fc90fdb, v43
	v_cndmask_b32_e64 v41, v43, v41, s[14:15]
	v_cmp_neq_f32_e32 vcc, 0, v10
	v_cndmask_b32_e32 v45, 0, v41, vcc
	v_cmp_eq_f32_e32 vcc, s66, v11
	s_andn2_b64 s[14:15], s[40:41], exec
	s_and_b64 s[16:17], vcc, exec
	s_or_b64 s[40:41], s[14:15], s[16:17]
.LBB62_393:                             ;   in Loop: Header=BB62_4 Depth=1
	s_or_b64 exec, exec, s[42:43]
	v_cmp_class_f32_e64 s[14:15], v10, s73
	s_and_b64 vcc, s[14:15], s[40:41]
	s_waitcnt lgkmcnt(0)
	v_cndmask_b32_e32 v41, v45, v39, vcc
	v_add_f32_e32 v42, 0x3f317218, v42
	v_bfi_b32 v11, s55, v42, v11
	v_bfi_b32 v10, s55, v41, v10
.LBB62_394:                             ;   in Loop: Header=BB62_4 Depth=1
	s_or_b64 exec, exec, s[38:39]
	s_andn2_saveexec_b64 s[14:15], s[36:37]
	s_cbranch_execz .LBB62_308
.LBB62_395:                             ;   in Loop: Header=BB62_4 Depth=1
	v_cmp_neq_f32_e64 s[16:17], |v11|, s56
                                        ; implicit-def: $vgpr41
                                        ; implicit-def: $vgpr42
	s_and_saveexec_b64 s[36:37], s[16:17]
	s_xor_b64 s[16:17], exec, s[36:37]
	s_cbranch_execz .LBB62_405
; %bb.396:                              ;   in Loop: Header=BB62_4 Depth=1
	v_cmp_neq_f32_e64 s[36:37], |v10|, s56
                                        ; implicit-def: $vgpr41
                                        ; implicit-def: $vgpr42
	s_and_saveexec_b64 s[38:39], s[36:37]
	s_xor_b64 s[36:37], exec, s[38:39]
	s_cbranch_execz .LBB62_402
; %bb.397:                              ;   in Loop: Header=BB62_4 Depth=1
	v_cmp_neq_f32_e32 vcc, 0, v10
                                        ; implicit-def: $vgpr41
	s_and_saveexec_b64 s[38:39], vcc
	s_xor_b64 s[38:39], exec, s[38:39]
	s_cbranch_execz .LBB62_399
; %bb.398:                              ;   in Loop: Header=BB62_4 Depth=1
	v_add_f32_e32 v11, 0, v11
	s_waitcnt lgkmcnt(0)
	v_add_f32_e32 v41, v10, v11
                                        ; implicit-def: $vgpr11
.LBB62_399:                             ;   in Loop: Header=BB62_4 Depth=1
	s_or_saveexec_b64 s[38:39], s[38:39]
	s_waitcnt lgkmcnt(0)
	v_mov_b32_e32 v42, v41
	s_xor_b64 exec, exec, s[38:39]
; %bb.400:                              ;   in Loop: Header=BB62_4 Depth=1
	v_add_f32_e32 v42, v11, v11
	v_mov_b32_e32 v41, v10
; %bb.401:                              ;   in Loop: Header=BB62_4 Depth=1
	s_or_b64 exec, exec, s[38:39]
                                        ; implicit-def: $vgpr11
.LBB62_402:                             ;   in Loop: Header=BB62_4 Depth=1
	s_andn2_saveexec_b64 s[36:37], s[36:37]
	s_cbranch_execz .LBB62_404
; %bb.403:                              ;   in Loop: Header=BB62_4 Depth=1
	s_waitcnt lgkmcnt(0)
	v_add_f32_e32 v41, v11, v11
	v_mov_b32_e32 v42, v10
.LBB62_404:                             ;   in Loop: Header=BB62_4 Depth=1
	s_or_b64 exec, exec, s[36:37]
                                        ; implicit-def: $vgpr10
.LBB62_405:                             ;   in Loop: Header=BB62_4 Depth=1
	s_andn2_saveexec_b64 s[16:17], s[16:17]
	s_cbranch_execz .LBB62_407
; %bb.406:                              ;   in Loop: Header=BB62_4 Depth=1
	s_waitcnt lgkmcnt(0)
	v_add_f32_e32 v41, v10, v10
	v_mov_b32_e32 v42, v11
.LBB62_407:                             ;   in Loop: Header=BB62_4 Depth=1
	s_or_b64 exec, exec, s[16:17]
	v_mov_b32_e32 v11, v42
	s_waitcnt lgkmcnt(0)
	v_mov_b32_e32 v10, v41
	s_or_b64 exec, exec, s[14:15]
	s_and_saveexec_b64 s[14:15], s[6:7]
	s_xor_b64 s[6:7], exec, s[14:15]
	s_cbranch_execz .LBB62_309
.LBB62_408:                             ;   in Loop: Header=BB62_4 Depth=1
	v_mov_b32_e32 v42, s35
	s_waitcnt lgkmcnt(0)
	v_add_co_u32_e32 v41, vcc, s34, v1
	v_addc_co_u32_e32 v42, vcc, 0, v42, vcc
	global_store_dwordx2 v[41:42], v[6:7], off
	s_or_b64 exec, exec, s[6:7]
	s_and_saveexec_b64 s[6:7], s[8:9]
	s_cbranch_execz .LBB62_310
.LBB62_409:                             ;   in Loop: Header=BB62_4 Depth=1
	v_mov_b32_e32 v7, s35
	v_add_co_u32_e32 v6, vcc, s34, v16
	v_addc_co_u32_e32 v7, vcc, 0, v7, vcc
	global_store_dwordx2 v[6:7], v[8:9], off
	s_or_b64 exec, exec, s[6:7]
	s_and_saveexec_b64 s[6:7], s[10:11]
	s_cbranch_execz .LBB62_311
.LBB62_410:                             ;   in Loop: Header=BB62_4 Depth=1
	v_mov_b32_e32 v7, s35
	v_add_co_u32_e32 v6, vcc, s34, v18
	v_addc_co_u32_e32 v7, vcc, v7, v17, vcc
	global_store_dwordx2 v[6:7], v[4:5], off offset:-4
	s_or_b64 exec, exec, s[6:7]
	s_and_saveexec_b64 s[6:7], s[12:13]
	s_cbranch_execz .LBB62_3
.LBB62_411:                             ;   in Loop: Header=BB62_4 Depth=1
	v_mov_b32_e32 v5, s35
	v_add_co_u32_e32 v4, vcc, s34, v2
	v_addc_co_u32_e32 v5, vcc, v5, v3, vcc
	global_store_dwordx2 v[4:5], v[10:11], off offset:-4
	s_branch .LBB62_3
.LBB62_412:
	s_cbranch_execz .LBB62_414
	s_branch .LBB62_809
.LBB62_413:
.LBB62_414:
	v_mov_b32_e32 v1, 0x10000
	v_mov_b32_e32 v2, 0
	v_cmp_lt_i64_e32 vcc, s[20:21], v[1:2]
	v_mov_b32_e32 v2, 0
	s_and_b64 s[6:7], vcc, exec
	s_cselect_b32 s9, s21, 0
	s_cselect_b32 s8, s20, 0x10000
	v_lshlrev_b32_e32 v1, 2, v0
	v_cmp_gt_i64_e32 vcc, s[8:9], v[1:2]
	s_and_saveexec_b64 s[6:7], vcc
	s_cbranch_execz .LBB62_809
; %bb.415:
	s_mov_b64 s[10:11], src_private_base
	s_add_u32 s12, s4, 0xd30
	v_mov_b32_e32 v1, v2
	s_addc_u32 s13, s5, 0
	s_mov_b32 s10, 0
	s_mov_b32 s14, 4
	;; [unrolled: 1-line block ×3, first 2 shown]
	s_mov_b64 s[16:17], 0
	v_mov_b32_e32 v16, s19
	s_mov_b32 s19, 0x4b000000
	v_mov_b32_e32 v17, 0xd800000
	s_mov_b32 s33, 0x395db3d7
	s_brev_b32 s38, -2
	s_mov_b32 s39, 0x7f800000
	s_mov_b32 s40, 0x41200000
	s_mov_b32 s41, 0xf800000
	s_mov_b32 s42, 0x4f800000
	v_mov_b32_e32 v18, 0x260
	s_mov_b32 s43, 0x800000
	s_mov_b32 s44, 0x3f317217
	;; [unrolled: 1-line block ×3, first 2 shown]
	s_brev_b32 s46, 44
	s_mov_b32 s47, 0x3f2aaaab
	v_mov_b32_e32 v19, 0x3f2aaada
	s_mov_b32 s48, 0x3f317218
	s_mov_b32 s49, 0xff800000
	;; [unrolled: 1-line block ×8, first 2 shown]
	v_mov_b32_e32 v20, 0x3d034c3c
	v_mov_b32_e32 v21, 0x3d3641b1
	;; [unrolled: 1-line block ×10, first 2 shown]
	s_movk_i32 s56, 0x204
	s_mov_b32 s57, 0x7effffff
	s_mov_b32 s58, 0x5e000000
	s_brev_b32 s59, 4
	s_mov_b32 s60, 0x402df854
	s_mov_b32 s61, 0xc02df854
	v_mov_b32_e32 v30, 0x7f800000
	v_mov_b32_e32 v31, 0x41b17218
	;; [unrolled: 1-line block ×7, first 2 shown]
	s_branch .LBB62_418
.LBB62_416:                             ;   in Loop: Header=BB62_418 Depth=1
	s_or_b64 exec, exec, s[6:7]
.LBB62_417:                             ;   in Loop: Header=BB62_418 Depth=1
	s_or_b64 exec, exec, s[4:5]
	global_store_dwordx4 v[14:15], v[6:9], off
	global_store_dwordx4 v[14:15], v[10:13], off offset:16
	s_load_dword s4, s[12:13], 0xc
	s_waitcnt lgkmcnt(0)
	s_and_b32 s4, s4, 0xffff
	v_add_co_u32_e32 v0, vcc, s4, v0
	v_addc_co_u32_e32 v1, vcc, 0, v1, vcc
	v_lshlrev_b64 v[2:3], 2, v[0:1]
	v_cmp_le_i64_e32 vcc, s[8:9], v[2:3]
	s_or_b64 s[16:17], vcc, s[16:17]
	s_andn2_b64 exec, exec, s[16:17]
	s_cbranch_execz .LBB62_809
.LBB62_418:                             ; =>This Inner Loop Header: Depth=1
	v_lshlrev_b64 v[2:3], 5, v[0:1]
                                        ; implicit-def: $vgpr6
	v_add_co_u32_e32 v14, vcc, s18, v2
	v_addc_co_u32_e32 v15, vcc, v16, v3, vcc
	global_load_dwordx4 v[10:13], v[14:15], off
	global_load_dwordx4 v[2:5], v[14:15], off offset:16
	s_waitcnt vmcnt(0)
	v_cmp_o_f32_e32 vcc, v11, v10
	s_and_saveexec_b64 s[4:5], vcc
	s_xor_b64 s[20:21], exec, s[4:5]
	s_cbranch_execz .LBB62_502
; %bb.419:                              ;   in Loop: Header=BB62_418 Depth=1
	v_max_f32_e64 v9, |v11|, |v11|
	v_max_f32_e64 v8, |v10|, |v10|
	v_max_f32_e32 v37, v8, v9
	v_cmp_nlt_f32_e32 vcc, s19, v37
                                        ; implicit-def: $vgpr6
	s_and_saveexec_b64 s[4:5], vcc
	s_xor_b64 s[6:7], exec, s[4:5]
	s_cbranch_execz .LBB62_479
; %bb.420:                              ;   in Loop: Header=BB62_418 Depth=1
	v_cmp_neq_f32_e32 vcc, 0, v11
	v_cmp_neq_f32_e64 s[4:5], 0, v10
	s_or_b64 s[4:5], vcc, s[4:5]
	v_mov_b32_e32 v6, v10
	v_mov_b32_e32 v7, v11
	s_and_saveexec_b64 s[22:23], s[4:5]
	s_cbranch_execz .LBB62_478
; %bb.421:                              ;   in Loop: Header=BB62_418 Depth=1
	v_mov_b32_e32 v6, s10
	v_mov_b32_e32 v7, s11
	flat_store_dword v[6:7], v17
	s_waitcnt vmcnt(0)
	flat_load_dword v6, v[6:7] glc
	s_waitcnt vmcnt(0)
	v_cmp_nlt_f32_e64 s[4:5], |v11|, s33
	v_cmp_nlt_f32_e64 s[24:25], |v10|, s33
	s_or_b64 s[4:5], s[24:25], s[4:5]
	s_waitcnt lgkmcnt(0)
	v_add_f32_e32 v8, 1.0, v6
	v_mov_b32_e32 v6, s14
	v_mov_b32_e32 v7, s15
	flat_store_dword v[6:7], v8
	s_waitcnt vmcnt(0)
	flat_load_dword v6, v[6:7] glc
	s_waitcnt vmcnt(0) lgkmcnt(0)
	v_mov_b32_e32 v6, v10
	v_mov_b32_e32 v7, v11
	s_and_saveexec_b64 s[24:25], s[4:5]
	s_cbranch_execz .LBB62_477
; %bb.422:                              ;   in Loop: Header=BB62_418 Depth=1
	v_add_f32_e64 v8, |v10|, 1.0
	v_max_f32_e32 v6, v9, v8
	v_add_f32_e64 v7, |v10|, -1.0
	v_cvt_f64_f32_e32 v[37:38], v6
	v_max_f32_e64 v9, v9, |v7|
	v_cvt_f64_f32_e32 v[39:40], v9
	v_cmp_neq_f32_e32 vcc, s39, v6
	v_frexp_exp_i32_f64_e32 v37, v[37:38]
	v_frexp_exp_i32_f64_e32 v38, v[39:40]
	v_sub_u32_e32 v39, 0, v37
	v_ldexp_f32 v41, |v11|, v39
	v_sub_u32_e32 v40, 0, v38
	v_ldexp_f32 v39, v8, v39
	v_ldexp_f32 v42, |v11|, v40
	v_ldexp_f32 v40, |v7|, v40
	v_mul_f32_e32 v39, v39, v39
	v_mul_f32_e32 v40, v40, v40
	v_fmac_f32_e32 v39, v41, v41
	v_fmac_f32_e32 v40, v42, v42
	v_sqrt_f32_e32 v39, v39
	v_sqrt_f32_e32 v40, v40
	v_ldexp_f32 v37, v39, v37
	v_ldexp_f32 v39, v40, v38
	v_cndmask_b32_e32 v38, v30, v37, vcc
	v_cmp_neq_f32_e32 vcc, s39, v9
	v_cndmask_b32_e32 v9, v30, v39, vcc
	v_add_f32_e32 v6, v38, v9
	v_mul_f32_e32 v6, 0.5, v6
	v_cmp_ngt_f32_e32 vcc, 1.0, v6
	v_cndmask_b32_e32 v6, 1.0, v6, vcc
	v_cmp_ngt_f32_e32 vcc, s40, v6
                                        ; implicit-def: $vgpr39
	s_and_saveexec_b64 s[4:5], vcc
	s_xor_b64 s[26:27], exec, s[4:5]
	s_cbranch_execz .LBB62_424
; %bb.423:                              ;   in Loop: Header=BB62_418 Depth=1
	v_fma_f32 v37, v6, v6, -1.0
	v_mul_f32_e32 v39, 0x4f800000, v37
	v_cmp_gt_f32_e32 vcc, s41, v37
	v_cndmask_b32_e32 v37, v37, v39, vcc
	v_sqrt_f32_e32 v39, v37
	v_add_u32_e32 v40, -1, v39
	v_fma_f32 v42, -v40, v39, v37
	v_add_u32_e32 v41, 1, v39
	v_cmp_ge_f32_e64 s[4:5], 0, v42
	v_cndmask_b32_e64 v40, v39, v40, s[4:5]
	v_fma_f32 v39, -v41, v39, v37
	v_cmp_lt_f32_e64 s[4:5], 0, v39
	v_cndmask_b32_e64 v39, v40, v41, s[4:5]
	v_mul_f32_e32 v40, 0x37800000, v39
	v_cndmask_b32_e32 v39, v39, v40, vcc
	v_cmp_class_f32_e32 vcc, v37, v18
	v_cndmask_b32_e32 v37, v39, v37, vcc
	v_add_f32_e32 v37, v6, v37
	v_cmp_gt_f32_e32 vcc, s43, v37
	v_cndmask_b32_e64 v39, 0, 32, vcc
	v_ldexp_f32 v37, v37, v39
	v_log_f32_e32 v37, v37
	v_mul_f32_e32 v39, 0x3f317217, v37
	v_fma_f32 v39, v37, s44, -v39
	v_fmac_f32_e32 v39, 0x3377d1cf, v37
	v_fmac_f32_e32 v39, 0x3f317217, v37
	v_cmp_lt_f32_e64 s[4:5], |v37|, s39
	v_cndmask_b32_e64 v37, v37, v39, s[4:5]
	v_cndmask_b32_e32 v39, 0, v31, vcc
	v_sub_f32_e32 v39, v37, v39
.LBB62_424:                             ;   in Loop: Header=BB62_418 Depth=1
	s_or_saveexec_b64 s[26:27], s[26:27]
	v_and_b32_e32 v37, 0x7fffffff, v11
	s_xor_b64 exec, exec, s[26:27]
	s_cbranch_execz .LBB62_446
; %bb.425:                              ;   in Loop: Header=BB62_418 Depth=1
	v_cmp_neq_f32_e64 s[4:5], |v10|, 1.0
	v_cmp_nlt_f32_e64 s[28:29], |v11|, s45
	s_or_b64 s[4:5], s[4:5], s[28:29]
                                        ; implicit-def: $vgpr39
	s_and_saveexec_b64 s[28:29], s[4:5]
	s_xor_b64 s[28:29], exec, s[28:29]
	s_cbranch_execz .LBB62_443
; %bb.426:                              ;   in Loop: Header=BB62_418 Depth=1
	v_mul_f32_e64 v39, |v7|, s46
	v_cmp_ge_f32_e64 s[4:5], |v11|, v39
                                        ; implicit-def: $vgpr39
	s_and_saveexec_b64 s[30:31], s[4:5]
	s_xor_b64 s[30:31], exec, s[30:31]
	s_cbranch_execz .LBB62_436
; %bb.427:                              ;   in Loop: Header=BB62_418 Depth=1
	v_cmp_neq_f32_e32 vcc, 0, v8
	v_mov_b32_e32 v39, v37
	s_and_saveexec_b64 s[4:5], vcc
	s_cbranch_execz .LBB62_429
; %bb.428:                              ;   in Loop: Header=BB62_418 Depth=1
	v_mul_f32_e32 v39, v11, v11
	v_add_f32_e32 v40, v8, v38
	v_div_scale_f32 v41, s[34:35], v40, v40, v39
	v_div_scale_f32 v42, vcc, v39, v40, v39
	v_rcp_f32_e32 v43, v41
	v_fma_f32 v44, -v41, v43, 1.0
	v_fmac_f32_e32 v43, v44, v43
	v_mul_f32_e32 v44, v42, v43
	v_fma_f32 v45, -v41, v44, v42
	v_fmac_f32_e32 v44, v45, v43
	v_fma_f32 v41, -v41, v44, v42
	v_div_fmas_f32 v41, v41, v43, v44
	v_div_fixup_f32 v39, v41, v40, v39
.LBB62_429:                             ;   in Loop: Header=BB62_418 Depth=1
	s_or_b64 exec, exec, s[4:5]
	v_sub_f32_e64 v41, 1.0, |v10|
	v_cmp_ngt_f32_e32 vcc, 0, v41
                                        ; implicit-def: $vgpr40
	s_and_saveexec_b64 s[4:5], vcc
	s_xor_b64 s[4:5], exec, s[4:5]
	s_cbranch_execz .LBB62_433
; %bb.430:                              ;   in Loop: Header=BB62_418 Depth=1
	v_cmp_neq_f32_e32 vcc, 0, v41
	v_mov_b32_e32 v40, v37
	s_and_saveexec_b64 s[34:35], vcc
	s_cbranch_execz .LBB62_432
; %bb.431:                              ;   in Loop: Header=BB62_418 Depth=1
	v_mul_f32_e32 v40, v11, v11
	v_add_f32_e32 v41, v41, v9
	v_div_scale_f32 v42, s[36:37], v41, v41, v40
	v_div_scale_f32 v43, vcc, v40, v41, v40
	v_rcp_f32_e32 v44, v42
	v_fma_f32 v45, -v42, v44, 1.0
	v_fmac_f32_e32 v44, v45, v44
	v_mul_f32_e32 v45, v43, v44
	v_fma_f32 v46, -v42, v45, v43
	v_fmac_f32_e32 v45, v46, v44
	v_fma_f32 v42, -v42, v45, v43
	v_div_fmas_f32 v42, v42, v44, v45
	v_div_fixup_f32 v40, v42, v41, v40
.LBB62_432:                             ;   in Loop: Header=BB62_418 Depth=1
	s_or_b64 exec, exec, s[34:35]
                                        ; implicit-def: $vgpr41
.LBB62_433:                             ;   in Loop: Header=BB62_418 Depth=1
	s_andn2_saveexec_b64 s[4:5], s[4:5]
; %bb.434:                              ;   in Loop: Header=BB62_418 Depth=1
	v_sub_f32_e32 v40, v9, v41
; %bb.435:                              ;   in Loop: Header=BB62_418 Depth=1
	s_or_b64 exec, exec, s[4:5]
	v_mul_f32_e32 v40, 0.5, v40
	v_fmac_f32_e32 v40, 0.5, v39
	v_add_f32_e32 v39, 1.0, v6
	v_mul_f32_e32 v39, v39, v40
	v_mul_f32_e32 v41, 0x4f800000, v39
	v_cmp_gt_f32_e32 vcc, s41, v39
	v_cndmask_b32_e32 v39, v39, v41, vcc
	v_sqrt_f32_e32 v41, v39
	v_add_u32_e32 v42, -1, v41
	v_fma_f32 v44, -v42, v41, v39
	v_add_u32_e32 v43, 1, v41
	v_cmp_ge_f32_e64 s[4:5], 0, v44
	v_cndmask_b32_e64 v42, v41, v42, s[4:5]
	v_fma_f32 v41, -v43, v41, v39
	v_cmp_lt_f32_e64 s[4:5], 0, v41
	v_cndmask_b32_e64 v41, v42, v43, s[4:5]
	v_mul_f32_e32 v42, 0x37800000, v41
	v_cndmask_b32_e32 v41, v41, v42, vcc
	v_cmp_class_f32_e32 vcc, v39, v18
	v_cndmask_b32_e32 v39, v41, v39, vcc
	v_add_f32_e32 v41, v40, v39
	v_add_f32_e32 v42, 1.0, v41
	v_cvt_f64_f32_e32 v[39:40], v42
	v_add_f32_e32 v43, -1.0, v42
	v_frexp_exp_i32_f64_e32 v39, v[39:40]
	v_sub_f32_e32 v40, v43, v42
	v_add_f32_e32 v40, 1.0, v40
	v_sub_f32_e32 v43, v41, v43
	v_add_f32_e32 v40, v43, v40
	v_frexp_mant_f32_e32 v43, v42
	v_cmp_gt_f32_e32 vcc, s47, v43
	v_subbrev_co_u32_e32 v39, vcc, 0, v39, vcc
	v_sub_u32_e32 v43, 0, v39
	v_ldexp_f32 v42, v42, v43
	v_ldexp_f32 v40, v40, v43
	v_add_f32_e32 v43, -1.0, v42
	v_add_f32_e32 v46, 1.0, v42
	v_add_f32_e32 v44, 1.0, v43
	v_add_f32_e32 v47, -1.0, v46
	v_sub_f32_e32 v44, v42, v44
	v_sub_f32_e32 v42, v42, v47
	v_add_f32_e32 v44, v40, v44
	v_add_f32_e32 v40, v40, v42
	;; [unrolled: 1-line block ×3, first 2 shown]
	v_rcp_f32_e32 v47, v42
	v_add_f32_e32 v45, v43, v44
	v_sub_f32_e32 v43, v45, v43
	v_sub_f32_e32 v43, v44, v43
	;; [unrolled: 1-line block ×4, first 2 shown]
	v_mul_f32_e32 v44, v45, v47
	v_mul_f32_e32 v46, v42, v44
	v_fma_f32 v48, v44, v42, -v46
	v_fmac_f32_e32 v48, v44, v40
	v_add_f32_e32 v49, v46, v48
	v_sub_f32_e32 v50, v45, v49
	v_sub_f32_e32 v45, v45, v50
	;; [unrolled: 1-line block ×4, first 2 shown]
	v_add_f32_e32 v43, v43, v45
	v_sub_f32_e32 v45, v46, v48
	v_add_f32_e32 v43, v45, v43
	v_add_f32_e32 v45, v50, v43
	v_mul_f32_e32 v46, v47, v45
	v_mul_f32_e32 v48, v42, v46
	v_fma_f32 v42, v46, v42, -v48
	v_fmac_f32_e32 v42, v46, v40
	v_sub_f32_e32 v40, v50, v45
	v_add_f32_e32 v40, v43, v40
	v_add_f32_e32 v43, v48, v42
	v_sub_f32_e32 v49, v45, v43
	v_sub_f32_e32 v45, v45, v49
	;; [unrolled: 1-line block ×4, first 2 shown]
	v_add_f32_e32 v40, v40, v43
	v_sub_f32_e32 v42, v48, v42
	v_cvt_f32_i32_e32 v39, v39
	v_add_f32_e32 v40, v42, v40
	v_add_f32_e32 v42, v44, v46
	;; [unrolled: 1-line block ×3, first 2 shown]
	v_sub_f32_e32 v43, v42, v44
	v_mul_f32_e32 v40, v47, v40
	v_sub_f32_e32 v43, v46, v43
	v_add_f32_e32 v40, v43, v40
	v_mul_f32_e32 v46, 0x3f317218, v39
	v_add_f32_e32 v43, v42, v40
	v_fma_f32 v47, v39, s48, -v46
	v_mul_f32_e32 v44, v43, v43
	v_mov_b32_e32 v45, 0x3ecc95a3
	v_fmac_f32_e32 v47, 0xb102e308, v39
	v_sub_f32_e32 v39, v43, v42
	v_fmac_f32_e32 v45, 0x3e9b6dac, v44
	v_sub_f32_e32 v39, v40, v39
	v_add_f32_e32 v40, v46, v47
	v_fma_f32 v45, v44, v45, v19
	v_sub_f32_e32 v42, v40, v46
	v_ldexp_f32 v46, v43, 1
	v_mul_f32_e32 v43, v43, v44
	v_mul_f32_e32 v43, v43, v45
	v_add_f32_e32 v44, v46, v43
	v_sub_f32_e32 v45, v44, v46
	v_ldexp_f32 v39, v39, 1
	v_sub_f32_e32 v43, v43, v45
	v_add_f32_e32 v39, v39, v43
	v_add_f32_e32 v43, v44, v39
	v_sub_f32_e32 v44, v43, v44
	v_sub_f32_e32 v39, v39, v44
	v_add_f32_e32 v44, v40, v43
	v_sub_f32_e32 v45, v44, v40
	v_sub_f32_e32 v46, v44, v45
	;; [unrolled: 1-line block ×5, first 2 shown]
	v_add_f32_e32 v40, v43, v40
	v_add_f32_e32 v43, v42, v39
	v_sub_f32_e32 v45, v43, v42
	v_sub_f32_e32 v46, v43, v45
	;; [unrolled: 1-line block ×4, first 2 shown]
	v_add_f32_e32 v40, v43, v40
	v_add_f32_e32 v39, v39, v42
	;; [unrolled: 1-line block ×3, first 2 shown]
	v_sub_f32_e32 v43, v42, v44
	v_sub_f32_e32 v40, v40, v43
	v_add_f32_e32 v39, v39, v40
	v_add_f32_e32 v39, v42, v39
	v_cmp_neq_f32_e32 vcc, s39, v41
	v_cndmask_b32_e32 v39, v30, v39, vcc
	v_cmp_ngt_f32_e32 vcc, -1.0, v41
	v_cndmask_b32_e32 v39, v32, v39, vcc
	v_cmp_neq_f32_e32 vcc, -1.0, v41
	v_cndmask_b32_e32 v39, v33, v39, vcc
	v_cmp_lt_f32_e64 vcc, |v41|, s50
	v_cndmask_b32_e32 v39, v39, v41, vcc
.LBB62_436:                             ;   in Loop: Header=BB62_418 Depth=1
	s_andn2_saveexec_b64 s[30:31], s[30:31]
	s_cbranch_execz .LBB62_442
; %bb.437:                              ;   in Loop: Header=BB62_418 Depth=1
	v_cmp_nlt_f32_e64 s[4:5], |v10|, 1.0
                                        ; implicit-def: $vgpr39
	s_and_saveexec_b64 s[34:35], s[4:5]
	s_xor_b64 s[34:35], exec, s[34:35]
	s_cbranch_execz .LBB62_439
; %bb.438:                              ;   in Loop: Header=BB62_418 Depth=1
	v_mul_f32_e32 v39, v7, v8
	v_mul_f32_e32 v40, 0x4f800000, v39
	v_cmp_gt_f32_e32 vcc, s41, v39
	v_cndmask_b32_e32 v39, v39, v40, vcc
	v_sqrt_f32_e32 v40, v39
	v_add_u32_e32 v41, -1, v40
	v_fma_f32 v43, -v41, v40, v39
	v_add_u32_e32 v42, 1, v40
	v_cmp_ge_f32_e64 s[4:5], 0, v43
	v_cndmask_b32_e64 v41, v40, v41, s[4:5]
	v_fma_f32 v40, -v42, v40, v39
	v_cmp_lt_f32_e64 s[4:5], 0, v40
	v_cndmask_b32_e64 v40, v41, v42, s[4:5]
	v_mul_f32_e32 v41, 0x37800000, v40
	v_cndmask_b32_e32 v40, v40, v41, vcc
	v_cmp_class_f32_e32 vcc, v39, v18
	v_cndmask_b32_e32 v39, v40, v39, vcc
	v_add_f32_e32 v41, v7, v39
	v_add_f32_e32 v42, 1.0, v41
	v_cvt_f64_f32_e32 v[39:40], v42
	v_add_f32_e32 v43, -1.0, v42
	v_frexp_exp_i32_f64_e32 v39, v[39:40]
	v_sub_f32_e32 v40, v43, v42
	v_add_f32_e32 v40, 1.0, v40
	v_sub_f32_e32 v43, v41, v43
	v_add_f32_e32 v40, v43, v40
	v_frexp_mant_f32_e32 v43, v42
	v_cmp_gt_f32_e32 vcc, s47, v43
	v_subbrev_co_u32_e32 v39, vcc, 0, v39, vcc
	v_sub_u32_e32 v43, 0, v39
	v_ldexp_f32 v42, v42, v43
	v_ldexp_f32 v40, v40, v43
	v_add_f32_e32 v43, -1.0, v42
	v_add_f32_e32 v46, 1.0, v42
	v_add_f32_e32 v44, 1.0, v43
	v_add_f32_e32 v47, -1.0, v46
	v_sub_f32_e32 v44, v42, v44
	v_sub_f32_e32 v42, v42, v47
	v_add_f32_e32 v44, v40, v44
	v_add_f32_e32 v40, v40, v42
	;; [unrolled: 1-line block ×3, first 2 shown]
	v_rcp_f32_e32 v47, v42
	v_add_f32_e32 v45, v43, v44
	v_sub_f32_e32 v43, v45, v43
	v_sub_f32_e32 v43, v44, v43
	;; [unrolled: 1-line block ×4, first 2 shown]
	v_mul_f32_e32 v44, v45, v47
	v_mul_f32_e32 v46, v42, v44
	v_fma_f32 v48, v44, v42, -v46
	v_fmac_f32_e32 v48, v44, v40
	v_add_f32_e32 v49, v46, v48
	v_sub_f32_e32 v50, v45, v49
	v_sub_f32_e32 v45, v45, v50
	;; [unrolled: 1-line block ×4, first 2 shown]
	v_add_f32_e32 v43, v43, v45
	v_sub_f32_e32 v45, v46, v48
	v_add_f32_e32 v43, v45, v43
	v_add_f32_e32 v45, v50, v43
	v_mul_f32_e32 v46, v47, v45
	v_mul_f32_e32 v48, v42, v46
	v_fma_f32 v42, v46, v42, -v48
	v_fmac_f32_e32 v42, v46, v40
	v_sub_f32_e32 v40, v50, v45
	v_add_f32_e32 v40, v43, v40
	v_add_f32_e32 v43, v48, v42
	v_sub_f32_e32 v49, v45, v43
	v_sub_f32_e32 v45, v45, v49
	;; [unrolled: 1-line block ×4, first 2 shown]
	v_add_f32_e32 v40, v40, v43
	v_sub_f32_e32 v42, v48, v42
	v_cvt_f32_i32_e32 v39, v39
	v_add_f32_e32 v40, v42, v40
	v_add_f32_e32 v42, v44, v46
	;; [unrolled: 1-line block ×3, first 2 shown]
	v_sub_f32_e32 v43, v42, v44
	v_mul_f32_e32 v40, v47, v40
	v_sub_f32_e32 v43, v46, v43
	v_add_f32_e32 v40, v43, v40
	v_mul_f32_e32 v46, 0x3f317218, v39
	v_add_f32_e32 v43, v42, v40
	v_fma_f32 v47, v39, s48, -v46
	v_mul_f32_e32 v44, v43, v43
	v_mov_b32_e32 v45, 0x3ecc95a3
	v_fmac_f32_e32 v47, 0xb102e308, v39
	v_sub_f32_e32 v39, v43, v42
	v_fmac_f32_e32 v45, 0x3e9b6dac, v44
	v_sub_f32_e32 v39, v40, v39
	v_add_f32_e32 v40, v46, v47
	v_fma_f32 v45, v44, v45, v19
	v_sub_f32_e32 v42, v40, v46
	v_ldexp_f32 v46, v43, 1
	v_mul_f32_e32 v43, v43, v44
	v_mul_f32_e32 v43, v43, v45
	v_add_f32_e32 v44, v46, v43
	v_sub_f32_e32 v45, v44, v46
	v_ldexp_f32 v39, v39, 1
	v_sub_f32_e32 v43, v43, v45
	v_add_f32_e32 v39, v39, v43
	v_add_f32_e32 v43, v44, v39
	v_sub_f32_e32 v44, v43, v44
	v_sub_f32_e32 v39, v39, v44
	v_add_f32_e32 v44, v40, v43
	v_sub_f32_e32 v45, v44, v40
	v_sub_f32_e32 v46, v44, v45
	;; [unrolled: 1-line block ×5, first 2 shown]
	v_add_f32_e32 v40, v43, v40
	v_add_f32_e32 v43, v42, v39
	v_sub_f32_e32 v45, v43, v42
	v_sub_f32_e32 v46, v43, v45
	v_sub_f32_e32 v42, v42, v46
	v_sub_f32_e32 v39, v39, v45
	v_add_f32_e32 v40, v43, v40
	v_add_f32_e32 v39, v39, v42
	;; [unrolled: 1-line block ×3, first 2 shown]
	v_sub_f32_e32 v43, v42, v44
	v_sub_f32_e32 v40, v40, v43
	v_add_f32_e32 v39, v39, v40
	v_add_f32_e32 v39, v42, v39
	v_cmp_neq_f32_e32 vcc, s39, v41
	v_cndmask_b32_e32 v39, v30, v39, vcc
	v_cmp_ngt_f32_e32 vcc, -1.0, v41
	v_cndmask_b32_e32 v39, v32, v39, vcc
	v_cmp_neq_f32_e32 vcc, -1.0, v41
	v_cndmask_b32_e32 v39, v33, v39, vcc
	v_cmp_lt_f32_e64 vcc, |v41|, s50
	v_cndmask_b32_e32 v39, v39, v41, vcc
.LBB62_439:                             ;   in Loop: Header=BB62_418 Depth=1
	s_andn2_saveexec_b64 s[34:35], s[34:35]
	s_cbranch_execz .LBB62_441
; %bb.440:                              ;   in Loop: Header=BB62_418 Depth=1
	v_sub_f32_e64 v39, 1.0, |v10|
	v_mul_f32_e32 v39, v39, v8
	v_mul_f32_e32 v40, 0x4f800000, v39
	v_cmp_gt_f32_e32 vcc, s41, v39
	v_cndmask_b32_e32 v39, v39, v40, vcc
	v_sqrt_f32_e32 v40, v39
	v_add_u32_e32 v41, -1, v40
	v_fma_f32 v43, -v41, v40, v39
	v_add_u32_e32 v42, 1, v40
	v_cmp_ge_f32_e64 s[4:5], 0, v43
	v_cndmask_b32_e64 v41, v40, v41, s[4:5]
	v_fma_f32 v40, -v42, v40, v39
	v_cmp_lt_f32_e64 s[4:5], 0, v40
	v_cndmask_b32_e64 v40, v41, v42, s[4:5]
	v_mul_f32_e32 v41, 0x37800000, v40
	v_cndmask_b32_e32 v40, v40, v41, vcc
	v_cmp_class_f32_e32 vcc, v39, v18
	v_cndmask_b32_e32 v39, v40, v39, vcc
	v_and_b32_e32 v40, 0x7fffffff, v11
	v_div_scale_f32 v41, s[4:5], v39, v39, v40
	v_div_scale_f32 v40, vcc, v40, v39, v40
	v_rcp_f32_e32 v42, v41
	v_fma_f32 v43, -v41, v42, 1.0
	v_fmac_f32_e32 v42, v43, v42
	v_mul_f32_e32 v43, v40, v42
	v_fma_f32 v44, -v41, v43, v40
	v_fmac_f32_e32 v43, v44, v42
	v_fma_f32 v40, -v41, v43, v40
	v_div_fmas_f32 v40, v40, v42, v43
	v_div_fixup_f32 v39, v40, v39, |v11|
.LBB62_441:                             ;   in Loop: Header=BB62_418 Depth=1
	s_or_b64 exec, exec, s[34:35]
.LBB62_442:                             ;   in Loop: Header=BB62_418 Depth=1
	s_or_b64 exec, exec, s[30:31]
.LBB62_443:                             ;   in Loop: Header=BB62_418 Depth=1
	s_andn2_saveexec_b64 s[28:29], s[28:29]
	s_cbranch_execz .LBB62_445
; %bb.444:                              ;   in Loop: Header=BB62_418 Depth=1
	v_mul_f32_e64 v39, |v11|, s42
	v_cmp_lt_f32_e64 vcc, |v11|, s41
	v_cndmask_b32_e64 v39, |v11|, v39, vcc
	v_sqrt_f32_e32 v40, v39
	v_add_u32_e32 v41, -1, v40
	v_fma_f32 v43, -v41, v40, v39
	v_add_u32_e32 v42, 1, v40
	v_cmp_ge_f32_e64 s[4:5], 0, v43
	v_cndmask_b32_e64 v41, v40, v41, s[4:5]
	v_fma_f32 v40, -v42, v40, v39
	v_cmp_lt_f32_e64 s[4:5], 0, v40
	v_cndmask_b32_e64 v40, v41, v42, s[4:5]
	v_mul_f32_e32 v41, 0x37800000, v40
	v_cndmask_b32_e32 v40, v40, v41, vcc
	v_cmp_class_f32_e32 vcc, v39, v18
	v_cndmask_b32_e32 v39, v40, v39, vcc
.LBB62_445:                             ;   in Loop: Header=BB62_418 Depth=1
	s_or_b64 exec, exec, s[28:29]
.LBB62_446:                             ;   in Loop: Header=BB62_418 Depth=1
	s_or_b64 exec, exec, s[26:27]
	v_cmp_nlt_f32_e64 s[26:27], |v10|, s51
                                        ; implicit-def: $sgpr4_sgpr5
                                        ; implicit-def: $vgpr40
                                        ; implicit-def: $vgpr42
                                        ; implicit-def: $vgpr41
	s_and_saveexec_b64 s[28:29], s[26:27]
	s_xor_b64 s[26:27], exec, s[28:29]
	s_cbranch_execz .LBB62_470
; %bb.447:                              ;   in Loop: Header=BB62_418 Depth=1
	v_and_b32_e32 v41, 0x7fffffff, v10
	v_div_scale_f32 v40, s[4:5], v6, v6, v41
	v_div_scale_f32 v42, vcc, v41, v6, v41
	s_mov_b64 s[4:5], 0
	v_rcp_f32_e32 v43, v40
	v_fma_f32 v44, -v40, v43, 1.0
	v_fmac_f32_e32 v43, v44, v43
	v_mul_f32_e32 v44, v42, v43
	v_fma_f32 v45, -v40, v44, v42
	v_fmac_f32_e32 v44, v45, v43
	v_fma_f32 v40, -v40, v44, v42
	v_div_fmas_f32 v40, v40, v43, v44
                                        ; implicit-def: $vgpr42
	v_div_fixup_f32 v40, v40, v6, |v10|
	v_cmp_lt_f32_e32 vcc, s52, v40
	s_and_saveexec_b64 s[28:29], vcc
	s_cbranch_execz .LBB62_469
; %bb.448:                              ;   in Loop: Header=BB62_418 Depth=1
	v_cmp_neq_f32_e64 s[4:5], |v10|, 1.0
	v_cmp_nlt_f32_e64 s[30:31], |v11|, s53
	s_or_b64 s[4:5], s[4:5], s[30:31]
                                        ; implicit-def: $vgpr42
	s_and_saveexec_b64 s[30:31], s[4:5]
	s_xor_b64 s[30:31], exec, s[30:31]
	s_cbranch_execz .LBB62_466
; %bb.449:                              ;   in Loop: Header=BB62_418 Depth=1
	v_mul_f32_e64 v42, |v7|, s46
	v_cmp_ge_f32_e64 s[4:5], |v11|, v42
                                        ; implicit-def: $vgpr42
	s_and_saveexec_b64 s[34:35], s[4:5]
	s_xor_b64 s[34:35], exec, s[34:35]
	s_cbranch_execz .LBB62_459
; %bb.450:                              ;   in Loop: Header=BB62_418 Depth=1
	v_cmp_neq_f32_e32 vcc, 0, v8
	v_mov_b32_e32 v42, v37
	s_and_saveexec_b64 s[4:5], vcc
	s_cbranch_execz .LBB62_452
; %bb.451:                              ;   in Loop: Header=BB62_418 Depth=1
	v_mul_f32_e32 v42, v11, v11
	v_add_f32_e32 v8, v8, v38
	v_div_scale_f32 v38, s[36:37], v8, v8, v42
	v_div_scale_f32 v43, vcc, v42, v8, v42
	v_rcp_f32_e32 v44, v38
	v_fma_f32 v45, -v38, v44, 1.0
	v_fmac_f32_e32 v44, v45, v44
	v_mul_f32_e32 v45, v43, v44
	v_fma_f32 v46, -v38, v45, v43
	v_fmac_f32_e32 v45, v46, v44
	v_fma_f32 v38, -v38, v45, v43
	v_div_fmas_f32 v38, v38, v44, v45
	v_div_fixup_f32 v42, v38, v8, v42
.LBB62_452:                             ;   in Loop: Header=BB62_418 Depth=1
	s_or_b64 exec, exec, s[4:5]
	v_cmp_ngt_f32_e32 vcc, 0, v7
	s_and_saveexec_b64 s[4:5], vcc
	s_xor_b64 s[4:5], exec, s[4:5]
	s_cbranch_execz .LBB62_456
; %bb.453:                              ;   in Loop: Header=BB62_418 Depth=1
	v_cmp_neq_f32_e32 vcc, 0, v7
	s_and_saveexec_b64 s[36:37], vcc
	s_cbranch_execz .LBB62_455
; %bb.454:                              ;   in Loop: Header=BB62_418 Depth=1
	v_mul_f32_e32 v8, v11, v11
	v_add_f32_e32 v7, v7, v9
	v_div_scale_f32 v9, s[62:63], v7, v7, v8
	v_div_scale_f32 v37, vcc, v8, v7, v8
	v_rcp_f32_e32 v38, v9
	v_fma_f32 v43, -v9, v38, 1.0
	v_fmac_f32_e32 v38, v43, v38
	v_mul_f32_e32 v43, v37, v38
	v_fma_f32 v44, -v9, v43, v37
	v_fmac_f32_e32 v43, v44, v38
	v_fma_f32 v9, -v9, v43, v37
	v_div_fmas_f32 v9, v9, v38, v43
	v_div_fixup_f32 v37, v9, v7, v8
.LBB62_455:                             ;   in Loop: Header=BB62_418 Depth=1
	s_or_b64 exec, exec, s[36:37]
                                        ; implicit-def: $vgpr9
                                        ; implicit-def: $vgpr7
.LBB62_456:                             ;   in Loop: Header=BB62_418 Depth=1
	s_andn2_saveexec_b64 s[4:5], s[4:5]
; %bb.457:                              ;   in Loop: Header=BB62_418 Depth=1
	v_sub_f32_e32 v37, v9, v7
; %bb.458:                              ;   in Loop: Header=BB62_418 Depth=1
	s_or_b64 exec, exec, s[4:5]
	v_mul_f32_e32 v7, 0.5, v37
	v_fmac_f32_e32 v7, 0.5, v42
	v_add_f32_e64 v6, |v10|, v6
	v_mul_f32_e32 v6, v6, v7
	v_mul_f32_e32 v7, 0x4f800000, v6
	v_cmp_gt_f32_e32 vcc, s41, v6
	v_cndmask_b32_e32 v6, v6, v7, vcc
	v_sqrt_f32_e32 v7, v6
	v_add_u32_e32 v8, -1, v7
	v_fma_f32 v9, -v8, v7, v6
	v_cmp_ge_f32_e64 s[4:5], 0, v9
	v_add_u32_e32 v9, 1, v7
	v_cndmask_b32_e64 v8, v7, v8, s[4:5]
	v_fma_f32 v7, -v9, v7, v6
	v_cmp_lt_f32_e64 s[4:5], 0, v7
	v_cndmask_b32_e64 v7, v8, v9, s[4:5]
	v_mul_f32_e32 v8, 0x37800000, v7
	v_cndmask_b32_e32 v7, v7, v8, vcc
	v_cmp_class_f32_e32 vcc, v6, v18
	v_cndmask_b32_e32 v42, v7, v6, vcc
                                        ; implicit-def: $vgpr8
                                        ; implicit-def: $vgpr7
.LBB62_459:                             ;   in Loop: Header=BB62_418 Depth=1
	s_andn2_saveexec_b64 s[34:35], s[34:35]
	s_cbranch_execz .LBB62_465
; %bb.460:                              ;   in Loop: Header=BB62_418 Depth=1
	v_cmp_ngt_f32_e64 s[4:5], |v10|, 1.0
                                        ; implicit-def: $vgpr42
	s_and_saveexec_b64 s[36:37], s[4:5]
	s_xor_b64 s[36:37], exec, s[36:37]
	s_cbranch_execz .LBB62_462
; %bb.461:                              ;   in Loop: Header=BB62_418 Depth=1
	v_sub_f32_e64 v6, 1.0, |v10|
	v_mul_f32_e32 v6, v6, v8
	v_mul_f32_e32 v7, 0x4f800000, v6
	v_cmp_gt_f32_e32 vcc, s41, v6
	v_cndmask_b32_e32 v6, v6, v7, vcc
	v_sqrt_f32_e32 v7, v6
	v_add_u32_e32 v8, -1, v7
	v_fma_f32 v37, -v8, v7, v6
	v_add_u32_e32 v9, 1, v7
	v_cmp_ge_f32_e64 s[4:5], 0, v37
	v_cndmask_b32_e64 v8, v7, v8, s[4:5]
	v_fma_f32 v7, -v9, v7, v6
	v_cmp_lt_f32_e64 s[4:5], 0, v7
	v_cndmask_b32_e64 v7, v8, v9, s[4:5]
	v_mul_f32_e32 v8, 0x37800000, v7
	v_cndmask_b32_e32 v7, v7, v8, vcc
	v_cmp_class_f32_e32 vcc, v6, v18
	v_cndmask_b32_e32 v42, v7, v6, vcc
                                        ; implicit-def: $vgpr8
                                        ; implicit-def: $vgpr7
.LBB62_462:                             ;   in Loop: Header=BB62_418 Depth=1
	s_andn2_saveexec_b64 s[36:37], s[36:37]
	s_cbranch_execz .LBB62_464
; %bb.463:                              ;   in Loop: Header=BB62_418 Depth=1
	v_mul_f32_e32 v6, v8, v7
	v_mul_f32_e32 v7, 0x4f800000, v6
	v_cmp_gt_f32_e32 vcc, s41, v6
	v_cndmask_b32_e32 v6, v6, v7, vcc
	v_sqrt_f32_e32 v7, v6
	v_mul_f32_e64 v8, |v11|, s54
	v_mul_f32_e64 v8, |v10|, v8
	v_add_u32_e32 v9, -1, v7
	v_fma_f32 v37, -v9, v7, v6
	v_cmp_ge_f32_e64 s[4:5], 0, v37
	v_add_u32_e32 v37, 1, v7
	v_cndmask_b32_e64 v9, v7, v9, s[4:5]
	v_fma_f32 v7, -v37, v7, v6
	v_cmp_lt_f32_e64 s[4:5], 0, v7
	v_cndmask_b32_e64 v7, v9, v37, s[4:5]
	v_mul_f32_e32 v9, 0x37800000, v7
	v_cndmask_b32_e32 v7, v7, v9, vcc
	v_cmp_class_f32_e32 vcc, v6, v18
	v_cndmask_b32_e32 v6, v7, v6, vcc
	v_div_scale_f32 v7, s[4:5], v6, v6, v8
	v_div_scale_f32 v9, vcc, v8, v6, v8
	v_rcp_f32_e32 v37, v7
	v_fma_f32 v38, -v7, v37, 1.0
	v_fmac_f32_e32 v37, v38, v37
	v_mul_f32_e32 v38, v9, v37
	v_fma_f32 v41, -v7, v38, v9
	v_fmac_f32_e32 v38, v41, v37
	v_fma_f32 v7, -v7, v38, v9
	v_div_fmas_f32 v7, v7, v37, v38
	v_mul_f32_e64 v41, |v10|, s54
	v_div_fixup_f32 v42, v7, v6, v8
.LBB62_464:                             ;   in Loop: Header=BB62_418 Depth=1
	s_or_b64 exec, exec, s[36:37]
.LBB62_465:                             ;   in Loop: Header=BB62_418 Depth=1
	s_or_b64 exec, exec, s[34:35]
                                        ; implicit-def: $vgpr6
.LBB62_466:                             ;   in Loop: Header=BB62_418 Depth=1
	s_andn2_saveexec_b64 s[30:31], s[30:31]
	s_cbranch_execz .LBB62_468
; %bb.467:                              ;   in Loop: Header=BB62_418 Depth=1
	v_mul_f32_e64 v7, |v11|, s42
	v_cmp_lt_f32_e64 vcc, |v11|, s41
	v_cndmask_b32_e64 v7, |v11|, v7, vcc
	v_sqrt_f32_e32 v8, v7
	v_add_f32_e32 v6, 1.0, v6
	v_mul_f32_e32 v6, 0.5, v6
	v_mov_b32_e32 v41, 1.0
	v_add_u32_e32 v9, -1, v8
	v_fma_f32 v38, -v9, v8, v7
	v_add_u32_e32 v37, 1, v8
	v_cmp_ge_f32_e64 s[4:5], 0, v38
	v_cndmask_b32_e64 v9, v8, v9, s[4:5]
	v_fma_f32 v8, -v37, v8, v7
	v_cmp_lt_f32_e64 s[4:5], 0, v8
	v_cndmask_b32_e64 v8, v9, v37, s[4:5]
	v_mul_f32_e32 v9, 0x37800000, v8
	v_cndmask_b32_e32 v8, v8, v9, vcc
	v_mul_f32_e32 v9, 0x4f800000, v6
	v_cmp_gt_f32_e32 vcc, s41, v6
	v_cndmask_b32_e32 v6, v6, v9, vcc
	v_sqrt_f32_e32 v9, v6
	v_cmp_class_f32_e64 s[4:5], v7, v18
	v_cndmask_b32_e64 v7, v8, v7, s[4:5]
	v_add_u32_e32 v8, -1, v9
	v_fma_f32 v37, -v8, v9, v6
	v_cmp_ge_f32_e64 s[4:5], 0, v37
	v_add_u32_e32 v37, 1, v9
	v_cndmask_b32_e64 v8, v9, v8, s[4:5]
	v_fma_f32 v9, -v37, v9, v6
	v_cmp_lt_f32_e64 s[4:5], 0, v9
	v_cndmask_b32_e64 v8, v8, v37, s[4:5]
	v_mul_f32_e32 v9, 0x37800000, v8
	v_cndmask_b32_e32 v8, v8, v9, vcc
	v_cmp_class_f32_e32 vcc, v6, v18
	v_cndmask_b32_e32 v6, v8, v6, vcc
	v_mul_f32_e32 v42, v7, v6
.LBB62_468:                             ;   in Loop: Header=BB62_418 Depth=1
	s_or_b64 exec, exec, s[30:31]
	s_mov_b64 s[4:5], exec
.LBB62_469:                             ;   in Loop: Header=BB62_418 Depth=1
	s_or_b64 exec, exec, s[28:29]
                                        ; implicit-def: $vgpr6
.LBB62_470:                             ;   in Loop: Header=BB62_418 Depth=1
	s_andn2_saveexec_b64 s[26:27], s[26:27]
; %bb.471:                              ;   in Loop: Header=BB62_418 Depth=1
	v_mul_f32_e32 v42, 0x4b800000, v6
	v_mul_f32_e64 v41, |v10|, s55
	s_or_b64 s[4:5], s[4:5], exec
                                        ; implicit-def: $vgpr40
; %bb.472:                              ;   in Loop: Header=BB62_418 Depth=1
	s_or_b64 exec, exec, s[26:27]
	s_xor_b64 s[4:5], s[4:5], -1
                                        ; implicit-def: $vgpr6
	s_and_saveexec_b64 s[26:27], s[4:5]
	s_xor_b64 s[4:5], exec, s[26:27]
	s_cbranch_execz .LBB62_474
; %bb.473:                              ;   in Loop: Header=BB62_418 Depth=1
	v_fma_f32 v6, |v40|, -0.5, 0.5
	v_mul_f32_e32 v7, v40, v40
	v_cmp_ge_f32_e64 vcc, |v40|, 0.5
	v_cndmask_b32_e32 v6, v7, v6, vcc
	v_mov_b32_e32 v7, 0x3c5fc5da
	v_fmac_f32_e32 v7, 0x3d1c21a7, v6
	v_fma_f32 v7, v6, v7, v20
	v_fma_f32 v7, v6, v7, v21
	v_sqrt_f32_e32 v8, v6
	v_fma_f32 v7, v6, v7, v22
	v_fma_f32 v7, v6, v7, v23
	v_mul_f32_e32 v6, v6, v7
	v_fmac_f32_e32 v8, v8, v6
	v_add_f32_e32 v7, v8, v8
	v_sub_f32_e32 v7, 0x3fc90fdb, v7
	v_fma_f32 v6, |v40|, v6, |v40|
	v_cmp_lt_f32_e64 vcc, |v40|, 0.5
	v_cndmask_b32_e32 v6, v7, v6, vcc
	v_bfi_b32 v6, s38, v6, v40
                                        ; implicit-def: $vgpr41
                                        ; implicit-def: $vgpr42
.LBB62_474:                             ;   in Loop: Header=BB62_418 Depth=1
	s_andn2_saveexec_b64 s[26:27], s[4:5]
	s_cbranch_execz .LBB62_476
; %bb.475:                              ;   in Loop: Header=BB62_418 Depth=1
	v_max_f32_e32 v6, v41, v41
	v_max_f32_e64 v7, |v42|, |v42|
	v_min_f32_e32 v8, v7, v6
	v_max_f32_e32 v6, v7, v6
	v_frexp_mant_f32_e32 v7, v6
	v_rcp_f32_e32 v7, v7
	v_frexp_exp_i32_f32_e32 v6, v6
	v_frexp_exp_i32_f32_e32 v9, v8
	v_frexp_mant_f32_e32 v8, v8
	v_mul_f32_e32 v7, v8, v7
	v_sub_u32_e32 v6, v9, v6
	v_ldexp_f32 v6, v7, v6
	v_mul_f32_e32 v7, v6, v6
	v_mov_b32_e32 v8, 0xbc7a590c
	v_fmac_f32_e32 v8, 0x3b2d2a58, v7
	v_fma_f32 v8, v7, v8, v24
	v_fma_f32 v8, v7, v8, v25
	;; [unrolled: 1-line block ×6, first 2 shown]
	v_mul_f32_e32 v7, v7, v8
	v_fmac_f32_e32 v6, v6, v7
	v_sub_f32_e32 v7, 0x3fc90fdb, v6
	v_cmp_gt_f32_e64 vcc, v41, |v42|
	v_cndmask_b32_e32 v6, v6, v7, vcc
	v_sub_f32_e32 v7, 0x40490fdb, v6
	v_cmp_gt_f32_e32 vcc, 0, v42
	v_cmp_gt_i32_e64 s[4:5], 0, v42
	v_cndmask_b32_e32 v6, v6, v7, vcc
	v_cndmask_b32_e64 v7, 0, v34, s[4:5]
	v_cndmask_b32_e32 v8, v35, v36, vcc
	v_cmp_class_f32_e64 s[28:29], v42, s56
	v_cmp_eq_f32_e32 vcc, s39, v41
	v_cmp_eq_f32_e64 s[4:5], 0, v41
	v_cndmask_b32_e64 v6, |v6|, v7, s[4:5]
	s_and_b64 vcc, vcc, s[28:29]
	v_cndmask_b32_e32 v6, v6, v8, vcc
	v_cmp_o_f32_e32 vcc, v42, v42
	v_cndmask_b32_e32 v6, v32, v6, vcc
.LBB62_476:                             ;   in Loop: Header=BB62_418 Depth=1
	s_or_b64 exec, exec, s[26:27]
	v_bfi_b32 v7, s38, v39, v11
	v_bfi_b32 v6, s38, v6, v10
.LBB62_477:                             ;   in Loop: Header=BB62_418 Depth=1
	s_or_b64 exec, exec, s[24:25]
.LBB62_478:                             ;   in Loop: Header=BB62_418 Depth=1
	s_or_b64 exec, exec, s[22:23]
                                        ; implicit-def: $vgpr8
                                        ; implicit-def: $vgpr9
                                        ; implicit-def: $vgpr37
.LBB62_479:                             ;   in Loop: Header=BB62_418 Depth=1
	s_andn2_saveexec_b64 s[22:23], s[6:7]
	s_cbranch_execz .LBB62_501
; %bb.480:                              ;   in Loop: Header=BB62_418 Depth=1
	v_cmp_lt_i32_e32 vcc, -1, v11
                                        ; implicit-def: $sgpr24_sgpr25
                                        ; implicit-def: $vgpr6
                                        ; implicit-def: $vgpr7
	s_and_saveexec_b64 s[4:5], vcc
	s_xor_b64 s[26:27], exec, s[4:5]
	s_cbranch_execz .LBB62_490
; %bb.481:                              ;   in Loop: Header=BB62_418 Depth=1
	v_cmp_lt_f32_e64 s[4:5], |v11|, |v10|
	v_cndmask_b32_e64 v38, |v11|, |v10|, s[4:5]
	v_cmp_nlt_f32_e32 vcc, s57, v38
                                        ; implicit-def: $vgpr6
                                        ; implicit-def: $vgpr7
	s_and_saveexec_b64 s[6:7], vcc
	s_xor_b64 s[24:25], exec, s[6:7]
	s_cbranch_execz .LBB62_487
; %bb.482:                              ;   in Loop: Header=BB62_418 Depth=1
	v_cndmask_b32_e64 v39, |v10|, |v11|, s[4:5]
	v_cmp_nlt_f32_e32 vcc, s58, v38
	v_cmp_ngt_f32_e64 s[6:7], s59, v39
	s_and_b64 s[6:7], vcc, s[6:7]
                                        ; implicit-def: $vgpr6
                                        ; implicit-def: $vgpr7
	s_and_saveexec_b64 s[28:29], s[6:7]
	s_xor_b64 s[6:7], exec, s[28:29]
	s_cbranch_execz .LBB62_484
; %bb.483:                              ;   in Loop: Header=BB62_418 Depth=1
	v_mul_f32_e32 v6, v39, v39
	v_fmac_f32_e32 v6, v38, v38
	v_cmp_gt_f32_e32 vcc, s43, v6
	v_cndmask_b32_e64 v7, 0, 32, vcc
	v_ldexp_f32 v6, v6, v7
	v_log_f32_e32 v6, v6
	v_cndmask_b32_e32 v7, 0, v31, vcc
	v_mul_f32_e32 v38, 0x3f317217, v6
	v_fma_f32 v38, v6, s44, -v38
	v_fmac_f32_e32 v38, 0x3377d1cf, v6
	v_fmac_f32_e32 v38, 0x3f317217, v6
	v_cmp_lt_f32_e64 vcc, |v6|, s39
	v_cndmask_b32_e32 v6, v6, v38, vcc
	v_sub_f32_e32 v6, v6, v7
	v_min_f32_e32 v7, v9, v8
	v_frexp_mant_f32_e32 v8, v37
	v_rcp_f32_e32 v8, v8
	v_frexp_exp_i32_f32_e32 v9, v37
	v_frexp_exp_i32_f32_e32 v37, v7
	v_frexp_mant_f32_e32 v7, v7
	v_mul_f32_e32 v7, v7, v8
	v_sub_u32_e32 v8, v37, v9
	v_ldexp_f32 v7, v7, v8
	v_mul_f32_e32 v8, v7, v7
	v_mov_b32_e32 v9, 0xbc7a590c
	v_fmac_f32_e32 v9, 0x3b2d2a58, v8
	v_fma_f32 v9, v8, v9, v24
	v_fma_f32 v9, v8, v9, v25
	;; [unrolled: 1-line block ×6, first 2 shown]
	v_mul_f32_e32 v8, v8, v9
	v_mul_f32_e32 v6, 0.5, v6
	v_fmac_f32_e32 v7, v7, v8
                                        ; implicit-def: $vgpr37
                                        ; implicit-def: $vgpr9
                                        ; implicit-def: $vgpr8
.LBB62_484:                             ;   in Loop: Header=BB62_418 Depth=1
	s_andn2_saveexec_b64 s[6:7], s[6:7]
	s_cbranch_execz .LBB62_486
; %bb.485:                              ;   in Loop: Header=BB62_418 Depth=1
	v_cvt_f64_f32_e32 v[6:7], v37
	v_cmp_neq_f32_e32 vcc, s39, v37
	v_mov_b32_e32 v38, 0xbc7a590c
	v_frexp_exp_i32_f64_e32 v6, v[6:7]
	v_min_f32_e32 v7, v9, v8
	v_frexp_mant_f32_e32 v9, v37
	v_rcp_f32_e32 v9, v9
	v_frexp_exp_i32_f32_e32 v39, v7
	v_frexp_mant_f32_e32 v7, v7
	v_frexp_exp_i32_f32_e32 v8, v37
	v_mul_f32_e32 v7, v7, v9
	v_sub_u32_e32 v40, 0, v6
	s_waitcnt lgkmcnt(0)
	v_ldexp_f32 v41, |v11|, v40
	v_ldexp_f32 v40, |v10|, v40
	v_mul_f32_e32 v40, v40, v40
	v_fmac_f32_e32 v40, v41, v41
	v_sqrt_f32_e32 v40, v40
	v_sub_u32_e32 v8, v39, v8
	v_ldexp_f32 v7, v7, v8
	v_mul_f32_e32 v8, v7, v7
	v_ldexp_f32 v6, v40, v6
	v_cndmask_b32_e32 v6, v30, v6, vcc
	v_cmp_gt_f32_e32 vcc, s43, v6
	v_cndmask_b32_e64 v9, 0, 32, vcc
	v_ldexp_f32 v6, v6, v9
	v_log_f32_e32 v6, v6
	v_cndmask_b32_e32 v9, 0, v31, vcc
	v_fmac_f32_e32 v38, 0x3b2d2a58, v8
	v_mul_f32_e32 v37, 0x3f317217, v6
	v_fma_f32 v37, v6, s44, -v37
	v_fmac_f32_e32 v37, 0x3377d1cf, v6
	v_fmac_f32_e32 v37, 0x3f317217, v6
	v_cmp_lt_f32_e64 vcc, |v6|, s39
	v_cndmask_b32_e32 v6, v6, v37, vcc
	v_sub_f32_e32 v6, v6, v9
	v_fma_f32 v9, v8, v38, v24
	v_fma_f32 v9, v8, v9, v25
	;; [unrolled: 1-line block ×6, first 2 shown]
	v_mul_f32_e32 v8, v8, v9
	v_fmac_f32_e32 v7, v7, v8
.LBB62_486:                             ;   in Loop: Header=BB62_418 Depth=1
	s_or_b64 exec, exec, s[6:7]
                                        ; implicit-def: $vgpr9
                                        ; implicit-def: $vgpr8
                                        ; implicit-def: $vgpr37
.LBB62_487:                             ;   in Loop: Header=BB62_418 Depth=1
	s_andn2_saveexec_b64 s[24:25], s[24:25]
	s_cbranch_execz .LBB62_489
; %bb.488:                              ;   in Loop: Header=BB62_418 Depth=1
	v_div_scale_f32 v6, s[6:7], s60, s60, v11
	v_div_scale_f32 v7, s[6:7], s60, s60, v10
	v_div_scale_f32 v38, vcc, v11, s60, v11
	v_div_scale_f32 v39, s[6:7], v10, s60, v10
	v_min_f32_e32 v8, v9, v8
	v_frexp_exp_i32_f32_e32 v9, v37
	v_frexp_mant_f32_e32 v37, v37
	v_rcp_f32_e32 v37, v37
	v_rcp_f32_e32 v40, v6
	s_waitcnt lgkmcnt(0)
	v_rcp_f32_e32 v41, v7
	v_fma_f32 v42, -v6, v40, 1.0
	v_fmac_f32_e32 v40, v42, v40
	v_fma_f32 v43, -v7, v41, 1.0
	v_fmac_f32_e32 v41, v43, v41
	v_mul_f32_e32 v42, v38, v40
	v_mul_f32_e32 v43, v39, v41
	v_fma_f32 v44, -v6, v42, v38
	v_fma_f32 v45, -v7, v43, v39
	v_fmac_f32_e32 v42, v44, v40
	v_fmac_f32_e32 v43, v45, v41
	v_fma_f32 v6, -v6, v42, v38
	v_fma_f32 v7, -v7, v43, v39
	v_div_fmas_f32 v6, v6, v40, v42
	s_mov_b64 vcc, s[6:7]
	v_div_fmas_f32 v7, v7, v41, v43
	v_frexp_exp_i32_f32_e32 v42, v8
	v_frexp_mant_f32_e32 v8, v8
	v_mul_f32_e32 v8, v8, v37
	v_mov_b32_e32 v38, 0xbc7a590c
	v_div_fixup_f32 v39, v6, s60, v11
	v_div_fixup_f32 v40, v7, s60, v10
	v_max_f32_e64 v41, v39, |v40|
	v_cvt_f64_f32_e32 v[6:7], v41
	v_cmp_neq_f32_e32 vcc, s39, v41
	v_frexp_exp_i32_f64_e32 v6, v[6:7]
	v_sub_u32_e32 v7, v42, v9
	v_ldexp_f32 v7, v8, v7
	v_mul_f32_e32 v8, v7, v7
	v_fmac_f32_e32 v38, 0x3b2d2a58, v8
	v_fma_f32 v9, v8, v38, v24
	v_fma_f32 v9, v8, v9, v25
	;; [unrolled: 1-line block ×3, first 2 shown]
	v_sub_u32_e32 v37, 0, v6
	v_ldexp_f32 v38, v39, v37
	v_ldexp_f32 v37, |v40|, v37
	v_mul_f32_e32 v37, v37, v37
	v_fmac_f32_e32 v37, v38, v38
	v_sqrt_f32_e32 v37, v37
	v_fma_f32 v9, v8, v9, v27
	v_fma_f32 v9, v8, v9, v28
	;; [unrolled: 1-line block ×3, first 2 shown]
	v_ldexp_f32 v6, v37, v6
	v_cndmask_b32_e32 v6, v30, v6, vcc
	v_cmp_gt_f32_e32 vcc, s43, v6
	v_cndmask_b32_e64 v37, 0, 32, vcc
	v_ldexp_f32 v6, v6, v37
	v_log_f32_e32 v6, v6
	v_mul_f32_e32 v8, v8, v9
	v_cndmask_b32_e32 v9, 0, v31, vcc
	v_fmac_f32_e32 v7, v7, v8
	v_mul_f32_e32 v37, 0x3f317217, v6
	v_fma_f32 v37, v6, s44, -v37
	v_fmac_f32_e32 v37, 0x3377d1cf, v6
	v_fmac_f32_e32 v37, 0x3f317217, v6
	v_cmp_lt_f32_e64 vcc, |v6|, s39
	v_cndmask_b32_e32 v6, v6, v37, vcc
	v_sub_f32_e32 v6, v6, v9
	v_add_f32_e32 v6, 1.0, v6
.LBB62_489:                             ;   in Loop: Header=BB62_418 Depth=1
	s_or_b64 exec, exec, s[24:25]
	v_sub_f32_e32 v8, 0x3fc90fdb, v7
	v_cndmask_b32_e64 v7, v7, v8, s[4:5]
	v_cmp_neq_f32_e32 vcc, 0, v10
	v_cndmask_b32_e32 v7, 0, v7, vcc
	v_cmp_class_f32_e64 s[24:25], v11, s56
                                        ; implicit-def: $vgpr8
.LBB62_490:                             ;   in Loop: Header=BB62_418 Depth=1
	s_andn2_saveexec_b64 s[26:27], s[26:27]
	s_cbranch_execz .LBB62_500
; %bb.491:                              ;   in Loop: Header=BB62_418 Depth=1
	v_cmp_gt_f32_e64 s[4:5], |v10|, -v11
	v_cndmask_b32_e64 v9, -v11, |v10|, s[4:5]
	v_cmp_nlt_f32_e32 vcc, s57, v9
                                        ; implicit-def: $vgpr6
                                        ; implicit-def: $vgpr7
	s_and_saveexec_b64 s[6:7], vcc
	s_xor_b64 s[28:29], exec, s[6:7]
	s_cbranch_execz .LBB62_497
; %bb.492:                              ;   in Loop: Header=BB62_418 Depth=1
	v_xor_b32_e32 v6, 0x80000000, v11
	v_cndmask_b32_e64 v37, |v10|, v6, s[4:5]
	v_cmp_nlt_f32_e32 vcc, s58, v9
	v_cmp_ngt_f32_e64 s[6:7], s59, v37
	s_and_b64 s[6:7], vcc, s[6:7]
                                        ; implicit-def: $vgpr6
                                        ; implicit-def: $vgpr7
	s_and_saveexec_b64 s[30:31], s[6:7]
	s_xor_b64 s[6:7], exec, s[30:31]
	s_cbranch_execz .LBB62_494
; %bb.493:                              ;   in Loop: Header=BB62_418 Depth=1
	v_mul_f32_e32 v6, v37, v37
	v_fmac_f32_e32 v6, v9, v9
	v_cmp_gt_f32_e32 vcc, s43, v6
	v_cndmask_b32_e64 v7, 0, 32, vcc
	v_ldexp_f32 v6, v6, v7
	v_log_f32_e32 v6, v6
	v_cndmask_b32_e32 v7, 0, v31, vcc
	v_mul_f32_e32 v9, 0x3f317217, v6
	v_fma_f32 v9, v6, s44, -v9
	v_fmac_f32_e32 v9, 0x3377d1cf, v6
	v_fmac_f32_e32 v9, 0x3f317217, v6
	v_cmp_lt_f32_e64 vcc, |v6|, s39
	v_cndmask_b32_e32 v6, v6, v9, vcc
	v_sub_f32_e32 v6, v6, v7
	v_max_f32_e64 v7, -v11, -v11
	v_min_f32_e32 v9, v7, v8
	v_max_f32_e32 v7, v7, v8
	v_frexp_mant_f32_e32 v8, v7
	v_rcp_f32_e32 v8, v8
	v_frexp_exp_i32_f32_e32 v7, v7
	v_frexp_exp_i32_f32_e32 v37, v9
	v_frexp_mant_f32_e32 v9, v9
	v_mul_f32_e32 v8, v9, v8
	v_sub_u32_e32 v7, v37, v7
	v_ldexp_f32 v7, v8, v7
	v_mul_f32_e32 v8, v7, v7
	v_mov_b32_e32 v9, 0xbc7a590c
	v_fmac_f32_e32 v9, 0x3b2d2a58, v8
	v_fma_f32 v9, v8, v9, v24
	v_fma_f32 v9, v8, v9, v25
	;; [unrolled: 1-line block ×6, first 2 shown]
	v_mul_f32_e32 v8, v8, v9
	v_mul_f32_e32 v6, 0.5, v6
	v_fmac_f32_e32 v7, v7, v8
                                        ; implicit-def: $vgpr8
.LBB62_494:                             ;   in Loop: Header=BB62_418 Depth=1
	s_andn2_saveexec_b64 s[6:7], s[6:7]
	s_cbranch_execz .LBB62_496
; %bb.495:                              ;   in Loop: Header=BB62_418 Depth=1
	v_max_f32_e64 v9, -v11, -v11
	v_max_f32_e32 v37, v9, v8
	v_cvt_f64_f32_e32 v[6:7], v37
	v_cmp_neq_f32_e32 vcc, s39, v37
	v_mov_b32_e32 v38, 0xbc7a590c
	v_frexp_exp_i32_f64_e32 v6, v[6:7]
	v_min_f32_e32 v7, v9, v8
	v_frexp_mant_f32_e32 v9, v37
	v_rcp_f32_e32 v9, v9
	v_frexp_exp_i32_f32_e32 v39, v7
	v_frexp_mant_f32_e32 v7, v7
	v_frexp_exp_i32_f32_e32 v8, v37
	v_mul_f32_e32 v7, v7, v9
	v_sub_u32_e32 v40, 0, v6
	s_waitcnt lgkmcnt(0)
	v_ldexp_f32 v41, -v11, v40
	v_ldexp_f32 v40, |v10|, v40
	v_mul_f32_e32 v40, v40, v40
	v_fmac_f32_e32 v40, v41, v41
	v_sqrt_f32_e32 v40, v40
	v_sub_u32_e32 v8, v39, v8
	v_ldexp_f32 v7, v7, v8
	v_mul_f32_e32 v8, v7, v7
	v_ldexp_f32 v6, v40, v6
	v_cndmask_b32_e32 v6, v30, v6, vcc
	v_cmp_gt_f32_e32 vcc, s43, v6
	v_cndmask_b32_e64 v9, 0, 32, vcc
	v_ldexp_f32 v6, v6, v9
	v_log_f32_e32 v6, v6
	v_cndmask_b32_e32 v9, 0, v31, vcc
	v_fmac_f32_e32 v38, 0x3b2d2a58, v8
	v_mul_f32_e32 v37, 0x3f317217, v6
	v_fma_f32 v37, v6, s44, -v37
	v_fmac_f32_e32 v37, 0x3377d1cf, v6
	v_fmac_f32_e32 v37, 0x3f317217, v6
	v_cmp_lt_f32_e64 vcc, |v6|, s39
	v_cndmask_b32_e32 v6, v6, v37, vcc
	v_sub_f32_e32 v6, v6, v9
	v_fma_f32 v9, v8, v38, v24
	v_fma_f32 v9, v8, v9, v25
	v_fma_f32 v9, v8, v9, v26
	v_fma_f32 v9, v8, v9, v27
	v_fma_f32 v9, v8, v9, v28
	v_fma_f32 v9, v8, v9, v29
	v_mul_f32_e32 v8, v8, v9
	v_fmac_f32_e32 v7, v7, v8
.LBB62_496:                             ;   in Loop: Header=BB62_418 Depth=1
	s_or_b64 exec, exec, s[6:7]
                                        ; implicit-def: $vgpr8
.LBB62_497:                             ;   in Loop: Header=BB62_418 Depth=1
	s_andn2_saveexec_b64 s[28:29], s[28:29]
	s_cbranch_execz .LBB62_499
; %bb.498:                              ;   in Loop: Header=BB62_418 Depth=1
	v_div_scale_f32 v6, s[6:7], s61, s61, v11
	v_div_scale_f32 v7, s[6:7], s61, s61, v10
	v_div_scale_f32 v9, vcc, v11, s61, v11
	v_div_scale_f32 v37, s[6:7], v10, s61, v10
	v_rcp_f32_e32 v38, v6
	v_rcp_f32_e32 v39, v7
	v_fma_f32 v40, -v6, v38, 1.0
	v_fmac_f32_e32 v38, v40, v38
	s_waitcnt lgkmcnt(0)
	v_fma_f32 v41, -v7, v39, 1.0
	v_fmac_f32_e32 v39, v41, v39
	v_mul_f32_e32 v40, v9, v38
	v_mul_f32_e32 v41, v37, v39
	v_fma_f32 v42, -v6, v40, v9
	v_fma_f32 v43, -v7, v41, v37
	v_fmac_f32_e32 v40, v42, v38
	v_fmac_f32_e32 v41, v43, v39
	v_fma_f32 v6, -v6, v40, v9
	v_fma_f32 v7, -v7, v41, v37
	v_div_fmas_f32 v6, v6, v38, v40
	s_mov_b64 vcc, s[6:7]
	v_div_fmas_f32 v7, v7, v39, v41
	v_max_f32_e64 v9, -v11, -v11
	v_min_f32_e32 v38, v9, v8
	v_max_f32_e32 v8, v9, v8
	v_frexp_exp_i32_f32_e32 v9, v8
	v_frexp_mant_f32_e32 v8, v8
	v_rcp_f32_e32 v8, v8
	v_frexp_exp_i32_f32_e32 v42, v38
	v_frexp_mant_f32_e32 v38, v38
	v_mov_b32_e32 v37, 0xbc7a590c
	v_mul_f32_e32 v8, v38, v8
	v_div_fixup_f32 v39, v6, s61, v11
	v_div_fixup_f32 v40, v7, s61, v10
	v_max_f32_e64 v41, |v39|, |v40|
	v_cvt_f64_f32_e32 v[6:7], v41
	v_cmp_neq_f32_e32 vcc, s39, v41
	v_frexp_exp_i32_f64_e32 v6, v[6:7]
	v_sub_u32_e32 v7, v42, v9
	v_ldexp_f32 v7, v8, v7
	v_mul_f32_e32 v8, v7, v7
	v_fmac_f32_e32 v37, 0x3b2d2a58, v8
	v_fma_f32 v9, v8, v37, v24
	v_fma_f32 v9, v8, v9, v25
	;; [unrolled: 1-line block ×3, first 2 shown]
	v_sub_u32_e32 v37, 0, v6
	v_ldexp_f32 v38, |v39|, v37
	v_ldexp_f32 v37, |v40|, v37
	v_mul_f32_e32 v37, v37, v37
	v_fmac_f32_e32 v37, v38, v38
	v_sqrt_f32_e32 v37, v37
	v_fma_f32 v9, v8, v9, v27
	v_fma_f32 v9, v8, v9, v28
	;; [unrolled: 1-line block ×3, first 2 shown]
	v_ldexp_f32 v6, v37, v6
	v_cndmask_b32_e32 v6, v30, v6, vcc
	v_cmp_gt_f32_e32 vcc, s43, v6
	v_cndmask_b32_e64 v37, 0, 32, vcc
	v_ldexp_f32 v6, v6, v37
	v_log_f32_e32 v6, v6
	v_mul_f32_e32 v8, v8, v9
	v_cndmask_b32_e32 v9, 0, v31, vcc
	v_fmac_f32_e32 v7, v7, v8
	v_mul_f32_e32 v37, 0x3f317217, v6
	v_fma_f32 v37, v6, s44, -v37
	v_fmac_f32_e32 v37, 0x3377d1cf, v6
	v_fmac_f32_e32 v37, 0x3f317217, v6
	v_cmp_lt_f32_e64 vcc, |v6|, s39
	v_cndmask_b32_e32 v6, v6, v37, vcc
	v_sub_f32_e32 v6, v6, v9
	v_add_f32_e32 v6, 1.0, v6
.LBB62_499:                             ;   in Loop: Header=BB62_418 Depth=1
	s_or_b64 exec, exec, s[28:29]
	v_sub_f32_e32 v8, 0x3fc90fdb, v7
	v_cndmask_b32_e64 v7, v7, v8, s[4:5]
	v_cmp_neq_f32_e32 vcc, 0, v10
	v_cndmask_b32_e32 v7, 0, v7, vcc
	v_cmp_eq_f32_e32 vcc, s49, v11
	s_andn2_b64 s[4:5], s[24:25], exec
	s_and_b64 s[6:7], vcc, exec
	s_or_b64 s[24:25], s[4:5], s[6:7]
.LBB62_500:                             ;   in Loop: Header=BB62_418 Depth=1
	s_or_b64 exec, exec, s[26:27]
	v_cmp_class_f32_e64 s[4:5], v10, s56
	s_and_b64 vcc, s[4:5], s[24:25]
	v_cndmask_b32_e32 v8, v7, v35, vcc
	v_add_f32_e32 v6, 0x3f317218, v6
	v_bfi_b32 v7, s38, v6, v11
	v_bfi_b32 v6, s38, v8, v10
.LBB62_501:                             ;   in Loop: Header=BB62_418 Depth=1
	s_or_b64 exec, exec, s[22:23]
.LBB62_502:                             ;   in Loop: Header=BB62_418 Depth=1
	s_andn2_saveexec_b64 s[4:5], s[20:21]
	s_cbranch_execz .LBB62_516
; %bb.503:                              ;   in Loop: Header=BB62_418 Depth=1
	v_cmp_neq_f32_e64 s[6:7], |v11|, s39
                                        ; implicit-def: $vgpr6
	s_and_saveexec_b64 s[20:21], s[6:7]
	s_xor_b64 s[6:7], exec, s[20:21]
	s_cbranch_execz .LBB62_513
; %bb.504:                              ;   in Loop: Header=BB62_418 Depth=1
	v_cmp_neq_f32_e64 s[20:21], |v10|, s39
                                        ; implicit-def: $vgpr6
	s_and_saveexec_b64 s[22:23], s[20:21]
	s_xor_b64 s[20:21], exec, s[22:23]
	s_cbranch_execz .LBB62_510
; %bb.505:                              ;   in Loop: Header=BB62_418 Depth=1
	v_cmp_neq_f32_e32 vcc, 0, v10
                                        ; implicit-def: $vgpr6
	s_and_saveexec_b64 s[22:23], vcc
	s_xor_b64 s[22:23], exec, s[22:23]
; %bb.506:                              ;   in Loop: Header=BB62_418 Depth=1
	v_add_f32_e32 v6, 0, v11
	v_add_f32_e32 v6, v10, v6
; %bb.507:                              ;   in Loop: Header=BB62_418 Depth=1
	s_or_saveexec_b64 s[22:23], s[22:23]
	v_mov_b32_e32 v7, v6
	s_xor_b64 exec, exec, s[22:23]
; %bb.508:                              ;   in Loop: Header=BB62_418 Depth=1
	v_add_f32_e32 v7, v11, v11
	v_mov_b32_e32 v6, v10
; %bb.509:                              ;   in Loop: Header=BB62_418 Depth=1
	s_or_b64 exec, exec, s[22:23]
.LBB62_510:                             ;   in Loop: Header=BB62_418 Depth=1
	s_andn2_saveexec_b64 s[20:21], s[20:21]
; %bb.511:                              ;   in Loop: Header=BB62_418 Depth=1
	v_add_f32_e32 v6, v11, v11
	v_mov_b32_e32 v7, v10
; %bb.512:                              ;   in Loop: Header=BB62_418 Depth=1
	s_or_b64 exec, exec, s[20:21]
.LBB62_513:                             ;   in Loop: Header=BB62_418 Depth=1
	s_andn2_saveexec_b64 s[6:7], s[6:7]
; %bb.514:                              ;   in Loop: Header=BB62_418 Depth=1
	v_add_f32_e32 v6, v10, v10
	v_mov_b32_e32 v7, v11
; %bb.515:                              ;   in Loop: Header=BB62_418 Depth=1
	s_or_b64 exec, exec, s[6:7]
.LBB62_516:                             ;   in Loop: Header=BB62_418 Depth=1
	s_or_b64 exec, exec, s[4:5]
	v_cmp_o_f32_e32 vcc, v13, v12
	s_and_saveexec_b64 s[4:5], vcc
	s_xor_b64 s[20:21], exec, s[4:5]
	s_cbranch_execz .LBB62_600
; %bb.517:                              ;   in Loop: Header=BB62_418 Depth=1
	v_max_f32_e64 v11, |v13|, |v13|
	v_max_f32_e64 v10, |v12|, |v12|
	v_max_f32_e32 v37, v10, v11
	v_cmp_nlt_f32_e32 vcc, s19, v37
	s_and_saveexec_b64 s[4:5], vcc
	s_xor_b64 s[6:7], exec, s[4:5]
	s_cbranch_execz .LBB62_577
; %bb.518:                              ;   in Loop: Header=BB62_418 Depth=1
	v_cmp_neq_f32_e32 vcc, 0, v13
	v_cmp_neq_f32_e64 s[4:5], 0, v12
	s_or_b64 s[4:5], vcc, s[4:5]
	s_and_saveexec_b64 s[22:23], s[4:5]
	s_cbranch_execz .LBB62_576
; %bb.519:                              ;   in Loop: Header=BB62_418 Depth=1
	v_mov_b32_e32 v8, s10
	v_mov_b32_e32 v9, s11
	flat_store_dword v[8:9], v17
	s_waitcnt vmcnt(0)
	flat_load_dword v8, v[8:9] glc
	s_waitcnt vmcnt(0)
	v_cmp_nlt_f32_e64 s[4:5], |v13|, s33
	v_cmp_nlt_f32_e64 s[24:25], |v12|, s33
	s_or_b64 s[4:5], s[24:25], s[4:5]
	s_waitcnt lgkmcnt(0)
	v_add_f32_e32 v10, 1.0, v8
	v_mov_b32_e32 v8, s14
	v_mov_b32_e32 v9, s15
	flat_store_dword v[8:9], v10
	s_waitcnt vmcnt(0)
	flat_load_dword v8, v[8:9] glc
	s_waitcnt vmcnt(0)
	s_and_saveexec_b64 s[24:25], s[4:5]
	s_cbranch_execz .LBB62_575
; %bb.520:                              ;   in Loop: Header=BB62_418 Depth=1
	v_add_f32_e64 v10, |v12|, 1.0
	s_waitcnt lgkmcnt(0)
	v_max_f32_e32 v8, v11, v10
	v_add_f32_e64 v9, |v12|, -1.0
	v_cvt_f64_f32_e32 v[37:38], v8
	v_max_f32_e64 v11, v11, |v9|
	v_cvt_f64_f32_e32 v[39:40], v11
	v_cmp_neq_f32_e32 vcc, s39, v8
	v_frexp_exp_i32_f64_e32 v37, v[37:38]
	v_frexp_exp_i32_f64_e32 v38, v[39:40]
	v_sub_u32_e32 v39, 0, v37
	v_ldexp_f32 v41, |v13|, v39
	v_sub_u32_e32 v40, 0, v38
	v_ldexp_f32 v39, v10, v39
	v_ldexp_f32 v42, |v13|, v40
	v_ldexp_f32 v40, |v9|, v40
	v_mul_f32_e32 v39, v39, v39
	v_mul_f32_e32 v40, v40, v40
	v_fmac_f32_e32 v39, v41, v41
	v_fmac_f32_e32 v40, v42, v42
	v_sqrt_f32_e32 v39, v39
	v_sqrt_f32_e32 v40, v40
	v_ldexp_f32 v37, v39, v37
	v_ldexp_f32 v39, v40, v38
	v_cndmask_b32_e32 v38, v30, v37, vcc
	v_cmp_neq_f32_e32 vcc, s39, v11
	v_cndmask_b32_e32 v11, v30, v39, vcc
	v_add_f32_e32 v8, v38, v11
	v_mul_f32_e32 v8, 0.5, v8
	v_cmp_ngt_f32_e32 vcc, 1.0, v8
	v_cndmask_b32_e32 v8, 1.0, v8, vcc
	v_cmp_ngt_f32_e32 vcc, s40, v8
                                        ; implicit-def: $vgpr39
	s_and_saveexec_b64 s[4:5], vcc
	s_xor_b64 s[26:27], exec, s[4:5]
	s_cbranch_execz .LBB62_522
; %bb.521:                              ;   in Loop: Header=BB62_418 Depth=1
	v_fma_f32 v37, v8, v8, -1.0
	v_mul_f32_e32 v39, 0x4f800000, v37
	v_cmp_gt_f32_e32 vcc, s41, v37
	v_cndmask_b32_e32 v37, v37, v39, vcc
	v_sqrt_f32_e32 v39, v37
	v_add_u32_e32 v40, -1, v39
	v_fma_f32 v42, -v40, v39, v37
	v_add_u32_e32 v41, 1, v39
	v_cmp_ge_f32_e64 s[4:5], 0, v42
	v_cndmask_b32_e64 v40, v39, v40, s[4:5]
	v_fma_f32 v39, -v41, v39, v37
	v_cmp_lt_f32_e64 s[4:5], 0, v39
	v_cndmask_b32_e64 v39, v40, v41, s[4:5]
	v_mul_f32_e32 v40, 0x37800000, v39
	v_cndmask_b32_e32 v39, v39, v40, vcc
	v_cmp_class_f32_e32 vcc, v37, v18
	v_cndmask_b32_e32 v37, v39, v37, vcc
	v_add_f32_e32 v37, v8, v37
	v_cmp_gt_f32_e32 vcc, s43, v37
	v_cndmask_b32_e64 v39, 0, 32, vcc
	v_ldexp_f32 v37, v37, v39
	v_log_f32_e32 v37, v37
	v_mul_f32_e32 v39, 0x3f317217, v37
	v_fma_f32 v39, v37, s44, -v39
	v_fmac_f32_e32 v39, 0x3377d1cf, v37
	v_fmac_f32_e32 v39, 0x3f317217, v37
	v_cmp_lt_f32_e64 s[4:5], |v37|, s39
	v_cndmask_b32_e64 v37, v37, v39, s[4:5]
	v_cndmask_b32_e32 v39, 0, v31, vcc
	v_sub_f32_e32 v39, v37, v39
.LBB62_522:                             ;   in Loop: Header=BB62_418 Depth=1
	s_or_saveexec_b64 s[26:27], s[26:27]
	v_and_b32_e32 v37, 0x7fffffff, v13
	s_xor_b64 exec, exec, s[26:27]
	s_cbranch_execz .LBB62_544
; %bb.523:                              ;   in Loop: Header=BB62_418 Depth=1
	v_cmp_neq_f32_e64 s[4:5], |v12|, 1.0
	v_cmp_nlt_f32_e64 s[28:29], |v13|, s45
	s_or_b64 s[4:5], s[4:5], s[28:29]
                                        ; implicit-def: $vgpr39
	s_and_saveexec_b64 s[28:29], s[4:5]
	s_xor_b64 s[28:29], exec, s[28:29]
	s_cbranch_execz .LBB62_541
; %bb.524:                              ;   in Loop: Header=BB62_418 Depth=1
	v_mul_f32_e64 v39, |v9|, s46
	v_cmp_ge_f32_e64 s[4:5], |v13|, v39
                                        ; implicit-def: $vgpr39
	s_and_saveexec_b64 s[30:31], s[4:5]
	s_xor_b64 s[30:31], exec, s[30:31]
	s_cbranch_execz .LBB62_534
; %bb.525:                              ;   in Loop: Header=BB62_418 Depth=1
	v_cmp_neq_f32_e32 vcc, 0, v10
	v_mov_b32_e32 v39, v37
	s_and_saveexec_b64 s[4:5], vcc
	s_cbranch_execz .LBB62_527
; %bb.526:                              ;   in Loop: Header=BB62_418 Depth=1
	v_mul_f32_e32 v39, v13, v13
	v_add_f32_e32 v40, v10, v38
	v_div_scale_f32 v41, s[34:35], v40, v40, v39
	v_div_scale_f32 v42, vcc, v39, v40, v39
	v_rcp_f32_e32 v43, v41
	v_fma_f32 v44, -v41, v43, 1.0
	v_fmac_f32_e32 v43, v44, v43
	v_mul_f32_e32 v44, v42, v43
	v_fma_f32 v45, -v41, v44, v42
	v_fmac_f32_e32 v44, v45, v43
	v_fma_f32 v41, -v41, v44, v42
	v_div_fmas_f32 v41, v41, v43, v44
	v_div_fixup_f32 v39, v41, v40, v39
.LBB62_527:                             ;   in Loop: Header=BB62_418 Depth=1
	s_or_b64 exec, exec, s[4:5]
	v_sub_f32_e64 v41, 1.0, |v12|
	v_cmp_ngt_f32_e32 vcc, 0, v41
                                        ; implicit-def: $vgpr40
	s_and_saveexec_b64 s[4:5], vcc
	s_xor_b64 s[4:5], exec, s[4:5]
	s_cbranch_execz .LBB62_531
; %bb.528:                              ;   in Loop: Header=BB62_418 Depth=1
	v_cmp_neq_f32_e32 vcc, 0, v41
	v_mov_b32_e32 v40, v37
	s_and_saveexec_b64 s[34:35], vcc
	s_cbranch_execz .LBB62_530
; %bb.529:                              ;   in Loop: Header=BB62_418 Depth=1
	v_mul_f32_e32 v40, v13, v13
	v_add_f32_e32 v41, v41, v11
	v_div_scale_f32 v42, s[36:37], v41, v41, v40
	v_div_scale_f32 v43, vcc, v40, v41, v40
	v_rcp_f32_e32 v44, v42
	v_fma_f32 v45, -v42, v44, 1.0
	v_fmac_f32_e32 v44, v45, v44
	v_mul_f32_e32 v45, v43, v44
	v_fma_f32 v46, -v42, v45, v43
	v_fmac_f32_e32 v45, v46, v44
	v_fma_f32 v42, -v42, v45, v43
	v_div_fmas_f32 v42, v42, v44, v45
	v_div_fixup_f32 v40, v42, v41, v40
.LBB62_530:                             ;   in Loop: Header=BB62_418 Depth=1
	s_or_b64 exec, exec, s[34:35]
                                        ; implicit-def: $vgpr41
.LBB62_531:                             ;   in Loop: Header=BB62_418 Depth=1
	s_andn2_saveexec_b64 s[4:5], s[4:5]
; %bb.532:                              ;   in Loop: Header=BB62_418 Depth=1
	v_sub_f32_e32 v40, v11, v41
; %bb.533:                              ;   in Loop: Header=BB62_418 Depth=1
	s_or_b64 exec, exec, s[4:5]
	v_mul_f32_e32 v40, 0.5, v40
	v_fmac_f32_e32 v40, 0.5, v39
	v_add_f32_e32 v39, 1.0, v8
	v_mul_f32_e32 v39, v39, v40
	v_mul_f32_e32 v41, 0x4f800000, v39
	v_cmp_gt_f32_e32 vcc, s41, v39
	v_cndmask_b32_e32 v39, v39, v41, vcc
	v_sqrt_f32_e32 v41, v39
	v_add_u32_e32 v42, -1, v41
	v_fma_f32 v43, -v42, v41, v39
	v_cmp_ge_f32_e64 s[4:5], 0, v43
	v_add_u32_e32 v43, 1, v41
	v_cndmask_b32_e64 v42, v41, v42, s[4:5]
	v_fma_f32 v41, -v43, v41, v39
	v_cmp_lt_f32_e64 s[4:5], 0, v41
	v_cndmask_b32_e64 v41, v42, v43, s[4:5]
	v_mul_f32_e32 v42, 0x37800000, v41
	v_cndmask_b32_e32 v41, v41, v42, vcc
	v_cmp_class_f32_e32 vcc, v39, v18
	v_cndmask_b32_e32 v39, v41, v39, vcc
	v_add_f32_e32 v41, v40, v39
	v_add_f32_e32 v42, 1.0, v41
	v_cvt_f64_f32_e32 v[39:40], v42
	v_add_f32_e32 v43, -1.0, v42
	v_frexp_exp_i32_f64_e32 v39, v[39:40]
	v_sub_f32_e32 v40, v43, v42
	v_add_f32_e32 v40, 1.0, v40
	v_sub_f32_e32 v43, v41, v43
	v_add_f32_e32 v40, v43, v40
	v_frexp_mant_f32_e32 v43, v42
	v_cmp_gt_f32_e32 vcc, s47, v43
	v_subbrev_co_u32_e32 v39, vcc, 0, v39, vcc
	v_sub_u32_e32 v43, 0, v39
	v_ldexp_f32 v42, v42, v43
	v_ldexp_f32 v40, v40, v43
	v_add_f32_e32 v43, -1.0, v42
	v_add_f32_e32 v46, 1.0, v42
	v_add_f32_e32 v44, 1.0, v43
	v_add_f32_e32 v47, -1.0, v46
	v_sub_f32_e32 v44, v42, v44
	v_sub_f32_e32 v42, v42, v47
	v_add_f32_e32 v44, v40, v44
	v_add_f32_e32 v40, v40, v42
	;; [unrolled: 1-line block ×3, first 2 shown]
	v_rcp_f32_e32 v47, v42
	v_add_f32_e32 v45, v43, v44
	v_sub_f32_e32 v43, v45, v43
	v_sub_f32_e32 v43, v44, v43
	;; [unrolled: 1-line block ×4, first 2 shown]
	v_mul_f32_e32 v44, v45, v47
	v_mul_f32_e32 v46, v42, v44
	v_fma_f32 v48, v44, v42, -v46
	v_fmac_f32_e32 v48, v44, v40
	v_add_f32_e32 v49, v46, v48
	v_sub_f32_e32 v50, v45, v49
	v_sub_f32_e32 v45, v45, v50
	;; [unrolled: 1-line block ×4, first 2 shown]
	v_add_f32_e32 v43, v43, v45
	v_sub_f32_e32 v45, v46, v48
	v_add_f32_e32 v43, v45, v43
	v_add_f32_e32 v45, v50, v43
	v_mul_f32_e32 v46, v47, v45
	v_mul_f32_e32 v48, v42, v46
	v_fma_f32 v42, v46, v42, -v48
	v_fmac_f32_e32 v42, v46, v40
	v_sub_f32_e32 v40, v50, v45
	v_add_f32_e32 v40, v43, v40
	v_add_f32_e32 v43, v48, v42
	v_sub_f32_e32 v49, v45, v43
	v_sub_f32_e32 v45, v45, v49
	;; [unrolled: 1-line block ×4, first 2 shown]
	v_add_f32_e32 v40, v40, v43
	v_sub_f32_e32 v42, v48, v42
	v_cvt_f32_i32_e32 v39, v39
	v_add_f32_e32 v40, v42, v40
	v_add_f32_e32 v42, v44, v46
	;; [unrolled: 1-line block ×3, first 2 shown]
	v_sub_f32_e32 v43, v42, v44
	v_mul_f32_e32 v40, v47, v40
	v_sub_f32_e32 v43, v46, v43
	v_add_f32_e32 v40, v43, v40
	v_mul_f32_e32 v46, 0x3f317218, v39
	v_add_f32_e32 v43, v42, v40
	v_fma_f32 v47, v39, s48, -v46
	v_mul_f32_e32 v44, v43, v43
	v_mov_b32_e32 v45, 0x3ecc95a3
	v_fmac_f32_e32 v47, 0xb102e308, v39
	v_sub_f32_e32 v39, v43, v42
	v_fmac_f32_e32 v45, 0x3e9b6dac, v44
	v_sub_f32_e32 v39, v40, v39
	v_add_f32_e32 v40, v46, v47
	v_fma_f32 v45, v44, v45, v19
	v_sub_f32_e32 v42, v40, v46
	v_ldexp_f32 v46, v43, 1
	v_mul_f32_e32 v43, v43, v44
	v_mul_f32_e32 v43, v43, v45
	v_add_f32_e32 v44, v46, v43
	v_sub_f32_e32 v45, v44, v46
	v_ldexp_f32 v39, v39, 1
	v_sub_f32_e32 v43, v43, v45
	v_add_f32_e32 v39, v39, v43
	v_add_f32_e32 v43, v44, v39
	v_sub_f32_e32 v44, v43, v44
	v_sub_f32_e32 v39, v39, v44
	v_add_f32_e32 v44, v40, v43
	v_sub_f32_e32 v45, v44, v40
	v_sub_f32_e32 v46, v44, v45
	;; [unrolled: 1-line block ×5, first 2 shown]
	v_add_f32_e32 v40, v43, v40
	v_add_f32_e32 v43, v42, v39
	v_sub_f32_e32 v45, v43, v42
	v_sub_f32_e32 v46, v43, v45
	v_sub_f32_e32 v42, v42, v46
	v_sub_f32_e32 v39, v39, v45
	v_add_f32_e32 v40, v43, v40
	v_add_f32_e32 v39, v39, v42
	;; [unrolled: 1-line block ×3, first 2 shown]
	v_sub_f32_e32 v43, v42, v44
	v_sub_f32_e32 v40, v40, v43
	v_add_f32_e32 v39, v39, v40
	v_add_f32_e32 v39, v42, v39
	v_cmp_neq_f32_e32 vcc, s39, v41
	v_cndmask_b32_e32 v39, v30, v39, vcc
	v_cmp_ngt_f32_e32 vcc, -1.0, v41
	v_cndmask_b32_e32 v39, v32, v39, vcc
	v_cmp_neq_f32_e32 vcc, -1.0, v41
	v_cndmask_b32_e32 v39, v33, v39, vcc
	v_cmp_lt_f32_e64 vcc, |v41|, s50
	v_cndmask_b32_e32 v39, v39, v41, vcc
.LBB62_534:                             ;   in Loop: Header=BB62_418 Depth=1
	s_andn2_saveexec_b64 s[30:31], s[30:31]
	s_cbranch_execz .LBB62_540
; %bb.535:                              ;   in Loop: Header=BB62_418 Depth=1
	v_cmp_nlt_f32_e64 s[4:5], |v12|, 1.0
                                        ; implicit-def: $vgpr39
	s_and_saveexec_b64 s[34:35], s[4:5]
	s_xor_b64 s[34:35], exec, s[34:35]
	s_cbranch_execz .LBB62_537
; %bb.536:                              ;   in Loop: Header=BB62_418 Depth=1
	v_mul_f32_e32 v39, v9, v10
	v_mul_f32_e32 v40, 0x4f800000, v39
	v_cmp_gt_f32_e32 vcc, s41, v39
	v_cndmask_b32_e32 v39, v39, v40, vcc
	v_sqrt_f32_e32 v40, v39
	v_add_u32_e32 v41, -1, v40
	v_fma_f32 v43, -v41, v40, v39
	v_add_u32_e32 v42, 1, v40
	v_cmp_ge_f32_e64 s[4:5], 0, v43
	v_cndmask_b32_e64 v41, v40, v41, s[4:5]
	v_fma_f32 v40, -v42, v40, v39
	v_cmp_lt_f32_e64 s[4:5], 0, v40
	v_cndmask_b32_e64 v40, v41, v42, s[4:5]
	v_mul_f32_e32 v41, 0x37800000, v40
	v_cndmask_b32_e32 v40, v40, v41, vcc
	v_cmp_class_f32_e32 vcc, v39, v18
	v_cndmask_b32_e32 v39, v40, v39, vcc
	v_add_f32_e32 v41, v9, v39
	v_add_f32_e32 v42, 1.0, v41
	v_cvt_f64_f32_e32 v[39:40], v42
	v_add_f32_e32 v43, -1.0, v42
	v_frexp_exp_i32_f64_e32 v39, v[39:40]
	v_sub_f32_e32 v40, v43, v42
	v_add_f32_e32 v40, 1.0, v40
	v_sub_f32_e32 v43, v41, v43
	v_add_f32_e32 v40, v43, v40
	v_frexp_mant_f32_e32 v43, v42
	v_cmp_gt_f32_e32 vcc, s47, v43
	v_subbrev_co_u32_e32 v39, vcc, 0, v39, vcc
	v_sub_u32_e32 v43, 0, v39
	v_ldexp_f32 v42, v42, v43
	v_ldexp_f32 v40, v40, v43
	v_add_f32_e32 v43, -1.0, v42
	v_add_f32_e32 v46, 1.0, v42
	v_add_f32_e32 v44, 1.0, v43
	v_add_f32_e32 v47, -1.0, v46
	v_sub_f32_e32 v44, v42, v44
	v_sub_f32_e32 v42, v42, v47
	v_add_f32_e32 v44, v40, v44
	v_add_f32_e32 v40, v40, v42
	;; [unrolled: 1-line block ×3, first 2 shown]
	v_rcp_f32_e32 v47, v42
	v_add_f32_e32 v45, v43, v44
	v_sub_f32_e32 v43, v45, v43
	v_sub_f32_e32 v43, v44, v43
	;; [unrolled: 1-line block ×4, first 2 shown]
	v_mul_f32_e32 v44, v45, v47
	v_mul_f32_e32 v46, v42, v44
	v_fma_f32 v48, v44, v42, -v46
	v_fmac_f32_e32 v48, v44, v40
	v_add_f32_e32 v49, v46, v48
	v_sub_f32_e32 v50, v45, v49
	v_sub_f32_e32 v45, v45, v50
	;; [unrolled: 1-line block ×4, first 2 shown]
	v_add_f32_e32 v43, v43, v45
	v_sub_f32_e32 v45, v46, v48
	v_add_f32_e32 v43, v45, v43
	v_add_f32_e32 v45, v50, v43
	v_mul_f32_e32 v46, v47, v45
	v_mul_f32_e32 v48, v42, v46
	v_fma_f32 v42, v46, v42, -v48
	v_fmac_f32_e32 v42, v46, v40
	v_sub_f32_e32 v40, v50, v45
	v_add_f32_e32 v40, v43, v40
	v_add_f32_e32 v43, v48, v42
	v_sub_f32_e32 v49, v45, v43
	v_sub_f32_e32 v45, v45, v49
	;; [unrolled: 1-line block ×4, first 2 shown]
	v_add_f32_e32 v40, v40, v43
	v_sub_f32_e32 v42, v48, v42
	v_cvt_f32_i32_e32 v39, v39
	v_add_f32_e32 v40, v42, v40
	v_add_f32_e32 v42, v44, v46
	v_add_f32_e32 v40, v49, v40
	v_sub_f32_e32 v43, v42, v44
	v_mul_f32_e32 v40, v47, v40
	v_sub_f32_e32 v43, v46, v43
	v_add_f32_e32 v40, v43, v40
	v_mul_f32_e32 v46, 0x3f317218, v39
	v_add_f32_e32 v43, v42, v40
	v_fma_f32 v47, v39, s48, -v46
	v_mul_f32_e32 v44, v43, v43
	v_mov_b32_e32 v45, 0x3ecc95a3
	v_fmac_f32_e32 v47, 0xb102e308, v39
	v_sub_f32_e32 v39, v43, v42
	v_fmac_f32_e32 v45, 0x3e9b6dac, v44
	v_sub_f32_e32 v39, v40, v39
	v_add_f32_e32 v40, v46, v47
	v_fma_f32 v45, v44, v45, v19
	v_sub_f32_e32 v42, v40, v46
	v_ldexp_f32 v46, v43, 1
	v_mul_f32_e32 v43, v43, v44
	v_mul_f32_e32 v43, v43, v45
	v_add_f32_e32 v44, v46, v43
	v_sub_f32_e32 v45, v44, v46
	v_ldexp_f32 v39, v39, 1
	v_sub_f32_e32 v43, v43, v45
	v_add_f32_e32 v39, v39, v43
	v_add_f32_e32 v43, v44, v39
	v_sub_f32_e32 v44, v43, v44
	v_sub_f32_e32 v39, v39, v44
	v_add_f32_e32 v44, v40, v43
	v_sub_f32_e32 v45, v44, v40
	v_sub_f32_e32 v46, v44, v45
	;; [unrolled: 1-line block ×5, first 2 shown]
	v_add_f32_e32 v40, v43, v40
	v_add_f32_e32 v43, v42, v39
	v_sub_f32_e32 v45, v43, v42
	v_sub_f32_e32 v46, v43, v45
	;; [unrolled: 1-line block ×4, first 2 shown]
	v_add_f32_e32 v40, v43, v40
	v_add_f32_e32 v39, v39, v42
	;; [unrolled: 1-line block ×3, first 2 shown]
	v_sub_f32_e32 v43, v42, v44
	v_sub_f32_e32 v40, v40, v43
	v_add_f32_e32 v39, v39, v40
	v_add_f32_e32 v39, v42, v39
	v_cmp_neq_f32_e32 vcc, s39, v41
	v_cndmask_b32_e32 v39, v30, v39, vcc
	v_cmp_ngt_f32_e32 vcc, -1.0, v41
	v_cndmask_b32_e32 v39, v32, v39, vcc
	v_cmp_neq_f32_e32 vcc, -1.0, v41
	v_cndmask_b32_e32 v39, v33, v39, vcc
	v_cmp_lt_f32_e64 vcc, |v41|, s50
	v_cndmask_b32_e32 v39, v39, v41, vcc
.LBB62_537:                             ;   in Loop: Header=BB62_418 Depth=1
	s_andn2_saveexec_b64 s[34:35], s[34:35]
	s_cbranch_execz .LBB62_539
; %bb.538:                              ;   in Loop: Header=BB62_418 Depth=1
	v_sub_f32_e64 v39, 1.0, |v12|
	v_mul_f32_e32 v39, v39, v10
	v_mul_f32_e32 v40, 0x4f800000, v39
	v_cmp_gt_f32_e32 vcc, s41, v39
	v_cndmask_b32_e32 v39, v39, v40, vcc
	v_sqrt_f32_e32 v40, v39
	v_add_u32_e32 v41, -1, v40
	v_fma_f32 v43, -v41, v40, v39
	v_add_u32_e32 v42, 1, v40
	v_cmp_ge_f32_e64 s[4:5], 0, v43
	v_cndmask_b32_e64 v41, v40, v41, s[4:5]
	v_fma_f32 v40, -v42, v40, v39
	v_cmp_lt_f32_e64 s[4:5], 0, v40
	v_cndmask_b32_e64 v40, v41, v42, s[4:5]
	v_mul_f32_e32 v41, 0x37800000, v40
	v_cndmask_b32_e32 v40, v40, v41, vcc
	v_cmp_class_f32_e32 vcc, v39, v18
	v_cndmask_b32_e32 v39, v40, v39, vcc
	v_and_b32_e32 v40, 0x7fffffff, v13
	v_div_scale_f32 v41, s[4:5], v39, v39, v40
	v_div_scale_f32 v40, vcc, v40, v39, v40
	v_rcp_f32_e32 v42, v41
	v_fma_f32 v43, -v41, v42, 1.0
	v_fmac_f32_e32 v42, v43, v42
	v_mul_f32_e32 v43, v40, v42
	v_fma_f32 v44, -v41, v43, v40
	v_fmac_f32_e32 v43, v44, v42
	v_fma_f32 v40, -v41, v43, v40
	v_div_fmas_f32 v40, v40, v42, v43
	v_div_fixup_f32 v39, v40, v39, |v13|
.LBB62_539:                             ;   in Loop: Header=BB62_418 Depth=1
	s_or_b64 exec, exec, s[34:35]
.LBB62_540:                             ;   in Loop: Header=BB62_418 Depth=1
	s_or_b64 exec, exec, s[30:31]
.LBB62_541:                             ;   in Loop: Header=BB62_418 Depth=1
	s_andn2_saveexec_b64 s[28:29], s[28:29]
	s_cbranch_execz .LBB62_543
; %bb.542:                              ;   in Loop: Header=BB62_418 Depth=1
	v_mul_f32_e64 v39, |v13|, s42
	v_cmp_lt_f32_e64 vcc, |v13|, s41
	v_cndmask_b32_e64 v39, |v13|, v39, vcc
	v_sqrt_f32_e32 v40, v39
	v_add_u32_e32 v41, -1, v40
	v_fma_f32 v43, -v41, v40, v39
	v_add_u32_e32 v42, 1, v40
	v_cmp_ge_f32_e64 s[4:5], 0, v43
	v_cndmask_b32_e64 v41, v40, v41, s[4:5]
	v_fma_f32 v40, -v42, v40, v39
	v_cmp_lt_f32_e64 s[4:5], 0, v40
	v_cndmask_b32_e64 v40, v41, v42, s[4:5]
	v_mul_f32_e32 v41, 0x37800000, v40
	v_cndmask_b32_e32 v40, v40, v41, vcc
	v_cmp_class_f32_e32 vcc, v39, v18
	v_cndmask_b32_e32 v39, v40, v39, vcc
.LBB62_543:                             ;   in Loop: Header=BB62_418 Depth=1
	s_or_b64 exec, exec, s[28:29]
.LBB62_544:                             ;   in Loop: Header=BB62_418 Depth=1
	s_or_b64 exec, exec, s[26:27]
	v_cmp_nlt_f32_e64 s[26:27], |v12|, s51
                                        ; implicit-def: $sgpr4_sgpr5
                                        ; implicit-def: $vgpr40
                                        ; implicit-def: $vgpr42
                                        ; implicit-def: $vgpr41
	s_and_saveexec_b64 s[28:29], s[26:27]
	s_xor_b64 s[26:27], exec, s[28:29]
	s_cbranch_execz .LBB62_568
; %bb.545:                              ;   in Loop: Header=BB62_418 Depth=1
	v_and_b32_e32 v41, 0x7fffffff, v12
	v_div_scale_f32 v40, s[4:5], v8, v8, v41
	v_div_scale_f32 v42, vcc, v41, v8, v41
	s_mov_b64 s[4:5], 0
	v_rcp_f32_e32 v43, v40
	v_fma_f32 v44, -v40, v43, 1.0
	v_fmac_f32_e32 v43, v44, v43
	v_mul_f32_e32 v44, v42, v43
	v_fma_f32 v45, -v40, v44, v42
	v_fmac_f32_e32 v44, v45, v43
	v_fma_f32 v40, -v40, v44, v42
	v_div_fmas_f32 v40, v40, v43, v44
                                        ; implicit-def: $vgpr42
	v_div_fixup_f32 v40, v40, v8, |v12|
	v_cmp_lt_f32_e32 vcc, s52, v40
	s_and_saveexec_b64 s[28:29], vcc
	s_cbranch_execz .LBB62_567
; %bb.546:                              ;   in Loop: Header=BB62_418 Depth=1
	v_cmp_neq_f32_e64 s[4:5], |v12|, 1.0
	v_cmp_nlt_f32_e64 s[30:31], |v13|, s53
	s_or_b64 s[4:5], s[4:5], s[30:31]
                                        ; implicit-def: $vgpr42
	s_and_saveexec_b64 s[30:31], s[4:5]
	s_xor_b64 s[30:31], exec, s[30:31]
	s_cbranch_execz .LBB62_564
; %bb.547:                              ;   in Loop: Header=BB62_418 Depth=1
	v_mul_f32_e64 v42, |v9|, s46
	v_cmp_ge_f32_e64 s[4:5], |v13|, v42
                                        ; implicit-def: $vgpr42
	s_and_saveexec_b64 s[34:35], s[4:5]
	s_xor_b64 s[34:35], exec, s[34:35]
	s_cbranch_execz .LBB62_557
; %bb.548:                              ;   in Loop: Header=BB62_418 Depth=1
	v_cmp_neq_f32_e32 vcc, 0, v10
	v_mov_b32_e32 v42, v37
	s_and_saveexec_b64 s[4:5], vcc
	s_cbranch_execz .LBB62_550
; %bb.549:                              ;   in Loop: Header=BB62_418 Depth=1
	v_mul_f32_e32 v42, v13, v13
	v_add_f32_e32 v10, v10, v38
	v_div_scale_f32 v38, s[36:37], v10, v10, v42
	v_div_scale_f32 v43, vcc, v42, v10, v42
	v_rcp_f32_e32 v44, v38
	v_fma_f32 v45, -v38, v44, 1.0
	v_fmac_f32_e32 v44, v45, v44
	v_mul_f32_e32 v45, v43, v44
	v_fma_f32 v46, -v38, v45, v43
	v_fmac_f32_e32 v45, v46, v44
	v_fma_f32 v38, -v38, v45, v43
	v_div_fmas_f32 v38, v38, v44, v45
	v_div_fixup_f32 v42, v38, v10, v42
.LBB62_550:                             ;   in Loop: Header=BB62_418 Depth=1
	s_or_b64 exec, exec, s[4:5]
	v_cmp_ngt_f32_e32 vcc, 0, v9
	s_and_saveexec_b64 s[4:5], vcc
	s_xor_b64 s[4:5], exec, s[4:5]
	s_cbranch_execz .LBB62_554
; %bb.551:                              ;   in Loop: Header=BB62_418 Depth=1
	v_cmp_neq_f32_e32 vcc, 0, v9
	s_and_saveexec_b64 s[36:37], vcc
	s_cbranch_execz .LBB62_553
; %bb.552:                              ;   in Loop: Header=BB62_418 Depth=1
	v_mul_f32_e32 v10, v13, v13
	v_add_f32_e32 v9, v9, v11
	v_div_scale_f32 v11, s[62:63], v9, v9, v10
	v_div_scale_f32 v37, vcc, v10, v9, v10
	v_rcp_f32_e32 v38, v11
	v_fma_f32 v43, -v11, v38, 1.0
	v_fmac_f32_e32 v38, v43, v38
	v_mul_f32_e32 v43, v37, v38
	v_fma_f32 v44, -v11, v43, v37
	v_fmac_f32_e32 v43, v44, v38
	v_fma_f32 v11, -v11, v43, v37
	v_div_fmas_f32 v11, v11, v38, v43
	v_div_fixup_f32 v37, v11, v9, v10
.LBB62_553:                             ;   in Loop: Header=BB62_418 Depth=1
	s_or_b64 exec, exec, s[36:37]
                                        ; implicit-def: $vgpr11
                                        ; implicit-def: $vgpr9
.LBB62_554:                             ;   in Loop: Header=BB62_418 Depth=1
	s_andn2_saveexec_b64 s[4:5], s[4:5]
; %bb.555:                              ;   in Loop: Header=BB62_418 Depth=1
	v_sub_f32_e32 v37, v11, v9
; %bb.556:                              ;   in Loop: Header=BB62_418 Depth=1
	s_or_b64 exec, exec, s[4:5]
	v_mul_f32_e32 v9, 0.5, v37
	v_fmac_f32_e32 v9, 0.5, v42
	v_add_f32_e64 v8, |v12|, v8
	v_mul_f32_e32 v8, v8, v9
	v_mul_f32_e32 v9, 0x4f800000, v8
	v_cmp_gt_f32_e32 vcc, s41, v8
	v_cndmask_b32_e32 v8, v8, v9, vcc
	v_sqrt_f32_e32 v9, v8
	v_add_u32_e32 v10, -1, v9
	v_fma_f32 v11, -v10, v9, v8
	v_cmp_ge_f32_e64 s[4:5], 0, v11
	v_add_u32_e32 v11, 1, v9
	v_cndmask_b32_e64 v10, v9, v10, s[4:5]
	v_fma_f32 v9, -v11, v9, v8
	v_cmp_lt_f32_e64 s[4:5], 0, v9
	v_cndmask_b32_e64 v9, v10, v11, s[4:5]
	v_mul_f32_e32 v10, 0x37800000, v9
	v_cndmask_b32_e32 v9, v9, v10, vcc
	v_cmp_class_f32_e32 vcc, v8, v18
	v_cndmask_b32_e32 v42, v9, v8, vcc
                                        ; implicit-def: $vgpr10
                                        ; implicit-def: $vgpr9
.LBB62_557:                             ;   in Loop: Header=BB62_418 Depth=1
	s_andn2_saveexec_b64 s[34:35], s[34:35]
	s_cbranch_execz .LBB62_563
; %bb.558:                              ;   in Loop: Header=BB62_418 Depth=1
	v_cmp_ngt_f32_e64 s[4:5], |v12|, 1.0
                                        ; implicit-def: $vgpr42
	s_and_saveexec_b64 s[36:37], s[4:5]
	s_xor_b64 s[36:37], exec, s[36:37]
	s_cbranch_execz .LBB62_560
; %bb.559:                              ;   in Loop: Header=BB62_418 Depth=1
	v_sub_f32_e64 v8, 1.0, |v12|
	v_mul_f32_e32 v8, v8, v10
	v_mul_f32_e32 v9, 0x4f800000, v8
	v_cmp_gt_f32_e32 vcc, s41, v8
	v_cndmask_b32_e32 v8, v8, v9, vcc
	v_sqrt_f32_e32 v9, v8
	v_add_u32_e32 v10, -1, v9
	v_fma_f32 v37, -v10, v9, v8
	v_add_u32_e32 v11, 1, v9
	v_cmp_ge_f32_e64 s[4:5], 0, v37
	v_cndmask_b32_e64 v10, v9, v10, s[4:5]
	v_fma_f32 v9, -v11, v9, v8
	v_cmp_lt_f32_e64 s[4:5], 0, v9
	v_cndmask_b32_e64 v9, v10, v11, s[4:5]
	v_mul_f32_e32 v10, 0x37800000, v9
	v_cndmask_b32_e32 v9, v9, v10, vcc
	v_cmp_class_f32_e32 vcc, v8, v18
	v_cndmask_b32_e32 v42, v9, v8, vcc
                                        ; implicit-def: $vgpr10
                                        ; implicit-def: $vgpr9
.LBB62_560:                             ;   in Loop: Header=BB62_418 Depth=1
	s_andn2_saveexec_b64 s[36:37], s[36:37]
	s_cbranch_execz .LBB62_562
; %bb.561:                              ;   in Loop: Header=BB62_418 Depth=1
	v_mul_f32_e32 v8, v10, v9
	v_mul_f32_e32 v9, 0x4f800000, v8
	v_cmp_gt_f32_e32 vcc, s41, v8
	v_cndmask_b32_e32 v8, v8, v9, vcc
	v_sqrt_f32_e32 v9, v8
	v_mul_f32_e64 v10, |v13|, s54
	v_mul_f32_e64 v10, |v12|, v10
	v_add_u32_e32 v11, -1, v9
	v_fma_f32 v37, -v11, v9, v8
	v_cmp_ge_f32_e64 s[4:5], 0, v37
	v_add_u32_e32 v37, 1, v9
	v_cndmask_b32_e64 v11, v9, v11, s[4:5]
	v_fma_f32 v9, -v37, v9, v8
	v_cmp_lt_f32_e64 s[4:5], 0, v9
	v_cndmask_b32_e64 v9, v11, v37, s[4:5]
	v_mul_f32_e32 v11, 0x37800000, v9
	v_cndmask_b32_e32 v9, v9, v11, vcc
	v_cmp_class_f32_e32 vcc, v8, v18
	v_cndmask_b32_e32 v8, v9, v8, vcc
	v_div_scale_f32 v9, s[4:5], v8, v8, v10
	v_div_scale_f32 v11, vcc, v10, v8, v10
	v_rcp_f32_e32 v37, v9
	v_fma_f32 v38, -v9, v37, 1.0
	v_fmac_f32_e32 v37, v38, v37
	v_mul_f32_e32 v38, v11, v37
	v_fma_f32 v41, -v9, v38, v11
	v_fmac_f32_e32 v38, v41, v37
	v_fma_f32 v9, -v9, v38, v11
	v_div_fmas_f32 v9, v9, v37, v38
	v_mul_f32_e64 v41, |v12|, s54
	v_div_fixup_f32 v42, v9, v8, v10
.LBB62_562:                             ;   in Loop: Header=BB62_418 Depth=1
	s_or_b64 exec, exec, s[36:37]
.LBB62_563:                             ;   in Loop: Header=BB62_418 Depth=1
	s_or_b64 exec, exec, s[34:35]
                                        ; implicit-def: $vgpr8
.LBB62_564:                             ;   in Loop: Header=BB62_418 Depth=1
	s_andn2_saveexec_b64 s[30:31], s[30:31]
	s_cbranch_execz .LBB62_566
; %bb.565:                              ;   in Loop: Header=BB62_418 Depth=1
	v_mul_f32_e64 v9, |v13|, s42
	v_cmp_lt_f32_e64 vcc, |v13|, s41
	v_cndmask_b32_e64 v9, |v13|, v9, vcc
	v_sqrt_f32_e32 v10, v9
	v_add_f32_e32 v8, 1.0, v8
	v_mul_f32_e32 v8, 0.5, v8
	v_mov_b32_e32 v41, 1.0
	v_add_u32_e32 v11, -1, v10
	v_fma_f32 v38, -v11, v10, v9
	v_add_u32_e32 v37, 1, v10
	v_cmp_ge_f32_e64 s[4:5], 0, v38
	v_cndmask_b32_e64 v11, v10, v11, s[4:5]
	v_fma_f32 v10, -v37, v10, v9
	v_cmp_lt_f32_e64 s[4:5], 0, v10
	v_cndmask_b32_e64 v10, v11, v37, s[4:5]
	v_mul_f32_e32 v11, 0x37800000, v10
	v_cndmask_b32_e32 v10, v10, v11, vcc
	v_mul_f32_e32 v11, 0x4f800000, v8
	v_cmp_gt_f32_e32 vcc, s41, v8
	v_cndmask_b32_e32 v8, v8, v11, vcc
	v_sqrt_f32_e32 v11, v8
	v_cmp_class_f32_e64 s[4:5], v9, v18
	v_cndmask_b32_e64 v9, v10, v9, s[4:5]
	v_add_u32_e32 v10, -1, v11
	v_fma_f32 v37, -v10, v11, v8
	v_cmp_ge_f32_e64 s[4:5], 0, v37
	v_add_u32_e32 v37, 1, v11
	v_cndmask_b32_e64 v10, v11, v10, s[4:5]
	v_fma_f32 v11, -v37, v11, v8
	v_cmp_lt_f32_e64 s[4:5], 0, v11
	v_cndmask_b32_e64 v10, v10, v37, s[4:5]
	v_mul_f32_e32 v11, 0x37800000, v10
	v_cndmask_b32_e32 v10, v10, v11, vcc
	v_cmp_class_f32_e32 vcc, v8, v18
	v_cndmask_b32_e32 v8, v10, v8, vcc
	v_mul_f32_e32 v42, v9, v8
.LBB62_566:                             ;   in Loop: Header=BB62_418 Depth=1
	s_or_b64 exec, exec, s[30:31]
	s_mov_b64 s[4:5], exec
.LBB62_567:                             ;   in Loop: Header=BB62_418 Depth=1
	s_or_b64 exec, exec, s[28:29]
                                        ; implicit-def: $vgpr8
.LBB62_568:                             ;   in Loop: Header=BB62_418 Depth=1
	s_andn2_saveexec_b64 s[26:27], s[26:27]
; %bb.569:                              ;   in Loop: Header=BB62_418 Depth=1
	v_mul_f32_e32 v42, 0x4b800000, v8
	v_mul_f32_e64 v41, |v12|, s55
	s_or_b64 s[4:5], s[4:5], exec
                                        ; implicit-def: $vgpr40
; %bb.570:                              ;   in Loop: Header=BB62_418 Depth=1
	s_or_b64 exec, exec, s[26:27]
	s_xor_b64 s[4:5], s[4:5], -1
                                        ; implicit-def: $vgpr8
	s_and_saveexec_b64 s[26:27], s[4:5]
	s_xor_b64 s[4:5], exec, s[26:27]
	s_cbranch_execz .LBB62_572
; %bb.571:                              ;   in Loop: Header=BB62_418 Depth=1
	v_fma_f32 v8, |v40|, -0.5, 0.5
	v_mul_f32_e32 v9, v40, v40
	v_cmp_ge_f32_e64 vcc, |v40|, 0.5
	v_cndmask_b32_e32 v8, v9, v8, vcc
	v_mov_b32_e32 v9, 0x3c5fc5da
	v_fmac_f32_e32 v9, 0x3d1c21a7, v8
	v_fma_f32 v9, v8, v9, v20
	v_fma_f32 v9, v8, v9, v21
	v_sqrt_f32_e32 v10, v8
	v_fma_f32 v9, v8, v9, v22
	v_fma_f32 v9, v8, v9, v23
	v_mul_f32_e32 v8, v8, v9
	v_fmac_f32_e32 v10, v10, v8
	v_add_f32_e32 v9, v10, v10
	v_sub_f32_e32 v9, 0x3fc90fdb, v9
	v_fma_f32 v8, |v40|, v8, |v40|
	v_cmp_lt_f32_e64 vcc, |v40|, 0.5
	v_cndmask_b32_e32 v8, v9, v8, vcc
	v_bfi_b32 v8, s38, v8, v40
                                        ; implicit-def: $vgpr41
                                        ; implicit-def: $vgpr42
.LBB62_572:                             ;   in Loop: Header=BB62_418 Depth=1
	s_andn2_saveexec_b64 s[26:27], s[4:5]
	s_cbranch_execz .LBB62_574
; %bb.573:                              ;   in Loop: Header=BB62_418 Depth=1
	v_max_f32_e32 v8, v41, v41
	v_max_f32_e64 v9, |v42|, |v42|
	v_min_f32_e32 v10, v9, v8
	v_max_f32_e32 v8, v9, v8
	v_frexp_mant_f32_e32 v9, v8
	v_rcp_f32_e32 v9, v9
	v_frexp_exp_i32_f32_e32 v8, v8
	v_frexp_exp_i32_f32_e32 v11, v10
	v_frexp_mant_f32_e32 v10, v10
	v_mul_f32_e32 v9, v10, v9
	v_sub_u32_e32 v8, v11, v8
	v_ldexp_f32 v8, v9, v8
	v_mul_f32_e32 v9, v8, v8
	v_mov_b32_e32 v10, 0xbc7a590c
	v_fmac_f32_e32 v10, 0x3b2d2a58, v9
	v_fma_f32 v10, v9, v10, v24
	v_fma_f32 v10, v9, v10, v25
	;; [unrolled: 1-line block ×6, first 2 shown]
	v_mul_f32_e32 v9, v9, v10
	v_fmac_f32_e32 v8, v8, v9
	v_sub_f32_e32 v9, 0x3fc90fdb, v8
	v_cmp_gt_f32_e64 vcc, v41, |v42|
	v_cndmask_b32_e32 v8, v8, v9, vcc
	v_sub_f32_e32 v9, 0x40490fdb, v8
	v_cmp_gt_f32_e32 vcc, 0, v42
	v_cmp_gt_i32_e64 s[4:5], 0, v42
	v_cndmask_b32_e32 v8, v8, v9, vcc
	v_cndmask_b32_e64 v9, 0, v34, s[4:5]
	v_cndmask_b32_e32 v10, v35, v36, vcc
	v_cmp_class_f32_e64 s[28:29], v42, s56
	v_cmp_eq_f32_e32 vcc, s39, v41
	v_cmp_eq_f32_e64 s[4:5], 0, v41
	v_cndmask_b32_e64 v8, |v8|, v9, s[4:5]
	s_and_b64 vcc, vcc, s[28:29]
	v_cndmask_b32_e32 v8, v8, v10, vcc
	v_cmp_o_f32_e32 vcc, v42, v42
	v_cndmask_b32_e32 v8, v32, v8, vcc
.LBB62_574:                             ;   in Loop: Header=BB62_418 Depth=1
	s_or_b64 exec, exec, s[26:27]
	v_bfi_b32 v13, s38, v39, v13
	v_bfi_b32 v12, s38, v8, v12
.LBB62_575:                             ;   in Loop: Header=BB62_418 Depth=1
	s_or_b64 exec, exec, s[24:25]
.LBB62_576:                             ;   in Loop: Header=BB62_418 Depth=1
	s_or_b64 exec, exec, s[22:23]
	s_waitcnt lgkmcnt(0)
	v_mov_b32_e32 v8, v12
	v_mov_b32_e32 v9, v13
                                        ; implicit-def: $vgpr10_vgpr11_vgpr12_vgpr13
                                        ; implicit-def: $vgpr10
                                        ; implicit-def: $vgpr11
                                        ; implicit-def: $vgpr37
.LBB62_577:                             ;   in Loop: Header=BB62_418 Depth=1
	s_andn2_saveexec_b64 s[22:23], s[6:7]
	s_cbranch_execz .LBB62_599
; %bb.578:                              ;   in Loop: Header=BB62_418 Depth=1
	v_cmp_lt_i32_e32 vcc, -1, v13
                                        ; implicit-def: $sgpr24_sgpr25
                                        ; implicit-def: $vgpr8
                                        ; implicit-def: $vgpr9
	s_and_saveexec_b64 s[4:5], vcc
	s_xor_b64 s[26:27], exec, s[4:5]
	s_cbranch_execz .LBB62_588
; %bb.579:                              ;   in Loop: Header=BB62_418 Depth=1
	v_cmp_lt_f32_e64 s[4:5], |v13|, |v12|
	v_cndmask_b32_e64 v38, |v13|, |v12|, s[4:5]
	v_cmp_nlt_f32_e32 vcc, s57, v38
                                        ; implicit-def: $vgpr8
                                        ; implicit-def: $vgpr9
	s_and_saveexec_b64 s[6:7], vcc
	s_xor_b64 s[24:25], exec, s[6:7]
	s_cbranch_execz .LBB62_585
; %bb.580:                              ;   in Loop: Header=BB62_418 Depth=1
	v_cndmask_b32_e64 v39, |v12|, |v13|, s[4:5]
	v_cmp_nlt_f32_e32 vcc, s58, v38
	v_cmp_ngt_f32_e64 s[6:7], s59, v39
	s_and_b64 s[6:7], vcc, s[6:7]
                                        ; implicit-def: $vgpr8
                                        ; implicit-def: $vgpr9
	s_and_saveexec_b64 s[28:29], s[6:7]
	s_xor_b64 s[6:7], exec, s[28:29]
	s_cbranch_execz .LBB62_582
; %bb.581:                              ;   in Loop: Header=BB62_418 Depth=1
	v_mul_f32_e32 v8, v39, v39
	v_fmac_f32_e32 v8, v38, v38
	v_cmp_gt_f32_e32 vcc, s43, v8
	v_cndmask_b32_e64 v9, 0, 32, vcc
	v_ldexp_f32 v8, v8, v9
	v_log_f32_e32 v8, v8
	v_cndmask_b32_e32 v9, 0, v31, vcc
	v_mul_f32_e32 v38, 0x3f317217, v8
	v_fma_f32 v38, v8, s44, -v38
	v_fmac_f32_e32 v38, 0x3377d1cf, v8
	v_fmac_f32_e32 v38, 0x3f317217, v8
	v_cmp_lt_f32_e64 vcc, |v8|, s39
	v_cndmask_b32_e32 v8, v8, v38, vcc
	v_sub_f32_e32 v8, v8, v9
	v_min_f32_e32 v9, v11, v10
	v_frexp_mant_f32_e32 v10, v37
	v_rcp_f32_e32 v10, v10
	v_frexp_exp_i32_f32_e32 v11, v37
	v_frexp_exp_i32_f32_e32 v37, v9
	v_frexp_mant_f32_e32 v9, v9
	v_mul_f32_e32 v9, v9, v10
	v_sub_u32_e32 v10, v37, v11
	v_ldexp_f32 v9, v9, v10
	v_mul_f32_e32 v10, v9, v9
	v_mov_b32_e32 v11, 0xbc7a590c
	v_fmac_f32_e32 v11, 0x3b2d2a58, v10
	v_fma_f32 v11, v10, v11, v24
	v_fma_f32 v11, v10, v11, v25
	;; [unrolled: 1-line block ×6, first 2 shown]
	v_mul_f32_e32 v10, v10, v11
	v_mul_f32_e32 v8, 0.5, v8
	v_fmac_f32_e32 v9, v9, v10
                                        ; implicit-def: $vgpr37
                                        ; implicit-def: $vgpr11
                                        ; implicit-def: $vgpr10
.LBB62_582:                             ;   in Loop: Header=BB62_418 Depth=1
	s_andn2_saveexec_b64 s[6:7], s[6:7]
	s_cbranch_execz .LBB62_584
; %bb.583:                              ;   in Loop: Header=BB62_418 Depth=1
	v_cvt_f64_f32_e32 v[8:9], v37
	v_cmp_neq_f32_e32 vcc, s39, v37
	v_mov_b32_e32 v38, 0xbc7a590c
	v_frexp_exp_i32_f64_e32 v8, v[8:9]
	v_min_f32_e32 v9, v11, v10
	v_frexp_mant_f32_e32 v11, v37
	v_rcp_f32_e32 v11, v11
	v_frexp_exp_i32_f32_e32 v39, v9
	v_frexp_mant_f32_e32 v9, v9
	v_frexp_exp_i32_f32_e32 v10, v37
	v_mul_f32_e32 v9, v9, v11
	v_sub_u32_e32 v40, 0, v8
	s_waitcnt lgkmcnt(0)
	v_ldexp_f32 v41, |v13|, v40
	v_ldexp_f32 v40, |v12|, v40
	v_mul_f32_e32 v40, v40, v40
	v_fmac_f32_e32 v40, v41, v41
	v_sqrt_f32_e32 v40, v40
	v_sub_u32_e32 v10, v39, v10
	v_ldexp_f32 v9, v9, v10
	v_mul_f32_e32 v10, v9, v9
	v_ldexp_f32 v8, v40, v8
	v_cndmask_b32_e32 v8, v30, v8, vcc
	v_cmp_gt_f32_e32 vcc, s43, v8
	v_cndmask_b32_e64 v11, 0, 32, vcc
	v_ldexp_f32 v8, v8, v11
	v_log_f32_e32 v8, v8
	v_cndmask_b32_e32 v11, 0, v31, vcc
	v_fmac_f32_e32 v38, 0x3b2d2a58, v10
	v_mul_f32_e32 v37, 0x3f317217, v8
	v_fma_f32 v37, v8, s44, -v37
	v_fmac_f32_e32 v37, 0x3377d1cf, v8
	v_fmac_f32_e32 v37, 0x3f317217, v8
	v_cmp_lt_f32_e64 vcc, |v8|, s39
	v_cndmask_b32_e32 v8, v8, v37, vcc
	v_sub_f32_e32 v8, v8, v11
	v_fma_f32 v11, v10, v38, v24
	v_fma_f32 v11, v10, v11, v25
	;; [unrolled: 1-line block ×6, first 2 shown]
	v_mul_f32_e32 v10, v10, v11
	v_fmac_f32_e32 v9, v9, v10
.LBB62_584:                             ;   in Loop: Header=BB62_418 Depth=1
	s_or_b64 exec, exec, s[6:7]
                                        ; implicit-def: $vgpr11
                                        ; implicit-def: $vgpr10
                                        ; implicit-def: $vgpr37
.LBB62_585:                             ;   in Loop: Header=BB62_418 Depth=1
	s_andn2_saveexec_b64 s[24:25], s[24:25]
	s_cbranch_execz .LBB62_587
; %bb.586:                              ;   in Loop: Header=BB62_418 Depth=1
	v_div_scale_f32 v8, s[6:7], s60, s60, v13
	v_div_scale_f32 v9, s[6:7], s60, s60, v12
	v_div_scale_f32 v38, vcc, v13, s60, v13
	v_div_scale_f32 v39, s[6:7], v12, s60, v12
	v_min_f32_e32 v10, v11, v10
	v_frexp_exp_i32_f32_e32 v11, v37
	v_frexp_mant_f32_e32 v37, v37
	v_rcp_f32_e32 v37, v37
	v_rcp_f32_e32 v40, v8
	s_waitcnt lgkmcnt(0)
	v_rcp_f32_e32 v41, v9
	v_fma_f32 v42, -v8, v40, 1.0
	v_fmac_f32_e32 v40, v42, v40
	v_fma_f32 v43, -v9, v41, 1.0
	v_fmac_f32_e32 v41, v43, v41
	v_mul_f32_e32 v42, v38, v40
	v_mul_f32_e32 v43, v39, v41
	v_fma_f32 v44, -v8, v42, v38
	v_fma_f32 v45, -v9, v43, v39
	v_fmac_f32_e32 v42, v44, v40
	v_fmac_f32_e32 v43, v45, v41
	v_fma_f32 v8, -v8, v42, v38
	v_fma_f32 v9, -v9, v43, v39
	v_div_fmas_f32 v8, v8, v40, v42
	s_mov_b64 vcc, s[6:7]
	v_div_fmas_f32 v9, v9, v41, v43
	v_frexp_exp_i32_f32_e32 v42, v10
	v_frexp_mant_f32_e32 v10, v10
	v_mul_f32_e32 v10, v10, v37
	v_mov_b32_e32 v38, 0xbc7a590c
	v_div_fixup_f32 v39, v8, s60, v13
	v_div_fixup_f32 v40, v9, s60, v12
	v_max_f32_e64 v41, v39, |v40|
	v_cvt_f64_f32_e32 v[8:9], v41
	v_cmp_neq_f32_e32 vcc, s39, v41
	v_frexp_exp_i32_f64_e32 v8, v[8:9]
	v_sub_u32_e32 v9, v42, v11
	v_ldexp_f32 v9, v10, v9
	v_mul_f32_e32 v10, v9, v9
	v_fmac_f32_e32 v38, 0x3b2d2a58, v10
	v_fma_f32 v11, v10, v38, v24
	v_fma_f32 v11, v10, v11, v25
	;; [unrolled: 1-line block ×3, first 2 shown]
	v_sub_u32_e32 v37, 0, v8
	v_ldexp_f32 v38, v39, v37
	v_ldexp_f32 v37, |v40|, v37
	v_mul_f32_e32 v37, v37, v37
	v_fmac_f32_e32 v37, v38, v38
	v_sqrt_f32_e32 v37, v37
	v_fma_f32 v11, v10, v11, v27
	v_fma_f32 v11, v10, v11, v28
	;; [unrolled: 1-line block ×3, first 2 shown]
	v_ldexp_f32 v8, v37, v8
	v_cndmask_b32_e32 v8, v30, v8, vcc
	v_cmp_gt_f32_e32 vcc, s43, v8
	v_cndmask_b32_e64 v37, 0, 32, vcc
	v_ldexp_f32 v8, v8, v37
	v_log_f32_e32 v8, v8
	v_mul_f32_e32 v10, v10, v11
	v_cndmask_b32_e32 v11, 0, v31, vcc
	v_fmac_f32_e32 v9, v9, v10
	v_mul_f32_e32 v37, 0x3f317217, v8
	v_fma_f32 v37, v8, s44, -v37
	v_fmac_f32_e32 v37, 0x3377d1cf, v8
	v_fmac_f32_e32 v37, 0x3f317217, v8
	v_cmp_lt_f32_e64 vcc, |v8|, s39
	v_cndmask_b32_e32 v8, v8, v37, vcc
	v_sub_f32_e32 v8, v8, v11
	v_add_f32_e32 v8, 1.0, v8
.LBB62_587:                             ;   in Loop: Header=BB62_418 Depth=1
	s_or_b64 exec, exec, s[24:25]
	v_sub_f32_e32 v10, 0x3fc90fdb, v9
	v_cndmask_b32_e64 v9, v9, v10, s[4:5]
	v_cmp_neq_f32_e32 vcc, 0, v12
	v_cndmask_b32_e32 v9, 0, v9, vcc
	v_cmp_class_f32_e64 s[24:25], v13, s56
                                        ; implicit-def: $vgpr10
.LBB62_588:                             ;   in Loop: Header=BB62_418 Depth=1
	s_andn2_saveexec_b64 s[26:27], s[26:27]
	s_cbranch_execz .LBB62_598
; %bb.589:                              ;   in Loop: Header=BB62_418 Depth=1
	v_cmp_gt_f32_e64 s[4:5], |v12|, -v13
	v_cndmask_b32_e64 v11, -v13, |v12|, s[4:5]
	v_cmp_nlt_f32_e32 vcc, s57, v11
                                        ; implicit-def: $vgpr8
                                        ; implicit-def: $vgpr9
	s_and_saveexec_b64 s[6:7], vcc
	s_xor_b64 s[28:29], exec, s[6:7]
	s_cbranch_execz .LBB62_595
; %bb.590:                              ;   in Loop: Header=BB62_418 Depth=1
	v_xor_b32_e32 v8, 0x80000000, v13
	v_cndmask_b32_e64 v37, |v12|, v8, s[4:5]
	v_cmp_nlt_f32_e32 vcc, s58, v11
	v_cmp_ngt_f32_e64 s[6:7], s59, v37
	s_and_b64 s[6:7], vcc, s[6:7]
                                        ; implicit-def: $vgpr8
                                        ; implicit-def: $vgpr9
	s_and_saveexec_b64 s[30:31], s[6:7]
	s_xor_b64 s[6:7], exec, s[30:31]
	s_cbranch_execz .LBB62_592
; %bb.591:                              ;   in Loop: Header=BB62_418 Depth=1
	v_mul_f32_e32 v8, v37, v37
	v_fmac_f32_e32 v8, v11, v11
	v_cmp_gt_f32_e32 vcc, s43, v8
	v_cndmask_b32_e64 v9, 0, 32, vcc
	v_ldexp_f32 v8, v8, v9
	v_log_f32_e32 v8, v8
	v_cndmask_b32_e32 v9, 0, v31, vcc
	v_mul_f32_e32 v11, 0x3f317217, v8
	v_fma_f32 v11, v8, s44, -v11
	v_fmac_f32_e32 v11, 0x3377d1cf, v8
	v_fmac_f32_e32 v11, 0x3f317217, v8
	v_cmp_lt_f32_e64 vcc, |v8|, s39
	v_cndmask_b32_e32 v8, v8, v11, vcc
	v_sub_f32_e32 v8, v8, v9
	v_max_f32_e64 v9, -v13, -v13
	v_min_f32_e32 v11, v9, v10
	v_max_f32_e32 v9, v9, v10
	v_frexp_mant_f32_e32 v10, v9
	v_rcp_f32_e32 v10, v10
	v_frexp_exp_i32_f32_e32 v9, v9
	v_frexp_exp_i32_f32_e32 v37, v11
	v_frexp_mant_f32_e32 v11, v11
	v_mul_f32_e32 v10, v11, v10
	v_sub_u32_e32 v9, v37, v9
	v_ldexp_f32 v9, v10, v9
	v_mul_f32_e32 v10, v9, v9
	v_mov_b32_e32 v11, 0xbc7a590c
	v_fmac_f32_e32 v11, 0x3b2d2a58, v10
	v_fma_f32 v11, v10, v11, v24
	v_fma_f32 v11, v10, v11, v25
	;; [unrolled: 1-line block ×6, first 2 shown]
	v_mul_f32_e32 v10, v10, v11
	v_mul_f32_e32 v8, 0.5, v8
	v_fmac_f32_e32 v9, v9, v10
                                        ; implicit-def: $vgpr10
.LBB62_592:                             ;   in Loop: Header=BB62_418 Depth=1
	s_andn2_saveexec_b64 s[6:7], s[6:7]
	s_cbranch_execz .LBB62_594
; %bb.593:                              ;   in Loop: Header=BB62_418 Depth=1
	v_max_f32_e64 v11, -v13, -v13
	v_max_f32_e32 v37, v11, v10
	v_cvt_f64_f32_e32 v[8:9], v37
	v_cmp_neq_f32_e32 vcc, s39, v37
	v_mov_b32_e32 v38, 0xbc7a590c
	v_frexp_exp_i32_f64_e32 v8, v[8:9]
	v_min_f32_e32 v9, v11, v10
	v_frexp_mant_f32_e32 v11, v37
	v_rcp_f32_e32 v11, v11
	v_frexp_exp_i32_f32_e32 v39, v9
	v_frexp_mant_f32_e32 v9, v9
	v_frexp_exp_i32_f32_e32 v10, v37
	v_mul_f32_e32 v9, v9, v11
	v_sub_u32_e32 v40, 0, v8
	s_waitcnt lgkmcnt(0)
	v_ldexp_f32 v41, -v13, v40
	v_ldexp_f32 v40, |v12|, v40
	v_mul_f32_e32 v40, v40, v40
	v_fmac_f32_e32 v40, v41, v41
	v_sqrt_f32_e32 v40, v40
	v_sub_u32_e32 v10, v39, v10
	v_ldexp_f32 v9, v9, v10
	v_mul_f32_e32 v10, v9, v9
	v_ldexp_f32 v8, v40, v8
	v_cndmask_b32_e32 v8, v30, v8, vcc
	v_cmp_gt_f32_e32 vcc, s43, v8
	v_cndmask_b32_e64 v11, 0, 32, vcc
	v_ldexp_f32 v8, v8, v11
	v_log_f32_e32 v8, v8
	v_cndmask_b32_e32 v11, 0, v31, vcc
	v_fmac_f32_e32 v38, 0x3b2d2a58, v10
	v_mul_f32_e32 v37, 0x3f317217, v8
	v_fma_f32 v37, v8, s44, -v37
	v_fmac_f32_e32 v37, 0x3377d1cf, v8
	v_fmac_f32_e32 v37, 0x3f317217, v8
	v_cmp_lt_f32_e64 vcc, |v8|, s39
	v_cndmask_b32_e32 v8, v8, v37, vcc
	v_sub_f32_e32 v8, v8, v11
	v_fma_f32 v11, v10, v38, v24
	v_fma_f32 v11, v10, v11, v25
	v_fma_f32 v11, v10, v11, v26
	v_fma_f32 v11, v10, v11, v27
	v_fma_f32 v11, v10, v11, v28
	v_fma_f32 v11, v10, v11, v29
	v_mul_f32_e32 v10, v10, v11
	v_fmac_f32_e32 v9, v9, v10
.LBB62_594:                             ;   in Loop: Header=BB62_418 Depth=1
	s_or_b64 exec, exec, s[6:7]
                                        ; implicit-def: $vgpr10
.LBB62_595:                             ;   in Loop: Header=BB62_418 Depth=1
	s_andn2_saveexec_b64 s[28:29], s[28:29]
	s_cbranch_execz .LBB62_597
; %bb.596:                              ;   in Loop: Header=BB62_418 Depth=1
	v_div_scale_f32 v8, s[6:7], s61, s61, v13
	v_div_scale_f32 v9, s[6:7], s61, s61, v12
	v_div_scale_f32 v11, vcc, v13, s61, v13
	v_div_scale_f32 v37, s[6:7], v12, s61, v12
	v_rcp_f32_e32 v38, v8
	v_rcp_f32_e32 v39, v9
	v_fma_f32 v40, -v8, v38, 1.0
	v_fmac_f32_e32 v38, v40, v38
	s_waitcnt lgkmcnt(0)
	v_fma_f32 v41, -v9, v39, 1.0
	v_fmac_f32_e32 v39, v41, v39
	v_mul_f32_e32 v40, v11, v38
	v_mul_f32_e32 v41, v37, v39
	v_fma_f32 v42, -v8, v40, v11
	v_fma_f32 v43, -v9, v41, v37
	v_fmac_f32_e32 v40, v42, v38
	v_fmac_f32_e32 v41, v43, v39
	v_fma_f32 v8, -v8, v40, v11
	v_fma_f32 v9, -v9, v41, v37
	v_div_fmas_f32 v8, v8, v38, v40
	s_mov_b64 vcc, s[6:7]
	v_div_fmas_f32 v9, v9, v39, v41
	v_max_f32_e64 v11, -v13, -v13
	v_min_f32_e32 v38, v11, v10
	v_max_f32_e32 v10, v11, v10
	v_frexp_exp_i32_f32_e32 v11, v10
	v_frexp_mant_f32_e32 v10, v10
	v_rcp_f32_e32 v10, v10
	v_frexp_exp_i32_f32_e32 v42, v38
	v_frexp_mant_f32_e32 v38, v38
	v_mov_b32_e32 v37, 0xbc7a590c
	v_mul_f32_e32 v10, v38, v10
	v_div_fixup_f32 v39, v8, s61, v13
	v_div_fixup_f32 v40, v9, s61, v12
	v_max_f32_e64 v41, |v39|, |v40|
	v_cvt_f64_f32_e32 v[8:9], v41
	v_cmp_neq_f32_e32 vcc, s39, v41
	v_frexp_exp_i32_f64_e32 v8, v[8:9]
	v_sub_u32_e32 v9, v42, v11
	v_ldexp_f32 v9, v10, v9
	v_mul_f32_e32 v10, v9, v9
	v_fmac_f32_e32 v37, 0x3b2d2a58, v10
	v_fma_f32 v11, v10, v37, v24
	v_fma_f32 v11, v10, v11, v25
	v_fma_f32 v11, v10, v11, v26
	v_sub_u32_e32 v37, 0, v8
	v_ldexp_f32 v38, |v39|, v37
	v_ldexp_f32 v37, |v40|, v37
	v_mul_f32_e32 v37, v37, v37
	v_fmac_f32_e32 v37, v38, v38
	v_sqrt_f32_e32 v37, v37
	v_fma_f32 v11, v10, v11, v27
	v_fma_f32 v11, v10, v11, v28
	;; [unrolled: 1-line block ×3, first 2 shown]
	v_ldexp_f32 v8, v37, v8
	v_cndmask_b32_e32 v8, v30, v8, vcc
	v_cmp_gt_f32_e32 vcc, s43, v8
	v_cndmask_b32_e64 v37, 0, 32, vcc
	v_ldexp_f32 v8, v8, v37
	v_log_f32_e32 v8, v8
	v_mul_f32_e32 v10, v10, v11
	v_cndmask_b32_e32 v11, 0, v31, vcc
	v_fmac_f32_e32 v9, v9, v10
	v_mul_f32_e32 v37, 0x3f317217, v8
	v_fma_f32 v37, v8, s44, -v37
	v_fmac_f32_e32 v37, 0x3377d1cf, v8
	v_fmac_f32_e32 v37, 0x3f317217, v8
	v_cmp_lt_f32_e64 vcc, |v8|, s39
	v_cndmask_b32_e32 v8, v8, v37, vcc
	v_sub_f32_e32 v8, v8, v11
	v_add_f32_e32 v8, 1.0, v8
.LBB62_597:                             ;   in Loop: Header=BB62_418 Depth=1
	s_or_b64 exec, exec, s[28:29]
	v_sub_f32_e32 v10, 0x3fc90fdb, v9
	v_cndmask_b32_e64 v9, v9, v10, s[4:5]
	v_cmp_neq_f32_e32 vcc, 0, v12
	v_cndmask_b32_e32 v9, 0, v9, vcc
	v_cmp_eq_f32_e32 vcc, s49, v13
	s_andn2_b64 s[4:5], s[24:25], exec
	s_and_b64 s[6:7], vcc, exec
	s_or_b64 s[24:25], s[4:5], s[6:7]
.LBB62_598:                             ;   in Loop: Header=BB62_418 Depth=1
	s_or_b64 exec, exec, s[26:27]
	v_cmp_class_f32_e64 s[4:5], v12, s56
	s_and_b64 vcc, s[4:5], s[24:25]
	v_cndmask_b32_e32 v10, v9, v35, vcc
	v_add_f32_e32 v8, 0x3f317218, v8
	v_bfi_b32 v9, s38, v8, v13
	v_bfi_b32 v8, s38, v10, v12
.LBB62_599:                             ;   in Loop: Header=BB62_418 Depth=1
	s_or_b64 exec, exec, s[22:23]
                                        ; implicit-def: $vgpr13
.LBB62_600:                             ;   in Loop: Header=BB62_418 Depth=1
	s_andn2_saveexec_b64 s[4:5], s[20:21]
	s_cbranch_execz .LBB62_614
; %bb.601:                              ;   in Loop: Header=BB62_418 Depth=1
	v_cmp_neq_f32_e64 s[6:7], |v13|, s39
	s_and_saveexec_b64 s[20:21], s[6:7]
	s_xor_b64 s[6:7], exec, s[20:21]
	s_cbranch_execz .LBB62_611
; %bb.602:                              ;   in Loop: Header=BB62_418 Depth=1
	v_cmp_neq_f32_e64 s[20:21], |v12|, s39
	s_and_saveexec_b64 s[22:23], s[20:21]
	s_xor_b64 s[20:21], exec, s[22:23]
	s_cbranch_execz .LBB62_608
; %bb.603:                              ;   in Loop: Header=BB62_418 Depth=1
	v_cmp_neq_f32_e32 vcc, 0, v12
	s_and_saveexec_b64 s[22:23], vcc
	s_xor_b64 s[22:23], exec, s[22:23]
; %bb.604:                              ;   in Loop: Header=BB62_418 Depth=1
	v_add_f32_e32 v8, 0, v13
	v_add_f32_e32 v8, v12, v8
                                        ; implicit-def: $vgpr10_vgpr11_vgpr12_vgpr13
; %bb.605:                              ;   in Loop: Header=BB62_418 Depth=1
	s_or_saveexec_b64 s[22:23], s[22:23]
	v_mov_b32_e32 v9, v8
	s_xor_b64 exec, exec, s[22:23]
; %bb.606:                              ;   in Loop: Header=BB62_418 Depth=1
	v_add_f32_e32 v9, v13, v13
	v_mov_b32_e32 v8, v12
; %bb.607:                              ;   in Loop: Header=BB62_418 Depth=1
	s_or_b64 exec, exec, s[22:23]
                                        ; implicit-def: $vgpr10_vgpr11_vgpr12_vgpr13
.LBB62_608:                             ;   in Loop: Header=BB62_418 Depth=1
	s_andn2_saveexec_b64 s[20:21], s[20:21]
; %bb.609:                              ;   in Loop: Header=BB62_418 Depth=1
	v_add_f32_e32 v8, v13, v13
	v_mov_b32_e32 v9, v12
; %bb.610:                              ;   in Loop: Header=BB62_418 Depth=1
	s_or_b64 exec, exec, s[20:21]
                                        ; implicit-def: $vgpr10_vgpr11_vgpr12_vgpr13
.LBB62_611:                             ;   in Loop: Header=BB62_418 Depth=1
	s_andn2_saveexec_b64 s[6:7], s[6:7]
; %bb.612:                              ;   in Loop: Header=BB62_418 Depth=1
	v_add_f32_e32 v8, v12, v12
	v_mov_b32_e32 v9, v13
; %bb.613:                              ;   in Loop: Header=BB62_418 Depth=1
	s_or_b64 exec, exec, s[6:7]
.LBB62_614:                             ;   in Loop: Header=BB62_418 Depth=1
	s_or_b64 exec, exec, s[4:5]
	v_cmp_o_f32_e32 vcc, v3, v2
                                        ; implicit-def: $vgpr10
	s_and_saveexec_b64 s[4:5], vcc
	s_xor_b64 s[20:21], exec, s[4:5]
	s_cbranch_execz .LBB62_698
; %bb.615:                              ;   in Loop: Header=BB62_418 Depth=1
	v_max_f32_e64 v13, |v3|, |v3|
	v_max_f32_e64 v12, |v2|, |v2|
	v_max_f32_e32 v37, v12, v13
	v_cmp_nlt_f32_e32 vcc, s19, v37
                                        ; implicit-def: $vgpr10
	s_and_saveexec_b64 s[4:5], vcc
	s_xor_b64 s[6:7], exec, s[4:5]
	s_cbranch_execz .LBB62_675
; %bb.616:                              ;   in Loop: Header=BB62_418 Depth=1
	v_cmp_neq_f32_e32 vcc, 0, v3
	v_cmp_neq_f32_e64 s[4:5], 0, v2
	s_or_b64 s[4:5], vcc, s[4:5]
	v_mov_b32_e32 v10, v2
	v_mov_b32_e32 v11, v3
	s_and_saveexec_b64 s[22:23], s[4:5]
	s_cbranch_execz .LBB62_674
; %bb.617:                              ;   in Loop: Header=BB62_418 Depth=1
	v_mov_b32_e32 v10, s10
	v_mov_b32_e32 v11, s11
	flat_store_dword v[10:11], v17
	s_waitcnt vmcnt(0)
	flat_load_dword v10, v[10:11] glc
	s_waitcnt vmcnt(0)
	v_cmp_nlt_f32_e64 s[4:5], |v3|, s33
	v_cmp_nlt_f32_e64 s[24:25], |v2|, s33
	s_or_b64 s[4:5], s[24:25], s[4:5]
	s_waitcnt lgkmcnt(0)
	v_add_f32_e32 v12, 1.0, v10
	v_mov_b32_e32 v10, s14
	v_mov_b32_e32 v11, s15
	flat_store_dword v[10:11], v12
	s_waitcnt vmcnt(0)
	flat_load_dword v10, v[10:11] glc
	s_waitcnt vmcnt(0) lgkmcnt(0)
	v_mov_b32_e32 v10, v2
	v_mov_b32_e32 v11, v3
	s_and_saveexec_b64 s[24:25], s[4:5]
	s_cbranch_execz .LBB62_673
; %bb.618:                              ;   in Loop: Header=BB62_418 Depth=1
	v_add_f32_e64 v12, |v2|, 1.0
	v_max_f32_e32 v10, v13, v12
	v_add_f32_e64 v11, |v2|, -1.0
	v_cvt_f64_f32_e32 v[37:38], v10
	v_max_f32_e64 v13, v13, |v11|
	v_cvt_f64_f32_e32 v[39:40], v13
	v_cmp_neq_f32_e32 vcc, s39, v10
	v_frexp_exp_i32_f64_e32 v37, v[37:38]
	v_frexp_exp_i32_f64_e32 v38, v[39:40]
	v_sub_u32_e32 v39, 0, v37
	v_ldexp_f32 v41, |v3|, v39
	v_sub_u32_e32 v40, 0, v38
	v_ldexp_f32 v39, v12, v39
	v_ldexp_f32 v42, |v3|, v40
	v_ldexp_f32 v40, |v11|, v40
	v_mul_f32_e32 v39, v39, v39
	v_mul_f32_e32 v40, v40, v40
	v_fmac_f32_e32 v39, v41, v41
	v_fmac_f32_e32 v40, v42, v42
	v_sqrt_f32_e32 v39, v39
	v_sqrt_f32_e32 v40, v40
	v_ldexp_f32 v37, v39, v37
	v_ldexp_f32 v39, v40, v38
	v_cndmask_b32_e32 v38, v30, v37, vcc
	v_cmp_neq_f32_e32 vcc, s39, v13
	v_cndmask_b32_e32 v13, v30, v39, vcc
	v_add_f32_e32 v10, v38, v13
	v_mul_f32_e32 v10, 0.5, v10
	v_cmp_ngt_f32_e32 vcc, 1.0, v10
	v_cndmask_b32_e32 v10, 1.0, v10, vcc
	v_cmp_ngt_f32_e32 vcc, s40, v10
                                        ; implicit-def: $vgpr39
	s_and_saveexec_b64 s[4:5], vcc
	s_xor_b64 s[26:27], exec, s[4:5]
	s_cbranch_execz .LBB62_620
; %bb.619:                              ;   in Loop: Header=BB62_418 Depth=1
	v_fma_f32 v37, v10, v10, -1.0
	v_mul_f32_e32 v39, 0x4f800000, v37
	v_cmp_gt_f32_e32 vcc, s41, v37
	v_cndmask_b32_e32 v37, v37, v39, vcc
	v_sqrt_f32_e32 v39, v37
	v_add_u32_e32 v40, -1, v39
	v_fma_f32 v42, -v40, v39, v37
	v_add_u32_e32 v41, 1, v39
	v_cmp_ge_f32_e64 s[4:5], 0, v42
	v_cndmask_b32_e64 v40, v39, v40, s[4:5]
	v_fma_f32 v39, -v41, v39, v37
	v_cmp_lt_f32_e64 s[4:5], 0, v39
	v_cndmask_b32_e64 v39, v40, v41, s[4:5]
	v_mul_f32_e32 v40, 0x37800000, v39
	v_cndmask_b32_e32 v39, v39, v40, vcc
	v_cmp_class_f32_e32 vcc, v37, v18
	v_cndmask_b32_e32 v37, v39, v37, vcc
	v_add_f32_e32 v37, v10, v37
	v_cmp_gt_f32_e32 vcc, s43, v37
	v_cndmask_b32_e64 v39, 0, 32, vcc
	v_ldexp_f32 v37, v37, v39
	v_log_f32_e32 v37, v37
	v_mul_f32_e32 v39, 0x3f317217, v37
	v_fma_f32 v39, v37, s44, -v39
	v_fmac_f32_e32 v39, 0x3377d1cf, v37
	v_fmac_f32_e32 v39, 0x3f317217, v37
	v_cmp_lt_f32_e64 s[4:5], |v37|, s39
	v_cndmask_b32_e64 v37, v37, v39, s[4:5]
	v_cndmask_b32_e32 v39, 0, v31, vcc
	v_sub_f32_e32 v39, v37, v39
.LBB62_620:                             ;   in Loop: Header=BB62_418 Depth=1
	s_or_saveexec_b64 s[26:27], s[26:27]
	v_and_b32_e32 v37, 0x7fffffff, v3
	s_xor_b64 exec, exec, s[26:27]
	s_cbranch_execz .LBB62_642
; %bb.621:                              ;   in Loop: Header=BB62_418 Depth=1
	v_cmp_neq_f32_e64 s[4:5], |v2|, 1.0
	v_cmp_nlt_f32_e64 s[28:29], |v3|, s45
	s_or_b64 s[4:5], s[4:5], s[28:29]
                                        ; implicit-def: $vgpr39
	s_and_saveexec_b64 s[28:29], s[4:5]
	s_xor_b64 s[28:29], exec, s[28:29]
	s_cbranch_execz .LBB62_639
; %bb.622:                              ;   in Loop: Header=BB62_418 Depth=1
	v_mul_f32_e64 v39, |v11|, s46
	v_cmp_ge_f32_e64 s[4:5], |v3|, v39
                                        ; implicit-def: $vgpr39
	s_and_saveexec_b64 s[30:31], s[4:5]
	s_xor_b64 s[30:31], exec, s[30:31]
	s_cbranch_execz .LBB62_632
; %bb.623:                              ;   in Loop: Header=BB62_418 Depth=1
	v_cmp_neq_f32_e32 vcc, 0, v12
	v_mov_b32_e32 v39, v37
	s_and_saveexec_b64 s[4:5], vcc
	s_cbranch_execz .LBB62_625
; %bb.624:                              ;   in Loop: Header=BB62_418 Depth=1
	v_mul_f32_e32 v39, v3, v3
	v_add_f32_e32 v40, v12, v38
	v_div_scale_f32 v41, s[34:35], v40, v40, v39
	v_div_scale_f32 v42, vcc, v39, v40, v39
	v_rcp_f32_e32 v43, v41
	v_fma_f32 v44, -v41, v43, 1.0
	v_fmac_f32_e32 v43, v44, v43
	v_mul_f32_e32 v44, v42, v43
	v_fma_f32 v45, -v41, v44, v42
	v_fmac_f32_e32 v44, v45, v43
	v_fma_f32 v41, -v41, v44, v42
	v_div_fmas_f32 v41, v41, v43, v44
	v_div_fixup_f32 v39, v41, v40, v39
.LBB62_625:                             ;   in Loop: Header=BB62_418 Depth=1
	s_or_b64 exec, exec, s[4:5]
	v_sub_f32_e64 v41, 1.0, |v2|
	v_cmp_ngt_f32_e32 vcc, 0, v41
                                        ; implicit-def: $vgpr40
	s_and_saveexec_b64 s[4:5], vcc
	s_xor_b64 s[4:5], exec, s[4:5]
	s_cbranch_execz .LBB62_629
; %bb.626:                              ;   in Loop: Header=BB62_418 Depth=1
	v_cmp_neq_f32_e32 vcc, 0, v41
	v_mov_b32_e32 v40, v37
	s_and_saveexec_b64 s[34:35], vcc
	s_cbranch_execz .LBB62_628
; %bb.627:                              ;   in Loop: Header=BB62_418 Depth=1
	v_mul_f32_e32 v40, v3, v3
	v_add_f32_e32 v41, v41, v13
	v_div_scale_f32 v42, s[36:37], v41, v41, v40
	v_div_scale_f32 v43, vcc, v40, v41, v40
	v_rcp_f32_e32 v44, v42
	v_fma_f32 v45, -v42, v44, 1.0
	v_fmac_f32_e32 v44, v45, v44
	v_mul_f32_e32 v45, v43, v44
	v_fma_f32 v46, -v42, v45, v43
	v_fmac_f32_e32 v45, v46, v44
	v_fma_f32 v42, -v42, v45, v43
	v_div_fmas_f32 v42, v42, v44, v45
	v_div_fixup_f32 v40, v42, v41, v40
.LBB62_628:                             ;   in Loop: Header=BB62_418 Depth=1
	s_or_b64 exec, exec, s[34:35]
                                        ; implicit-def: $vgpr41
.LBB62_629:                             ;   in Loop: Header=BB62_418 Depth=1
	s_andn2_saveexec_b64 s[4:5], s[4:5]
; %bb.630:                              ;   in Loop: Header=BB62_418 Depth=1
	v_sub_f32_e32 v40, v13, v41
; %bb.631:                              ;   in Loop: Header=BB62_418 Depth=1
	s_or_b64 exec, exec, s[4:5]
	v_mul_f32_e32 v40, 0.5, v40
	v_fmac_f32_e32 v40, 0.5, v39
	v_add_f32_e32 v39, 1.0, v10
	v_mul_f32_e32 v39, v39, v40
	v_mul_f32_e32 v41, 0x4f800000, v39
	v_cmp_gt_f32_e32 vcc, s41, v39
	v_cndmask_b32_e32 v39, v39, v41, vcc
	v_sqrt_f32_e32 v41, v39
	v_add_u32_e32 v42, -1, v41
	v_fma_f32 v43, -v42, v41, v39
	v_cmp_ge_f32_e64 s[4:5], 0, v43
	v_add_u32_e32 v43, 1, v41
	v_cndmask_b32_e64 v42, v41, v42, s[4:5]
	v_fma_f32 v41, -v43, v41, v39
	v_cmp_lt_f32_e64 s[4:5], 0, v41
	v_cndmask_b32_e64 v41, v42, v43, s[4:5]
	v_mul_f32_e32 v42, 0x37800000, v41
	v_cndmask_b32_e32 v41, v41, v42, vcc
	v_cmp_class_f32_e32 vcc, v39, v18
	v_cndmask_b32_e32 v39, v41, v39, vcc
	v_add_f32_e32 v41, v40, v39
	v_add_f32_e32 v42, 1.0, v41
	v_cvt_f64_f32_e32 v[39:40], v42
	v_add_f32_e32 v43, -1.0, v42
	v_frexp_exp_i32_f64_e32 v39, v[39:40]
	v_sub_f32_e32 v40, v43, v42
	v_add_f32_e32 v40, 1.0, v40
	v_sub_f32_e32 v43, v41, v43
	v_add_f32_e32 v40, v43, v40
	v_frexp_mant_f32_e32 v43, v42
	v_cmp_gt_f32_e32 vcc, s47, v43
	v_subbrev_co_u32_e32 v39, vcc, 0, v39, vcc
	v_sub_u32_e32 v43, 0, v39
	v_ldexp_f32 v42, v42, v43
	v_ldexp_f32 v40, v40, v43
	v_add_f32_e32 v43, -1.0, v42
	v_add_f32_e32 v46, 1.0, v42
	v_add_f32_e32 v44, 1.0, v43
	v_add_f32_e32 v47, -1.0, v46
	v_sub_f32_e32 v44, v42, v44
	v_sub_f32_e32 v42, v42, v47
	v_add_f32_e32 v44, v40, v44
	v_add_f32_e32 v40, v40, v42
	;; [unrolled: 1-line block ×3, first 2 shown]
	v_rcp_f32_e32 v47, v42
	v_add_f32_e32 v45, v43, v44
	v_sub_f32_e32 v43, v45, v43
	v_sub_f32_e32 v43, v44, v43
	v_sub_f32_e32 v44, v42, v46
	v_sub_f32_e32 v40, v40, v44
	v_mul_f32_e32 v44, v45, v47
	v_mul_f32_e32 v46, v42, v44
	v_fma_f32 v48, v44, v42, -v46
	v_fmac_f32_e32 v48, v44, v40
	v_add_f32_e32 v49, v46, v48
	v_sub_f32_e32 v50, v45, v49
	v_sub_f32_e32 v45, v45, v50
	;; [unrolled: 1-line block ×4, first 2 shown]
	v_add_f32_e32 v43, v43, v45
	v_sub_f32_e32 v45, v46, v48
	v_add_f32_e32 v43, v45, v43
	v_add_f32_e32 v45, v50, v43
	v_mul_f32_e32 v46, v47, v45
	v_mul_f32_e32 v48, v42, v46
	v_fma_f32 v42, v46, v42, -v48
	v_fmac_f32_e32 v42, v46, v40
	v_sub_f32_e32 v40, v50, v45
	v_add_f32_e32 v40, v43, v40
	v_add_f32_e32 v43, v48, v42
	v_sub_f32_e32 v49, v45, v43
	v_sub_f32_e32 v45, v45, v49
	v_sub_f32_e32 v48, v43, v48
	v_sub_f32_e32 v43, v45, v43
	v_add_f32_e32 v40, v40, v43
	v_sub_f32_e32 v42, v48, v42
	v_cvt_f32_i32_e32 v39, v39
	v_add_f32_e32 v40, v42, v40
	v_add_f32_e32 v42, v44, v46
	;; [unrolled: 1-line block ×3, first 2 shown]
	v_sub_f32_e32 v43, v42, v44
	v_mul_f32_e32 v40, v47, v40
	v_sub_f32_e32 v43, v46, v43
	v_add_f32_e32 v40, v43, v40
	v_mul_f32_e32 v46, 0x3f317218, v39
	v_add_f32_e32 v43, v42, v40
	v_fma_f32 v47, v39, s48, -v46
	v_mul_f32_e32 v44, v43, v43
	v_mov_b32_e32 v45, 0x3ecc95a3
	v_fmac_f32_e32 v47, 0xb102e308, v39
	v_sub_f32_e32 v39, v43, v42
	v_fmac_f32_e32 v45, 0x3e9b6dac, v44
	v_sub_f32_e32 v39, v40, v39
	v_add_f32_e32 v40, v46, v47
	v_fma_f32 v45, v44, v45, v19
	v_sub_f32_e32 v42, v40, v46
	v_ldexp_f32 v46, v43, 1
	v_mul_f32_e32 v43, v43, v44
	v_mul_f32_e32 v43, v43, v45
	v_add_f32_e32 v44, v46, v43
	v_sub_f32_e32 v45, v44, v46
	v_ldexp_f32 v39, v39, 1
	v_sub_f32_e32 v43, v43, v45
	v_add_f32_e32 v39, v39, v43
	v_add_f32_e32 v43, v44, v39
	v_sub_f32_e32 v44, v43, v44
	v_sub_f32_e32 v39, v39, v44
	v_add_f32_e32 v44, v40, v43
	v_sub_f32_e32 v45, v44, v40
	v_sub_f32_e32 v46, v44, v45
	;; [unrolled: 1-line block ×5, first 2 shown]
	v_add_f32_e32 v40, v43, v40
	v_add_f32_e32 v43, v42, v39
	v_sub_f32_e32 v45, v43, v42
	v_sub_f32_e32 v46, v43, v45
	;; [unrolled: 1-line block ×4, first 2 shown]
	v_add_f32_e32 v40, v43, v40
	v_add_f32_e32 v39, v39, v42
	;; [unrolled: 1-line block ×3, first 2 shown]
	v_sub_f32_e32 v43, v42, v44
	v_sub_f32_e32 v40, v40, v43
	v_add_f32_e32 v39, v39, v40
	v_add_f32_e32 v39, v42, v39
	v_cmp_neq_f32_e32 vcc, s39, v41
	v_cndmask_b32_e32 v39, v30, v39, vcc
	v_cmp_ngt_f32_e32 vcc, -1.0, v41
	v_cndmask_b32_e32 v39, v32, v39, vcc
	v_cmp_neq_f32_e32 vcc, -1.0, v41
	v_cndmask_b32_e32 v39, v33, v39, vcc
	v_cmp_lt_f32_e64 vcc, |v41|, s50
	v_cndmask_b32_e32 v39, v39, v41, vcc
.LBB62_632:                             ;   in Loop: Header=BB62_418 Depth=1
	s_andn2_saveexec_b64 s[30:31], s[30:31]
	s_cbranch_execz .LBB62_638
; %bb.633:                              ;   in Loop: Header=BB62_418 Depth=1
	v_cmp_nlt_f32_e64 s[4:5], |v2|, 1.0
                                        ; implicit-def: $vgpr39
	s_and_saveexec_b64 s[34:35], s[4:5]
	s_xor_b64 s[34:35], exec, s[34:35]
	s_cbranch_execz .LBB62_635
; %bb.634:                              ;   in Loop: Header=BB62_418 Depth=1
	v_mul_f32_e32 v39, v11, v12
	v_mul_f32_e32 v40, 0x4f800000, v39
	v_cmp_gt_f32_e32 vcc, s41, v39
	v_cndmask_b32_e32 v39, v39, v40, vcc
	v_sqrt_f32_e32 v40, v39
	v_add_u32_e32 v41, -1, v40
	v_fma_f32 v43, -v41, v40, v39
	v_add_u32_e32 v42, 1, v40
	v_cmp_ge_f32_e64 s[4:5], 0, v43
	v_cndmask_b32_e64 v41, v40, v41, s[4:5]
	v_fma_f32 v40, -v42, v40, v39
	v_cmp_lt_f32_e64 s[4:5], 0, v40
	v_cndmask_b32_e64 v40, v41, v42, s[4:5]
	v_mul_f32_e32 v41, 0x37800000, v40
	v_cndmask_b32_e32 v40, v40, v41, vcc
	v_cmp_class_f32_e32 vcc, v39, v18
	v_cndmask_b32_e32 v39, v40, v39, vcc
	v_add_f32_e32 v41, v11, v39
	v_add_f32_e32 v42, 1.0, v41
	v_cvt_f64_f32_e32 v[39:40], v42
	v_add_f32_e32 v43, -1.0, v42
	v_frexp_exp_i32_f64_e32 v39, v[39:40]
	v_sub_f32_e32 v40, v43, v42
	v_add_f32_e32 v40, 1.0, v40
	v_sub_f32_e32 v43, v41, v43
	v_add_f32_e32 v40, v43, v40
	v_frexp_mant_f32_e32 v43, v42
	v_cmp_gt_f32_e32 vcc, s47, v43
	v_subbrev_co_u32_e32 v39, vcc, 0, v39, vcc
	v_sub_u32_e32 v43, 0, v39
	v_ldexp_f32 v42, v42, v43
	v_ldexp_f32 v40, v40, v43
	v_add_f32_e32 v43, -1.0, v42
	v_add_f32_e32 v46, 1.0, v42
	v_add_f32_e32 v44, 1.0, v43
	v_add_f32_e32 v47, -1.0, v46
	v_sub_f32_e32 v44, v42, v44
	v_sub_f32_e32 v42, v42, v47
	v_add_f32_e32 v44, v40, v44
	v_add_f32_e32 v40, v40, v42
	;; [unrolled: 1-line block ×3, first 2 shown]
	v_rcp_f32_e32 v47, v42
	v_add_f32_e32 v45, v43, v44
	v_sub_f32_e32 v43, v45, v43
	v_sub_f32_e32 v43, v44, v43
	;; [unrolled: 1-line block ×4, first 2 shown]
	v_mul_f32_e32 v44, v45, v47
	v_mul_f32_e32 v46, v42, v44
	v_fma_f32 v48, v44, v42, -v46
	v_fmac_f32_e32 v48, v44, v40
	v_add_f32_e32 v49, v46, v48
	v_sub_f32_e32 v50, v45, v49
	v_sub_f32_e32 v45, v45, v50
	;; [unrolled: 1-line block ×4, first 2 shown]
	v_add_f32_e32 v43, v43, v45
	v_sub_f32_e32 v45, v46, v48
	v_add_f32_e32 v43, v45, v43
	v_add_f32_e32 v45, v50, v43
	v_mul_f32_e32 v46, v47, v45
	v_mul_f32_e32 v48, v42, v46
	v_fma_f32 v42, v46, v42, -v48
	v_fmac_f32_e32 v42, v46, v40
	v_sub_f32_e32 v40, v50, v45
	v_add_f32_e32 v40, v43, v40
	v_add_f32_e32 v43, v48, v42
	v_sub_f32_e32 v49, v45, v43
	v_sub_f32_e32 v45, v45, v49
	;; [unrolled: 1-line block ×4, first 2 shown]
	v_add_f32_e32 v40, v40, v43
	v_sub_f32_e32 v42, v48, v42
	v_cvt_f32_i32_e32 v39, v39
	v_add_f32_e32 v40, v42, v40
	v_add_f32_e32 v42, v44, v46
	;; [unrolled: 1-line block ×3, first 2 shown]
	v_sub_f32_e32 v43, v42, v44
	v_mul_f32_e32 v40, v47, v40
	v_sub_f32_e32 v43, v46, v43
	v_add_f32_e32 v40, v43, v40
	v_mul_f32_e32 v46, 0x3f317218, v39
	v_add_f32_e32 v43, v42, v40
	v_fma_f32 v47, v39, s48, -v46
	v_mul_f32_e32 v44, v43, v43
	v_mov_b32_e32 v45, 0x3ecc95a3
	v_fmac_f32_e32 v47, 0xb102e308, v39
	v_sub_f32_e32 v39, v43, v42
	v_fmac_f32_e32 v45, 0x3e9b6dac, v44
	v_sub_f32_e32 v39, v40, v39
	v_add_f32_e32 v40, v46, v47
	v_fma_f32 v45, v44, v45, v19
	v_sub_f32_e32 v42, v40, v46
	v_ldexp_f32 v46, v43, 1
	v_mul_f32_e32 v43, v43, v44
	v_mul_f32_e32 v43, v43, v45
	v_add_f32_e32 v44, v46, v43
	v_sub_f32_e32 v45, v44, v46
	v_ldexp_f32 v39, v39, 1
	v_sub_f32_e32 v43, v43, v45
	v_add_f32_e32 v39, v39, v43
	v_add_f32_e32 v43, v44, v39
	v_sub_f32_e32 v44, v43, v44
	v_sub_f32_e32 v39, v39, v44
	v_add_f32_e32 v44, v40, v43
	v_sub_f32_e32 v45, v44, v40
	v_sub_f32_e32 v46, v44, v45
	;; [unrolled: 1-line block ×5, first 2 shown]
	v_add_f32_e32 v40, v43, v40
	v_add_f32_e32 v43, v42, v39
	v_sub_f32_e32 v45, v43, v42
	v_sub_f32_e32 v46, v43, v45
	;; [unrolled: 1-line block ×4, first 2 shown]
	v_add_f32_e32 v40, v43, v40
	v_add_f32_e32 v39, v39, v42
	;; [unrolled: 1-line block ×3, first 2 shown]
	v_sub_f32_e32 v43, v42, v44
	v_sub_f32_e32 v40, v40, v43
	v_add_f32_e32 v39, v39, v40
	v_add_f32_e32 v39, v42, v39
	v_cmp_neq_f32_e32 vcc, s39, v41
	v_cndmask_b32_e32 v39, v30, v39, vcc
	v_cmp_ngt_f32_e32 vcc, -1.0, v41
	v_cndmask_b32_e32 v39, v32, v39, vcc
	v_cmp_neq_f32_e32 vcc, -1.0, v41
	v_cndmask_b32_e32 v39, v33, v39, vcc
	v_cmp_lt_f32_e64 vcc, |v41|, s50
	v_cndmask_b32_e32 v39, v39, v41, vcc
.LBB62_635:                             ;   in Loop: Header=BB62_418 Depth=1
	s_andn2_saveexec_b64 s[34:35], s[34:35]
	s_cbranch_execz .LBB62_637
; %bb.636:                              ;   in Loop: Header=BB62_418 Depth=1
	v_sub_f32_e64 v39, 1.0, |v2|
	v_mul_f32_e32 v39, v39, v12
	v_mul_f32_e32 v40, 0x4f800000, v39
	v_cmp_gt_f32_e32 vcc, s41, v39
	v_cndmask_b32_e32 v39, v39, v40, vcc
	v_sqrt_f32_e32 v40, v39
	v_add_u32_e32 v41, -1, v40
	v_fma_f32 v43, -v41, v40, v39
	v_add_u32_e32 v42, 1, v40
	v_cmp_ge_f32_e64 s[4:5], 0, v43
	v_cndmask_b32_e64 v41, v40, v41, s[4:5]
	v_fma_f32 v40, -v42, v40, v39
	v_cmp_lt_f32_e64 s[4:5], 0, v40
	v_cndmask_b32_e64 v40, v41, v42, s[4:5]
	v_mul_f32_e32 v41, 0x37800000, v40
	v_cndmask_b32_e32 v40, v40, v41, vcc
	v_cmp_class_f32_e32 vcc, v39, v18
	v_cndmask_b32_e32 v39, v40, v39, vcc
	v_and_b32_e32 v40, 0x7fffffff, v3
	v_div_scale_f32 v41, s[4:5], v39, v39, v40
	v_div_scale_f32 v40, vcc, v40, v39, v40
	v_rcp_f32_e32 v42, v41
	v_fma_f32 v43, -v41, v42, 1.0
	v_fmac_f32_e32 v42, v43, v42
	v_mul_f32_e32 v43, v40, v42
	v_fma_f32 v44, -v41, v43, v40
	v_fmac_f32_e32 v43, v44, v42
	v_fma_f32 v40, -v41, v43, v40
	v_div_fmas_f32 v40, v40, v42, v43
	v_div_fixup_f32 v39, v40, v39, |v3|
.LBB62_637:                             ;   in Loop: Header=BB62_418 Depth=1
	s_or_b64 exec, exec, s[34:35]
.LBB62_638:                             ;   in Loop: Header=BB62_418 Depth=1
	s_or_b64 exec, exec, s[30:31]
.LBB62_639:                             ;   in Loop: Header=BB62_418 Depth=1
	s_andn2_saveexec_b64 s[28:29], s[28:29]
	s_cbranch_execz .LBB62_641
; %bb.640:                              ;   in Loop: Header=BB62_418 Depth=1
	v_mul_f32_e64 v39, |v3|, s42
	v_cmp_lt_f32_e64 vcc, |v3|, s41
	v_cndmask_b32_e64 v39, |v3|, v39, vcc
	v_sqrt_f32_e32 v40, v39
	v_add_u32_e32 v41, -1, v40
	v_fma_f32 v43, -v41, v40, v39
	v_add_u32_e32 v42, 1, v40
	v_cmp_ge_f32_e64 s[4:5], 0, v43
	v_cndmask_b32_e64 v41, v40, v41, s[4:5]
	v_fma_f32 v40, -v42, v40, v39
	v_cmp_lt_f32_e64 s[4:5], 0, v40
	v_cndmask_b32_e64 v40, v41, v42, s[4:5]
	v_mul_f32_e32 v41, 0x37800000, v40
	v_cndmask_b32_e32 v40, v40, v41, vcc
	v_cmp_class_f32_e32 vcc, v39, v18
	v_cndmask_b32_e32 v39, v40, v39, vcc
.LBB62_641:                             ;   in Loop: Header=BB62_418 Depth=1
	s_or_b64 exec, exec, s[28:29]
.LBB62_642:                             ;   in Loop: Header=BB62_418 Depth=1
	s_or_b64 exec, exec, s[26:27]
	v_cmp_nlt_f32_e64 s[26:27], |v2|, s51
                                        ; implicit-def: $sgpr4_sgpr5
                                        ; implicit-def: $vgpr40
                                        ; implicit-def: $vgpr42
                                        ; implicit-def: $vgpr41
	s_and_saveexec_b64 s[28:29], s[26:27]
	s_xor_b64 s[26:27], exec, s[28:29]
	s_cbranch_execz .LBB62_666
; %bb.643:                              ;   in Loop: Header=BB62_418 Depth=1
	v_and_b32_e32 v41, 0x7fffffff, v2
	v_div_scale_f32 v40, s[4:5], v10, v10, v41
	v_div_scale_f32 v42, vcc, v41, v10, v41
	s_mov_b64 s[4:5], 0
	v_rcp_f32_e32 v43, v40
	v_fma_f32 v44, -v40, v43, 1.0
	v_fmac_f32_e32 v43, v44, v43
	v_mul_f32_e32 v44, v42, v43
	v_fma_f32 v45, -v40, v44, v42
	v_fmac_f32_e32 v44, v45, v43
	v_fma_f32 v40, -v40, v44, v42
	v_div_fmas_f32 v40, v40, v43, v44
                                        ; implicit-def: $vgpr42
	v_div_fixup_f32 v40, v40, v10, |v2|
	v_cmp_lt_f32_e32 vcc, s52, v40
	s_and_saveexec_b64 s[28:29], vcc
	s_cbranch_execz .LBB62_665
; %bb.644:                              ;   in Loop: Header=BB62_418 Depth=1
	v_cmp_neq_f32_e64 s[4:5], |v2|, 1.0
	v_cmp_nlt_f32_e64 s[30:31], |v3|, s53
	s_or_b64 s[4:5], s[4:5], s[30:31]
                                        ; implicit-def: $vgpr42
	s_and_saveexec_b64 s[30:31], s[4:5]
	s_xor_b64 s[30:31], exec, s[30:31]
	s_cbranch_execz .LBB62_662
; %bb.645:                              ;   in Loop: Header=BB62_418 Depth=1
	v_mul_f32_e64 v42, |v11|, s46
	v_cmp_ge_f32_e64 s[4:5], |v3|, v42
                                        ; implicit-def: $vgpr42
	s_and_saveexec_b64 s[34:35], s[4:5]
	s_xor_b64 s[34:35], exec, s[34:35]
	s_cbranch_execz .LBB62_655
; %bb.646:                              ;   in Loop: Header=BB62_418 Depth=1
	v_cmp_neq_f32_e32 vcc, 0, v12
	v_mov_b32_e32 v42, v37
	s_and_saveexec_b64 s[4:5], vcc
	s_cbranch_execz .LBB62_648
; %bb.647:                              ;   in Loop: Header=BB62_418 Depth=1
	v_mul_f32_e32 v42, v3, v3
	v_add_f32_e32 v12, v12, v38
	v_div_scale_f32 v38, s[36:37], v12, v12, v42
	v_div_scale_f32 v43, vcc, v42, v12, v42
	v_rcp_f32_e32 v44, v38
	v_fma_f32 v45, -v38, v44, 1.0
	v_fmac_f32_e32 v44, v45, v44
	v_mul_f32_e32 v45, v43, v44
	v_fma_f32 v46, -v38, v45, v43
	v_fmac_f32_e32 v45, v46, v44
	v_fma_f32 v38, -v38, v45, v43
	v_div_fmas_f32 v38, v38, v44, v45
	v_div_fixup_f32 v42, v38, v12, v42
.LBB62_648:                             ;   in Loop: Header=BB62_418 Depth=1
	s_or_b64 exec, exec, s[4:5]
	v_cmp_ngt_f32_e32 vcc, 0, v11
	s_and_saveexec_b64 s[4:5], vcc
	s_xor_b64 s[4:5], exec, s[4:5]
	s_cbranch_execz .LBB62_652
; %bb.649:                              ;   in Loop: Header=BB62_418 Depth=1
	v_cmp_neq_f32_e32 vcc, 0, v11
	s_and_saveexec_b64 s[36:37], vcc
	s_cbranch_execz .LBB62_651
; %bb.650:                              ;   in Loop: Header=BB62_418 Depth=1
	v_mul_f32_e32 v12, v3, v3
	v_add_f32_e32 v11, v11, v13
	v_div_scale_f32 v13, s[62:63], v11, v11, v12
	v_div_scale_f32 v37, vcc, v12, v11, v12
	v_rcp_f32_e32 v38, v13
	v_fma_f32 v43, -v13, v38, 1.0
	v_fmac_f32_e32 v38, v43, v38
	v_mul_f32_e32 v43, v37, v38
	v_fma_f32 v44, -v13, v43, v37
	v_fmac_f32_e32 v43, v44, v38
	v_fma_f32 v13, -v13, v43, v37
	v_div_fmas_f32 v13, v13, v38, v43
	v_div_fixup_f32 v37, v13, v11, v12
.LBB62_651:                             ;   in Loop: Header=BB62_418 Depth=1
	s_or_b64 exec, exec, s[36:37]
                                        ; implicit-def: $vgpr13
                                        ; implicit-def: $vgpr11
.LBB62_652:                             ;   in Loop: Header=BB62_418 Depth=1
	s_andn2_saveexec_b64 s[4:5], s[4:5]
; %bb.653:                              ;   in Loop: Header=BB62_418 Depth=1
	v_sub_f32_e32 v37, v13, v11
; %bb.654:                              ;   in Loop: Header=BB62_418 Depth=1
	s_or_b64 exec, exec, s[4:5]
	v_mul_f32_e32 v11, 0.5, v37
	v_fmac_f32_e32 v11, 0.5, v42
	v_add_f32_e64 v10, |v2|, v10
	v_mul_f32_e32 v10, v10, v11
	v_mul_f32_e32 v11, 0x4f800000, v10
	v_cmp_gt_f32_e32 vcc, s41, v10
	v_cndmask_b32_e32 v10, v10, v11, vcc
	v_sqrt_f32_e32 v11, v10
	v_add_u32_e32 v12, -1, v11
	v_fma_f32 v13, -v12, v11, v10
	v_cmp_ge_f32_e64 s[4:5], 0, v13
	v_add_u32_e32 v13, 1, v11
	v_cndmask_b32_e64 v12, v11, v12, s[4:5]
	v_fma_f32 v11, -v13, v11, v10
	v_cmp_lt_f32_e64 s[4:5], 0, v11
	v_cndmask_b32_e64 v11, v12, v13, s[4:5]
	v_mul_f32_e32 v12, 0x37800000, v11
	v_cndmask_b32_e32 v11, v11, v12, vcc
	v_cmp_class_f32_e32 vcc, v10, v18
	v_cndmask_b32_e32 v42, v11, v10, vcc
                                        ; implicit-def: $vgpr12
                                        ; implicit-def: $vgpr11
.LBB62_655:                             ;   in Loop: Header=BB62_418 Depth=1
	s_andn2_saveexec_b64 s[34:35], s[34:35]
	s_cbranch_execz .LBB62_661
; %bb.656:                              ;   in Loop: Header=BB62_418 Depth=1
	v_cmp_ngt_f32_e64 s[4:5], |v2|, 1.0
                                        ; implicit-def: $vgpr42
	s_and_saveexec_b64 s[36:37], s[4:5]
	s_xor_b64 s[36:37], exec, s[36:37]
	s_cbranch_execz .LBB62_658
; %bb.657:                              ;   in Loop: Header=BB62_418 Depth=1
	v_sub_f32_e64 v10, 1.0, |v2|
	v_mul_f32_e32 v10, v10, v12
	v_mul_f32_e32 v11, 0x4f800000, v10
	v_cmp_gt_f32_e32 vcc, s41, v10
	v_cndmask_b32_e32 v10, v10, v11, vcc
	v_sqrt_f32_e32 v11, v10
	v_add_u32_e32 v12, -1, v11
	v_fma_f32 v37, -v12, v11, v10
	v_add_u32_e32 v13, 1, v11
	v_cmp_ge_f32_e64 s[4:5], 0, v37
	v_cndmask_b32_e64 v12, v11, v12, s[4:5]
	v_fma_f32 v11, -v13, v11, v10
	v_cmp_lt_f32_e64 s[4:5], 0, v11
	v_cndmask_b32_e64 v11, v12, v13, s[4:5]
	v_mul_f32_e32 v12, 0x37800000, v11
	v_cndmask_b32_e32 v11, v11, v12, vcc
	v_cmp_class_f32_e32 vcc, v10, v18
	v_cndmask_b32_e32 v42, v11, v10, vcc
                                        ; implicit-def: $vgpr12
                                        ; implicit-def: $vgpr11
.LBB62_658:                             ;   in Loop: Header=BB62_418 Depth=1
	s_andn2_saveexec_b64 s[36:37], s[36:37]
	s_cbranch_execz .LBB62_660
; %bb.659:                              ;   in Loop: Header=BB62_418 Depth=1
	v_mul_f32_e32 v10, v12, v11
	v_mul_f32_e32 v11, 0x4f800000, v10
	v_cmp_gt_f32_e32 vcc, s41, v10
	v_cndmask_b32_e32 v10, v10, v11, vcc
	v_sqrt_f32_e32 v11, v10
	v_mul_f32_e64 v12, |v3|, s54
	v_mul_f32_e64 v12, |v2|, v12
	v_add_u32_e32 v13, -1, v11
	v_fma_f32 v37, -v13, v11, v10
	v_cmp_ge_f32_e64 s[4:5], 0, v37
	v_add_u32_e32 v37, 1, v11
	v_cndmask_b32_e64 v13, v11, v13, s[4:5]
	v_fma_f32 v11, -v37, v11, v10
	v_cmp_lt_f32_e64 s[4:5], 0, v11
	v_cndmask_b32_e64 v11, v13, v37, s[4:5]
	v_mul_f32_e32 v13, 0x37800000, v11
	v_cndmask_b32_e32 v11, v11, v13, vcc
	v_cmp_class_f32_e32 vcc, v10, v18
	v_cndmask_b32_e32 v10, v11, v10, vcc
	v_div_scale_f32 v11, s[4:5], v10, v10, v12
	v_div_scale_f32 v13, vcc, v12, v10, v12
	v_rcp_f32_e32 v37, v11
	v_fma_f32 v38, -v11, v37, 1.0
	v_fmac_f32_e32 v37, v38, v37
	v_mul_f32_e32 v38, v13, v37
	v_fma_f32 v41, -v11, v38, v13
	v_fmac_f32_e32 v38, v41, v37
	v_fma_f32 v11, -v11, v38, v13
	v_div_fmas_f32 v11, v11, v37, v38
	v_mul_f32_e64 v41, |v2|, s54
	v_div_fixup_f32 v42, v11, v10, v12
.LBB62_660:                             ;   in Loop: Header=BB62_418 Depth=1
	s_or_b64 exec, exec, s[36:37]
.LBB62_661:                             ;   in Loop: Header=BB62_418 Depth=1
	s_or_b64 exec, exec, s[34:35]
                                        ; implicit-def: $vgpr10
.LBB62_662:                             ;   in Loop: Header=BB62_418 Depth=1
	s_andn2_saveexec_b64 s[30:31], s[30:31]
	s_cbranch_execz .LBB62_664
; %bb.663:                              ;   in Loop: Header=BB62_418 Depth=1
	v_mul_f32_e64 v11, |v3|, s42
	v_cmp_lt_f32_e64 vcc, |v3|, s41
	v_cndmask_b32_e64 v11, |v3|, v11, vcc
	v_sqrt_f32_e32 v12, v11
	v_add_f32_e32 v10, 1.0, v10
	v_mul_f32_e32 v10, 0.5, v10
	v_mov_b32_e32 v41, 1.0
	v_add_u32_e32 v13, -1, v12
	v_fma_f32 v38, -v13, v12, v11
	v_add_u32_e32 v37, 1, v12
	v_cmp_ge_f32_e64 s[4:5], 0, v38
	v_cndmask_b32_e64 v13, v12, v13, s[4:5]
	v_fma_f32 v12, -v37, v12, v11
	v_cmp_lt_f32_e64 s[4:5], 0, v12
	v_cndmask_b32_e64 v12, v13, v37, s[4:5]
	v_mul_f32_e32 v13, 0x37800000, v12
	v_cndmask_b32_e32 v12, v12, v13, vcc
	v_mul_f32_e32 v13, 0x4f800000, v10
	v_cmp_gt_f32_e32 vcc, s41, v10
	v_cndmask_b32_e32 v10, v10, v13, vcc
	v_sqrt_f32_e32 v13, v10
	v_cmp_class_f32_e64 s[4:5], v11, v18
	v_cndmask_b32_e64 v11, v12, v11, s[4:5]
	v_add_u32_e32 v12, -1, v13
	v_fma_f32 v37, -v12, v13, v10
	v_cmp_ge_f32_e64 s[4:5], 0, v37
	v_add_u32_e32 v37, 1, v13
	v_cndmask_b32_e64 v12, v13, v12, s[4:5]
	v_fma_f32 v13, -v37, v13, v10
	v_cmp_lt_f32_e64 s[4:5], 0, v13
	v_cndmask_b32_e64 v12, v12, v37, s[4:5]
	v_mul_f32_e32 v13, 0x37800000, v12
	v_cndmask_b32_e32 v12, v12, v13, vcc
	v_cmp_class_f32_e32 vcc, v10, v18
	v_cndmask_b32_e32 v10, v12, v10, vcc
	v_mul_f32_e32 v42, v11, v10
.LBB62_664:                             ;   in Loop: Header=BB62_418 Depth=1
	s_or_b64 exec, exec, s[30:31]
	s_mov_b64 s[4:5], exec
.LBB62_665:                             ;   in Loop: Header=BB62_418 Depth=1
	s_or_b64 exec, exec, s[28:29]
                                        ; implicit-def: $vgpr10
.LBB62_666:                             ;   in Loop: Header=BB62_418 Depth=1
	s_andn2_saveexec_b64 s[26:27], s[26:27]
; %bb.667:                              ;   in Loop: Header=BB62_418 Depth=1
	v_mul_f32_e32 v42, 0x4b800000, v10
	v_mul_f32_e64 v41, |v2|, s55
	s_or_b64 s[4:5], s[4:5], exec
                                        ; implicit-def: $vgpr40
; %bb.668:                              ;   in Loop: Header=BB62_418 Depth=1
	s_or_b64 exec, exec, s[26:27]
	s_xor_b64 s[4:5], s[4:5], -1
                                        ; implicit-def: $vgpr10
	s_and_saveexec_b64 s[26:27], s[4:5]
	s_xor_b64 s[4:5], exec, s[26:27]
	s_cbranch_execz .LBB62_670
; %bb.669:                              ;   in Loop: Header=BB62_418 Depth=1
	v_fma_f32 v10, |v40|, -0.5, 0.5
	v_mul_f32_e32 v11, v40, v40
	v_cmp_ge_f32_e64 vcc, |v40|, 0.5
	v_cndmask_b32_e32 v10, v11, v10, vcc
	v_mov_b32_e32 v11, 0x3c5fc5da
	v_fmac_f32_e32 v11, 0x3d1c21a7, v10
	v_fma_f32 v11, v10, v11, v20
	v_fma_f32 v11, v10, v11, v21
	v_sqrt_f32_e32 v12, v10
	v_fma_f32 v11, v10, v11, v22
	v_fma_f32 v11, v10, v11, v23
	v_mul_f32_e32 v10, v10, v11
	v_fmac_f32_e32 v12, v12, v10
	v_add_f32_e32 v11, v12, v12
	v_sub_f32_e32 v11, 0x3fc90fdb, v11
	v_fma_f32 v10, |v40|, v10, |v40|
	v_cmp_lt_f32_e64 vcc, |v40|, 0.5
	v_cndmask_b32_e32 v10, v11, v10, vcc
	v_bfi_b32 v10, s38, v10, v40
                                        ; implicit-def: $vgpr41
                                        ; implicit-def: $vgpr42
.LBB62_670:                             ;   in Loop: Header=BB62_418 Depth=1
	s_andn2_saveexec_b64 s[26:27], s[4:5]
	s_cbranch_execz .LBB62_672
; %bb.671:                              ;   in Loop: Header=BB62_418 Depth=1
	v_max_f32_e32 v10, v41, v41
	v_max_f32_e64 v11, |v42|, |v42|
	v_min_f32_e32 v12, v11, v10
	v_max_f32_e32 v10, v11, v10
	v_frexp_mant_f32_e32 v11, v10
	v_rcp_f32_e32 v11, v11
	v_frexp_exp_i32_f32_e32 v10, v10
	v_frexp_exp_i32_f32_e32 v13, v12
	v_frexp_mant_f32_e32 v12, v12
	v_mul_f32_e32 v11, v12, v11
	v_sub_u32_e32 v10, v13, v10
	v_ldexp_f32 v10, v11, v10
	v_mul_f32_e32 v11, v10, v10
	v_mov_b32_e32 v12, 0xbc7a590c
	v_fmac_f32_e32 v12, 0x3b2d2a58, v11
	v_fma_f32 v12, v11, v12, v24
	v_fma_f32 v12, v11, v12, v25
	;; [unrolled: 1-line block ×6, first 2 shown]
	v_mul_f32_e32 v11, v11, v12
	v_fmac_f32_e32 v10, v10, v11
	v_sub_f32_e32 v11, 0x3fc90fdb, v10
	v_cmp_gt_f32_e64 vcc, v41, |v42|
	v_cndmask_b32_e32 v10, v10, v11, vcc
	v_sub_f32_e32 v11, 0x40490fdb, v10
	v_cmp_gt_f32_e32 vcc, 0, v42
	v_cmp_gt_i32_e64 s[4:5], 0, v42
	v_cndmask_b32_e32 v10, v10, v11, vcc
	v_cndmask_b32_e64 v11, 0, v34, s[4:5]
	v_cndmask_b32_e32 v12, v35, v36, vcc
	v_cmp_class_f32_e64 s[28:29], v42, s56
	v_cmp_eq_f32_e32 vcc, s39, v41
	v_cmp_eq_f32_e64 s[4:5], 0, v41
	v_cndmask_b32_e64 v10, |v10|, v11, s[4:5]
	s_and_b64 vcc, vcc, s[28:29]
	v_cndmask_b32_e32 v10, v10, v12, vcc
	v_cmp_o_f32_e32 vcc, v42, v42
	v_cndmask_b32_e32 v10, v32, v10, vcc
.LBB62_672:                             ;   in Loop: Header=BB62_418 Depth=1
	s_or_b64 exec, exec, s[26:27]
	v_bfi_b32 v11, s38, v39, v3
	v_bfi_b32 v10, s38, v10, v2
.LBB62_673:                             ;   in Loop: Header=BB62_418 Depth=1
	s_or_b64 exec, exec, s[24:25]
.LBB62_674:                             ;   in Loop: Header=BB62_418 Depth=1
	s_or_b64 exec, exec, s[22:23]
                                        ; implicit-def: $vgpr12
                                        ; implicit-def: $vgpr13
                                        ; implicit-def: $vgpr37
.LBB62_675:                             ;   in Loop: Header=BB62_418 Depth=1
	s_andn2_saveexec_b64 s[22:23], s[6:7]
	s_cbranch_execz .LBB62_697
; %bb.676:                              ;   in Loop: Header=BB62_418 Depth=1
	v_cmp_lt_i32_e32 vcc, -1, v3
                                        ; implicit-def: $sgpr24_sgpr25
                                        ; implicit-def: $vgpr10
                                        ; implicit-def: $vgpr11
	s_and_saveexec_b64 s[4:5], vcc
	s_xor_b64 s[26:27], exec, s[4:5]
	s_cbranch_execz .LBB62_686
; %bb.677:                              ;   in Loop: Header=BB62_418 Depth=1
	v_cmp_lt_f32_e64 s[4:5], |v3|, |v2|
	v_cndmask_b32_e64 v38, |v3|, |v2|, s[4:5]
	v_cmp_nlt_f32_e32 vcc, s57, v38
                                        ; implicit-def: $vgpr10
                                        ; implicit-def: $vgpr11
	s_and_saveexec_b64 s[6:7], vcc
	s_xor_b64 s[24:25], exec, s[6:7]
	s_cbranch_execz .LBB62_683
; %bb.678:                              ;   in Loop: Header=BB62_418 Depth=1
	v_cndmask_b32_e64 v39, |v2|, |v3|, s[4:5]
	v_cmp_nlt_f32_e32 vcc, s58, v38
	v_cmp_ngt_f32_e64 s[6:7], s59, v39
	s_and_b64 s[6:7], vcc, s[6:7]
                                        ; implicit-def: $vgpr10
                                        ; implicit-def: $vgpr11
	s_and_saveexec_b64 s[28:29], s[6:7]
	s_xor_b64 s[6:7], exec, s[28:29]
	s_cbranch_execz .LBB62_680
; %bb.679:                              ;   in Loop: Header=BB62_418 Depth=1
	v_mul_f32_e32 v10, v39, v39
	v_fmac_f32_e32 v10, v38, v38
	v_cmp_gt_f32_e32 vcc, s43, v10
	v_cndmask_b32_e64 v11, 0, 32, vcc
	v_ldexp_f32 v10, v10, v11
	v_log_f32_e32 v10, v10
	v_cndmask_b32_e32 v11, 0, v31, vcc
	v_mul_f32_e32 v38, 0x3f317217, v10
	v_fma_f32 v38, v10, s44, -v38
	v_fmac_f32_e32 v38, 0x3377d1cf, v10
	v_fmac_f32_e32 v38, 0x3f317217, v10
	v_cmp_lt_f32_e64 vcc, |v10|, s39
	v_cndmask_b32_e32 v10, v10, v38, vcc
	v_sub_f32_e32 v10, v10, v11
	v_min_f32_e32 v11, v13, v12
	v_frexp_mant_f32_e32 v12, v37
	v_rcp_f32_e32 v12, v12
	v_frexp_exp_i32_f32_e32 v13, v37
	v_frexp_exp_i32_f32_e32 v37, v11
	v_frexp_mant_f32_e32 v11, v11
	v_mul_f32_e32 v11, v11, v12
	v_sub_u32_e32 v12, v37, v13
	v_ldexp_f32 v11, v11, v12
	v_mul_f32_e32 v12, v11, v11
	v_mov_b32_e32 v13, 0xbc7a590c
	v_fmac_f32_e32 v13, 0x3b2d2a58, v12
	v_fma_f32 v13, v12, v13, v24
	v_fma_f32 v13, v12, v13, v25
	;; [unrolled: 1-line block ×6, first 2 shown]
	v_mul_f32_e32 v12, v12, v13
	v_mul_f32_e32 v10, 0.5, v10
	v_fmac_f32_e32 v11, v11, v12
                                        ; implicit-def: $vgpr37
                                        ; implicit-def: $vgpr13
                                        ; implicit-def: $vgpr12
.LBB62_680:                             ;   in Loop: Header=BB62_418 Depth=1
	s_andn2_saveexec_b64 s[6:7], s[6:7]
	s_cbranch_execz .LBB62_682
; %bb.681:                              ;   in Loop: Header=BB62_418 Depth=1
	v_cvt_f64_f32_e32 v[10:11], v37
	v_cmp_neq_f32_e32 vcc, s39, v37
	v_mov_b32_e32 v38, 0xbc7a590c
	v_frexp_exp_i32_f64_e32 v10, v[10:11]
	v_min_f32_e32 v11, v13, v12
	v_frexp_mant_f32_e32 v13, v37
	v_rcp_f32_e32 v13, v13
	v_frexp_exp_i32_f32_e32 v39, v11
	v_frexp_mant_f32_e32 v11, v11
	v_frexp_exp_i32_f32_e32 v12, v37
	v_mul_f32_e32 v11, v11, v13
	v_sub_u32_e32 v40, 0, v10
	s_waitcnt lgkmcnt(0)
	v_ldexp_f32 v41, |v3|, v40
	v_ldexp_f32 v40, |v2|, v40
	v_mul_f32_e32 v40, v40, v40
	v_fmac_f32_e32 v40, v41, v41
	v_sqrt_f32_e32 v40, v40
	v_sub_u32_e32 v12, v39, v12
	v_ldexp_f32 v11, v11, v12
	v_mul_f32_e32 v12, v11, v11
	v_ldexp_f32 v10, v40, v10
	v_cndmask_b32_e32 v10, v30, v10, vcc
	v_cmp_gt_f32_e32 vcc, s43, v10
	v_cndmask_b32_e64 v13, 0, 32, vcc
	v_ldexp_f32 v10, v10, v13
	v_log_f32_e32 v10, v10
	v_cndmask_b32_e32 v13, 0, v31, vcc
	v_fmac_f32_e32 v38, 0x3b2d2a58, v12
	v_mul_f32_e32 v37, 0x3f317217, v10
	v_fma_f32 v37, v10, s44, -v37
	v_fmac_f32_e32 v37, 0x3377d1cf, v10
	v_fmac_f32_e32 v37, 0x3f317217, v10
	v_cmp_lt_f32_e64 vcc, |v10|, s39
	v_cndmask_b32_e32 v10, v10, v37, vcc
	v_sub_f32_e32 v10, v10, v13
	v_fma_f32 v13, v12, v38, v24
	v_fma_f32 v13, v12, v13, v25
	;; [unrolled: 1-line block ×6, first 2 shown]
	v_mul_f32_e32 v12, v12, v13
	v_fmac_f32_e32 v11, v11, v12
.LBB62_682:                             ;   in Loop: Header=BB62_418 Depth=1
	s_or_b64 exec, exec, s[6:7]
                                        ; implicit-def: $vgpr13
                                        ; implicit-def: $vgpr12
                                        ; implicit-def: $vgpr37
.LBB62_683:                             ;   in Loop: Header=BB62_418 Depth=1
	s_andn2_saveexec_b64 s[24:25], s[24:25]
	s_cbranch_execz .LBB62_685
; %bb.684:                              ;   in Loop: Header=BB62_418 Depth=1
	v_div_scale_f32 v10, s[6:7], s60, s60, v3
	v_div_scale_f32 v11, s[6:7], s60, s60, v2
	v_div_scale_f32 v38, vcc, v3, s60, v3
	v_div_scale_f32 v39, s[6:7], v2, s60, v2
	v_min_f32_e32 v12, v13, v12
	v_frexp_exp_i32_f32_e32 v13, v37
	v_frexp_mant_f32_e32 v37, v37
	v_rcp_f32_e32 v37, v37
	v_rcp_f32_e32 v40, v10
	s_waitcnt lgkmcnt(0)
	v_rcp_f32_e32 v41, v11
	v_fma_f32 v42, -v10, v40, 1.0
	v_fmac_f32_e32 v40, v42, v40
	v_fma_f32 v43, -v11, v41, 1.0
	v_fmac_f32_e32 v41, v43, v41
	v_mul_f32_e32 v42, v38, v40
	v_mul_f32_e32 v43, v39, v41
	v_fma_f32 v44, -v10, v42, v38
	v_fma_f32 v45, -v11, v43, v39
	v_fmac_f32_e32 v42, v44, v40
	v_fmac_f32_e32 v43, v45, v41
	v_fma_f32 v10, -v10, v42, v38
	v_fma_f32 v11, -v11, v43, v39
	v_div_fmas_f32 v10, v10, v40, v42
	s_mov_b64 vcc, s[6:7]
	v_div_fmas_f32 v11, v11, v41, v43
	v_frexp_exp_i32_f32_e32 v42, v12
	v_frexp_mant_f32_e32 v12, v12
	v_mul_f32_e32 v12, v12, v37
	v_mov_b32_e32 v38, 0xbc7a590c
	v_div_fixup_f32 v39, v10, s60, v3
	v_div_fixup_f32 v40, v11, s60, v2
	v_max_f32_e64 v41, v39, |v40|
	v_cvt_f64_f32_e32 v[10:11], v41
	v_cmp_neq_f32_e32 vcc, s39, v41
	v_frexp_exp_i32_f64_e32 v10, v[10:11]
	v_sub_u32_e32 v11, v42, v13
	v_ldexp_f32 v11, v12, v11
	v_mul_f32_e32 v12, v11, v11
	v_fmac_f32_e32 v38, 0x3b2d2a58, v12
	v_fma_f32 v13, v12, v38, v24
	v_fma_f32 v13, v12, v13, v25
	;; [unrolled: 1-line block ×3, first 2 shown]
	v_sub_u32_e32 v37, 0, v10
	v_ldexp_f32 v38, v39, v37
	v_ldexp_f32 v37, |v40|, v37
	v_mul_f32_e32 v37, v37, v37
	v_fmac_f32_e32 v37, v38, v38
	v_sqrt_f32_e32 v37, v37
	v_fma_f32 v13, v12, v13, v27
	v_fma_f32 v13, v12, v13, v28
	;; [unrolled: 1-line block ×3, first 2 shown]
	v_ldexp_f32 v10, v37, v10
	v_cndmask_b32_e32 v10, v30, v10, vcc
	v_cmp_gt_f32_e32 vcc, s43, v10
	v_cndmask_b32_e64 v37, 0, 32, vcc
	v_ldexp_f32 v10, v10, v37
	v_log_f32_e32 v10, v10
	v_mul_f32_e32 v12, v12, v13
	v_cndmask_b32_e32 v13, 0, v31, vcc
	v_fmac_f32_e32 v11, v11, v12
	v_mul_f32_e32 v37, 0x3f317217, v10
	v_fma_f32 v37, v10, s44, -v37
	v_fmac_f32_e32 v37, 0x3377d1cf, v10
	v_fmac_f32_e32 v37, 0x3f317217, v10
	v_cmp_lt_f32_e64 vcc, |v10|, s39
	v_cndmask_b32_e32 v10, v10, v37, vcc
	v_sub_f32_e32 v10, v10, v13
	v_add_f32_e32 v10, 1.0, v10
.LBB62_685:                             ;   in Loop: Header=BB62_418 Depth=1
	s_or_b64 exec, exec, s[24:25]
	v_sub_f32_e32 v12, 0x3fc90fdb, v11
	v_cndmask_b32_e64 v11, v11, v12, s[4:5]
	v_cmp_neq_f32_e32 vcc, 0, v2
	v_cndmask_b32_e32 v11, 0, v11, vcc
	v_cmp_class_f32_e64 s[24:25], v3, s56
                                        ; implicit-def: $vgpr12
.LBB62_686:                             ;   in Loop: Header=BB62_418 Depth=1
	s_andn2_saveexec_b64 s[26:27], s[26:27]
	s_cbranch_execz .LBB62_696
; %bb.687:                              ;   in Loop: Header=BB62_418 Depth=1
	v_cmp_gt_f32_e64 s[4:5], |v2|, -v3
	v_cndmask_b32_e64 v13, -v3, |v2|, s[4:5]
	v_cmp_nlt_f32_e32 vcc, s57, v13
                                        ; implicit-def: $vgpr10
                                        ; implicit-def: $vgpr11
	s_and_saveexec_b64 s[6:7], vcc
	s_xor_b64 s[28:29], exec, s[6:7]
	s_cbranch_execz .LBB62_693
; %bb.688:                              ;   in Loop: Header=BB62_418 Depth=1
	v_xor_b32_e32 v10, 0x80000000, v3
	v_cndmask_b32_e64 v37, |v2|, v10, s[4:5]
	v_cmp_nlt_f32_e32 vcc, s58, v13
	v_cmp_ngt_f32_e64 s[6:7], s59, v37
	s_and_b64 s[6:7], vcc, s[6:7]
                                        ; implicit-def: $vgpr10
                                        ; implicit-def: $vgpr11
	s_and_saveexec_b64 s[30:31], s[6:7]
	s_xor_b64 s[6:7], exec, s[30:31]
	s_cbranch_execz .LBB62_690
; %bb.689:                              ;   in Loop: Header=BB62_418 Depth=1
	v_mul_f32_e32 v10, v37, v37
	v_fmac_f32_e32 v10, v13, v13
	v_cmp_gt_f32_e32 vcc, s43, v10
	v_cndmask_b32_e64 v11, 0, 32, vcc
	v_ldexp_f32 v10, v10, v11
	v_log_f32_e32 v10, v10
	v_cndmask_b32_e32 v11, 0, v31, vcc
	v_mul_f32_e32 v13, 0x3f317217, v10
	v_fma_f32 v13, v10, s44, -v13
	v_fmac_f32_e32 v13, 0x3377d1cf, v10
	v_fmac_f32_e32 v13, 0x3f317217, v10
	v_cmp_lt_f32_e64 vcc, |v10|, s39
	v_cndmask_b32_e32 v10, v10, v13, vcc
	v_sub_f32_e32 v10, v10, v11
	v_max_f32_e64 v11, -v3, -v3
	v_min_f32_e32 v13, v11, v12
	v_max_f32_e32 v11, v11, v12
	v_frexp_mant_f32_e32 v12, v11
	v_rcp_f32_e32 v12, v12
	v_frexp_exp_i32_f32_e32 v11, v11
	v_frexp_exp_i32_f32_e32 v37, v13
	v_frexp_mant_f32_e32 v13, v13
	v_mul_f32_e32 v12, v13, v12
	v_sub_u32_e32 v11, v37, v11
	v_ldexp_f32 v11, v12, v11
	v_mul_f32_e32 v12, v11, v11
	v_mov_b32_e32 v13, 0xbc7a590c
	v_fmac_f32_e32 v13, 0x3b2d2a58, v12
	v_fma_f32 v13, v12, v13, v24
	v_fma_f32 v13, v12, v13, v25
	;; [unrolled: 1-line block ×6, first 2 shown]
	v_mul_f32_e32 v12, v12, v13
	v_mul_f32_e32 v10, 0.5, v10
	v_fmac_f32_e32 v11, v11, v12
                                        ; implicit-def: $vgpr12
.LBB62_690:                             ;   in Loop: Header=BB62_418 Depth=1
	s_andn2_saveexec_b64 s[6:7], s[6:7]
	s_cbranch_execz .LBB62_692
; %bb.691:                              ;   in Loop: Header=BB62_418 Depth=1
	v_max_f32_e64 v13, -v3, -v3
	v_max_f32_e32 v37, v13, v12
	v_cvt_f64_f32_e32 v[10:11], v37
	v_cmp_neq_f32_e32 vcc, s39, v37
	v_mov_b32_e32 v38, 0xbc7a590c
	v_frexp_exp_i32_f64_e32 v10, v[10:11]
	v_min_f32_e32 v11, v13, v12
	v_frexp_mant_f32_e32 v13, v37
	v_rcp_f32_e32 v13, v13
	v_frexp_exp_i32_f32_e32 v39, v11
	v_frexp_mant_f32_e32 v11, v11
	v_frexp_exp_i32_f32_e32 v12, v37
	v_mul_f32_e32 v11, v11, v13
	v_sub_u32_e32 v40, 0, v10
	s_waitcnt lgkmcnt(0)
	v_ldexp_f32 v41, -v3, v40
	v_ldexp_f32 v40, |v2|, v40
	v_mul_f32_e32 v40, v40, v40
	v_fmac_f32_e32 v40, v41, v41
	v_sqrt_f32_e32 v40, v40
	v_sub_u32_e32 v12, v39, v12
	v_ldexp_f32 v11, v11, v12
	v_mul_f32_e32 v12, v11, v11
	v_ldexp_f32 v10, v40, v10
	v_cndmask_b32_e32 v10, v30, v10, vcc
	v_cmp_gt_f32_e32 vcc, s43, v10
	v_cndmask_b32_e64 v13, 0, 32, vcc
	v_ldexp_f32 v10, v10, v13
	v_log_f32_e32 v10, v10
	v_cndmask_b32_e32 v13, 0, v31, vcc
	v_fmac_f32_e32 v38, 0x3b2d2a58, v12
	v_mul_f32_e32 v37, 0x3f317217, v10
	v_fma_f32 v37, v10, s44, -v37
	v_fmac_f32_e32 v37, 0x3377d1cf, v10
	v_fmac_f32_e32 v37, 0x3f317217, v10
	v_cmp_lt_f32_e64 vcc, |v10|, s39
	v_cndmask_b32_e32 v10, v10, v37, vcc
	v_sub_f32_e32 v10, v10, v13
	v_fma_f32 v13, v12, v38, v24
	v_fma_f32 v13, v12, v13, v25
	;; [unrolled: 1-line block ×6, first 2 shown]
	v_mul_f32_e32 v12, v12, v13
	v_fmac_f32_e32 v11, v11, v12
.LBB62_692:                             ;   in Loop: Header=BB62_418 Depth=1
	s_or_b64 exec, exec, s[6:7]
                                        ; implicit-def: $vgpr12
.LBB62_693:                             ;   in Loop: Header=BB62_418 Depth=1
	s_andn2_saveexec_b64 s[28:29], s[28:29]
	s_cbranch_execz .LBB62_695
; %bb.694:                              ;   in Loop: Header=BB62_418 Depth=1
	v_div_scale_f32 v10, s[6:7], s61, s61, v3
	v_div_scale_f32 v11, s[6:7], s61, s61, v2
	v_div_scale_f32 v13, vcc, v3, s61, v3
	v_div_scale_f32 v37, s[6:7], v2, s61, v2
	v_rcp_f32_e32 v38, v10
	v_rcp_f32_e32 v39, v11
	v_fma_f32 v40, -v10, v38, 1.0
	v_fmac_f32_e32 v38, v40, v38
	s_waitcnt lgkmcnt(0)
	v_fma_f32 v41, -v11, v39, 1.0
	v_fmac_f32_e32 v39, v41, v39
	v_mul_f32_e32 v40, v13, v38
	v_mul_f32_e32 v41, v37, v39
	v_fma_f32 v42, -v10, v40, v13
	v_fma_f32 v43, -v11, v41, v37
	v_fmac_f32_e32 v40, v42, v38
	v_fmac_f32_e32 v41, v43, v39
	v_fma_f32 v10, -v10, v40, v13
	v_fma_f32 v11, -v11, v41, v37
	v_div_fmas_f32 v10, v10, v38, v40
	s_mov_b64 vcc, s[6:7]
	v_div_fmas_f32 v11, v11, v39, v41
	v_max_f32_e64 v13, -v3, -v3
	v_min_f32_e32 v38, v13, v12
	v_max_f32_e32 v12, v13, v12
	v_frexp_exp_i32_f32_e32 v13, v12
	v_frexp_mant_f32_e32 v12, v12
	v_rcp_f32_e32 v12, v12
	v_frexp_exp_i32_f32_e32 v42, v38
	v_frexp_mant_f32_e32 v38, v38
	v_mov_b32_e32 v37, 0xbc7a590c
	v_mul_f32_e32 v12, v38, v12
	v_div_fixup_f32 v39, v10, s61, v3
	v_div_fixup_f32 v40, v11, s61, v2
	v_max_f32_e64 v41, |v39|, |v40|
	v_cvt_f64_f32_e32 v[10:11], v41
	v_cmp_neq_f32_e32 vcc, s39, v41
	v_frexp_exp_i32_f64_e32 v10, v[10:11]
	v_sub_u32_e32 v11, v42, v13
	v_ldexp_f32 v11, v12, v11
	v_mul_f32_e32 v12, v11, v11
	v_fmac_f32_e32 v37, 0x3b2d2a58, v12
	v_fma_f32 v13, v12, v37, v24
	v_fma_f32 v13, v12, v13, v25
	;; [unrolled: 1-line block ×3, first 2 shown]
	v_sub_u32_e32 v37, 0, v10
	v_ldexp_f32 v38, |v39|, v37
	v_ldexp_f32 v37, |v40|, v37
	v_mul_f32_e32 v37, v37, v37
	v_fmac_f32_e32 v37, v38, v38
	v_sqrt_f32_e32 v37, v37
	v_fma_f32 v13, v12, v13, v27
	v_fma_f32 v13, v12, v13, v28
	;; [unrolled: 1-line block ×3, first 2 shown]
	v_ldexp_f32 v10, v37, v10
	v_cndmask_b32_e32 v10, v30, v10, vcc
	v_cmp_gt_f32_e32 vcc, s43, v10
	v_cndmask_b32_e64 v37, 0, 32, vcc
	v_ldexp_f32 v10, v10, v37
	v_log_f32_e32 v10, v10
	v_mul_f32_e32 v12, v12, v13
	v_cndmask_b32_e32 v13, 0, v31, vcc
	v_fmac_f32_e32 v11, v11, v12
	v_mul_f32_e32 v37, 0x3f317217, v10
	v_fma_f32 v37, v10, s44, -v37
	v_fmac_f32_e32 v37, 0x3377d1cf, v10
	v_fmac_f32_e32 v37, 0x3f317217, v10
	v_cmp_lt_f32_e64 vcc, |v10|, s39
	v_cndmask_b32_e32 v10, v10, v37, vcc
	v_sub_f32_e32 v10, v10, v13
	v_add_f32_e32 v10, 1.0, v10
.LBB62_695:                             ;   in Loop: Header=BB62_418 Depth=1
	s_or_b64 exec, exec, s[28:29]
	v_sub_f32_e32 v12, 0x3fc90fdb, v11
	v_cndmask_b32_e64 v11, v11, v12, s[4:5]
	v_cmp_neq_f32_e32 vcc, 0, v2
	v_cndmask_b32_e32 v11, 0, v11, vcc
	v_cmp_eq_f32_e32 vcc, s49, v3
	s_andn2_b64 s[4:5], s[24:25], exec
	s_and_b64 s[6:7], vcc, exec
	s_or_b64 s[24:25], s[4:5], s[6:7]
.LBB62_696:                             ;   in Loop: Header=BB62_418 Depth=1
	s_or_b64 exec, exec, s[26:27]
	v_cmp_class_f32_e64 s[4:5], v2, s56
	s_and_b64 vcc, s[4:5], s[24:25]
	v_cndmask_b32_e32 v12, v11, v35, vcc
	v_add_f32_e32 v10, 0x3f317218, v10
	v_bfi_b32 v11, s38, v10, v3
	v_bfi_b32 v10, s38, v12, v2
.LBB62_697:                             ;   in Loop: Header=BB62_418 Depth=1
	s_or_b64 exec, exec, s[22:23]
.LBB62_698:                             ;   in Loop: Header=BB62_418 Depth=1
	s_andn2_saveexec_b64 s[4:5], s[20:21]
	s_cbranch_execz .LBB62_712
; %bb.699:                              ;   in Loop: Header=BB62_418 Depth=1
	v_cmp_neq_f32_e64 s[6:7], |v3|, s39
                                        ; implicit-def: $vgpr10
	s_and_saveexec_b64 s[20:21], s[6:7]
	s_xor_b64 s[6:7], exec, s[20:21]
	s_cbranch_execz .LBB62_709
; %bb.700:                              ;   in Loop: Header=BB62_418 Depth=1
	v_cmp_neq_f32_e64 s[20:21], |v2|, s39
                                        ; implicit-def: $vgpr10
	s_and_saveexec_b64 s[22:23], s[20:21]
	s_xor_b64 s[20:21], exec, s[22:23]
	s_cbranch_execz .LBB62_706
; %bb.701:                              ;   in Loop: Header=BB62_418 Depth=1
	v_cmp_neq_f32_e32 vcc, 0, v2
                                        ; implicit-def: $vgpr10
	s_and_saveexec_b64 s[22:23], vcc
	s_xor_b64 s[22:23], exec, s[22:23]
; %bb.702:                              ;   in Loop: Header=BB62_418 Depth=1
	v_add_f32_e32 v10, 0, v3
	v_add_f32_e32 v10, v2, v10
; %bb.703:                              ;   in Loop: Header=BB62_418 Depth=1
	s_or_saveexec_b64 s[22:23], s[22:23]
	v_mov_b32_e32 v11, v10
	s_xor_b64 exec, exec, s[22:23]
; %bb.704:                              ;   in Loop: Header=BB62_418 Depth=1
	v_add_f32_e32 v11, v3, v3
	v_mov_b32_e32 v10, v2
; %bb.705:                              ;   in Loop: Header=BB62_418 Depth=1
	s_or_b64 exec, exec, s[22:23]
.LBB62_706:                             ;   in Loop: Header=BB62_418 Depth=1
	s_andn2_saveexec_b64 s[20:21], s[20:21]
; %bb.707:                              ;   in Loop: Header=BB62_418 Depth=1
	v_add_f32_e32 v10, v3, v3
	v_mov_b32_e32 v11, v2
; %bb.708:                              ;   in Loop: Header=BB62_418 Depth=1
	s_or_b64 exec, exec, s[20:21]
.LBB62_709:                             ;   in Loop: Header=BB62_418 Depth=1
	s_andn2_saveexec_b64 s[6:7], s[6:7]
; %bb.710:                              ;   in Loop: Header=BB62_418 Depth=1
	v_add_f32_e32 v10, v2, v2
	v_mov_b32_e32 v11, v3
; %bb.711:                              ;   in Loop: Header=BB62_418 Depth=1
	s_or_b64 exec, exec, s[6:7]
.LBB62_712:                             ;   in Loop: Header=BB62_418 Depth=1
	s_or_b64 exec, exec, s[4:5]
	v_cmp_o_f32_e32 vcc, v5, v4
	s_and_saveexec_b64 s[4:5], vcc
	s_xor_b64 s[20:21], exec, s[4:5]
	s_cbranch_execz .LBB62_796
; %bb.713:                              ;   in Loop: Header=BB62_418 Depth=1
	v_max_f32_e64 v37, |v5|, |v5|
	v_max_f32_e64 v2, |v4|, |v4|
	v_max_f32_e32 v38, v2, v37
	v_cmp_nlt_f32_e32 vcc, s19, v38
	s_and_saveexec_b64 s[4:5], vcc
	s_xor_b64 s[6:7], exec, s[4:5]
	s_cbranch_execz .LBB62_773
; %bb.714:                              ;   in Loop: Header=BB62_418 Depth=1
	v_cmp_neq_f32_e32 vcc, 0, v5
	v_cmp_neq_f32_e64 s[4:5], 0, v4
	s_or_b64 s[4:5], vcc, s[4:5]
	s_and_saveexec_b64 s[22:23], s[4:5]
	s_cbranch_execz .LBB62_772
; %bb.715:                              ;   in Loop: Header=BB62_418 Depth=1
	v_mov_b32_e32 v2, s10
	v_mov_b32_e32 v3, s11
	flat_store_dword v[2:3], v17
	s_waitcnt vmcnt(0)
	flat_load_dword v2, v[2:3] glc
	s_waitcnt vmcnt(0)
	v_cmp_nlt_f32_e64 s[4:5], |v5|, s33
	v_cmp_nlt_f32_e64 s[24:25], |v4|, s33
	s_or_b64 s[4:5], s[24:25], s[4:5]
	s_waitcnt lgkmcnt(0)
	v_add_f32_e32 v12, 1.0, v2
	v_mov_b32_e32 v2, s14
	v_mov_b32_e32 v3, s15
	flat_store_dword v[2:3], v12
	s_waitcnt vmcnt(0)
	flat_load_dword v2, v[2:3] glc
	s_waitcnt vmcnt(0)
	s_and_saveexec_b64 s[24:25], s[4:5]
	s_cbranch_execz .LBB62_771
; %bb.716:                              ;   in Loop: Header=BB62_418 Depth=1
	v_add_f32_e64 v12, |v4|, 1.0
	s_waitcnt lgkmcnt(0)
	v_max_f32_e32 v2, v37, v12
	v_add_f32_e64 v3, |v4|, -1.0
	v_cvt_f64_f32_e32 v[38:39], v2
	v_max_f32_e64 v13, v37, |v3|
	v_cvt_f64_f32_e32 v[40:41], v13
	v_cmp_neq_f32_e32 vcc, s39, v2
	v_frexp_exp_i32_f64_e32 v37, v[38:39]
	v_frexp_exp_i32_f64_e32 v38, v[40:41]
	v_sub_u32_e32 v39, 0, v37
	v_ldexp_f32 v41, |v5|, v39
	v_sub_u32_e32 v40, 0, v38
	v_ldexp_f32 v39, v12, v39
	v_ldexp_f32 v42, |v5|, v40
	v_ldexp_f32 v40, |v3|, v40
	v_mul_f32_e32 v39, v39, v39
	v_mul_f32_e32 v40, v40, v40
	v_fmac_f32_e32 v39, v41, v41
	v_fmac_f32_e32 v40, v42, v42
	v_sqrt_f32_e32 v39, v39
	v_sqrt_f32_e32 v40, v40
	v_ldexp_f32 v37, v39, v37
	v_ldexp_f32 v39, v40, v38
	v_cndmask_b32_e32 v38, v30, v37, vcc
	v_cmp_neq_f32_e32 vcc, s39, v13
	v_cndmask_b32_e32 v13, v30, v39, vcc
	v_add_f32_e32 v2, v38, v13
	v_mul_f32_e32 v2, 0.5, v2
	v_cmp_ngt_f32_e32 vcc, 1.0, v2
	v_cndmask_b32_e32 v2, 1.0, v2, vcc
	v_cmp_ngt_f32_e32 vcc, s40, v2
                                        ; implicit-def: $vgpr39
	s_and_saveexec_b64 s[4:5], vcc
	s_xor_b64 s[26:27], exec, s[4:5]
	s_cbranch_execz .LBB62_718
; %bb.717:                              ;   in Loop: Header=BB62_418 Depth=1
	v_fma_f32 v37, v2, v2, -1.0
	v_mul_f32_e32 v39, 0x4f800000, v37
	v_cmp_gt_f32_e32 vcc, s41, v37
	v_cndmask_b32_e32 v37, v37, v39, vcc
	v_sqrt_f32_e32 v39, v37
	v_add_u32_e32 v40, -1, v39
	v_fma_f32 v42, -v40, v39, v37
	v_add_u32_e32 v41, 1, v39
	v_cmp_ge_f32_e64 s[4:5], 0, v42
	v_cndmask_b32_e64 v40, v39, v40, s[4:5]
	v_fma_f32 v39, -v41, v39, v37
	v_cmp_lt_f32_e64 s[4:5], 0, v39
	v_cndmask_b32_e64 v39, v40, v41, s[4:5]
	v_mul_f32_e32 v40, 0x37800000, v39
	v_cndmask_b32_e32 v39, v39, v40, vcc
	v_cmp_class_f32_e32 vcc, v37, v18
	v_cndmask_b32_e32 v37, v39, v37, vcc
	v_add_f32_e32 v37, v2, v37
	v_cmp_gt_f32_e32 vcc, s43, v37
	v_cndmask_b32_e64 v39, 0, 32, vcc
	v_ldexp_f32 v37, v37, v39
	v_log_f32_e32 v37, v37
	v_mul_f32_e32 v39, 0x3f317217, v37
	v_fma_f32 v39, v37, s44, -v39
	v_fmac_f32_e32 v39, 0x3377d1cf, v37
	v_fmac_f32_e32 v39, 0x3f317217, v37
	v_cmp_lt_f32_e64 s[4:5], |v37|, s39
	v_cndmask_b32_e64 v37, v37, v39, s[4:5]
	v_cndmask_b32_e32 v39, 0, v31, vcc
	v_sub_f32_e32 v39, v37, v39
.LBB62_718:                             ;   in Loop: Header=BB62_418 Depth=1
	s_or_saveexec_b64 s[26:27], s[26:27]
	v_and_b32_e32 v37, 0x7fffffff, v5
	s_xor_b64 exec, exec, s[26:27]
	s_cbranch_execz .LBB62_740
; %bb.719:                              ;   in Loop: Header=BB62_418 Depth=1
	v_cmp_neq_f32_e64 s[4:5], |v4|, 1.0
	v_cmp_nlt_f32_e64 s[28:29], |v5|, s45
	s_or_b64 s[4:5], s[4:5], s[28:29]
                                        ; implicit-def: $vgpr39
	s_and_saveexec_b64 s[28:29], s[4:5]
	s_xor_b64 s[28:29], exec, s[28:29]
	s_cbranch_execz .LBB62_737
; %bb.720:                              ;   in Loop: Header=BB62_418 Depth=1
	v_mul_f32_e64 v39, |v3|, s46
	v_cmp_ge_f32_e64 s[4:5], |v5|, v39
                                        ; implicit-def: $vgpr39
	s_and_saveexec_b64 s[30:31], s[4:5]
	s_xor_b64 s[30:31], exec, s[30:31]
	s_cbranch_execz .LBB62_730
; %bb.721:                              ;   in Loop: Header=BB62_418 Depth=1
	v_cmp_neq_f32_e32 vcc, 0, v12
	v_mov_b32_e32 v39, v37
	s_and_saveexec_b64 s[4:5], vcc
	s_cbranch_execz .LBB62_723
; %bb.722:                              ;   in Loop: Header=BB62_418 Depth=1
	v_mul_f32_e32 v39, v5, v5
	v_add_f32_e32 v40, v12, v38
	v_div_scale_f32 v41, s[34:35], v40, v40, v39
	v_div_scale_f32 v42, vcc, v39, v40, v39
	v_rcp_f32_e32 v43, v41
	v_fma_f32 v44, -v41, v43, 1.0
	v_fmac_f32_e32 v43, v44, v43
	v_mul_f32_e32 v44, v42, v43
	v_fma_f32 v45, -v41, v44, v42
	v_fmac_f32_e32 v44, v45, v43
	v_fma_f32 v41, -v41, v44, v42
	v_div_fmas_f32 v41, v41, v43, v44
	v_div_fixup_f32 v39, v41, v40, v39
.LBB62_723:                             ;   in Loop: Header=BB62_418 Depth=1
	s_or_b64 exec, exec, s[4:5]
	v_sub_f32_e64 v41, 1.0, |v4|
	v_cmp_ngt_f32_e32 vcc, 0, v41
                                        ; implicit-def: $vgpr40
	s_and_saveexec_b64 s[4:5], vcc
	s_xor_b64 s[4:5], exec, s[4:5]
	s_cbranch_execz .LBB62_727
; %bb.724:                              ;   in Loop: Header=BB62_418 Depth=1
	v_cmp_neq_f32_e32 vcc, 0, v41
	v_mov_b32_e32 v40, v37
	s_and_saveexec_b64 s[34:35], vcc
	s_cbranch_execz .LBB62_726
; %bb.725:                              ;   in Loop: Header=BB62_418 Depth=1
	v_mul_f32_e32 v40, v5, v5
	v_add_f32_e32 v41, v41, v13
	v_div_scale_f32 v42, s[36:37], v41, v41, v40
	v_div_scale_f32 v43, vcc, v40, v41, v40
	v_rcp_f32_e32 v44, v42
	v_fma_f32 v45, -v42, v44, 1.0
	v_fmac_f32_e32 v44, v45, v44
	v_mul_f32_e32 v45, v43, v44
	v_fma_f32 v46, -v42, v45, v43
	v_fmac_f32_e32 v45, v46, v44
	v_fma_f32 v42, -v42, v45, v43
	v_div_fmas_f32 v42, v42, v44, v45
	v_div_fixup_f32 v40, v42, v41, v40
.LBB62_726:                             ;   in Loop: Header=BB62_418 Depth=1
	s_or_b64 exec, exec, s[34:35]
                                        ; implicit-def: $vgpr41
.LBB62_727:                             ;   in Loop: Header=BB62_418 Depth=1
	s_andn2_saveexec_b64 s[4:5], s[4:5]
; %bb.728:                              ;   in Loop: Header=BB62_418 Depth=1
	v_sub_f32_e32 v40, v13, v41
; %bb.729:                              ;   in Loop: Header=BB62_418 Depth=1
	s_or_b64 exec, exec, s[4:5]
	v_mul_f32_e32 v40, 0.5, v40
	v_fmac_f32_e32 v40, 0.5, v39
	v_add_f32_e32 v39, 1.0, v2
	v_mul_f32_e32 v39, v39, v40
	v_mul_f32_e32 v41, 0x4f800000, v39
	v_cmp_gt_f32_e32 vcc, s41, v39
	v_cndmask_b32_e32 v39, v39, v41, vcc
	v_sqrt_f32_e32 v41, v39
	v_add_u32_e32 v42, -1, v41
	v_fma_f32 v43, -v42, v41, v39
	v_cmp_ge_f32_e64 s[4:5], 0, v43
	v_add_u32_e32 v43, 1, v41
	v_cndmask_b32_e64 v42, v41, v42, s[4:5]
	v_fma_f32 v41, -v43, v41, v39
	v_cmp_lt_f32_e64 s[4:5], 0, v41
	v_cndmask_b32_e64 v41, v42, v43, s[4:5]
	v_mul_f32_e32 v42, 0x37800000, v41
	v_cndmask_b32_e32 v41, v41, v42, vcc
	v_cmp_class_f32_e32 vcc, v39, v18
	v_cndmask_b32_e32 v39, v41, v39, vcc
	v_add_f32_e32 v41, v40, v39
	v_add_f32_e32 v42, 1.0, v41
	v_cvt_f64_f32_e32 v[39:40], v42
	v_add_f32_e32 v43, -1.0, v42
	v_frexp_exp_i32_f64_e32 v39, v[39:40]
	v_sub_f32_e32 v40, v43, v42
	v_add_f32_e32 v40, 1.0, v40
	v_sub_f32_e32 v43, v41, v43
	v_add_f32_e32 v40, v43, v40
	v_frexp_mant_f32_e32 v43, v42
	v_cmp_gt_f32_e32 vcc, s47, v43
	v_subbrev_co_u32_e32 v39, vcc, 0, v39, vcc
	v_sub_u32_e32 v43, 0, v39
	v_ldexp_f32 v42, v42, v43
	v_ldexp_f32 v40, v40, v43
	v_add_f32_e32 v43, -1.0, v42
	v_add_f32_e32 v46, 1.0, v42
	v_add_f32_e32 v44, 1.0, v43
	v_add_f32_e32 v47, -1.0, v46
	v_sub_f32_e32 v44, v42, v44
	v_sub_f32_e32 v42, v42, v47
	v_add_f32_e32 v44, v40, v44
	v_add_f32_e32 v40, v40, v42
	;; [unrolled: 1-line block ×3, first 2 shown]
	v_rcp_f32_e32 v47, v42
	v_add_f32_e32 v45, v43, v44
	v_sub_f32_e32 v43, v45, v43
	v_sub_f32_e32 v43, v44, v43
	;; [unrolled: 1-line block ×4, first 2 shown]
	v_mul_f32_e32 v44, v45, v47
	v_mul_f32_e32 v46, v42, v44
	v_fma_f32 v48, v44, v42, -v46
	v_fmac_f32_e32 v48, v44, v40
	v_add_f32_e32 v49, v46, v48
	v_sub_f32_e32 v50, v45, v49
	v_sub_f32_e32 v45, v45, v50
	;; [unrolled: 1-line block ×4, first 2 shown]
	v_add_f32_e32 v43, v43, v45
	v_sub_f32_e32 v45, v46, v48
	v_add_f32_e32 v43, v45, v43
	v_add_f32_e32 v45, v50, v43
	v_mul_f32_e32 v46, v47, v45
	v_mul_f32_e32 v48, v42, v46
	v_fma_f32 v42, v46, v42, -v48
	v_fmac_f32_e32 v42, v46, v40
	v_sub_f32_e32 v40, v50, v45
	v_add_f32_e32 v40, v43, v40
	v_add_f32_e32 v43, v48, v42
	v_sub_f32_e32 v49, v45, v43
	v_sub_f32_e32 v45, v45, v49
	;; [unrolled: 1-line block ×4, first 2 shown]
	v_add_f32_e32 v40, v40, v43
	v_sub_f32_e32 v42, v48, v42
	v_cvt_f32_i32_e32 v39, v39
	v_add_f32_e32 v40, v42, v40
	v_add_f32_e32 v42, v44, v46
	;; [unrolled: 1-line block ×3, first 2 shown]
	v_sub_f32_e32 v43, v42, v44
	v_mul_f32_e32 v40, v47, v40
	v_sub_f32_e32 v43, v46, v43
	v_add_f32_e32 v40, v43, v40
	v_mul_f32_e32 v46, 0x3f317218, v39
	v_add_f32_e32 v43, v42, v40
	v_fma_f32 v47, v39, s48, -v46
	v_mul_f32_e32 v44, v43, v43
	v_mov_b32_e32 v45, 0x3ecc95a3
	v_fmac_f32_e32 v47, 0xb102e308, v39
	v_sub_f32_e32 v39, v43, v42
	v_fmac_f32_e32 v45, 0x3e9b6dac, v44
	v_sub_f32_e32 v39, v40, v39
	v_add_f32_e32 v40, v46, v47
	v_fma_f32 v45, v44, v45, v19
	v_sub_f32_e32 v42, v40, v46
	v_ldexp_f32 v46, v43, 1
	v_mul_f32_e32 v43, v43, v44
	v_mul_f32_e32 v43, v43, v45
	v_add_f32_e32 v44, v46, v43
	v_sub_f32_e32 v45, v44, v46
	v_ldexp_f32 v39, v39, 1
	v_sub_f32_e32 v43, v43, v45
	v_add_f32_e32 v39, v39, v43
	v_add_f32_e32 v43, v44, v39
	v_sub_f32_e32 v44, v43, v44
	v_sub_f32_e32 v39, v39, v44
	v_add_f32_e32 v44, v40, v43
	v_sub_f32_e32 v45, v44, v40
	v_sub_f32_e32 v46, v44, v45
	;; [unrolled: 1-line block ×5, first 2 shown]
	v_add_f32_e32 v40, v43, v40
	v_add_f32_e32 v43, v42, v39
	v_sub_f32_e32 v45, v43, v42
	v_sub_f32_e32 v46, v43, v45
	;; [unrolled: 1-line block ×4, first 2 shown]
	v_add_f32_e32 v40, v43, v40
	v_add_f32_e32 v39, v39, v42
	;; [unrolled: 1-line block ×3, first 2 shown]
	v_sub_f32_e32 v43, v42, v44
	v_sub_f32_e32 v40, v40, v43
	v_add_f32_e32 v39, v39, v40
	v_add_f32_e32 v39, v42, v39
	v_cmp_neq_f32_e32 vcc, s39, v41
	v_cndmask_b32_e32 v39, v30, v39, vcc
	v_cmp_ngt_f32_e32 vcc, -1.0, v41
	v_cndmask_b32_e32 v39, v32, v39, vcc
	v_cmp_neq_f32_e32 vcc, -1.0, v41
	v_cndmask_b32_e32 v39, v33, v39, vcc
	v_cmp_lt_f32_e64 vcc, |v41|, s50
	v_cndmask_b32_e32 v39, v39, v41, vcc
.LBB62_730:                             ;   in Loop: Header=BB62_418 Depth=1
	s_andn2_saveexec_b64 s[30:31], s[30:31]
	s_cbranch_execz .LBB62_736
; %bb.731:                              ;   in Loop: Header=BB62_418 Depth=1
	v_cmp_nlt_f32_e64 s[4:5], |v4|, 1.0
                                        ; implicit-def: $vgpr39
	s_and_saveexec_b64 s[34:35], s[4:5]
	s_xor_b64 s[34:35], exec, s[34:35]
	s_cbranch_execz .LBB62_733
; %bb.732:                              ;   in Loop: Header=BB62_418 Depth=1
	v_mul_f32_e32 v39, v3, v12
	v_mul_f32_e32 v40, 0x4f800000, v39
	v_cmp_gt_f32_e32 vcc, s41, v39
	v_cndmask_b32_e32 v39, v39, v40, vcc
	v_sqrt_f32_e32 v40, v39
	v_add_u32_e32 v41, -1, v40
	v_fma_f32 v43, -v41, v40, v39
	v_add_u32_e32 v42, 1, v40
	v_cmp_ge_f32_e64 s[4:5], 0, v43
	v_cndmask_b32_e64 v41, v40, v41, s[4:5]
	v_fma_f32 v40, -v42, v40, v39
	v_cmp_lt_f32_e64 s[4:5], 0, v40
	v_cndmask_b32_e64 v40, v41, v42, s[4:5]
	v_mul_f32_e32 v41, 0x37800000, v40
	v_cndmask_b32_e32 v40, v40, v41, vcc
	v_cmp_class_f32_e32 vcc, v39, v18
	v_cndmask_b32_e32 v39, v40, v39, vcc
	v_add_f32_e32 v41, v3, v39
	v_add_f32_e32 v42, 1.0, v41
	v_cvt_f64_f32_e32 v[39:40], v42
	v_add_f32_e32 v43, -1.0, v42
	v_frexp_exp_i32_f64_e32 v39, v[39:40]
	v_sub_f32_e32 v40, v43, v42
	v_add_f32_e32 v40, 1.0, v40
	v_sub_f32_e32 v43, v41, v43
	v_add_f32_e32 v40, v43, v40
	v_frexp_mant_f32_e32 v43, v42
	v_cmp_gt_f32_e32 vcc, s47, v43
	v_subbrev_co_u32_e32 v39, vcc, 0, v39, vcc
	v_sub_u32_e32 v43, 0, v39
	v_ldexp_f32 v42, v42, v43
	v_ldexp_f32 v40, v40, v43
	v_add_f32_e32 v43, -1.0, v42
	v_add_f32_e32 v46, 1.0, v42
	v_add_f32_e32 v44, 1.0, v43
	v_add_f32_e32 v47, -1.0, v46
	v_sub_f32_e32 v44, v42, v44
	v_sub_f32_e32 v42, v42, v47
	v_add_f32_e32 v44, v40, v44
	v_add_f32_e32 v40, v40, v42
	;; [unrolled: 1-line block ×3, first 2 shown]
	v_rcp_f32_e32 v47, v42
	v_add_f32_e32 v45, v43, v44
	v_sub_f32_e32 v43, v45, v43
	v_sub_f32_e32 v43, v44, v43
	;; [unrolled: 1-line block ×4, first 2 shown]
	v_mul_f32_e32 v44, v45, v47
	v_mul_f32_e32 v46, v42, v44
	v_fma_f32 v48, v44, v42, -v46
	v_fmac_f32_e32 v48, v44, v40
	v_add_f32_e32 v49, v46, v48
	v_sub_f32_e32 v50, v45, v49
	v_sub_f32_e32 v45, v45, v50
	v_sub_f32_e32 v46, v49, v46
	v_sub_f32_e32 v45, v45, v49
	v_add_f32_e32 v43, v43, v45
	v_sub_f32_e32 v45, v46, v48
	v_add_f32_e32 v43, v45, v43
	v_add_f32_e32 v45, v50, v43
	v_mul_f32_e32 v46, v47, v45
	v_mul_f32_e32 v48, v42, v46
	v_fma_f32 v42, v46, v42, -v48
	v_fmac_f32_e32 v42, v46, v40
	v_sub_f32_e32 v40, v50, v45
	v_add_f32_e32 v40, v43, v40
	v_add_f32_e32 v43, v48, v42
	v_sub_f32_e32 v49, v45, v43
	v_sub_f32_e32 v45, v45, v49
	;; [unrolled: 1-line block ×4, first 2 shown]
	v_add_f32_e32 v40, v40, v43
	v_sub_f32_e32 v42, v48, v42
	v_cvt_f32_i32_e32 v39, v39
	v_add_f32_e32 v40, v42, v40
	v_add_f32_e32 v42, v44, v46
	;; [unrolled: 1-line block ×3, first 2 shown]
	v_sub_f32_e32 v43, v42, v44
	v_mul_f32_e32 v40, v47, v40
	v_sub_f32_e32 v43, v46, v43
	v_add_f32_e32 v40, v43, v40
	v_mul_f32_e32 v46, 0x3f317218, v39
	v_add_f32_e32 v43, v42, v40
	v_fma_f32 v47, v39, s48, -v46
	v_mul_f32_e32 v44, v43, v43
	v_mov_b32_e32 v45, 0x3ecc95a3
	v_fmac_f32_e32 v47, 0xb102e308, v39
	v_sub_f32_e32 v39, v43, v42
	v_fmac_f32_e32 v45, 0x3e9b6dac, v44
	v_sub_f32_e32 v39, v40, v39
	v_add_f32_e32 v40, v46, v47
	v_fma_f32 v45, v44, v45, v19
	v_sub_f32_e32 v42, v40, v46
	v_ldexp_f32 v46, v43, 1
	v_mul_f32_e32 v43, v43, v44
	v_mul_f32_e32 v43, v43, v45
	v_add_f32_e32 v44, v46, v43
	v_sub_f32_e32 v45, v44, v46
	v_ldexp_f32 v39, v39, 1
	v_sub_f32_e32 v43, v43, v45
	v_add_f32_e32 v39, v39, v43
	v_add_f32_e32 v43, v44, v39
	v_sub_f32_e32 v44, v43, v44
	v_sub_f32_e32 v39, v39, v44
	v_add_f32_e32 v44, v40, v43
	v_sub_f32_e32 v45, v44, v40
	v_sub_f32_e32 v46, v44, v45
	;; [unrolled: 1-line block ×5, first 2 shown]
	v_add_f32_e32 v40, v43, v40
	v_add_f32_e32 v43, v42, v39
	v_sub_f32_e32 v45, v43, v42
	v_sub_f32_e32 v46, v43, v45
	;; [unrolled: 1-line block ×4, first 2 shown]
	v_add_f32_e32 v40, v43, v40
	v_add_f32_e32 v39, v39, v42
	;; [unrolled: 1-line block ×3, first 2 shown]
	v_sub_f32_e32 v43, v42, v44
	v_sub_f32_e32 v40, v40, v43
	v_add_f32_e32 v39, v39, v40
	v_add_f32_e32 v39, v42, v39
	v_cmp_neq_f32_e32 vcc, s39, v41
	v_cndmask_b32_e32 v39, v30, v39, vcc
	v_cmp_ngt_f32_e32 vcc, -1.0, v41
	v_cndmask_b32_e32 v39, v32, v39, vcc
	v_cmp_neq_f32_e32 vcc, -1.0, v41
	v_cndmask_b32_e32 v39, v33, v39, vcc
	v_cmp_lt_f32_e64 vcc, |v41|, s50
	v_cndmask_b32_e32 v39, v39, v41, vcc
.LBB62_733:                             ;   in Loop: Header=BB62_418 Depth=1
	s_andn2_saveexec_b64 s[34:35], s[34:35]
	s_cbranch_execz .LBB62_735
; %bb.734:                              ;   in Loop: Header=BB62_418 Depth=1
	v_sub_f32_e64 v39, 1.0, |v4|
	v_mul_f32_e32 v39, v39, v12
	v_mul_f32_e32 v40, 0x4f800000, v39
	v_cmp_gt_f32_e32 vcc, s41, v39
	v_cndmask_b32_e32 v39, v39, v40, vcc
	v_sqrt_f32_e32 v40, v39
	v_add_u32_e32 v41, -1, v40
	v_fma_f32 v43, -v41, v40, v39
	v_add_u32_e32 v42, 1, v40
	v_cmp_ge_f32_e64 s[4:5], 0, v43
	v_cndmask_b32_e64 v41, v40, v41, s[4:5]
	v_fma_f32 v40, -v42, v40, v39
	v_cmp_lt_f32_e64 s[4:5], 0, v40
	v_cndmask_b32_e64 v40, v41, v42, s[4:5]
	v_mul_f32_e32 v41, 0x37800000, v40
	v_cndmask_b32_e32 v40, v40, v41, vcc
	v_cmp_class_f32_e32 vcc, v39, v18
	v_cndmask_b32_e32 v39, v40, v39, vcc
	v_and_b32_e32 v40, 0x7fffffff, v5
	v_div_scale_f32 v41, s[4:5], v39, v39, v40
	v_div_scale_f32 v40, vcc, v40, v39, v40
	v_rcp_f32_e32 v42, v41
	v_fma_f32 v43, -v41, v42, 1.0
	v_fmac_f32_e32 v42, v43, v42
	v_mul_f32_e32 v43, v40, v42
	v_fma_f32 v44, -v41, v43, v40
	v_fmac_f32_e32 v43, v44, v42
	v_fma_f32 v40, -v41, v43, v40
	v_div_fmas_f32 v40, v40, v42, v43
	v_div_fixup_f32 v39, v40, v39, |v5|
.LBB62_735:                             ;   in Loop: Header=BB62_418 Depth=1
	s_or_b64 exec, exec, s[34:35]
.LBB62_736:                             ;   in Loop: Header=BB62_418 Depth=1
	s_or_b64 exec, exec, s[30:31]
.LBB62_737:                             ;   in Loop: Header=BB62_418 Depth=1
	s_andn2_saveexec_b64 s[28:29], s[28:29]
	s_cbranch_execz .LBB62_739
; %bb.738:                              ;   in Loop: Header=BB62_418 Depth=1
	v_mul_f32_e64 v39, |v5|, s42
	v_cmp_lt_f32_e64 vcc, |v5|, s41
	v_cndmask_b32_e64 v39, |v5|, v39, vcc
	v_sqrt_f32_e32 v40, v39
	v_add_u32_e32 v41, -1, v40
	v_fma_f32 v43, -v41, v40, v39
	v_add_u32_e32 v42, 1, v40
	v_cmp_ge_f32_e64 s[4:5], 0, v43
	v_cndmask_b32_e64 v41, v40, v41, s[4:5]
	v_fma_f32 v40, -v42, v40, v39
	v_cmp_lt_f32_e64 s[4:5], 0, v40
	v_cndmask_b32_e64 v40, v41, v42, s[4:5]
	v_mul_f32_e32 v41, 0x37800000, v40
	v_cndmask_b32_e32 v40, v40, v41, vcc
	v_cmp_class_f32_e32 vcc, v39, v18
	v_cndmask_b32_e32 v39, v40, v39, vcc
.LBB62_739:                             ;   in Loop: Header=BB62_418 Depth=1
	s_or_b64 exec, exec, s[28:29]
.LBB62_740:                             ;   in Loop: Header=BB62_418 Depth=1
	s_or_b64 exec, exec, s[26:27]
	v_cmp_nlt_f32_e64 s[26:27], |v4|, s51
                                        ; implicit-def: $sgpr4_sgpr5
                                        ; implicit-def: $vgpr40
                                        ; implicit-def: $vgpr42
                                        ; implicit-def: $vgpr41
	s_and_saveexec_b64 s[28:29], s[26:27]
	s_xor_b64 s[26:27], exec, s[28:29]
	s_cbranch_execz .LBB62_764
; %bb.741:                              ;   in Loop: Header=BB62_418 Depth=1
	v_and_b32_e32 v41, 0x7fffffff, v4
	v_div_scale_f32 v40, s[4:5], v2, v2, v41
	v_div_scale_f32 v42, vcc, v41, v2, v41
	s_mov_b64 s[4:5], 0
	v_rcp_f32_e32 v43, v40
	v_fma_f32 v44, -v40, v43, 1.0
	v_fmac_f32_e32 v43, v44, v43
	v_mul_f32_e32 v44, v42, v43
	v_fma_f32 v45, -v40, v44, v42
	v_fmac_f32_e32 v44, v45, v43
	v_fma_f32 v40, -v40, v44, v42
	v_div_fmas_f32 v40, v40, v43, v44
                                        ; implicit-def: $vgpr42
	v_div_fixup_f32 v40, v40, v2, |v4|
	v_cmp_lt_f32_e32 vcc, s52, v40
	s_and_saveexec_b64 s[28:29], vcc
	s_cbranch_execz .LBB62_763
; %bb.742:                              ;   in Loop: Header=BB62_418 Depth=1
	v_cmp_neq_f32_e64 s[4:5], |v4|, 1.0
	v_cmp_nlt_f32_e64 s[30:31], |v5|, s53
	s_or_b64 s[4:5], s[4:5], s[30:31]
                                        ; implicit-def: $vgpr42
	s_and_saveexec_b64 s[30:31], s[4:5]
	s_xor_b64 s[30:31], exec, s[30:31]
	s_cbranch_execz .LBB62_760
; %bb.743:                              ;   in Loop: Header=BB62_418 Depth=1
	v_mul_f32_e64 v42, |v3|, s46
	v_cmp_ge_f32_e64 s[4:5], |v5|, v42
                                        ; implicit-def: $vgpr42
	s_and_saveexec_b64 s[34:35], s[4:5]
	s_xor_b64 s[34:35], exec, s[34:35]
	s_cbranch_execz .LBB62_753
; %bb.744:                              ;   in Loop: Header=BB62_418 Depth=1
	v_cmp_neq_f32_e32 vcc, 0, v12
	v_mov_b32_e32 v42, v37
	s_and_saveexec_b64 s[4:5], vcc
	s_cbranch_execz .LBB62_746
; %bb.745:                              ;   in Loop: Header=BB62_418 Depth=1
	v_mul_f32_e32 v42, v5, v5
	v_add_f32_e32 v12, v12, v38
	v_div_scale_f32 v38, s[36:37], v12, v12, v42
	v_div_scale_f32 v43, vcc, v42, v12, v42
	v_rcp_f32_e32 v44, v38
	v_fma_f32 v45, -v38, v44, 1.0
	v_fmac_f32_e32 v44, v45, v44
	v_mul_f32_e32 v45, v43, v44
	v_fma_f32 v46, -v38, v45, v43
	v_fmac_f32_e32 v45, v46, v44
	v_fma_f32 v38, -v38, v45, v43
	v_div_fmas_f32 v38, v38, v44, v45
	v_div_fixup_f32 v42, v38, v12, v42
.LBB62_746:                             ;   in Loop: Header=BB62_418 Depth=1
	s_or_b64 exec, exec, s[4:5]
	v_cmp_ngt_f32_e32 vcc, 0, v3
	s_and_saveexec_b64 s[4:5], vcc
	s_xor_b64 s[4:5], exec, s[4:5]
	s_cbranch_execz .LBB62_750
; %bb.747:                              ;   in Loop: Header=BB62_418 Depth=1
	v_cmp_neq_f32_e32 vcc, 0, v3
	s_and_saveexec_b64 s[36:37], vcc
	s_cbranch_execz .LBB62_749
; %bb.748:                              ;   in Loop: Header=BB62_418 Depth=1
	v_mul_f32_e32 v12, v5, v5
	v_add_f32_e32 v3, v3, v13
	v_div_scale_f32 v13, s[62:63], v3, v3, v12
	v_div_scale_f32 v37, vcc, v12, v3, v12
	v_rcp_f32_e32 v38, v13
	v_fma_f32 v43, -v13, v38, 1.0
	v_fmac_f32_e32 v38, v43, v38
	v_mul_f32_e32 v43, v37, v38
	v_fma_f32 v44, -v13, v43, v37
	v_fmac_f32_e32 v43, v44, v38
	v_fma_f32 v13, -v13, v43, v37
	v_div_fmas_f32 v13, v13, v38, v43
	v_div_fixup_f32 v37, v13, v3, v12
.LBB62_749:                             ;   in Loop: Header=BB62_418 Depth=1
	s_or_b64 exec, exec, s[36:37]
                                        ; implicit-def: $vgpr13
                                        ; implicit-def: $vgpr3
.LBB62_750:                             ;   in Loop: Header=BB62_418 Depth=1
	s_andn2_saveexec_b64 s[4:5], s[4:5]
; %bb.751:                              ;   in Loop: Header=BB62_418 Depth=1
	v_sub_f32_e32 v37, v13, v3
; %bb.752:                              ;   in Loop: Header=BB62_418 Depth=1
	s_or_b64 exec, exec, s[4:5]
	v_mul_f32_e32 v3, 0.5, v37
	v_fmac_f32_e32 v3, 0.5, v42
	v_add_f32_e64 v2, |v4|, v2
	v_mul_f32_e32 v2, v2, v3
	v_mul_f32_e32 v3, 0x4f800000, v2
	v_cmp_gt_f32_e32 vcc, s41, v2
	v_cndmask_b32_e32 v2, v2, v3, vcc
	v_sqrt_f32_e32 v3, v2
	v_add_u32_e32 v12, -1, v3
	v_fma_f32 v13, -v12, v3, v2
	v_cmp_ge_f32_e64 s[4:5], 0, v13
	v_add_u32_e32 v13, 1, v3
	v_cndmask_b32_e64 v12, v3, v12, s[4:5]
	v_fma_f32 v3, -v13, v3, v2
	v_cmp_lt_f32_e64 s[4:5], 0, v3
	v_cndmask_b32_e64 v3, v12, v13, s[4:5]
	v_mul_f32_e32 v12, 0x37800000, v3
	v_cndmask_b32_e32 v3, v3, v12, vcc
	v_cmp_class_f32_e32 vcc, v2, v18
	v_cndmask_b32_e32 v42, v3, v2, vcc
                                        ; implicit-def: $vgpr12
                                        ; implicit-def: $vgpr3
.LBB62_753:                             ;   in Loop: Header=BB62_418 Depth=1
	s_andn2_saveexec_b64 s[34:35], s[34:35]
	s_cbranch_execz .LBB62_759
; %bb.754:                              ;   in Loop: Header=BB62_418 Depth=1
	v_cmp_ngt_f32_e64 s[4:5], |v4|, 1.0
                                        ; implicit-def: $vgpr42
	s_and_saveexec_b64 s[36:37], s[4:5]
	s_xor_b64 s[36:37], exec, s[36:37]
	s_cbranch_execz .LBB62_756
; %bb.755:                              ;   in Loop: Header=BB62_418 Depth=1
	v_sub_f32_e64 v2, 1.0, |v4|
	v_mul_f32_e32 v2, v2, v12
	v_mul_f32_e32 v3, 0x4f800000, v2
	v_cmp_gt_f32_e32 vcc, s41, v2
	v_cndmask_b32_e32 v2, v2, v3, vcc
	v_sqrt_f32_e32 v3, v2
	v_add_u32_e32 v12, -1, v3
	v_fma_f32 v37, -v12, v3, v2
	v_add_u32_e32 v13, 1, v3
	v_cmp_ge_f32_e64 s[4:5], 0, v37
	v_cndmask_b32_e64 v12, v3, v12, s[4:5]
	v_fma_f32 v3, -v13, v3, v2
	v_cmp_lt_f32_e64 s[4:5], 0, v3
	v_cndmask_b32_e64 v3, v12, v13, s[4:5]
	v_mul_f32_e32 v12, 0x37800000, v3
	v_cndmask_b32_e32 v3, v3, v12, vcc
	v_cmp_class_f32_e32 vcc, v2, v18
	v_cndmask_b32_e32 v42, v3, v2, vcc
                                        ; implicit-def: $vgpr12
                                        ; implicit-def: $vgpr3
.LBB62_756:                             ;   in Loop: Header=BB62_418 Depth=1
	s_andn2_saveexec_b64 s[36:37], s[36:37]
	s_cbranch_execz .LBB62_758
; %bb.757:                              ;   in Loop: Header=BB62_418 Depth=1
	v_mul_f32_e32 v2, v12, v3
	v_mul_f32_e32 v3, 0x4f800000, v2
	v_cmp_gt_f32_e32 vcc, s41, v2
	v_cndmask_b32_e32 v2, v2, v3, vcc
	v_sqrt_f32_e32 v3, v2
	v_mul_f32_e64 v12, |v5|, s54
	v_mul_f32_e64 v12, |v4|, v12
	v_add_u32_e32 v13, -1, v3
	v_fma_f32 v37, -v13, v3, v2
	v_cmp_ge_f32_e64 s[4:5], 0, v37
	v_add_u32_e32 v37, 1, v3
	v_cndmask_b32_e64 v13, v3, v13, s[4:5]
	v_fma_f32 v3, -v37, v3, v2
	v_cmp_lt_f32_e64 s[4:5], 0, v3
	v_cndmask_b32_e64 v3, v13, v37, s[4:5]
	v_mul_f32_e32 v13, 0x37800000, v3
	v_cndmask_b32_e32 v3, v3, v13, vcc
	v_cmp_class_f32_e32 vcc, v2, v18
	v_cndmask_b32_e32 v2, v3, v2, vcc
	v_div_scale_f32 v3, s[4:5], v2, v2, v12
	v_div_scale_f32 v13, vcc, v12, v2, v12
	v_rcp_f32_e32 v37, v3
	v_fma_f32 v38, -v3, v37, 1.0
	v_fmac_f32_e32 v37, v38, v37
	v_mul_f32_e32 v38, v13, v37
	v_fma_f32 v41, -v3, v38, v13
	v_fmac_f32_e32 v38, v41, v37
	v_fma_f32 v3, -v3, v38, v13
	v_div_fmas_f32 v3, v3, v37, v38
	v_mul_f32_e64 v41, |v4|, s54
	v_div_fixup_f32 v42, v3, v2, v12
.LBB62_758:                             ;   in Loop: Header=BB62_418 Depth=1
	s_or_b64 exec, exec, s[36:37]
.LBB62_759:                             ;   in Loop: Header=BB62_418 Depth=1
	s_or_b64 exec, exec, s[34:35]
                                        ; implicit-def: $vgpr2
.LBB62_760:                             ;   in Loop: Header=BB62_418 Depth=1
	s_andn2_saveexec_b64 s[30:31], s[30:31]
	s_cbranch_execz .LBB62_762
; %bb.761:                              ;   in Loop: Header=BB62_418 Depth=1
	v_mul_f32_e64 v3, |v5|, s42
	v_cmp_lt_f32_e64 vcc, |v5|, s41
	v_cndmask_b32_e64 v3, |v5|, v3, vcc
	v_sqrt_f32_e32 v12, v3
	v_add_f32_e32 v2, 1.0, v2
	v_mul_f32_e32 v2, 0.5, v2
	v_mov_b32_e32 v41, 1.0
	v_add_u32_e32 v13, -1, v12
	v_fma_f32 v38, -v13, v12, v3
	v_add_u32_e32 v37, 1, v12
	v_cmp_ge_f32_e64 s[4:5], 0, v38
	v_cndmask_b32_e64 v13, v12, v13, s[4:5]
	v_fma_f32 v12, -v37, v12, v3
	v_cmp_lt_f32_e64 s[4:5], 0, v12
	v_cndmask_b32_e64 v12, v13, v37, s[4:5]
	v_mul_f32_e32 v13, 0x37800000, v12
	v_cndmask_b32_e32 v12, v12, v13, vcc
	v_mul_f32_e32 v13, 0x4f800000, v2
	v_cmp_gt_f32_e32 vcc, s41, v2
	v_cndmask_b32_e32 v2, v2, v13, vcc
	v_sqrt_f32_e32 v13, v2
	v_cmp_class_f32_e64 s[4:5], v3, v18
	v_cndmask_b32_e64 v3, v12, v3, s[4:5]
	v_add_u32_e32 v12, -1, v13
	v_fma_f32 v37, -v12, v13, v2
	v_cmp_ge_f32_e64 s[4:5], 0, v37
	v_add_u32_e32 v37, 1, v13
	v_cndmask_b32_e64 v12, v13, v12, s[4:5]
	v_fma_f32 v13, -v37, v13, v2
	v_cmp_lt_f32_e64 s[4:5], 0, v13
	v_cndmask_b32_e64 v12, v12, v37, s[4:5]
	v_mul_f32_e32 v13, 0x37800000, v12
	v_cndmask_b32_e32 v12, v12, v13, vcc
	v_cmp_class_f32_e32 vcc, v2, v18
	v_cndmask_b32_e32 v2, v12, v2, vcc
	v_mul_f32_e32 v42, v3, v2
.LBB62_762:                             ;   in Loop: Header=BB62_418 Depth=1
	s_or_b64 exec, exec, s[30:31]
	s_mov_b64 s[4:5], exec
.LBB62_763:                             ;   in Loop: Header=BB62_418 Depth=1
	s_or_b64 exec, exec, s[28:29]
                                        ; implicit-def: $vgpr2
.LBB62_764:                             ;   in Loop: Header=BB62_418 Depth=1
	s_andn2_saveexec_b64 s[26:27], s[26:27]
; %bb.765:                              ;   in Loop: Header=BB62_418 Depth=1
	v_mul_f32_e32 v42, 0x4b800000, v2
	v_mul_f32_e64 v41, |v4|, s55
	s_or_b64 s[4:5], s[4:5], exec
                                        ; implicit-def: $vgpr40
; %bb.766:                              ;   in Loop: Header=BB62_418 Depth=1
	s_or_b64 exec, exec, s[26:27]
	s_xor_b64 s[4:5], s[4:5], -1
                                        ; implicit-def: $vgpr2
	s_and_saveexec_b64 s[26:27], s[4:5]
	s_xor_b64 s[4:5], exec, s[26:27]
	s_cbranch_execz .LBB62_768
; %bb.767:                              ;   in Loop: Header=BB62_418 Depth=1
	v_fma_f32 v2, |v40|, -0.5, 0.5
	v_mul_f32_e32 v3, v40, v40
	v_cmp_ge_f32_e64 vcc, |v40|, 0.5
	v_cndmask_b32_e32 v2, v3, v2, vcc
	v_mov_b32_e32 v3, 0x3c5fc5da
	v_fmac_f32_e32 v3, 0x3d1c21a7, v2
	v_fma_f32 v3, v2, v3, v20
	v_fma_f32 v3, v2, v3, v21
	v_sqrt_f32_e32 v12, v2
	v_fma_f32 v3, v2, v3, v22
	v_fma_f32 v3, v2, v3, v23
	v_mul_f32_e32 v2, v2, v3
	v_fmac_f32_e32 v12, v12, v2
	v_add_f32_e32 v3, v12, v12
	v_sub_f32_e32 v3, 0x3fc90fdb, v3
	v_fma_f32 v2, |v40|, v2, |v40|
	v_cmp_lt_f32_e64 vcc, |v40|, 0.5
	v_cndmask_b32_e32 v2, v3, v2, vcc
	v_bfi_b32 v2, s38, v2, v40
                                        ; implicit-def: $vgpr41
                                        ; implicit-def: $vgpr42
.LBB62_768:                             ;   in Loop: Header=BB62_418 Depth=1
	s_andn2_saveexec_b64 s[26:27], s[4:5]
	s_cbranch_execz .LBB62_770
; %bb.769:                              ;   in Loop: Header=BB62_418 Depth=1
	v_max_f32_e32 v2, v41, v41
	v_max_f32_e64 v3, |v42|, |v42|
	v_min_f32_e32 v12, v3, v2
	v_max_f32_e32 v2, v3, v2
	v_frexp_mant_f32_e32 v3, v2
	v_rcp_f32_e32 v3, v3
	v_frexp_exp_i32_f32_e32 v2, v2
	v_frexp_exp_i32_f32_e32 v13, v12
	v_frexp_mant_f32_e32 v12, v12
	v_mul_f32_e32 v3, v12, v3
	v_sub_u32_e32 v2, v13, v2
	v_ldexp_f32 v2, v3, v2
	v_mul_f32_e32 v3, v2, v2
	v_mov_b32_e32 v12, 0xbc7a590c
	v_fmac_f32_e32 v12, 0x3b2d2a58, v3
	v_fma_f32 v12, v3, v12, v24
	v_fma_f32 v12, v3, v12, v25
	;; [unrolled: 1-line block ×6, first 2 shown]
	v_mul_f32_e32 v3, v3, v12
	v_fmac_f32_e32 v2, v2, v3
	v_sub_f32_e32 v3, 0x3fc90fdb, v2
	v_cmp_gt_f32_e64 vcc, v41, |v42|
	v_cndmask_b32_e32 v2, v2, v3, vcc
	v_sub_f32_e32 v3, 0x40490fdb, v2
	v_cmp_gt_f32_e32 vcc, 0, v42
	v_cmp_gt_i32_e64 s[4:5], 0, v42
	v_cndmask_b32_e32 v2, v2, v3, vcc
	v_cndmask_b32_e64 v3, 0, v34, s[4:5]
	v_cndmask_b32_e32 v12, v35, v36, vcc
	v_cmp_class_f32_e64 s[28:29], v42, s56
	v_cmp_eq_f32_e32 vcc, s39, v41
	v_cmp_eq_f32_e64 s[4:5], 0, v41
	v_cndmask_b32_e64 v2, |v2|, v3, s[4:5]
	s_and_b64 vcc, vcc, s[28:29]
	v_cndmask_b32_e32 v2, v2, v12, vcc
	v_cmp_o_f32_e32 vcc, v42, v42
	v_cndmask_b32_e32 v2, v32, v2, vcc
.LBB62_770:                             ;   in Loop: Header=BB62_418 Depth=1
	s_or_b64 exec, exec, s[26:27]
	v_bfi_b32 v5, s38, v39, v5
	v_bfi_b32 v4, s38, v2, v4
.LBB62_771:                             ;   in Loop: Header=BB62_418 Depth=1
	s_or_b64 exec, exec, s[24:25]
.LBB62_772:                             ;   in Loop: Header=BB62_418 Depth=1
	s_or_b64 exec, exec, s[22:23]
	v_mov_b32_e32 v12, v4
	v_mov_b32_e32 v13, v5
                                        ; implicit-def: $vgpr2_vgpr3_vgpr4_vgpr5
                                        ; implicit-def: $vgpr2
                                        ; implicit-def: $vgpr37
                                        ; implicit-def: $vgpr38
.LBB62_773:                             ;   in Loop: Header=BB62_418 Depth=1
	s_andn2_saveexec_b64 s[22:23], s[6:7]
	s_cbranch_execz .LBB62_795
; %bb.774:                              ;   in Loop: Header=BB62_418 Depth=1
	v_cmp_lt_i32_e32 vcc, -1, v5
                                        ; implicit-def: $sgpr24_sgpr25
                                        ; implicit-def: $vgpr3
                                        ; implicit-def: $vgpr12
	s_and_saveexec_b64 s[4:5], vcc
	s_xor_b64 s[26:27], exec, s[4:5]
	s_cbranch_execz .LBB62_784
; %bb.775:                              ;   in Loop: Header=BB62_418 Depth=1
	v_cmp_lt_f32_e64 s[4:5], |v5|, |v4|
	v_cndmask_b32_e64 v13, |v5|, |v4|, s[4:5]
	v_cmp_nlt_f32_e32 vcc, s57, v13
                                        ; implicit-def: $vgpr3
                                        ; implicit-def: $vgpr12
	s_and_saveexec_b64 s[6:7], vcc
	s_xor_b64 s[24:25], exec, s[6:7]
	s_cbranch_execz .LBB62_781
; %bb.776:                              ;   in Loop: Header=BB62_418 Depth=1
	v_cndmask_b32_e64 v39, |v4|, |v5|, s[4:5]
	v_cmp_nlt_f32_e32 vcc, s58, v13
	v_cmp_ngt_f32_e64 s[6:7], s59, v39
	s_and_b64 s[6:7], vcc, s[6:7]
                                        ; implicit-def: $vgpr3
                                        ; implicit-def: $vgpr12
	s_and_saveexec_b64 s[28:29], s[6:7]
	s_xor_b64 s[6:7], exec, s[28:29]
	s_cbranch_execz .LBB62_778
; %bb.777:                              ;   in Loop: Header=BB62_418 Depth=1
	v_mul_f32_e32 v3, v39, v39
	v_fmac_f32_e32 v3, v13, v13
	v_cmp_gt_f32_e32 vcc, s43, v3
	v_cndmask_b32_e64 v12, 0, 32, vcc
	v_ldexp_f32 v3, v3, v12
	v_log_f32_e32 v3, v3
	v_cndmask_b32_e32 v12, 0, v31, vcc
	s_waitcnt lgkmcnt(0)
	v_min_f32_e32 v2, v37, v2
	v_frexp_exp_i32_f32_e32 v37, v2
	v_mul_f32_e32 v13, 0x3f317217, v3
	v_fma_f32 v13, v3, s44, -v13
	v_fmac_f32_e32 v13, 0x3377d1cf, v3
	v_fmac_f32_e32 v13, 0x3f317217, v3
	v_cmp_lt_f32_e64 vcc, |v3|, s39
	v_cndmask_b32_e32 v3, v3, v13, vcc
	v_sub_f32_e32 v3, v3, v12
	v_frexp_mant_f32_e32 v12, v38
	v_rcp_f32_e32 v12, v12
	v_frexp_exp_i32_f32_e32 v13, v38
	v_frexp_mant_f32_e32 v2, v2
	v_mul_f32_e32 v3, 0.5, v3
	v_mul_f32_e32 v2, v2, v12
	v_sub_u32_e32 v12, v37, v13
	v_ldexp_f32 v12, v2, v12
	v_mul_f32_e32 v2, v12, v12
	v_mov_b32_e32 v13, 0xbc7a590c
	v_fmac_f32_e32 v13, 0x3b2d2a58, v2
	v_fma_f32 v13, v2, v13, v24
	v_fma_f32 v13, v2, v13, v25
	;; [unrolled: 1-line block ×6, first 2 shown]
	v_mul_f32_e32 v2, v2, v13
	v_fmac_f32_e32 v12, v12, v2
                                        ; implicit-def: $vgpr38
                                        ; implicit-def: $vgpr37
                                        ; implicit-def: $vgpr2
.LBB62_778:                             ;   in Loop: Header=BB62_418 Depth=1
	s_andn2_saveexec_b64 s[6:7], s[6:7]
	s_cbranch_execz .LBB62_780
; %bb.779:                              ;   in Loop: Header=BB62_418 Depth=1
	v_cvt_f64_f32_e32 v[12:13], v38
	v_cmp_neq_f32_e32 vcc, s39, v38
	s_waitcnt lgkmcnt(0)
	v_min_f32_e32 v2, v37, v2
	v_frexp_exp_i32_f32_e32 v39, v2
	v_frexp_exp_i32_f64_e32 v3, v[12:13]
	v_frexp_mant_f32_e32 v13, v38
	v_rcp_f32_e32 v13, v13
	v_frexp_mant_f32_e32 v2, v2
	v_frexp_exp_i32_f32_e32 v12, v38
	v_sub_u32_e32 v12, v39, v12
	v_mul_f32_e32 v2, v2, v13
	v_ldexp_f32 v12, v2, v12
	v_sub_u32_e32 v40, 0, v3
	v_ldexp_f32 v41, |v5|, v40
	v_ldexp_f32 v40, |v4|, v40
	v_mul_f32_e32 v40, v40, v40
	v_fmac_f32_e32 v40, v41, v41
	v_sqrt_f32_e32 v40, v40
	v_mov_b32_e32 v37, 0xbc7a590c
	v_mul_f32_e32 v2, v12, v12
	v_fmac_f32_e32 v37, 0x3b2d2a58, v2
	v_ldexp_f32 v3, v40, v3
	v_cndmask_b32_e32 v3, v30, v3, vcc
	v_cmp_gt_f32_e32 vcc, s43, v3
	v_cndmask_b32_e64 v13, 0, 32, vcc
	v_ldexp_f32 v3, v3, v13
	v_log_f32_e32 v3, v3
	v_cndmask_b32_e32 v13, 0, v31, vcc
	v_mul_f32_e32 v38, 0x3f317217, v3
	v_fma_f32 v38, v3, s44, -v38
	v_fmac_f32_e32 v38, 0x3377d1cf, v3
	v_fmac_f32_e32 v38, 0x3f317217, v3
	v_cmp_lt_f32_e64 vcc, |v3|, s39
	v_cndmask_b32_e32 v3, v3, v38, vcc
	v_sub_f32_e32 v3, v3, v13
	v_fma_f32 v13, v2, v37, v24
	v_fma_f32 v13, v2, v13, v25
	;; [unrolled: 1-line block ×6, first 2 shown]
	v_mul_f32_e32 v2, v2, v13
	v_fmac_f32_e32 v12, v12, v2
.LBB62_780:                             ;   in Loop: Header=BB62_418 Depth=1
	s_or_b64 exec, exec, s[6:7]
                                        ; implicit-def: $vgpr37
                                        ; implicit-def: $vgpr2
                                        ; implicit-def: $vgpr38
.LBB62_781:                             ;   in Loop: Header=BB62_418 Depth=1
	s_andn2_saveexec_b64 s[24:25], s[24:25]
	s_cbranch_execz .LBB62_783
; %bb.782:                              ;   in Loop: Header=BB62_418 Depth=1
	v_div_scale_f32 v3, s[6:7], s60, s60, v5
	v_div_scale_f32 v12, s[6:7], s60, s60, v4
	v_div_scale_f32 v13, vcc, v5, s60, v5
	v_div_scale_f32 v39, s[6:7], v4, s60, v4
	v_rcp_f32_e32 v40, v3
	s_waitcnt lgkmcnt(0)
	v_rcp_f32_e32 v41, v12
	v_fma_f32 v42, -v3, v40, 1.0
	v_fmac_f32_e32 v40, v42, v40
	v_fma_f32 v43, -v12, v41, 1.0
	v_fmac_f32_e32 v41, v43, v41
	v_mul_f32_e32 v42, v13, v40
	v_mul_f32_e32 v43, v39, v41
	v_fma_f32 v44, -v3, v42, v13
	v_fma_f32 v45, -v12, v43, v39
	v_fmac_f32_e32 v42, v44, v40
	v_fmac_f32_e32 v43, v45, v41
	v_fma_f32 v3, -v3, v42, v13
	v_fma_f32 v12, -v12, v43, v39
	v_div_fmas_f32 v3, v3, v40, v42
	s_mov_b64 vcc, s[6:7]
	v_div_fmas_f32 v12, v12, v41, v43
	v_min_f32_e32 v13, v37, v2
	v_frexp_exp_i32_f32_e32 v37, v38
	v_frexp_mant_f32_e32 v38, v38
	v_mov_b32_e32 v39, 0xbc7a590c
	v_div_fixup_f32 v40, v3, s60, v5
	v_div_fixup_f32 v41, v12, s60, v4
	v_max_f32_e64 v42, v40, |v41|
	v_cvt_f64_f32_e32 v[2:3], v42
	v_rcp_f32_e32 v12, v38
	v_frexp_exp_i32_f32_e32 v38, v13
	v_cmp_neq_f32_e32 vcc, s39, v42
	v_frexp_exp_i32_f64_e32 v2, v[2:3]
	v_sub_u32_e32 v3, v38, v37
	v_frexp_mant_f32_e32 v13, v13
	v_mul_f32_e32 v12, v13, v12
	v_ldexp_f32 v12, v12, v3
	v_mul_f32_e32 v3, v12, v12
	v_fmac_f32_e32 v39, 0x3b2d2a58, v3
	v_fma_f32 v13, v3, v39, v24
	v_sub_u32_e32 v37, 0, v2
	v_ldexp_f32 v38, v40, v37
	v_ldexp_f32 v37, |v41|, v37
	v_mul_f32_e32 v37, v37, v37
	v_fmac_f32_e32 v37, v38, v38
	v_sqrt_f32_e32 v37, v37
	v_fma_f32 v13, v3, v13, v25
	v_fma_f32 v13, v3, v13, v26
	;; [unrolled: 1-line block ×3, first 2 shown]
	v_ldexp_f32 v2, v37, v2
	v_cndmask_b32_e32 v2, v30, v2, vcc
	v_cmp_gt_f32_e32 vcc, s43, v2
	v_cndmask_b32_e64 v37, 0, 32, vcc
	v_ldexp_f32 v2, v2, v37
	v_log_f32_e32 v2, v2
	v_fma_f32 v13, v3, v13, v28
	v_fma_f32 v13, v3, v13, v29
	v_mul_f32_e32 v13, v3, v13
	v_mul_f32_e32 v37, 0x3f317217, v2
	v_fma_f32 v37, v2, s44, -v37
	v_fmac_f32_e32 v37, 0x3377d1cf, v2
	v_cndmask_b32_e32 v3, 0, v31, vcc
	v_fmac_f32_e32 v37, 0x3f317217, v2
	v_cmp_lt_f32_e64 vcc, |v2|, s39
	v_cndmask_b32_e32 v2, v2, v37, vcc
	v_sub_f32_e32 v2, v2, v3
	v_add_f32_e32 v3, 1.0, v2
	v_fmac_f32_e32 v12, v12, v13
.LBB62_783:                             ;   in Loop: Header=BB62_418 Depth=1
	s_or_b64 exec, exec, s[24:25]
	s_waitcnt lgkmcnt(0)
	v_sub_f32_e32 v2, 0x3fc90fdb, v12
	v_cndmask_b32_e64 v2, v12, v2, s[4:5]
	v_cmp_neq_f32_e32 vcc, 0, v4
	v_cndmask_b32_e32 v12, 0, v2, vcc
	v_cmp_class_f32_e64 s[24:25], v5, s56
                                        ; implicit-def: $vgpr2
.LBB62_784:                             ;   in Loop: Header=BB62_418 Depth=1
	s_andn2_saveexec_b64 s[26:27], s[26:27]
	s_cbranch_execz .LBB62_794
; %bb.785:                              ;   in Loop: Header=BB62_418 Depth=1
	v_cmp_gt_f32_e64 s[4:5], |v4|, -v5
	v_cndmask_b32_e64 v13, -v5, |v4|, s[4:5]
	v_cmp_nlt_f32_e32 vcc, s57, v13
                                        ; implicit-def: $vgpr3
                                        ; implicit-def: $vgpr12
	s_and_saveexec_b64 s[6:7], vcc
	s_xor_b64 s[28:29], exec, s[6:7]
	s_cbranch_execz .LBB62_791
; %bb.786:                              ;   in Loop: Header=BB62_418 Depth=1
	v_xor_b32_e32 v3, 0x80000000, v5
	v_cndmask_b32_e64 v37, |v4|, v3, s[4:5]
	v_cmp_nlt_f32_e32 vcc, s58, v13
	v_cmp_ngt_f32_e64 s[6:7], s59, v37
	s_and_b64 s[6:7], vcc, s[6:7]
                                        ; implicit-def: $vgpr3
                                        ; implicit-def: $vgpr12
	s_and_saveexec_b64 s[30:31], s[6:7]
	s_xor_b64 s[6:7], exec, s[30:31]
	s_cbranch_execz .LBB62_788
; %bb.787:                              ;   in Loop: Header=BB62_418 Depth=1
	v_mul_f32_e32 v3, v37, v37
	v_fmac_f32_e32 v3, v13, v13
	v_cmp_gt_f32_e32 vcc, s43, v3
	v_cndmask_b32_e64 v12, 0, 32, vcc
	v_ldexp_f32 v3, v3, v12
	v_log_f32_e32 v3, v3
	v_cndmask_b32_e32 v12, 0, v31, vcc
	v_mul_f32_e32 v13, 0x3f317217, v3
	v_fma_f32 v13, v3, s44, -v13
	v_fmac_f32_e32 v13, 0x3377d1cf, v3
	v_fmac_f32_e32 v13, 0x3f317217, v3
	v_cmp_lt_f32_e64 vcc, |v3|, s39
	v_cndmask_b32_e32 v3, v3, v13, vcc
	v_sub_f32_e32 v3, v3, v12
	v_max_f32_e64 v12, -v5, -v5
	s_waitcnt lgkmcnt(0)
	v_min_f32_e32 v13, v12, v2
	v_max_f32_e32 v2, v12, v2
	v_frexp_mant_f32_e32 v12, v2
	v_rcp_f32_e32 v12, v12
	v_frexp_exp_i32_f32_e32 v2, v2
	v_frexp_exp_i32_f32_e32 v37, v13
	v_frexp_mant_f32_e32 v13, v13
	v_mul_f32_e32 v12, v13, v12
	v_sub_u32_e32 v2, v37, v2
	v_ldexp_f32 v12, v12, v2
	v_mul_f32_e32 v2, v12, v12
	v_mov_b32_e32 v13, 0xbc7a590c
	v_fmac_f32_e32 v13, 0x3b2d2a58, v2
	v_fma_f32 v13, v2, v13, v24
	v_fma_f32 v13, v2, v13, v25
	;; [unrolled: 1-line block ×6, first 2 shown]
	v_mul_f32_e32 v2, v2, v13
	v_mul_f32_e32 v3, 0.5, v3
	v_fmac_f32_e32 v12, v12, v2
                                        ; implicit-def: $vgpr2
.LBB62_788:                             ;   in Loop: Header=BB62_418 Depth=1
	s_andn2_saveexec_b64 s[6:7], s[6:7]
	s_cbranch_execz .LBB62_790
; %bb.789:                              ;   in Loop: Header=BB62_418 Depth=1
	v_max_f32_e64 v3, -v5, -v5
	s_waitcnt lgkmcnt(0)
	v_max_f32_e32 v37, v3, v2
	v_cvt_f64_f32_e32 v[12:13], v37
	v_frexp_mant_f32_e32 v38, v37
	v_rcp_f32_e32 v38, v38
	v_cmp_neq_f32_e32 vcc, s39, v37
	v_frexp_exp_i32_f64_e32 v12, v[12:13]
	v_min_f32_e32 v2, v3, v2
	v_frexp_exp_i32_f32_e32 v3, v37
	v_frexp_exp_i32_f32_e32 v39, v2
	v_frexp_mant_f32_e32 v2, v2
	v_sub_u32_e32 v3, v39, v3
	v_mul_f32_e32 v2, v2, v38
	v_mov_b32_e32 v13, 0xbc7a590c
	v_sub_u32_e32 v40, 0, v12
	v_ldexp_f32 v41, -v5, v40
	v_ldexp_f32 v40, |v4|, v40
	v_mul_f32_e32 v40, v40, v40
	v_fmac_f32_e32 v40, v41, v41
	v_sqrt_f32_e32 v40, v40
	v_ldexp_f32 v12, v40, v12
	v_cndmask_b32_e32 v12, v30, v12, vcc
	v_cmp_gt_f32_e32 vcc, s43, v12
	v_cndmask_b32_e64 v37, 0, 32, vcc
	v_ldexp_f32 v12, v12, v37
	v_log_f32_e32 v37, v12
	v_ldexp_f32 v12, v2, v3
	v_mul_f32_e32 v2, v12, v12
	v_fmac_f32_e32 v13, 0x3b2d2a58, v2
	v_fma_f32 v13, v2, v13, v24
	v_fma_f32 v13, v2, v13, v25
	v_mul_f32_e32 v38, 0x3f317217, v37
	v_fma_f32 v13, v2, v13, v26
	v_fma_f32 v38, v37, s44, -v38
	v_fma_f32 v13, v2, v13, v27
	v_fmac_f32_e32 v38, 0x3377d1cf, v37
	v_fma_f32 v13, v2, v13, v28
	v_cndmask_b32_e32 v3, 0, v31, vcc
	v_fmac_f32_e32 v38, 0x3f317217, v37
	v_cmp_lt_f32_e64 vcc, |v37|, s39
	v_fma_f32 v13, v2, v13, v29
	v_cndmask_b32_e32 v37, v37, v38, vcc
	v_mul_f32_e32 v2, v2, v13
	v_sub_f32_e32 v3, v37, v3
	v_fmac_f32_e32 v12, v12, v2
.LBB62_790:                             ;   in Loop: Header=BB62_418 Depth=1
	s_or_b64 exec, exec, s[6:7]
                                        ; implicit-def: $vgpr2
.LBB62_791:                             ;   in Loop: Header=BB62_418 Depth=1
	s_andn2_saveexec_b64 s[28:29], s[28:29]
	s_cbranch_execz .LBB62_793
; %bb.792:                              ;   in Loop: Header=BB62_418 Depth=1
	v_div_scale_f32 v3, s[6:7], s61, s61, v5
	v_div_scale_f32 v12, s[6:7], s61, s61, v4
	v_div_scale_f32 v13, vcc, v5, s61, v5
	v_div_scale_f32 v37, s[6:7], v4, s61, v4
	v_rcp_f32_e32 v38, v3
	v_rcp_f32_e32 v39, v12
	v_fma_f32 v40, -v3, v38, 1.0
	v_fmac_f32_e32 v38, v40, v38
	s_waitcnt lgkmcnt(0)
	v_fma_f32 v41, -v12, v39, 1.0
	v_fmac_f32_e32 v39, v41, v39
	v_mul_f32_e32 v40, v13, v38
	v_mul_f32_e32 v41, v37, v39
	v_fma_f32 v42, -v3, v40, v13
	v_fma_f32 v43, -v12, v41, v37
	v_fmac_f32_e32 v40, v42, v38
	v_fmac_f32_e32 v41, v43, v39
	v_fma_f32 v3, -v3, v40, v13
	v_fma_f32 v12, -v12, v41, v37
	v_div_fmas_f32 v3, v3, v38, v40
	s_mov_b64 vcc, s[6:7]
	v_div_fmas_f32 v12, v12, v39, v41
	v_max_f32_e64 v13, -v5, -v5
	v_min_f32_e32 v38, v13, v2
	v_max_f32_e32 v2, v13, v2
	v_frexp_exp_i32_f32_e32 v13, v2
	v_frexp_mant_f32_e32 v39, v2
	v_rcp_f32_e32 v39, v39
	v_mov_b32_e32 v37, 0xbc7a590c
	v_div_fixup_f32 v40, v3, s61, v5
	v_div_fixup_f32 v41, v12, s61, v4
	v_max_f32_e64 v42, |v40|, |v41|
	v_cvt_f64_f32_e32 v[2:3], v42
	v_frexp_exp_i32_f32_e32 v12, v38
	v_frexp_mant_f32_e32 v38, v38
	v_cmp_neq_f32_e32 vcc, s39, v42
	v_frexp_exp_i32_f64_e32 v2, v[2:3]
	v_sub_u32_e32 v3, v12, v13
	v_mul_f32_e32 v12, v38, v39
	v_ldexp_f32 v12, v12, v3
	v_mul_f32_e32 v3, v12, v12
	v_fmac_f32_e32 v37, 0x3b2d2a58, v3
	v_fma_f32 v13, v3, v37, v24
	v_fma_f32 v13, v3, v13, v25
	v_sub_u32_e32 v37, 0, v2
	v_ldexp_f32 v38, |v40|, v37
	v_ldexp_f32 v37, |v41|, v37
	v_mul_f32_e32 v37, v37, v37
	v_fmac_f32_e32 v37, v38, v38
	v_sqrt_f32_e32 v37, v37
	v_fma_f32 v13, v3, v13, v26
	v_fma_f32 v13, v3, v13, v27
	;; [unrolled: 1-line block ×3, first 2 shown]
	v_ldexp_f32 v2, v37, v2
	v_cndmask_b32_e32 v2, v30, v2, vcc
	v_cmp_gt_f32_e32 vcc, s43, v2
	v_cndmask_b32_e64 v37, 0, 32, vcc
	v_ldexp_f32 v2, v2, v37
	v_log_f32_e32 v2, v2
	v_fma_f32 v13, v3, v13, v29
	v_mul_f32_e32 v13, v3, v13
	v_cndmask_b32_e32 v3, 0, v31, vcc
	v_mul_f32_e32 v37, 0x3f317217, v2
	v_fma_f32 v37, v2, s44, -v37
	v_fmac_f32_e32 v37, 0x3377d1cf, v2
	v_fmac_f32_e32 v37, 0x3f317217, v2
	v_cmp_lt_f32_e64 vcc, |v2|, s39
	v_cndmask_b32_e32 v2, v2, v37, vcc
	v_sub_f32_e32 v2, v2, v3
	v_add_f32_e32 v3, 1.0, v2
	v_fmac_f32_e32 v12, v12, v13
.LBB62_793:                             ;   in Loop: Header=BB62_418 Depth=1
	s_or_b64 exec, exec, s[28:29]
	s_waitcnt lgkmcnt(0)
	v_sub_f32_e32 v2, 0x3fc90fdb, v12
	v_cndmask_b32_e64 v2, v12, v2, s[4:5]
	v_cmp_neq_f32_e32 vcc, 0, v4
	v_cndmask_b32_e32 v12, 0, v2, vcc
	v_cmp_eq_f32_e32 vcc, s49, v5
	s_andn2_b64 s[4:5], s[24:25], exec
	s_and_b64 s[6:7], vcc, exec
	s_or_b64 s[24:25], s[4:5], s[6:7]
.LBB62_794:                             ;   in Loop: Header=BB62_418 Depth=1
	s_or_b64 exec, exec, s[26:27]
	v_cmp_class_f32_e64 s[4:5], v4, s56
	s_and_b64 vcc, s[4:5], s[24:25]
	s_waitcnt lgkmcnt(0)
	v_cndmask_b32_e32 v2, v12, v35, vcc
	v_add_f32_e32 v3, 0x3f317218, v3
	v_bfi_b32 v13, s38, v3, v5
	v_bfi_b32 v12, s38, v2, v4
.LBB62_795:                             ;   in Loop: Header=BB62_418 Depth=1
	s_or_b64 exec, exec, s[22:23]
                                        ; implicit-def: $vgpr5
.LBB62_796:                             ;   in Loop: Header=BB62_418 Depth=1
	s_andn2_saveexec_b64 s[4:5], s[20:21]
	s_cbranch_execz .LBB62_417
; %bb.797:                              ;   in Loop: Header=BB62_418 Depth=1
	v_cmp_neq_f32_e64 s[6:7], |v5|, s39
	s_and_saveexec_b64 s[20:21], s[6:7]
	s_xor_b64 s[6:7], exec, s[20:21]
	s_cbranch_execz .LBB62_807
; %bb.798:                              ;   in Loop: Header=BB62_418 Depth=1
	v_cmp_neq_f32_e64 s[20:21], |v4|, s39
	s_and_saveexec_b64 s[22:23], s[20:21]
	s_xor_b64 s[20:21], exec, s[22:23]
	s_cbranch_execz .LBB62_804
; %bb.799:                              ;   in Loop: Header=BB62_418 Depth=1
	v_cmp_neq_f32_e32 vcc, 0, v4
	s_and_saveexec_b64 s[22:23], vcc
	s_xor_b64 s[22:23], exec, s[22:23]
	s_cbranch_execz .LBB62_801
; %bb.800:                              ;   in Loop: Header=BB62_418 Depth=1
	s_waitcnt lgkmcnt(0)
	v_add_f32_e32 v2, 0, v5
	v_add_f32_e32 v12, v4, v2
                                        ; implicit-def: $vgpr2_vgpr3_vgpr4_vgpr5
.LBB62_801:                             ;   in Loop: Header=BB62_418 Depth=1
	s_or_saveexec_b64 s[22:23], s[22:23]
	v_mov_b32_e32 v13, v12
	s_xor_b64 exec, exec, s[22:23]
; %bb.802:                              ;   in Loop: Header=BB62_418 Depth=1
	v_add_f32_e32 v13, v5, v5
	v_mov_b32_e32 v12, v4
; %bb.803:                              ;   in Loop: Header=BB62_418 Depth=1
	s_or_b64 exec, exec, s[22:23]
                                        ; implicit-def: $vgpr2_vgpr3_vgpr4_vgpr5
.LBB62_804:                             ;   in Loop: Header=BB62_418 Depth=1
	s_andn2_saveexec_b64 s[20:21], s[20:21]
; %bb.805:                              ;   in Loop: Header=BB62_418 Depth=1
	v_add_f32_e32 v12, v5, v5
	v_mov_b32_e32 v13, v4
; %bb.806:                              ;   in Loop: Header=BB62_418 Depth=1
	s_or_b64 exec, exec, s[20:21]
                                        ; implicit-def: $vgpr2_vgpr3_vgpr4_vgpr5
.LBB62_807:                             ;   in Loop: Header=BB62_418 Depth=1
	s_andn2_saveexec_b64 s[6:7], s[6:7]
	s_cbranch_execz .LBB62_416
; %bb.808:                              ;   in Loop: Header=BB62_418 Depth=1
	v_add_f32_e32 v12, v4, v4
	v_mov_b32_e32 v13, v5
	s_branch .LBB62_416
.LBB62_809:
	s_endpgm
	.section	.rodata,"a",@progbits
	.p2align	6, 0x0
	.amdhsa_kernel _ZN2at6native12_GLOBAL__N_125multi_tensor_apply_kernelINS1_18TensorListMetadataILi1EEENS1_14UnaryOpFunctorIN3c107complexIfEELi1ELi1ELi0EEEJNS0_4AsinIS8_EEEEEvT_T0_DpT1_
		.amdhsa_group_segment_fixed_size 0
		.amdhsa_private_segment_fixed_size 12
		.amdhsa_kernarg_size 3632
		.amdhsa_user_sgpr_count 8
		.amdhsa_user_sgpr_private_segment_buffer 1
		.amdhsa_user_sgpr_dispatch_ptr 0
		.amdhsa_user_sgpr_queue_ptr 0
		.amdhsa_user_sgpr_kernarg_segment_ptr 1
		.amdhsa_user_sgpr_dispatch_id 0
		.amdhsa_user_sgpr_flat_scratch_init 1
		.amdhsa_user_sgpr_private_segment_size 0
		.amdhsa_uses_dynamic_stack 0
		.amdhsa_system_sgpr_private_segment_wavefront_offset 1
		.amdhsa_system_sgpr_workgroup_id_x 1
		.amdhsa_system_sgpr_workgroup_id_y 0
		.amdhsa_system_sgpr_workgroup_id_z 0
		.amdhsa_system_sgpr_workgroup_info 0
		.amdhsa_system_vgpr_workitem_id 0
		.amdhsa_next_free_vgpr 59
		.amdhsa_next_free_sgpr 82
		.amdhsa_reserve_vcc 1
		.amdhsa_reserve_flat_scratch 1
		.amdhsa_float_round_mode_32 0
		.amdhsa_float_round_mode_16_64 0
		.amdhsa_float_denorm_mode_32 3
		.amdhsa_float_denorm_mode_16_64 3
		.amdhsa_dx10_clamp 1
		.amdhsa_ieee_mode 1
		.amdhsa_fp16_overflow 0
		.amdhsa_exception_fp_ieee_invalid_op 0
		.amdhsa_exception_fp_denorm_src 0
		.amdhsa_exception_fp_ieee_div_zero 0
		.amdhsa_exception_fp_ieee_overflow 0
		.amdhsa_exception_fp_ieee_underflow 0
		.amdhsa_exception_fp_ieee_inexact 0
		.amdhsa_exception_int_div_zero 0
	.end_amdhsa_kernel
	.section	.text._ZN2at6native12_GLOBAL__N_125multi_tensor_apply_kernelINS1_18TensorListMetadataILi1EEENS1_14UnaryOpFunctorIN3c107complexIfEELi1ELi1ELi0EEEJNS0_4AsinIS8_EEEEEvT_T0_DpT1_,"axG",@progbits,_ZN2at6native12_GLOBAL__N_125multi_tensor_apply_kernelINS1_18TensorListMetadataILi1EEENS1_14UnaryOpFunctorIN3c107complexIfEELi1ELi1ELi0EEEJNS0_4AsinIS8_EEEEEvT_T0_DpT1_,comdat
.Lfunc_end62:
	.size	_ZN2at6native12_GLOBAL__N_125multi_tensor_apply_kernelINS1_18TensorListMetadataILi1EEENS1_14UnaryOpFunctorIN3c107complexIfEELi1ELi1ELi0EEEJNS0_4AsinIS8_EEEEEvT_T0_DpT1_, .Lfunc_end62-_ZN2at6native12_GLOBAL__N_125multi_tensor_apply_kernelINS1_18TensorListMetadataILi1EEENS1_14UnaryOpFunctorIN3c107complexIfEELi1ELi1ELi0EEEJNS0_4AsinIS8_EEEEEvT_T0_DpT1_
                                        ; -- End function
	.set _ZN2at6native12_GLOBAL__N_125multi_tensor_apply_kernelINS1_18TensorListMetadataILi1EEENS1_14UnaryOpFunctorIN3c107complexIfEELi1ELi1ELi0EEEJNS0_4AsinIS8_EEEEEvT_T0_DpT1_.num_vgpr, 59
	.set _ZN2at6native12_GLOBAL__N_125multi_tensor_apply_kernelINS1_18TensorListMetadataILi1EEENS1_14UnaryOpFunctorIN3c107complexIfEELi1ELi1ELi0EEEJNS0_4AsinIS8_EEEEEvT_T0_DpT1_.num_agpr, 0
	.set _ZN2at6native12_GLOBAL__N_125multi_tensor_apply_kernelINS1_18TensorListMetadataILi1EEENS1_14UnaryOpFunctorIN3c107complexIfEELi1ELi1ELi0EEEJNS0_4AsinIS8_EEEEEvT_T0_DpT1_.numbered_sgpr, 82
	.set _ZN2at6native12_GLOBAL__N_125multi_tensor_apply_kernelINS1_18TensorListMetadataILi1EEENS1_14UnaryOpFunctorIN3c107complexIfEELi1ELi1ELi0EEEJNS0_4AsinIS8_EEEEEvT_T0_DpT1_.num_named_barrier, 0
	.set _ZN2at6native12_GLOBAL__N_125multi_tensor_apply_kernelINS1_18TensorListMetadataILi1EEENS1_14UnaryOpFunctorIN3c107complexIfEELi1ELi1ELi0EEEJNS0_4AsinIS8_EEEEEvT_T0_DpT1_.private_seg_size, 12
	.set _ZN2at6native12_GLOBAL__N_125multi_tensor_apply_kernelINS1_18TensorListMetadataILi1EEENS1_14UnaryOpFunctorIN3c107complexIfEELi1ELi1ELi0EEEJNS0_4AsinIS8_EEEEEvT_T0_DpT1_.uses_vcc, 1
	.set _ZN2at6native12_GLOBAL__N_125multi_tensor_apply_kernelINS1_18TensorListMetadataILi1EEENS1_14UnaryOpFunctorIN3c107complexIfEELi1ELi1ELi0EEEJNS0_4AsinIS8_EEEEEvT_T0_DpT1_.uses_flat_scratch, 1
	.set _ZN2at6native12_GLOBAL__N_125multi_tensor_apply_kernelINS1_18TensorListMetadataILi1EEENS1_14UnaryOpFunctorIN3c107complexIfEELi1ELi1ELi0EEEJNS0_4AsinIS8_EEEEEvT_T0_DpT1_.has_dyn_sized_stack, 0
	.set _ZN2at6native12_GLOBAL__N_125multi_tensor_apply_kernelINS1_18TensorListMetadataILi1EEENS1_14UnaryOpFunctorIN3c107complexIfEELi1ELi1ELi0EEEJNS0_4AsinIS8_EEEEEvT_T0_DpT1_.has_recursion, 0
	.set _ZN2at6native12_GLOBAL__N_125multi_tensor_apply_kernelINS1_18TensorListMetadataILi1EEENS1_14UnaryOpFunctorIN3c107complexIfEELi1ELi1ELi0EEEJNS0_4AsinIS8_EEEEEvT_T0_DpT1_.has_indirect_call, 0
	.section	.AMDGPU.csdata,"",@progbits
; Kernel info:
; codeLenInByte = 51884
; TotalNumSgprs: 88
; NumVgprs: 59
; ScratchSize: 12
; MemoryBound: 1
; FloatMode: 240
; IeeeMode: 1
; LDSByteSize: 0 bytes/workgroup (compile time only)
; SGPRBlocks: 10
; VGPRBlocks: 14
; NumSGPRsForWavesPerEU: 88
; NumVGPRsForWavesPerEU: 59
; Occupancy: 4
; WaveLimiterHint : 0
; COMPUTE_PGM_RSRC2:SCRATCH_EN: 1
; COMPUTE_PGM_RSRC2:USER_SGPR: 8
; COMPUTE_PGM_RSRC2:TRAP_HANDLER: 0
; COMPUTE_PGM_RSRC2:TGID_X_EN: 1
; COMPUTE_PGM_RSRC2:TGID_Y_EN: 0
; COMPUTE_PGM_RSRC2:TGID_Z_EN: 0
; COMPUTE_PGM_RSRC2:TIDIG_COMP_CNT: 0
	.section	.text._ZN2at6native12_GLOBAL__N_125multi_tensor_apply_kernelINS1_18TensorListMetadataILi1EEENS1_14UnaryOpFunctorIN3c104HalfELi1ELi1ELi0EEEJNS0_4AsinIfEEEEEvT_T0_DpT1_,"axG",@progbits,_ZN2at6native12_GLOBAL__N_125multi_tensor_apply_kernelINS1_18TensorListMetadataILi1EEENS1_14UnaryOpFunctorIN3c104HalfELi1ELi1ELi0EEEJNS0_4AsinIfEEEEEvT_T0_DpT1_,comdat
	.globl	_ZN2at6native12_GLOBAL__N_125multi_tensor_apply_kernelINS1_18TensorListMetadataILi1EEENS1_14UnaryOpFunctorIN3c104HalfELi1ELi1ELi0EEEJNS0_4AsinIfEEEEEvT_T0_DpT1_ ; -- Begin function _ZN2at6native12_GLOBAL__N_125multi_tensor_apply_kernelINS1_18TensorListMetadataILi1EEENS1_14UnaryOpFunctorIN3c104HalfELi1ELi1ELi0EEEJNS0_4AsinIfEEEEEvT_T0_DpT1_
	.p2align	8
	.type	_ZN2at6native12_GLOBAL__N_125multi_tensor_apply_kernelINS1_18TensorListMetadataILi1EEENS1_14UnaryOpFunctorIN3c104HalfELi1ELi1ELi0EEEJNS0_4AsinIfEEEEEvT_T0_DpT1_,@function
_ZN2at6native12_GLOBAL__N_125multi_tensor_apply_kernelINS1_18TensorListMetadataILi1EEENS1_14UnaryOpFunctorIN3c104HalfELi1ELi1ELi0EEEJNS0_4AsinIfEEEEEvT_T0_DpT1_: ; @_ZN2at6native12_GLOBAL__N_125multi_tensor_apply_kernelINS1_18TensorListMetadataILi1EEENS1_14UnaryOpFunctorIN3c104HalfELi1ELi1ELi0EEEJNS0_4AsinIfEEEEEvT_T0_DpT1_
; %bb.0:
	v_mov_b32_e32 v1, s6
	global_load_ubyte v1, v1, s[4:5] offset:1760
	s_add_u32 s0, s4, s6
	s_mul_hi_u32 s1, s6, 3
	s_mul_i32 s6, s6, 3
	s_addc_u32 s2, s5, 0
	s_add_u32 s0, s0, s6
	s_addc_u32 s1, s2, s1
	s_load_dword s0, s[0:1], 0x820
	s_mov_b32 s7, 0
	s_waitcnt vmcnt(0)
	v_readfirstlane_b32 s1, v1
	s_lshl_b32 s1, s1, 3
	s_load_dwordx2 s[2:3], s[4:5], s1 offset:0x370
	s_load_dwordx2 s[10:11], s[4:5], s1 offset:0x0
	s_waitcnt lgkmcnt(0)
	s_ashr_i32 s1, s0, 31
	s_lshl_b64 s[12:13], s[0:1], 17
	s_lshl_b64 s[0:1], s[0:1], 16
	s_and_b32 s6, s10, 7
	s_sub_u32 s14, s2, s0
	s_subb_u32 s15, s3, s1
	s_and_b32 s0, s2, 3
	s_mov_b32 s1, s7
	s_or_b64 s[0:1], s[6:7], s[0:1]
	s_cmp_eq_u64 s[0:1], 0
	s_cbranch_scc1 .LBB63_21
; %bb.1:
	v_cmp_lt_i64_e64 s[0:1], s[14:15], 1
	s_and_b64 vcc, exec, s[0:1]
	s_cbranch_vccnz .LBB63_20
; %bb.2:
	v_mov_b32_e32 v1, 0x10000
	s_load_dword s2, s[4:5], 0xd3c
	v_mov_b32_e32 v2, 0
	v_cmp_lt_i64_e32 vcc, s[14:15], v[1:2]
	s_mov_b64 s[20:21], 0
	s_and_b64 s[0:1], vcc, exec
	v_cmp_lt_u64_e32 vcc, s[14:15], v[1:2]
	s_cselect_b32 s17, s15, 0
	s_cselect_b32 s16, s14, 0x10000
	s_waitcnt lgkmcnt(0)
	s_and_b32 s2, s2, 0xffff
	s_and_b64 s[0:1], vcc, exec
	s_cselect_b32 s19, s15, 0
	s_cselect_b32 s18, s14, 0x10000
	s_lshl_b32 s3, s2, 1
	s_lshl_b32 s24, s2, 2
	s_add_u32 s6, s10, s12
	v_lshlrev_b32_e32 v1, 1, v0
	s_addc_u32 s7, s11, s13
	v_mov_b32_e32 v2, s7
	v_add_co_u32_e32 v1, vcc, s6, v1
	s_mul_i32 s0, s2, 3
	v_addc_co_u32_e32 v2, vcc, 0, v2, vcc
	v_add_co_u32_e32 v5, vcc, s0, v0
	v_addc_co_u32_e64 v6, s[0:1], 0, 0, vcc
	v_add_co_u32_e32 v7, vcc, s3, v0
	v_addc_co_u32_e64 v8, s[0:1], 0, 0, vcc
	v_add_co_u32_e32 v9, vcc, s2, v0
	v_lshlrev_b32_e32 v3, 1, v9
	v_addc_co_u32_e64 v10, s[0:1], 0, 0, vcc
	v_mov_b32_e32 v4, s7
	v_add_co_u32_e32 v3, vcc, s6, v3
	s_lshl_b32 s25, s2, 3
	s_mul_i32 s26, s2, 6
	v_addc_co_u32_e32 v4, vcc, 0, v4, vcc
	v_mov_b32_e32 v11, 0x3d034c3c
	v_mov_b32_e32 v12, 0x3d3641b1
	;; [unrolled: 1-line block ×4, first 2 shown]
	s_movk_i32 s27, 0x7fff
	s_branch .LBB63_4
.LBB63_3:                               ;   in Loop: Header=BB63_4 Depth=1
	s_or_b64 exec, exec, s[0:1]
	s_add_u32 s20, s20, s24
	v_add_co_u32_e32 v1, vcc, s25, v1
	v_mov_b32_e32 v15, s16
	s_addc_u32 s21, s21, 0
	v_addc_co_u32_e32 v2, vcc, 0, v2, vcc
	v_mov_b32_e32 v16, s17
	v_cmp_lt_i64_e32 vcc, s[20:21], v[15:16]
	v_add_co_u32_e64 v3, s[0:1], s25, v3
	v_addc_co_u32_e64 v4, s[0:1], 0, v4, s[0:1]
	s_cbranch_vccz .LBB63_20
.LBB63_4:                               ; =>This Inner Loop Header: Depth=1
	v_mov_b32_e32 v16, s21
	v_add_co_u32_e32 v15, vcc, s20, v0
	v_addc_co_u32_e32 v16, vcc, 0, v16, vcc
	v_cmp_gt_u64_e64 s[6:7], s[18:19], v[15:16]
	v_mov_b32_e32 v18, 0
	s_and_saveexec_b64 s[0:1], s[6:7]
	s_cbranch_execz .LBB63_6
; %bb.5:                                ;   in Loop: Header=BB63_4 Depth=1
	global_load_ushort v15, v[1:2], off
	s_waitcnt vmcnt(0)
	v_cvt_f32_f16_e32 v18, v15
.LBB63_6:                               ;   in Loop: Header=BB63_4 Depth=1
	s_or_b64 exec, exec, s[0:1]
	v_mov_b32_e32 v16, s21
	v_add_co_u32_e32 v15, vcc, s20, v9
	v_addc_co_u32_e32 v16, vcc, v10, v16, vcc
	v_cmp_gt_u64_e64 s[2:3], s[18:19], v[15:16]
	v_mov_b32_e32 v15, 0
	v_mov_b32_e32 v17, 0
	s_and_saveexec_b64 s[0:1], s[2:3]
	s_cbranch_execz .LBB63_8
; %bb.7:                                ;   in Loop: Header=BB63_4 Depth=1
	global_load_ushort v16, v[3:4], off
	s_waitcnt vmcnt(0)
	v_cvt_f32_f16_e32 v17, v16
.LBB63_8:                               ;   in Loop: Header=BB63_4 Depth=1
	s_or_b64 exec, exec, s[0:1]
	v_mov_b32_e32 v16, s21
	v_add_co_u32_e32 v19, vcc, s20, v7
	v_addc_co_u32_e32 v20, vcc, v8, v16, vcc
	v_cmp_gt_u64_e64 s[0:1], s[18:19], v[19:20]
	s_and_saveexec_b64 s[8:9], s[0:1]
	s_cbranch_execz .LBB63_10
; %bb.9:                                ;   in Loop: Header=BB63_4 Depth=1
	v_add_co_u32_e32 v15, vcc, s24, v1
	v_addc_co_u32_e32 v16, vcc, 0, v2, vcc
	global_load_ushort v15, v[15:16], off
	s_waitcnt vmcnt(0)
	v_cvt_f32_f16_e32 v15, v15
.LBB63_10:                              ;   in Loop: Header=BB63_4 Depth=1
	s_or_b64 exec, exec, s[8:9]
	v_mov_b32_e32 v16, s21
	v_add_co_u32_e32 v19, vcc, s20, v5
	v_addc_co_u32_e32 v20, vcc, v6, v16, vcc
	v_cmp_gt_u64_e32 vcc, s[18:19], v[19:20]
	v_mov_b32_e32 v16, 0
	s_and_saveexec_b64 s[22:23], vcc
	s_cbranch_execnz .LBB63_15
; %bb.11:                               ;   in Loop: Header=BB63_4 Depth=1
	s_or_b64 exec, exec, s[22:23]
	s_and_saveexec_b64 s[8:9], s[6:7]
	s_cbranch_execnz .LBB63_16
.LBB63_12:                              ;   in Loop: Header=BB63_4 Depth=1
	s_or_b64 exec, exec, s[8:9]
	s_and_saveexec_b64 s[6:7], s[2:3]
	s_cbranch_execnz .LBB63_17
.LBB63_13:                              ;   in Loop: Header=BB63_4 Depth=1
	s_or_b64 exec, exec, s[6:7]
	s_and_saveexec_b64 s[2:3], s[0:1]
	s_cbranch_execnz .LBB63_18
.LBB63_14:                              ;   in Loop: Header=BB63_4 Depth=1
	s_or_b64 exec, exec, s[2:3]
	s_and_saveexec_b64 s[0:1], vcc
	s_cbranch_execz .LBB63_3
	s_branch .LBB63_19
.LBB63_15:                              ;   in Loop: Header=BB63_4 Depth=1
	v_add_co_u32_e64 v19, s[8:9], s26, v1
	v_addc_co_u32_e64 v20, s[8:9], 0, v2, s[8:9]
	global_load_ushort v16, v[19:20], off
	s_waitcnt vmcnt(0)
	v_cvt_f32_f16_e32 v16, v16
	s_or_b64 exec, exec, s[22:23]
	s_and_saveexec_b64 s[8:9], s[6:7]
	s_cbranch_execz .LBB63_12
.LBB63_16:                              ;   in Loop: Header=BB63_4 Depth=1
	v_fma_f32 v19, |v18|, -0.5, 0.5
	v_mul_f32_e32 v20, v18, v18
	v_cmp_ge_f32_e64 s[6:7], |v18|, 0.5
	v_cndmask_b32_e64 v19, v20, v19, s[6:7]
	v_mov_b32_e32 v20, 0x3c5fc5da
	v_fmac_f32_e32 v20, 0x3d1c21a7, v19
	v_fma_f32 v20, v19, v20, v11
	v_fma_f32 v20, v19, v20, v12
	v_sqrt_f32_e32 v21, v19
	v_fma_f32 v20, v19, v20, v13
	v_fma_f32 v20, v19, v20, v14
	v_mul_f32_e32 v19, v19, v20
	v_fmac_f32_e32 v21, v21, v19
	v_fma_f32 v20, |v18|, v19, |v18|
	v_add_f32_e32 v19, v21, v21
	v_sub_f32_e32 v19, 0x3fc90fdb, v19
	v_cmp_lt_f32_e64 s[6:7], |v18|, 0.5
	v_cndmask_b32_e64 v19, v19, v20, s[6:7]
	v_cvt_f16_f32_e32 v19, v19
	v_lshrrev_b32_e32 v18, 16, v18
	v_bfi_b32 v18, s27, v19, v18
	global_store_short v[1:2], v18, off
	s_or_b64 exec, exec, s[8:9]
	s_and_saveexec_b64 s[6:7], s[2:3]
	s_cbranch_execz .LBB63_13
.LBB63_17:                              ;   in Loop: Header=BB63_4 Depth=1
	v_fma_f32 v18, |v17|, -0.5, 0.5
	v_mul_f32_e32 v19, v17, v17
	v_cmp_ge_f32_e64 s[2:3], |v17|, 0.5
	v_cndmask_b32_e64 v18, v19, v18, s[2:3]
	v_mov_b32_e32 v19, 0x3c5fc5da
	v_fmac_f32_e32 v19, 0x3d1c21a7, v18
	v_fma_f32 v19, v18, v19, v11
	v_fma_f32 v19, v18, v19, v12
	v_sqrt_f32_e32 v20, v18
	v_fma_f32 v19, v18, v19, v13
	v_fma_f32 v19, v18, v19, v14
	v_mul_f32_e32 v18, v18, v19
	v_fmac_f32_e32 v20, v20, v18
	v_add_f32_e32 v19, v20, v20
	v_sub_f32_e32 v19, 0x3fc90fdb, v19
	v_fma_f32 v18, |v17|, v18, |v17|
	v_cmp_lt_f32_e64 s[2:3], |v17|, 0.5
	v_cndmask_b32_e64 v18, v19, v18, s[2:3]
	v_cvt_f16_f32_e32 v18, v18
	v_lshrrev_b32_e32 v17, 16, v17
	v_bfi_b32 v17, s27, v18, v17
	global_store_short v[3:4], v17, off
	s_or_b64 exec, exec, s[6:7]
	s_and_saveexec_b64 s[2:3], s[0:1]
	s_cbranch_execz .LBB63_14
.LBB63_18:                              ;   in Loop: Header=BB63_4 Depth=1
	v_fma_f32 v17, |v15|, -0.5, 0.5
	v_mul_f32_e32 v18, v15, v15
	v_cmp_ge_f32_e64 s[0:1], |v15|, 0.5
	v_cndmask_b32_e64 v17, v18, v17, s[0:1]
	v_mov_b32_e32 v18, 0x3c5fc5da
	v_fmac_f32_e32 v18, 0x3d1c21a7, v17
	v_fma_f32 v18, v17, v18, v11
	v_fma_f32 v18, v17, v18, v12
	v_sqrt_f32_e32 v19, v17
	v_fma_f32 v18, v17, v18, v13
	v_fma_f32 v18, v17, v18, v14
	v_mul_f32_e32 v17, v17, v18
	v_fmac_f32_e32 v19, v19, v17
	v_add_f32_e32 v18, v19, v19
	v_sub_f32_e32 v18, 0x3fc90fdb, v18
	v_fma_f32 v17, |v15|, v17, |v15|
	v_cmp_lt_f32_e64 s[0:1], |v15|, 0.5
	v_cndmask_b32_e64 v17, v18, v17, s[0:1]
	v_cvt_f16_f32_e32 v17, v17
	v_lshrrev_b32_e32 v15, 16, v15
	v_bfi_b32 v15, s27, v17, v15
	v_add_co_u32_e64 v17, s[0:1], s24, v1
	v_addc_co_u32_e64 v18, s[0:1], 0, v2, s[0:1]
	global_store_short v[17:18], v15, off
	s_or_b64 exec, exec, s[2:3]
	s_and_saveexec_b64 s[0:1], vcc
	s_cbranch_execz .LBB63_3
.LBB63_19:                              ;   in Loop: Header=BB63_4 Depth=1
	v_fma_f32 v15, |v16|, -0.5, 0.5
	v_mul_f32_e32 v17, v16, v16
	v_cmp_ge_f32_e64 vcc, |v16|, 0.5
	v_cndmask_b32_e32 v15, v17, v15, vcc
	v_mov_b32_e32 v17, 0x3c5fc5da
	v_fmac_f32_e32 v17, 0x3d1c21a7, v15
	v_fma_f32 v17, v15, v17, v11
	v_fma_f32 v17, v15, v17, v12
	v_sqrt_f32_e32 v18, v15
	v_fma_f32 v17, v15, v17, v13
	v_fma_f32 v17, v15, v17, v14
	v_mul_f32_e32 v15, v15, v17
	v_fmac_f32_e32 v18, v18, v15
	v_add_f32_e32 v17, v18, v18
	v_sub_f32_e32 v17, 0x3fc90fdb, v17
	v_fma_f32 v15, |v16|, v15, |v16|
	v_cmp_lt_f32_e64 vcc, |v16|, 0.5
	v_cndmask_b32_e32 v15, v17, v15, vcc
	v_cvt_f16_f32_e32 v15, v15
	v_lshrrev_b32_e32 v16, 16, v16
	v_bfi_b32 v17, s27, v15, v16
	v_add_co_u32_e32 v15, vcc, s26, v1
	v_addc_co_u32_e32 v16, vcc, 0, v2, vcc
	global_store_short v[15:16], v17, off
	s_branch .LBB63_3
.LBB63_20:
	s_cbranch_execz .LBB63_22
	s_branch .LBB63_25
.LBB63_21:
.LBB63_22:
	v_mov_b32_e32 v1, 0x10000
	v_mov_b32_e32 v2, 0
	v_cmp_lt_i64_e32 vcc, s[14:15], v[1:2]
	v_mov_b32_e32 v2, 0
	s_and_b64 s[0:1], vcc, exec
	s_cselect_b32 s7, s15, 0
	s_cselect_b32 s6, s14, 0x10000
	v_lshlrev_b32_e32 v1, 2, v0
	v_cmp_gt_i64_e32 vcc, s[6:7], v[1:2]
	s_and_saveexec_b64 s[0:1], vcc
	s_cbranch_execz .LBB63_25
; %bb.23:
	s_load_dword s0, s[4:5], 0xd3c
	v_mov_b32_e32 v1, v2
	v_lshlrev_b32_e32 v2, 3, v0
	s_mov_b64 s[4:5], 0
	v_mov_b32_e32 v4, 0.5
	s_waitcnt lgkmcnt(0)
	s_and_b32 s8, s0, 0xffff
	s_add_u32 s0, s10, s12
	s_addc_u32 s1, s11, s13
	v_mov_b32_e32 v3, s1
	v_add_co_u32_e32 v2, vcc, s0, v2
	v_addc_co_u32_e32 v3, vcc, 0, v3, vcc
	v_add_co_u32_e32 v2, vcc, 4, v2
	v_addc_co_u32_e32 v3, vcc, 0, v3, vcc
	s_lshl_b32 s9, s8, 3
	s_mov_b32 s10, -0.5
	v_mov_b32_e32 v5, 0x3d034c3c
	v_mov_b32_e32 v6, 0x3d3641b1
	;; [unrolled: 1-line block ×4, first 2 shown]
	s_movk_i32 s11, 0x7fff
.LBB63_24:                              ; =>This Inner Loop Header: Depth=1
	global_load_dwordx2 v[9:10], v[2:3], off offset:-4
	v_add_co_u32_e32 v0, vcc, s8, v0
	v_addc_co_u32_e32 v1, vcc, 0, v1, vcc
	v_lshlrev_b64 v[11:12], 2, v[0:1]
	v_cmp_le_i64_e32 vcc, s[6:7], v[11:12]
	s_or_b64 s[4:5], vcc, s[4:5]
	s_waitcnt vmcnt(0)
	v_cvt_f32_f16_e32 v13, v9
	v_lshrrev_b32_e32 v11, 16, v9
	v_cvt_f32_f16_e32 v16, v10
	v_cvt_f32_f16_e32 v18, v11
	v_fma_mix_f32 v14, |v9|, s10, v4 op_sel_hi:[1,0,0]
	v_mul_f32_e32 v19, v13, v13
	v_cmp_ge_f32_e64 s[0:1], |v13|, 0.5
	v_fma_mix_f32 v17, |v10|, s10, v4 op_sel_hi:[1,0,0]
	v_cndmask_b32_e64 v14, v19, v14, s[0:1]
	v_mul_f32_e32 v19, v16, v16
	v_cmp_ge_f32_e64 s[0:1], |v16|, 0.5
	v_lshrrev_b32_e32 v12, 16, v10
	v_fma_mix_f32 v15, |v9|, s10, v4 op_sel:[1,0,0] op_sel_hi:[1,0,0]
	v_cndmask_b32_e64 v17, v19, v17, s[0:1]
	v_mul_f32_e32 v19, v18, v18
	v_cmp_ge_f32_e64 s[0:1], |v18|, 0.5
	v_cndmask_b32_e64 v15, v19, v15, s[0:1]
	v_cvt_f32_f16_e32 v19, v12
	v_fma_mix_f32 v20, |v10|, s10, v4 op_sel:[1,0,0] op_sel_hi:[1,0,0]
	v_cmp_lt_f32_e64 s[2:3], |v16|, 0.5
	v_mul_f32_e32 v21, v19, v19
	v_cmp_ge_f32_e64 s[0:1], |v19|, 0.5
	v_cndmask_b32_e64 v20, v21, v20, s[0:1]
	v_mov_b32_e32 v21, 0x3c5fc5da
	v_fmac_f32_e32 v21, 0x3d1c21a7, v14
	v_fma_f32 v21, v14, v21, v5
	v_fma_f32 v21, v14, v21, v6
	;; [unrolled: 1-line block ×4, first 2 shown]
	v_mul_f32_e32 v21, v14, v21
	v_sqrt_f32_e32 v14, v14
	v_cmp_lt_f32_e64 s[0:1], |v13|, 0.5
	v_cmp_lt_f32_e64 vcc, |v19|, 0.5
	v_fmac_f32_e32 v14, v14, v21
	v_add_f32_e32 v14, v14, v14
	v_fma_mix_f32 v21, |v9|, v21, |v9| op_sel_hi:[1,0,1]
	v_sub_f32_e32 v14, 0x3fc90fdb, v14
	v_cndmask_b32_e64 v13, v14, v21, s[0:1]
	v_cmp_lt_f32_e64 s[0:1], |v18|, 0.5
	v_mov_b32_e32 v18, 0x3c5fc5da
	v_fmac_f32_e32 v18, 0x3d1c21a7, v17
	v_fma_f32 v18, v17, v18, v5
	v_fma_f32 v18, v17, v18, v6
	;; [unrolled: 1-line block ×4, first 2 shown]
	v_mul_f32_e32 v18, v17, v18
	v_sqrt_f32_e32 v17, v17
	v_mov_b32_e32 v14, 0x3c5fc5da
	v_fmac_f32_e32 v14, 0x3d1c21a7, v15
	v_fma_f32 v14, v15, v14, v5
	v_fmac_f32_e32 v17, v17, v18
	v_add_f32_e32 v17, v17, v17
	v_fma_mix_f32 v18, |v10|, v18, |v10| op_sel_hi:[1,0,1]
	v_sub_f32_e32 v17, 0x3fc90fdb, v17
	v_fma_f32 v14, v15, v14, v6
	v_cndmask_b32_e64 v16, v17, v18, s[2:3]
	v_mov_b32_e32 v17, 0x3c5fc5da
	v_fma_f32 v14, v15, v14, v7
	v_fmac_f32_e32 v17, 0x3d1c21a7, v20
	v_fma_f32 v14, v15, v14, v8
	v_fma_f32 v17, v20, v17, v5
	v_mul_f32_e32 v14, v15, v14
	v_sqrt_f32_e32 v15, v15
	v_fma_f32 v17, v20, v17, v6
	v_sqrt_f32_e32 v18, v20
	v_fma_f32 v17, v20, v17, v7
	v_fma_f32 v17, v20, v17, v8
	v_mul_f32_e32 v17, v20, v17
	v_fmac_f32_e32 v15, v15, v14
	v_fmac_f32_e32 v18, v18, v17
	v_add_f32_e32 v15, v15, v15
	v_add_f32_e32 v18, v18, v18
	v_fma_mix_f32 v14, |v9|, v14, |v9| op_sel:[1,0,1] op_sel_hi:[1,0,1]
	v_sub_f32_e32 v15, 0x3fc90fdb, v15
	v_fma_mix_f32 v17, |v10|, v17, |v10| op_sel:[1,0,1] op_sel_hi:[1,0,1]
	v_sub_f32_e32 v18, 0x3fc90fdb, v18
	v_cndmask_b32_e64 v14, v15, v14, s[0:1]
	v_cvt_f16_f32_e32 v15, v16
	v_cndmask_b32_e32 v16, v18, v17, vcc
	v_cvt_f16_f32_e32 v13, v13
	v_cvt_f16_f32_e32 v14, v14
	;; [unrolled: 1-line block ×3, first 2 shown]
	v_bfi_b32 v10, s11, v15, v10
	v_bfi_b32 v9, s11, v13, v9
	;; [unrolled: 1-line block ×4, first 2 shown]
	v_pack_b32_f16 v10, v10, v12
	v_pack_b32_f16 v9, v9, v11
	global_store_dwordx2 v[2:3], v[9:10], off offset:-4
	v_add_co_u32_e32 v2, vcc, s9, v2
	v_addc_co_u32_e32 v3, vcc, 0, v3, vcc
	s_andn2_b64 exec, exec, s[4:5]
	s_cbranch_execnz .LBB63_24
.LBB63_25:
	s_endpgm
	.section	.rodata,"a",@progbits
	.p2align	6, 0x0
	.amdhsa_kernel _ZN2at6native12_GLOBAL__N_125multi_tensor_apply_kernelINS1_18TensorListMetadataILi1EEENS1_14UnaryOpFunctorIN3c104HalfELi1ELi1ELi0EEEJNS0_4AsinIfEEEEEvT_T0_DpT1_
		.amdhsa_group_segment_fixed_size 0
		.amdhsa_private_segment_fixed_size 0
		.amdhsa_kernarg_size 3632
		.amdhsa_user_sgpr_count 6
		.amdhsa_user_sgpr_private_segment_buffer 1
		.amdhsa_user_sgpr_dispatch_ptr 0
		.amdhsa_user_sgpr_queue_ptr 0
		.amdhsa_user_sgpr_kernarg_segment_ptr 1
		.amdhsa_user_sgpr_dispatch_id 0
		.amdhsa_user_sgpr_flat_scratch_init 0
		.amdhsa_user_sgpr_private_segment_size 0
		.amdhsa_uses_dynamic_stack 0
		.amdhsa_system_sgpr_private_segment_wavefront_offset 0
		.amdhsa_system_sgpr_workgroup_id_x 1
		.amdhsa_system_sgpr_workgroup_id_y 0
		.amdhsa_system_sgpr_workgroup_id_z 0
		.amdhsa_system_sgpr_workgroup_info 0
		.amdhsa_system_vgpr_workitem_id 0
		.amdhsa_next_free_vgpr 22
		.amdhsa_next_free_sgpr 28
		.amdhsa_reserve_vcc 1
		.amdhsa_reserve_flat_scratch 0
		.amdhsa_float_round_mode_32 0
		.amdhsa_float_round_mode_16_64 0
		.amdhsa_float_denorm_mode_32 3
		.amdhsa_float_denorm_mode_16_64 3
		.amdhsa_dx10_clamp 1
		.amdhsa_ieee_mode 1
		.amdhsa_fp16_overflow 0
		.amdhsa_exception_fp_ieee_invalid_op 0
		.amdhsa_exception_fp_denorm_src 0
		.amdhsa_exception_fp_ieee_div_zero 0
		.amdhsa_exception_fp_ieee_overflow 0
		.amdhsa_exception_fp_ieee_underflow 0
		.amdhsa_exception_fp_ieee_inexact 0
		.amdhsa_exception_int_div_zero 0
	.end_amdhsa_kernel
	.section	.text._ZN2at6native12_GLOBAL__N_125multi_tensor_apply_kernelINS1_18TensorListMetadataILi1EEENS1_14UnaryOpFunctorIN3c104HalfELi1ELi1ELi0EEEJNS0_4AsinIfEEEEEvT_T0_DpT1_,"axG",@progbits,_ZN2at6native12_GLOBAL__N_125multi_tensor_apply_kernelINS1_18TensorListMetadataILi1EEENS1_14UnaryOpFunctorIN3c104HalfELi1ELi1ELi0EEEJNS0_4AsinIfEEEEEvT_T0_DpT1_,comdat
.Lfunc_end63:
	.size	_ZN2at6native12_GLOBAL__N_125multi_tensor_apply_kernelINS1_18TensorListMetadataILi1EEENS1_14UnaryOpFunctorIN3c104HalfELi1ELi1ELi0EEEJNS0_4AsinIfEEEEEvT_T0_DpT1_, .Lfunc_end63-_ZN2at6native12_GLOBAL__N_125multi_tensor_apply_kernelINS1_18TensorListMetadataILi1EEENS1_14UnaryOpFunctorIN3c104HalfELi1ELi1ELi0EEEJNS0_4AsinIfEEEEEvT_T0_DpT1_
                                        ; -- End function
	.set _ZN2at6native12_GLOBAL__N_125multi_tensor_apply_kernelINS1_18TensorListMetadataILi1EEENS1_14UnaryOpFunctorIN3c104HalfELi1ELi1ELi0EEEJNS0_4AsinIfEEEEEvT_T0_DpT1_.num_vgpr, 22
	.set _ZN2at6native12_GLOBAL__N_125multi_tensor_apply_kernelINS1_18TensorListMetadataILi1EEENS1_14UnaryOpFunctorIN3c104HalfELi1ELi1ELi0EEEJNS0_4AsinIfEEEEEvT_T0_DpT1_.num_agpr, 0
	.set _ZN2at6native12_GLOBAL__N_125multi_tensor_apply_kernelINS1_18TensorListMetadataILi1EEENS1_14UnaryOpFunctorIN3c104HalfELi1ELi1ELi0EEEJNS0_4AsinIfEEEEEvT_T0_DpT1_.numbered_sgpr, 28
	.set _ZN2at6native12_GLOBAL__N_125multi_tensor_apply_kernelINS1_18TensorListMetadataILi1EEENS1_14UnaryOpFunctorIN3c104HalfELi1ELi1ELi0EEEJNS0_4AsinIfEEEEEvT_T0_DpT1_.num_named_barrier, 0
	.set _ZN2at6native12_GLOBAL__N_125multi_tensor_apply_kernelINS1_18TensorListMetadataILi1EEENS1_14UnaryOpFunctorIN3c104HalfELi1ELi1ELi0EEEJNS0_4AsinIfEEEEEvT_T0_DpT1_.private_seg_size, 0
	.set _ZN2at6native12_GLOBAL__N_125multi_tensor_apply_kernelINS1_18TensorListMetadataILi1EEENS1_14UnaryOpFunctorIN3c104HalfELi1ELi1ELi0EEEJNS0_4AsinIfEEEEEvT_T0_DpT1_.uses_vcc, 1
	.set _ZN2at6native12_GLOBAL__N_125multi_tensor_apply_kernelINS1_18TensorListMetadataILi1EEENS1_14UnaryOpFunctorIN3c104HalfELi1ELi1ELi0EEEJNS0_4AsinIfEEEEEvT_T0_DpT1_.uses_flat_scratch, 0
	.set _ZN2at6native12_GLOBAL__N_125multi_tensor_apply_kernelINS1_18TensorListMetadataILi1EEENS1_14UnaryOpFunctorIN3c104HalfELi1ELi1ELi0EEEJNS0_4AsinIfEEEEEvT_T0_DpT1_.has_dyn_sized_stack, 0
	.set _ZN2at6native12_GLOBAL__N_125multi_tensor_apply_kernelINS1_18TensorListMetadataILi1EEENS1_14UnaryOpFunctorIN3c104HalfELi1ELi1ELi0EEEJNS0_4AsinIfEEEEEvT_T0_DpT1_.has_recursion, 0
	.set _ZN2at6native12_GLOBAL__N_125multi_tensor_apply_kernelINS1_18TensorListMetadataILi1EEENS1_14UnaryOpFunctorIN3c104HalfELi1ELi1ELi0EEEJNS0_4AsinIfEEEEEvT_T0_DpT1_.has_indirect_call, 0
	.section	.AMDGPU.csdata,"",@progbits
; Kernel info:
; codeLenInByte = 2152
; TotalNumSgprs: 32
; NumVgprs: 22
; ScratchSize: 0
; MemoryBound: 0
; FloatMode: 240
; IeeeMode: 1
; LDSByteSize: 0 bytes/workgroup (compile time only)
; SGPRBlocks: 3
; VGPRBlocks: 5
; NumSGPRsForWavesPerEU: 32
; NumVGPRsForWavesPerEU: 22
; Occupancy: 10
; WaveLimiterHint : 0
; COMPUTE_PGM_RSRC2:SCRATCH_EN: 0
; COMPUTE_PGM_RSRC2:USER_SGPR: 6
; COMPUTE_PGM_RSRC2:TRAP_HANDLER: 0
; COMPUTE_PGM_RSRC2:TGID_X_EN: 1
; COMPUTE_PGM_RSRC2:TGID_Y_EN: 0
; COMPUTE_PGM_RSRC2:TGID_Z_EN: 0
; COMPUTE_PGM_RSRC2:TIDIG_COMP_CNT: 0
	.section	.text._ZN2at6native12_GLOBAL__N_125multi_tensor_apply_kernelINS1_18TensorListMetadataILi1EEENS1_14UnaryOpFunctorIN3c108BFloat16ELi1ELi1ELi0EEEJNS0_4AsinIfEEEEEvT_T0_DpT1_,"axG",@progbits,_ZN2at6native12_GLOBAL__N_125multi_tensor_apply_kernelINS1_18TensorListMetadataILi1EEENS1_14UnaryOpFunctorIN3c108BFloat16ELi1ELi1ELi0EEEJNS0_4AsinIfEEEEEvT_T0_DpT1_,comdat
	.globl	_ZN2at6native12_GLOBAL__N_125multi_tensor_apply_kernelINS1_18TensorListMetadataILi1EEENS1_14UnaryOpFunctorIN3c108BFloat16ELi1ELi1ELi0EEEJNS0_4AsinIfEEEEEvT_T0_DpT1_ ; -- Begin function _ZN2at6native12_GLOBAL__N_125multi_tensor_apply_kernelINS1_18TensorListMetadataILi1EEENS1_14UnaryOpFunctorIN3c108BFloat16ELi1ELi1ELi0EEEJNS0_4AsinIfEEEEEvT_T0_DpT1_
	.p2align	8
	.type	_ZN2at6native12_GLOBAL__N_125multi_tensor_apply_kernelINS1_18TensorListMetadataILi1EEENS1_14UnaryOpFunctorIN3c108BFloat16ELi1ELi1ELi0EEEJNS0_4AsinIfEEEEEvT_T0_DpT1_,@function
_ZN2at6native12_GLOBAL__N_125multi_tensor_apply_kernelINS1_18TensorListMetadataILi1EEENS1_14UnaryOpFunctorIN3c108BFloat16ELi1ELi1ELi0EEEJNS0_4AsinIfEEEEEvT_T0_DpT1_: ; @_ZN2at6native12_GLOBAL__N_125multi_tensor_apply_kernelINS1_18TensorListMetadataILi1EEENS1_14UnaryOpFunctorIN3c108BFloat16ELi1ELi1ELi0EEEJNS0_4AsinIfEEEEEvT_T0_DpT1_
; %bb.0:
	v_mov_b32_e32 v1, s6
	global_load_ubyte v1, v1, s[4:5] offset:1760
	s_add_u32 s0, s4, s6
	s_mul_hi_u32 s1, s6, 3
	s_mul_i32 s6, s6, 3
	s_addc_u32 s2, s5, 0
	s_add_u32 s0, s0, s6
	s_addc_u32 s1, s2, s1
	s_load_dword s0, s[0:1], 0x820
	s_mov_b32 s7, 0
	s_waitcnt vmcnt(0)
	v_readfirstlane_b32 s1, v1
	s_lshl_b32 s1, s1, 3
	s_load_dwordx2 s[2:3], s[4:5], s1 offset:0x370
	s_load_dwordx2 s[10:11], s[4:5], s1 offset:0x0
	s_waitcnt lgkmcnt(0)
	s_ashr_i32 s1, s0, 31
	s_lshl_b64 s[12:13], s[0:1], 17
	s_lshl_b64 s[0:1], s[0:1], 16
	s_and_b32 s6, s10, 7
	s_sub_u32 s14, s2, s0
	s_subb_u32 s15, s3, s1
	s_and_b32 s0, s2, 3
	s_mov_b32 s1, s7
	s_or_b64 s[0:1], s[6:7], s[0:1]
	s_cmp_eq_u64 s[0:1], 0
	s_cbranch_scc1 .LBB64_21
; %bb.1:
	v_cmp_lt_i64_e64 s[0:1], s[14:15], 1
	s_and_b64 vcc, exec, s[0:1]
	s_cbranch_vccnz .LBB64_20
; %bb.2:
	v_mov_b32_e32 v1, 0x10000
	s_load_dword s2, s[4:5], 0xd3c
	v_mov_b32_e32 v2, 0
	v_cmp_lt_i64_e32 vcc, s[14:15], v[1:2]
	s_mov_b64 s[20:21], 0
	s_and_b64 s[0:1], vcc, exec
	v_cmp_lt_u64_e32 vcc, s[14:15], v[1:2]
	s_cselect_b32 s17, s15, 0
	s_cselect_b32 s16, s14, 0x10000
	s_waitcnt lgkmcnt(0)
	s_and_b32 s2, s2, 0xffff
	s_and_b64 s[0:1], vcc, exec
	s_cselect_b32 s19, s15, 0
	s_cselect_b32 s18, s14, 0x10000
	s_lshl_b32 s3, s2, 1
	s_lshl_b32 s24, s2, 2
	s_add_u32 s6, s10, s12
	v_lshlrev_b32_e32 v1, 1, v0
	s_addc_u32 s7, s11, s13
	v_mov_b32_e32 v2, s7
	v_add_co_u32_e32 v1, vcc, s6, v1
	s_mul_i32 s0, s2, 3
	v_addc_co_u32_e32 v2, vcc, 0, v2, vcc
	v_add_co_u32_e32 v5, vcc, s0, v0
	v_addc_co_u32_e64 v6, s[0:1], 0, 0, vcc
	v_add_co_u32_e32 v7, vcc, s3, v0
	v_addc_co_u32_e64 v8, s[0:1], 0, 0, vcc
	v_add_co_u32_e32 v9, vcc, s2, v0
	v_lshlrev_b32_e32 v3, 1, v9
	v_addc_co_u32_e64 v10, s[0:1], 0, 0, vcc
	v_mov_b32_e32 v4, s7
	v_add_co_u32_e32 v3, vcc, s6, v3
	s_lshl_b32 s25, s2, 3
	s_mul_i32 s26, s2, 6
	v_addc_co_u32_e32 v4, vcc, 0, v4, vcc
	v_mov_b32_e32 v11, 0x3d034c3c
	v_mov_b32_e32 v12, 0x3d3641b1
	;; [unrolled: 1-line block ×4, first 2 shown]
	s_brev_b32 s27, -2
	s_movk_i32 s28, 0x7fff
	v_mov_b32_e32 v15, 0x7fc0
	s_branch .LBB64_4
.LBB64_3:                               ;   in Loop: Header=BB64_4 Depth=1
	s_or_b64 exec, exec, s[2:3]
	s_add_u32 s20, s20, s24
	v_add_co_u32_e32 v1, vcc, s25, v1
	v_mov_b32_e32 v16, s16
	s_addc_u32 s21, s21, 0
	v_addc_co_u32_e32 v2, vcc, 0, v2, vcc
	v_mov_b32_e32 v17, s17
	v_cmp_lt_i64_e32 vcc, s[20:21], v[16:17]
	v_add_co_u32_e64 v3, s[0:1], s25, v3
	v_addc_co_u32_e64 v4, s[0:1], 0, v4, s[0:1]
	s_cbranch_vccz .LBB64_20
.LBB64_4:                               ; =>This Inner Loop Header: Depth=1
	v_mov_b32_e32 v17, s21
	v_add_co_u32_e32 v16, vcc, s20, v0
	v_addc_co_u32_e32 v17, vcc, 0, v17, vcc
	v_cmp_gt_u64_e32 vcc, s[18:19], v[16:17]
	v_mov_b32_e32 v19, 0
	s_and_saveexec_b64 s[0:1], vcc
	s_cbranch_execz .LBB64_6
; %bb.5:                                ;   in Loop: Header=BB64_4 Depth=1
	global_load_ushort v16, v[1:2], off
	s_waitcnt vmcnt(0)
	v_lshlrev_b32_e32 v19, 16, v16
.LBB64_6:                               ;   in Loop: Header=BB64_4 Depth=1
	s_or_b64 exec, exec, s[0:1]
	v_mov_b32_e32 v17, s21
	v_add_co_u32_e64 v16, s[0:1], s20, v9
	v_addc_co_u32_e64 v17, s[0:1], v10, v17, s[0:1]
	v_cmp_gt_u64_e64 s[6:7], s[18:19], v[16:17]
	v_mov_b32_e32 v16, 0
	v_mov_b32_e32 v18, 0
	s_and_saveexec_b64 s[0:1], s[6:7]
	s_cbranch_execz .LBB64_8
; %bb.7:                                ;   in Loop: Header=BB64_4 Depth=1
	global_load_ushort v17, v[3:4], off
	s_waitcnt vmcnt(0)
	v_lshlrev_b32_e32 v18, 16, v17
.LBB64_8:                               ;   in Loop: Header=BB64_4 Depth=1
	s_or_b64 exec, exec, s[0:1]
	v_mov_b32_e32 v17, s21
	v_add_co_u32_e64 v20, s[0:1], s20, v7
	v_addc_co_u32_e64 v21, s[0:1], v8, v17, s[0:1]
	v_cmp_gt_u64_e64 s[2:3], s[18:19], v[20:21]
	s_and_saveexec_b64 s[8:9], s[2:3]
	s_cbranch_execz .LBB64_10
; %bb.9:                                ;   in Loop: Header=BB64_4 Depth=1
	v_add_co_u32_e64 v16, s[0:1], s24, v1
	v_addc_co_u32_e64 v17, s[0:1], 0, v2, s[0:1]
	global_load_ushort v16, v[16:17], off
	s_waitcnt vmcnt(0)
	v_lshlrev_b32_e32 v16, 16, v16
.LBB64_10:                              ;   in Loop: Header=BB64_4 Depth=1
	s_or_b64 exec, exec, s[8:9]
	v_mov_b32_e32 v17, s21
	v_add_co_u32_e64 v20, s[0:1], s20, v5
	v_addc_co_u32_e64 v21, s[0:1], v6, v17, s[0:1]
	v_cmp_gt_u64_e64 s[0:1], s[18:19], v[20:21]
	v_mov_b32_e32 v17, 0
	s_and_saveexec_b64 s[22:23], s[0:1]
	s_cbranch_execnz .LBB64_15
; %bb.11:                               ;   in Loop: Header=BB64_4 Depth=1
	s_or_b64 exec, exec, s[22:23]
	s_and_saveexec_b64 s[8:9], vcc
	s_cbranch_execnz .LBB64_16
.LBB64_12:                              ;   in Loop: Header=BB64_4 Depth=1
	s_or_b64 exec, exec, s[8:9]
	s_and_saveexec_b64 s[8:9], s[6:7]
	s_cbranch_execnz .LBB64_17
.LBB64_13:                              ;   in Loop: Header=BB64_4 Depth=1
	s_or_b64 exec, exec, s[8:9]
	s_and_saveexec_b64 s[6:7], s[2:3]
	s_cbranch_execnz .LBB64_18
.LBB64_14:                              ;   in Loop: Header=BB64_4 Depth=1
	s_or_b64 exec, exec, s[6:7]
	s_and_saveexec_b64 s[2:3], s[0:1]
	s_cbranch_execz .LBB64_3
	s_branch .LBB64_19
.LBB64_15:                              ;   in Loop: Header=BB64_4 Depth=1
	v_add_co_u32_e64 v20, s[8:9], s26, v1
	v_addc_co_u32_e64 v21, s[8:9], 0, v2, s[8:9]
	global_load_ushort v17, v[20:21], off
	s_waitcnt vmcnt(0)
	v_lshlrev_b32_e32 v17, 16, v17
	s_or_b64 exec, exec, s[22:23]
	s_and_saveexec_b64 s[8:9], vcc
	s_cbranch_execz .LBB64_12
.LBB64_16:                              ;   in Loop: Header=BB64_4 Depth=1
	v_fma_f32 v20, |v19|, -0.5, 0.5
	v_mul_f32_e32 v21, v19, v19
	v_cmp_ge_f32_e64 vcc, |v19|, 0.5
	v_cndmask_b32_e32 v20, v21, v20, vcc
	v_mov_b32_e32 v21, 0x3c5fc5da
	v_fmac_f32_e32 v21, 0x3d1c21a7, v20
	v_fma_f32 v21, v20, v21, v11
	v_fma_f32 v21, v20, v21, v12
	v_sqrt_f32_e32 v22, v20
	v_fma_f32 v21, v20, v21, v13
	v_fma_f32 v21, v20, v21, v14
	v_mul_f32_e32 v20, v20, v21
	v_fmac_f32_e32 v22, v22, v20
	v_fma_f32 v21, |v19|, v20, |v19|
	v_add_f32_e32 v20, v22, v22
	v_sub_f32_e32 v20, 0x3fc90fdb, v20
	v_cmp_lt_f32_e64 vcc, |v19|, 0.5
	v_cndmask_b32_e32 v20, v20, v21, vcc
	v_bfi_b32 v19, s27, v20, v19
	v_bfe_u32 v20, v19, 16, 1
	v_add3_u32 v20, v19, v20, s28
	v_cmp_o_f32_e32 vcc, v19, v19
	v_cndmask_b32_sdwa v19, v15, v20, vcc dst_sel:DWORD dst_unused:UNUSED_PAD src0_sel:DWORD src1_sel:WORD_1
	global_store_short v[1:2], v19, off
	s_or_b64 exec, exec, s[8:9]
	s_and_saveexec_b64 s[8:9], s[6:7]
	s_cbranch_execz .LBB64_13
.LBB64_17:                              ;   in Loop: Header=BB64_4 Depth=1
	v_fma_f32 v19, |v18|, -0.5, 0.5
	v_mul_f32_e32 v20, v18, v18
	v_cmp_ge_f32_e64 vcc, |v18|, 0.5
	v_cndmask_b32_e32 v19, v20, v19, vcc
	v_mov_b32_e32 v20, 0x3c5fc5da
	v_fmac_f32_e32 v20, 0x3d1c21a7, v19
	v_fma_f32 v20, v19, v20, v11
	v_fma_f32 v20, v19, v20, v12
	v_sqrt_f32_e32 v21, v19
	v_fma_f32 v20, v19, v20, v13
	v_fma_f32 v20, v19, v20, v14
	v_mul_f32_e32 v19, v19, v20
	v_fmac_f32_e32 v21, v21, v19
	v_add_f32_e32 v20, v21, v21
	v_sub_f32_e32 v20, 0x3fc90fdb, v20
	v_fma_f32 v19, |v18|, v19, |v18|
	v_cmp_lt_f32_e64 vcc, |v18|, 0.5
	v_cndmask_b32_e32 v19, v20, v19, vcc
	v_bfi_b32 v18, s27, v19, v18
	v_bfe_u32 v19, v18, 16, 1
	v_add3_u32 v19, v18, v19, s28
	v_cmp_o_f32_e32 vcc, v18, v18
	v_cndmask_b32_sdwa v18, v15, v19, vcc dst_sel:DWORD dst_unused:UNUSED_PAD src0_sel:DWORD src1_sel:WORD_1
	global_store_short v[3:4], v18, off
	s_or_b64 exec, exec, s[8:9]
	s_and_saveexec_b64 s[6:7], s[2:3]
	s_cbranch_execz .LBB64_14
.LBB64_18:                              ;   in Loop: Header=BB64_4 Depth=1
	v_fma_f32 v18, |v16|, -0.5, 0.5
	v_mul_f32_e32 v19, v16, v16
	v_cmp_ge_f32_e64 vcc, |v16|, 0.5
	v_cndmask_b32_e32 v18, v19, v18, vcc
	v_mov_b32_e32 v19, 0x3c5fc5da
	v_fmac_f32_e32 v19, 0x3d1c21a7, v18
	v_fma_f32 v19, v18, v19, v11
	v_fma_f32 v19, v18, v19, v12
	v_sqrt_f32_e32 v20, v18
	v_fma_f32 v19, v18, v19, v13
	v_fma_f32 v19, v18, v19, v14
	v_mul_f32_e32 v18, v18, v19
	v_fmac_f32_e32 v20, v20, v18
	v_add_f32_e32 v19, v20, v20
	v_sub_f32_e32 v19, 0x3fc90fdb, v19
	v_fma_f32 v18, |v16|, v18, |v16|
	v_cmp_lt_f32_e64 vcc, |v16|, 0.5
	v_cndmask_b32_e32 v18, v19, v18, vcc
	v_bfi_b32 v16, s27, v18, v16
	v_bfe_u32 v18, v16, 16, 1
	v_add3_u32 v18, v16, v18, s28
	v_cmp_o_f32_e32 vcc, v16, v16
	v_cndmask_b32_sdwa v16, v15, v18, vcc dst_sel:DWORD dst_unused:UNUSED_PAD src0_sel:DWORD src1_sel:WORD_1
	v_add_co_u32_e32 v18, vcc, s24, v1
	v_addc_co_u32_e32 v19, vcc, 0, v2, vcc
	global_store_short v[18:19], v16, off
	s_or_b64 exec, exec, s[6:7]
	s_and_saveexec_b64 s[2:3], s[0:1]
	s_cbranch_execz .LBB64_3
.LBB64_19:                              ;   in Loop: Header=BB64_4 Depth=1
	v_fma_f32 v16, |v17|, -0.5, 0.5
	v_mul_f32_e32 v18, v17, v17
	v_cmp_ge_f32_e64 vcc, |v17|, 0.5
	v_cndmask_b32_e32 v16, v18, v16, vcc
	v_mov_b32_e32 v18, 0x3c5fc5da
	v_fmac_f32_e32 v18, 0x3d1c21a7, v16
	v_fma_f32 v18, v16, v18, v11
	v_fma_f32 v18, v16, v18, v12
	v_sqrt_f32_e32 v19, v16
	v_fma_f32 v18, v16, v18, v13
	v_fma_f32 v18, v16, v18, v14
	v_mul_f32_e32 v16, v16, v18
	v_fmac_f32_e32 v19, v19, v16
	v_add_f32_e32 v18, v19, v19
	v_sub_f32_e32 v18, 0x3fc90fdb, v18
	v_fma_f32 v16, |v17|, v16, |v17|
	v_cmp_lt_f32_e64 vcc, |v17|, 0.5
	v_cndmask_b32_e32 v16, v18, v16, vcc
	v_bfi_b32 v16, s27, v16, v17
	v_bfe_u32 v17, v16, 16, 1
	v_add3_u32 v17, v16, v17, s28
	v_cmp_o_f32_e32 vcc, v16, v16
	v_cndmask_b32_sdwa v18, v15, v17, vcc dst_sel:DWORD dst_unused:UNUSED_PAD src0_sel:DWORD src1_sel:WORD_1
	v_add_co_u32_e32 v16, vcc, s26, v1
	v_addc_co_u32_e32 v17, vcc, 0, v2, vcc
	global_store_short v[16:17], v18, off
	s_branch .LBB64_3
.LBB64_20:
	s_cbranch_execz .LBB64_22
	s_branch .LBB64_25
.LBB64_21:
.LBB64_22:
	v_mov_b32_e32 v1, 0x10000
	v_mov_b32_e32 v2, 0
	v_cmp_lt_i64_e32 vcc, s[14:15], v[1:2]
	v_mov_b32_e32 v2, 0
	s_and_b64 s[0:1], vcc, exec
	s_cselect_b32 s1, s15, 0
	s_cselect_b32 s0, s14, 0x10000
	v_lshlrev_b32_e32 v1, 2, v0
	v_cmp_gt_i64_e32 vcc, s[0:1], v[1:2]
	s_and_saveexec_b64 s[2:3], vcc
	s_cbranch_execz .LBB64_25
; %bb.23:
	s_load_dword s2, s[4:5], 0xd3c
	v_mov_b32_e32 v1, v2
	v_lshlrev_b32_e32 v2, 3, v0
	v_mov_b32_e32 v4, 0x3d034c3c
	v_mov_b32_e32 v5, 0x3d3641b1
	s_waitcnt lgkmcnt(0)
	s_and_b32 s4, s2, 0xffff
	s_add_u32 s2, s10, s12
	s_addc_u32 s3, s11, s13
	v_mov_b32_e32 v3, s3
	v_add_co_u32_e32 v2, vcc, s2, v2
	v_addc_co_u32_e32 v3, vcc, 0, v3, vcc
	s_lshl_b32 s5, s4, 3
	s_mov_b64 s[2:3], 0
	v_mov_b32_e32 v6, 0x3d999bc8
	v_mov_b32_e32 v7, 0x3e2aaaac
	s_brev_b32 s6, -2
	s_movk_i32 s7, 0x7fff
	v_mov_b32_e32 v8, 0x7fc00000
	v_mov_b32_e32 v9, 0x7fc0
.LBB64_24:                              ; =>This Inner Loop Header: Depth=1
	global_load_dwordx2 v[10:11], v[2:3], off
	v_mov_b32_e32 v12, 0x3c5fc5da
	s_waitcnt vmcnt(0)
	v_lshlrev_b32_e32 v14, 16, v10
	v_and_b32_e32 v13, 0xffff0000, v10
	v_fma_f32 v15, |v14|, -0.5, 0.5
	v_mul_f32_e32 v16, v14, v14
	v_cmp_ge_f32_e64 vcc, |v14|, 0.5
	v_alignbit_b32 v10, v11, v10, 16
	v_and_b32_e32 v11, 0xffff0000, v11
	v_fma_f32 v17, |v13|, -0.5, 0.5
	v_mul_f32_e32 v18, v13, v13
	v_cndmask_b32_e32 v15, v16, v15, vcc
	v_cmp_ge_f32_e64 vcc, |v13|, 0.5
	v_and_b32_e32 v10, 0xffff0000, v10
	v_fma_f32 v19, |v11|, -0.5, 0.5
	v_mul_f32_e32 v16, v11, v11
	v_cndmask_b32_e32 v17, v18, v17, vcc
	v_cmp_ge_f32_e64 vcc, |v11|, 0.5
	v_fma_f32 v18, |v10|, -0.5, 0.5
	v_cndmask_b32_e32 v16, v16, v19, vcc
	v_mul_f32_e32 v19, v10, v10
	v_cmp_ge_f32_e64 vcc, |v10|, 0.5
	v_cndmask_b32_e32 v18, v19, v18, vcc
	v_mov_b32_e32 v19, 0x3c5fc5da
	v_fmac_f32_e32 v12, 0x3d1c21a7, v15
	v_fma_f32 v12, v15, v12, v4
	v_fmac_f32_e32 v19, 0x3d1c21a7, v17
	v_fma_f32 v12, v15, v12, v5
	v_fma_f32 v19, v17, v19, v4
	;; [unrolled: 1-line block ×6, first 2 shown]
	v_mul_f32_e32 v12, v15, v12
	v_sqrt_f32_e32 v15, v15
	v_fma_f32 v19, v17, v19, v7
	v_mul_f32_e32 v19, v17, v19
	v_sqrt_f32_e32 v17, v17
	v_fmac_f32_e32 v15, v15, v12
	v_add_f32_e32 v15, v15, v15
	v_fma_f32 v12, |v14|, v12, |v14|
	v_fmac_f32_e32 v17, v17, v19
	v_sub_f32_e32 v15, 0x3fc90fdb, v15
	v_cmp_lt_f32_e64 vcc, |v14|, 0.5
	v_add_f32_e32 v17, v17, v17
	v_cndmask_b32_e32 v12, v15, v12, vcc
	v_fma_f32 v19, |v13|, v19, |v13|
	v_sub_f32_e32 v17, 0x3fc90fdb, v17
	v_cmp_lt_f32_e64 vcc, |v13|, 0.5
	v_cndmask_b32_e32 v17, v17, v19, vcc
	v_mov_b32_e32 v19, 0x3c5fc5da
	v_mov_b32_e32 v15, 0x3c5fc5da
	v_fmac_f32_e32 v19, 0x3d1c21a7, v16
	v_fma_f32 v19, v16, v19, v4
	v_fmac_f32_e32 v15, 0x3d1c21a7, v18
	v_fma_f32 v19, v16, v19, v5
	v_fma_f32 v15, v18, v15, v4
	;; [unrolled: 1-line block ×6, first 2 shown]
	v_mul_f32_e32 v19, v16, v19
	v_sqrt_f32_e32 v16, v16
	v_fma_f32 v15, v18, v15, v7
	v_mul_f32_e32 v15, v18, v15
	v_sqrt_f32_e32 v18, v18
	v_fmac_f32_e32 v16, v16, v19
	v_add_f32_e32 v16, v16, v16
	v_fma_f32 v19, |v11|, v19, |v11|
	v_fmac_f32_e32 v18, v18, v15
	v_add_f32_e32 v18, v18, v18
	v_sub_f32_e32 v16, 0x3fc90fdb, v16
	v_cmp_lt_f32_e64 vcc, |v11|, 0.5
	v_fma_f32 v15, |v10|, v15, |v10|
	v_sub_f32_e32 v18, 0x3fc90fdb, v18
	v_cndmask_b32_e32 v16, v16, v19, vcc
	v_cmp_lt_f32_e64 vcc, |v10|, 0.5
	v_bfi_b32 v12, s6, v12, v14
	v_cndmask_b32_e32 v14, v18, v15, vcc
	v_bfi_b32 v11, s6, v16, v11
	v_bfi_b32 v10, s6, v14, v10
	v_bfe_u32 v14, v11, 16, 1
	v_bfi_b32 v13, s6, v17, v13
	v_bfe_u32 v17, v10, 16, 1
	v_add3_u32 v14, v11, v14, s7
	v_bfe_u32 v16, v13, 16, 1
	v_add3_u32 v17, v10, v17, s7
	v_and_b32_e32 v14, 0xffff0000, v14
	v_cmp_o_f32_e32 vcc, v11, v11
	v_bfe_u32 v15, v12, 16, 1
	v_add3_u32 v16, v13, v16, s7
	v_lshrrev_b32_e32 v17, 16, v17
	v_cndmask_b32_e32 v11, v8, v14, vcc
	v_cmp_o_f32_e32 vcc, v10, v10
	v_add3_u32 v15, v12, v15, s7
	v_and_b32_e32 v16, 0xffff0000, v16
	v_cndmask_b32_e32 v10, v9, v17, vcc
	v_cmp_o_f32_e32 vcc, v13, v13
	v_lshrrev_b32_e32 v15, 16, v15
	v_cndmask_b32_e32 v13, v8, v16, vcc
	v_cmp_o_f32_e32 vcc, v12, v12
	v_cndmask_b32_e32 v12, v9, v15, vcc
	v_add_co_u32_e32 v0, vcc, s4, v0
	v_addc_co_u32_e32 v1, vcc, 0, v1, vcc
	v_or_b32_e32 v14, v12, v13
	v_lshlrev_b64 v[12:13], 2, v[0:1]
	v_or3_b32 v11, 0, v10, v11
	v_cmp_le_i64_e32 vcc, s[0:1], v[12:13]
	v_or3_b32 v10, v14, 0, 0
	global_store_dwordx2 v[2:3], v[10:11], off
	s_or_b64 s[2:3], vcc, s[2:3]
	v_add_co_u32_e32 v2, vcc, s5, v2
	v_addc_co_u32_e32 v3, vcc, 0, v3, vcc
	s_andn2_b64 exec, exec, s[2:3]
	s_cbranch_execnz .LBB64_24
.LBB64_25:
	s_endpgm
	.section	.rodata,"a",@progbits
	.p2align	6, 0x0
	.amdhsa_kernel _ZN2at6native12_GLOBAL__N_125multi_tensor_apply_kernelINS1_18TensorListMetadataILi1EEENS1_14UnaryOpFunctorIN3c108BFloat16ELi1ELi1ELi0EEEJNS0_4AsinIfEEEEEvT_T0_DpT1_
		.amdhsa_group_segment_fixed_size 0
		.amdhsa_private_segment_fixed_size 0
		.amdhsa_kernarg_size 3632
		.amdhsa_user_sgpr_count 6
		.amdhsa_user_sgpr_private_segment_buffer 1
		.amdhsa_user_sgpr_dispatch_ptr 0
		.amdhsa_user_sgpr_queue_ptr 0
		.amdhsa_user_sgpr_kernarg_segment_ptr 1
		.amdhsa_user_sgpr_dispatch_id 0
		.amdhsa_user_sgpr_flat_scratch_init 0
		.amdhsa_user_sgpr_private_segment_size 0
		.amdhsa_uses_dynamic_stack 0
		.amdhsa_system_sgpr_private_segment_wavefront_offset 0
		.amdhsa_system_sgpr_workgroup_id_x 1
		.amdhsa_system_sgpr_workgroup_id_y 0
		.amdhsa_system_sgpr_workgroup_id_z 0
		.amdhsa_system_sgpr_workgroup_info 0
		.amdhsa_system_vgpr_workitem_id 0
		.amdhsa_next_free_vgpr 23
		.amdhsa_next_free_sgpr 29
		.amdhsa_reserve_vcc 1
		.amdhsa_reserve_flat_scratch 0
		.amdhsa_float_round_mode_32 0
		.amdhsa_float_round_mode_16_64 0
		.amdhsa_float_denorm_mode_32 3
		.amdhsa_float_denorm_mode_16_64 3
		.amdhsa_dx10_clamp 1
		.amdhsa_ieee_mode 1
		.amdhsa_fp16_overflow 0
		.amdhsa_exception_fp_ieee_invalid_op 0
		.amdhsa_exception_fp_denorm_src 0
		.amdhsa_exception_fp_ieee_div_zero 0
		.amdhsa_exception_fp_ieee_overflow 0
		.amdhsa_exception_fp_ieee_underflow 0
		.amdhsa_exception_fp_ieee_inexact 0
		.amdhsa_exception_int_div_zero 0
	.end_amdhsa_kernel
	.section	.text._ZN2at6native12_GLOBAL__N_125multi_tensor_apply_kernelINS1_18TensorListMetadataILi1EEENS1_14UnaryOpFunctorIN3c108BFloat16ELi1ELi1ELi0EEEJNS0_4AsinIfEEEEEvT_T0_DpT1_,"axG",@progbits,_ZN2at6native12_GLOBAL__N_125multi_tensor_apply_kernelINS1_18TensorListMetadataILi1EEENS1_14UnaryOpFunctorIN3c108BFloat16ELi1ELi1ELi0EEEJNS0_4AsinIfEEEEEvT_T0_DpT1_,comdat
.Lfunc_end64:
	.size	_ZN2at6native12_GLOBAL__N_125multi_tensor_apply_kernelINS1_18TensorListMetadataILi1EEENS1_14UnaryOpFunctorIN3c108BFloat16ELi1ELi1ELi0EEEJNS0_4AsinIfEEEEEvT_T0_DpT1_, .Lfunc_end64-_ZN2at6native12_GLOBAL__N_125multi_tensor_apply_kernelINS1_18TensorListMetadataILi1EEENS1_14UnaryOpFunctorIN3c108BFloat16ELi1ELi1ELi0EEEJNS0_4AsinIfEEEEEvT_T0_DpT1_
                                        ; -- End function
	.set _ZN2at6native12_GLOBAL__N_125multi_tensor_apply_kernelINS1_18TensorListMetadataILi1EEENS1_14UnaryOpFunctorIN3c108BFloat16ELi1ELi1ELi0EEEJNS0_4AsinIfEEEEEvT_T0_DpT1_.num_vgpr, 23
	.set _ZN2at6native12_GLOBAL__N_125multi_tensor_apply_kernelINS1_18TensorListMetadataILi1EEENS1_14UnaryOpFunctorIN3c108BFloat16ELi1ELi1ELi0EEEJNS0_4AsinIfEEEEEvT_T0_DpT1_.num_agpr, 0
	.set _ZN2at6native12_GLOBAL__N_125multi_tensor_apply_kernelINS1_18TensorListMetadataILi1EEENS1_14UnaryOpFunctorIN3c108BFloat16ELi1ELi1ELi0EEEJNS0_4AsinIfEEEEEvT_T0_DpT1_.numbered_sgpr, 29
	.set _ZN2at6native12_GLOBAL__N_125multi_tensor_apply_kernelINS1_18TensorListMetadataILi1EEENS1_14UnaryOpFunctorIN3c108BFloat16ELi1ELi1ELi0EEEJNS0_4AsinIfEEEEEvT_T0_DpT1_.num_named_barrier, 0
	.set _ZN2at6native12_GLOBAL__N_125multi_tensor_apply_kernelINS1_18TensorListMetadataILi1EEENS1_14UnaryOpFunctorIN3c108BFloat16ELi1ELi1ELi0EEEJNS0_4AsinIfEEEEEvT_T0_DpT1_.private_seg_size, 0
	.set _ZN2at6native12_GLOBAL__N_125multi_tensor_apply_kernelINS1_18TensorListMetadataILi1EEENS1_14UnaryOpFunctorIN3c108BFloat16ELi1ELi1ELi0EEEJNS0_4AsinIfEEEEEvT_T0_DpT1_.uses_vcc, 1
	.set _ZN2at6native12_GLOBAL__N_125multi_tensor_apply_kernelINS1_18TensorListMetadataILi1EEENS1_14UnaryOpFunctorIN3c108BFloat16ELi1ELi1ELi0EEEJNS0_4AsinIfEEEEEvT_T0_DpT1_.uses_flat_scratch, 0
	.set _ZN2at6native12_GLOBAL__N_125multi_tensor_apply_kernelINS1_18TensorListMetadataILi1EEENS1_14UnaryOpFunctorIN3c108BFloat16ELi1ELi1ELi0EEEJNS0_4AsinIfEEEEEvT_T0_DpT1_.has_dyn_sized_stack, 0
	.set _ZN2at6native12_GLOBAL__N_125multi_tensor_apply_kernelINS1_18TensorListMetadataILi1EEENS1_14UnaryOpFunctorIN3c108BFloat16ELi1ELi1ELi0EEEJNS0_4AsinIfEEEEEvT_T0_DpT1_.has_recursion, 0
	.set _ZN2at6native12_GLOBAL__N_125multi_tensor_apply_kernelINS1_18TensorListMetadataILi1EEENS1_14UnaryOpFunctorIN3c108BFloat16ELi1ELi1ELi0EEEJNS0_4AsinIfEEEEEvT_T0_DpT1_.has_indirect_call, 0
	.section	.AMDGPU.csdata,"",@progbits
; Kernel info:
; codeLenInByte = 2340
; TotalNumSgprs: 33
; NumVgprs: 23
; ScratchSize: 0
; MemoryBound: 0
; FloatMode: 240
; IeeeMode: 1
; LDSByteSize: 0 bytes/workgroup (compile time only)
; SGPRBlocks: 4
; VGPRBlocks: 5
; NumSGPRsForWavesPerEU: 33
; NumVGPRsForWavesPerEU: 23
; Occupancy: 10
; WaveLimiterHint : 0
; COMPUTE_PGM_RSRC2:SCRATCH_EN: 0
; COMPUTE_PGM_RSRC2:USER_SGPR: 6
; COMPUTE_PGM_RSRC2:TRAP_HANDLER: 0
; COMPUTE_PGM_RSRC2:TGID_X_EN: 1
; COMPUTE_PGM_RSRC2:TGID_Y_EN: 0
; COMPUTE_PGM_RSRC2:TGID_Z_EN: 0
; COMPUTE_PGM_RSRC2:TIDIG_COMP_CNT: 0
	.section	.text._ZN2at6native12_GLOBAL__N_125multi_tensor_apply_kernelINS1_18TensorListMetadataILi2EEENS1_14UnaryOpFunctorIdLi2ELi1ELi1EEEJNS0_4AtanIdEEEEEvT_T0_DpT1_,"axG",@progbits,_ZN2at6native12_GLOBAL__N_125multi_tensor_apply_kernelINS1_18TensorListMetadataILi2EEENS1_14UnaryOpFunctorIdLi2ELi1ELi1EEEJNS0_4AtanIdEEEEEvT_T0_DpT1_,comdat
	.globl	_ZN2at6native12_GLOBAL__N_125multi_tensor_apply_kernelINS1_18TensorListMetadataILi2EEENS1_14UnaryOpFunctorIdLi2ELi1ELi1EEEJNS0_4AtanIdEEEEEvT_T0_DpT1_ ; -- Begin function _ZN2at6native12_GLOBAL__N_125multi_tensor_apply_kernelINS1_18TensorListMetadataILi2EEENS1_14UnaryOpFunctorIdLi2ELi1ELi1EEEJNS0_4AtanIdEEEEEvT_T0_DpT1_
	.p2align	8
	.type	_ZN2at6native12_GLOBAL__N_125multi_tensor_apply_kernelINS1_18TensorListMetadataILi2EEENS1_14UnaryOpFunctorIdLi2ELi1ELi1EEEJNS0_4AtanIdEEEEEvT_T0_DpT1_,@function
_ZN2at6native12_GLOBAL__N_125multi_tensor_apply_kernelINS1_18TensorListMetadataILi2EEENS1_14UnaryOpFunctorIdLi2ELi1ELi1EEEJNS0_4AtanIdEEEEEvT_T0_DpT1_: ; @_ZN2at6native12_GLOBAL__N_125multi_tensor_apply_kernelINS1_18TensorListMetadataILi2EEENS1_14UnaryOpFunctorIdLi2ELi1ELi1EEEJNS0_4AtanIdEEEEEvT_T0_DpT1_
; %bb.0:
	v_mov_b32_e32 v1, s6
	global_load_ubyte v1, v1, s[4:5] offset:1536
	s_add_u32 s0, s4, s6
	s_mul_hi_u32 s2, s6, 3
	s_mul_i32 s6, s6, 3
	s_addc_u32 s7, s5, 0
	s_add_u32 s6, s0, s6
	s_addc_u32 s7, s7, s2
	s_load_dword s6, s[6:7], 0x740
	s_mov_b32 s1, 0
	s_mov_b32 s3, s1
	s_waitcnt lgkmcnt(0)
	s_ashr_i32 s7, s6, 31
	s_lshl_b64 s[10:11], s[6:7], 19
	s_lshl_b64 s[6:7], s[6:7], 16
	s_waitcnt vmcnt(0)
	v_readfirstlane_b32 s0, v1
	s_lshl_b32 s0, s0, 3
	s_load_dwordx2 s[8:9], s[4:5], s0 offset:0x400
	s_load_dwordx2 s[14:15], s[4:5], s0 offset:0x0
	;; [unrolled: 1-line block ×3, first 2 shown]
	s_waitcnt lgkmcnt(0)
	s_add_u32 s0, s14, s10
	s_and_b32 s2, s12, 31
	s_and_b32 s0, s0, 31
	s_sub_u32 s16, s8, s6
	s_subb_u32 s17, s9, s7
	s_and_b32 s6, s8, 3
	s_mov_b32 s7, s1
	s_or_b64 s[2:3], s[2:3], s[6:7]
	s_or_b64 s[0:1], s[2:3], s[0:1]
	s_cmp_eq_u64 s[0:1], 0
	s_mov_b64 s[0:1], -1
	s_cbranch_scc0 .LBB65_5
; %bb.1:
	v_mov_b32_e32 v1, 0x10000
	v_mov_b32_e32 v2, 0
	v_cmp_lt_i64_e32 vcc, s[16:17], v[1:2]
	v_mov_b32_e32 v2, 0
	s_and_b64 s[0:1], vcc, exec
	s_cselect_b32 s19, s17, 0
	s_cselect_b32 s18, s16, 0x10000
	v_lshlrev_b32_e32 v1, 2, v0
	v_cmp_gt_i64_e32 vcc, s[18:19], v[1:2]
	s_and_saveexec_b64 s[20:21], vcc
	s_cbranch_execz .LBB65_4
; %bb.2:
	s_load_dword s0, s[4:5], 0xc5c
	v_mov_b32_e32 v1, v2
	v_lshlrev_b32_e32 v2, 5, v0
	v_mov_b32_e32 v3, s11
	v_add_co_u32_e32 v10, vcc, s10, v2
	s_waitcnt lgkmcnt(0)
	s_and_b32 s33, s0, 0xffff
	s_mov_b32 s0, 0xbd3237f4
	s_mov_b32 s1, 0xbf23e260
	v_addc_co_u32_e32 v11, vcc, 0, v3, vcc
	v_mov_b32_e32 v3, s1
	v_mov_b32_e32 v2, s0
	s_mov_b32 s0, 0xeeb562d6
	s_mov_b32 s1, 0x3ffaf154
	;; [unrolled: 1-line block ×22, first 2 shown]
	v_mov_b32_e32 v5, s1
	v_mov_b32_e32 v7, v1
	s_lshl_b32 s66, s33, 5
	s_mov_b64 s[22:23], 0
	v_mov_b32_e32 v12, s15
	s_brev_b32 s67, -2
	s_mov_b32 s25, 0x3eeba404
	s_mov_b32 s27, 0x3f4b2bb0
	;; [unrolled: 1-line block ×20, first 2 shown]
	v_mov_b32_e32 v4, s0
	v_mov_b32_e32 v13, s13
	;; [unrolled: 1-line block ×3, first 2 shown]
.LBB65_3:                               ; =>This Inner Loop Header: Depth=1
	v_add_co_u32_e32 v8, vcc, s14, v10
	v_addc_co_u32_e32 v9, vcc, v12, v11, vcc
	global_load_dwordx4 v[14:17], v[8:9], off
	global_load_dwordx4 v[18:21], v[8:9], off offset:16
	v_add_co_u32_e32 v6, vcc, s33, v6
	v_addc_co_u32_e32 v7, vcc, 0, v7, vcc
	v_lshlrev_b64 v[8:9], 2, v[6:7]
	v_cmp_le_i64_e64 s[0:1], s[18:19], v[8:9]
	s_or_b64 s[22:23], s[0:1], s[22:23]
	s_waitcnt vmcnt(1)
	v_and_b32_e32 v9, 0x7fffffff, v15
	v_mov_b32_e32 v8, v14
	v_div_scale_f64 v[28:29], s[2:3], v[8:9], v[8:9], 1.0
	v_div_scale_f64 v[30:31], vcc, 1.0, v[8:9], 1.0
	v_and_b32_e32 v23, 0x7fffffff, v17
	v_mov_b32_e32 v22, v16
	v_div_scale_f64 v[32:33], s[2:3], v[22:23], v[22:23], 1.0
	v_div_scale_f64 v[34:35], s[2:3], 1.0, v[22:23], 1.0
	s_waitcnt vmcnt(0)
	v_and_b32_e32 v25, 0x7fffffff, v19
	v_mov_b32_e32 v24, v18
	v_div_scale_f64 v[36:37], s[6:7], v[24:25], v[24:25], 1.0
	v_and_b32_e32 v27, 0x7fffffff, v21
	v_mov_b32_e32 v26, v20
	v_rcp_f64_e32 v[42:43], v[28:29]
	v_div_scale_f64 v[40:41], s[8:9], v[26:27], v[26:27], 1.0
	v_div_scale_f64 v[38:39], s[6:7], 1.0, v[24:25], 1.0
	v_cmp_gt_f64_e64 s[0:1], |v[18:19]|, 1.0
	v_fma_f64 v[44:45], -v[28:29], v[42:43], 1.0
	v_fma_f64 v[42:43], v[42:43], v[44:45], v[42:43]
	v_fma_f64 v[44:45], -v[28:29], v[42:43], 1.0
	v_fma_f64 v[42:43], v[42:43], v[44:45], v[42:43]
	v_mul_f64 v[44:45], v[30:31], v[42:43]
	v_fma_f64 v[28:29], -v[28:29], v[44:45], v[30:31]
	v_div_scale_f64 v[30:31], s[8:9], 1.0, v[26:27], 1.0
	v_div_fmas_f64 v[28:29], v[28:29], v[42:43], v[44:45]
	v_rcp_f64_e32 v[42:43], v[32:33]
	s_mov_b64 vcc, s[2:3]
	v_cmp_gt_f64_e64 s[2:3], |v[16:17]|, 1.0
	v_div_fixup_f64 v[28:29], v[28:29], |v[14:15]|, 1.0
	v_fma_f64 v[44:45], -v[32:33], v[42:43], 1.0
	v_fma_f64 v[42:43], v[42:43], v[44:45], v[42:43]
	v_fma_f64 v[44:45], -v[32:33], v[42:43], 1.0
	v_fma_f64 v[42:43], v[42:43], v[44:45], v[42:43]
	v_mul_f64 v[44:45], v[34:35], v[42:43]
	v_fma_f64 v[32:33], -v[32:33], v[44:45], v[34:35]
	v_rcp_f64_e32 v[34:35], v[36:37]
	v_div_fmas_f64 v[32:33], v[32:33], v[42:43], v[44:45]
	v_rcp_f64_e32 v[42:43], v[40:41]
	v_fma_f64 v[44:45], -v[36:37], v[34:35], 1.0
	v_div_fixup_f64 v[32:33], v[32:33], |v[16:17]|, 1.0
	v_fma_f64 v[34:35], v[34:35], v[44:45], v[34:35]
	v_fma_f64 v[44:45], -v[40:41], v[42:43], 1.0
	v_cndmask_b32_e64 v23, v23, v33, s[2:3]
	v_cndmask_b32_e64 v22, v16, v32, s[2:3]
	v_fma_f64 v[42:43], v[42:43], v[44:45], v[42:43]
	v_fma_f64 v[44:45], -v[36:37], v[34:35], 1.0
	v_mul_f64 v[32:33], v[22:23], v[22:23]
	v_fma_f64 v[34:35], v[34:35], v[44:45], v[34:35]
	v_fma_f64 v[44:45], -v[40:41], v[42:43], 1.0
	v_fma_f64 v[42:43], v[42:43], v[44:45], v[42:43]
	v_mul_f64 v[44:45], v[38:39], v[34:35]
	v_fma_f64 v[36:37], -v[36:37], v[44:45], v[38:39]
	v_mul_f64 v[38:39], v[30:31], v[42:43]
	v_fma_f64 v[30:31], -v[40:41], v[38:39], v[30:31]
	v_add_co_u32_e32 v40, vcc, s12, v10
	v_addc_co_u32_e32 v41, vcc, v13, v11, vcc
	v_add_co_u32_e32 v10, vcc, s66, v10
	v_addc_co_u32_e32 v11, vcc, 0, v11, vcc
	s_mov_b64 vcc, s[6:7]
	v_cmp_gt_f64_e64 s[6:7], |v[14:15]|, 1.0
	v_cndmask_b32_e64 v9, v9, v29, s[6:7]
	s_nop 0
	v_div_fmas_f64 v[34:35], v[36:37], v[34:35], v[44:45]
	s_mov_b64 vcc, s[8:9]
	v_div_fmas_f64 v[30:31], v[30:31], v[42:43], v[38:39]
	v_cmp_gt_f64_e64 vcc, |v[20:21]|, 1.0
	v_cndmask_b32_e64 v8, v14, v28, s[6:7]
	v_mul_f64 v[28:29], v[8:9], v[8:9]
	v_fma_f64 v[38:39], v[32:33], s[24:25], v[2:3]
	v_fma_f64 v[36:37], v[28:29], s[24:25], v[2:3]
	;; [unrolled: 1-line block ×3, first 2 shown]
	v_div_fixup_f64 v[34:35], v[34:35], |v[18:19]|, 1.0
	v_div_fixup_f64 v[30:31], v[30:31], |v[20:21]|, 1.0
	v_fma_f64 v[36:37], v[28:29], v[36:37], s[26:27]
	v_fma_f64 v[38:39], v[32:33], v[38:39], s[28:29]
	v_cndmask_b32_e64 v25, v25, v35, s[0:1]
	v_cndmask_b32_e64 v24, v18, v34, s[0:1]
	v_mul_f64 v[34:35], v[24:25], v[24:25]
	v_cndmask_b32_e32 v27, v27, v31, vcc
	v_cndmask_b32_e32 v26, v20, v30, vcc
	v_mul_f64 v[30:31], v[26:27], v[26:27]
	v_fma_f64 v[36:37], v[28:29], v[36:37], s[28:29]
	v_fma_f64 v[38:39], v[32:33], v[38:39], s[30:31]
	;; [unrolled: 1-line block ×65, first 2 shown]
	v_mul_f64 v[32:33], v[32:33], v[38:39]
	v_fma_f64 v[42:43], v[34:35], v[42:43], s[58:59]
	v_fma_f64 v[44:45], v[30:31], v[44:45], s[58:59]
	v_mul_f64 v[28:29], v[28:29], v[36:37]
	v_fma_f64 v[22:23], v[22:23], v[32:33], v[22:23]
	v_fma_f64 v[42:43], v[34:35], v[42:43], s[60:61]
	v_fma_f64 v[44:45], v[30:31], v[44:45], s[60:61]
	v_fma_f64 v[8:9], v[8:9], v[28:29], v[8:9]
	v_fma_f64 v[42:43], v[34:35], v[42:43], s[62:63]
	v_fma_f64 v[44:45], v[30:31], v[44:45], s[62:63]
	v_fma_f64 v[28:29], s[64:65], v[4:5], -v[8:9]
	v_mul_f64 v[34:35], v[34:35], v[42:43]
	v_mul_f64 v[30:31], v[30:31], v[44:45]
	v_cndmask_b32_e64 v1, v9, v29, s[6:7]
	v_bfi_b32 v15, s67, v1, v15
	v_cndmask_b32_e64 v14, v8, v28, s[6:7]
	v_fma_f64 v[24:25], v[24:25], v[34:35], v[24:25]
	v_fma_f64 v[26:27], v[26:27], v[30:31], v[26:27]
	v_fma_f64 v[30:31], s[64:65], v[4:5], -v[22:23]
	v_fma_f64 v[32:33], s[64:65], v[4:5], -v[24:25]
	;; [unrolled: 1-line block ×3, first 2 shown]
	v_cndmask_b32_e64 v1, v23, v31, s[2:3]
	v_bfi_b32 v17, s67, v1, v17
	v_cndmask_b32_e64 v16, v22, v30, s[2:3]
	global_store_dwordx4 v[40:41], v[14:17], off
	v_cndmask_b32_e64 v1, v25, v33, s[0:1]
	v_bfi_b32 v19, s67, v1, v19
	v_cndmask_b32_e64 v18, v24, v32, s[0:1]
	v_cndmask_b32_e32 v1, v27, v35, vcc
	v_cndmask_b32_e32 v20, v26, v34, vcc
	v_bfi_b32 v21, s67, v1, v21
	global_store_dwordx4 v[40:41], v[18:21], off offset:16
	s_andn2_b64 exec, exec, s[22:23]
	s_cbranch_execnz .LBB65_3
.LBB65_4:
	s_or_b64 exec, exec, s[20:21]
	s_mov_b64 s[0:1], 0
.LBB65_5:
	s_andn2_b64 vcc, exec, s[0:1]
	s_cbranch_vccnz .LBB65_25
; %bb.6:
	v_cmp_lt_i64_e64 s[0:1], s[16:17], 1
	s_and_b64 vcc, exec, s[0:1]
	s_cbranch_vccnz .LBB65_25
; %bb.7:
	v_mov_b32_e32 v1, 0x10000
	s_load_dword s2, s[4:5], 0xc5c
	v_mov_b32_e32 v2, 0
	v_cmp_lt_i64_e32 vcc, s[16:17], v[1:2]
	v_mov_b32_e32 v3, 0
	s_and_b64 s[0:1], vcc, exec
	v_cmp_lt_u64_e32 vcc, s[16:17], v[1:2]
	s_cselect_b32 s9, s17, 0
	s_cselect_b32 s8, s16, 0x10000
	s_waitcnt lgkmcnt(0)
	s_and_b32 s2, s2, 0xffff
	v_lshlrev_b32_e32 v2, 3, v0
	s_and_b64 s[0:1], vcc, exec
	v_mov_b32_e32 v1, s15
	v_add_co_u32_e32 v13, vcc, s14, v2
	v_mad_u64_u32 v[3:4], s[0:1], s2, 24, v[2:3]
	v_addc_co_u32_e32 v14, vcc, 0, v1, vcc
	v_mov_b32_e32 v1, s13
	v_add_co_u32_e32 v15, vcc, s12, v2
	v_addc_co_u32_e32 v16, vcc, 0, v1, vcc
	v_mov_b32_e32 v1, s15
	v_add_co_u32_e32 v17, vcc, s14, v3
	;; [unrolled: 3-line block ×3, first 2 shown]
	s_cselect_b32 s17, s17, 0
	s_cselect_b32 s16, s16, 0x10000
	v_addc_co_u32_e32 v20, vcc, v1, v4, vcc
	s_lshl_b32 s0, s2, 4
	v_add_co_u32_e32 v1, vcc, s0, v2
	v_addc_co_u32_e64 v2, s[0:1], 0, 0, vcc
	v_mov_b32_e32 v3, s15
	v_add_co_u32_e32 v21, vcc, s14, v1
	v_addc_co_u32_e32 v22, vcc, v3, v2, vcc
	v_mov_b32_e32 v3, s13
	v_add_co_u32_e32 v23, vcc, s12, v1
	v_addc_co_u32_e32 v24, vcc, v3, v2, vcc
	v_add_co_u32_e32 v25, vcc, s2, v0
	v_lshlrev_b32_e32 v1, 3, v25
	v_addc_co_u32_e64 v26, s[0:1], 0, 0, vcc
	v_mov_b32_e32 v2, s15
	v_add_co_u32_e32 v27, vcc, s14, v1
	v_addc_co_u32_e32 v28, vcc, 0, v2, vcc
	v_mov_b32_e32 v2, s13
	v_add_co_u32_e32 v29, vcc, s12, v1
	s_mul_i32 s4, s2, 3
	v_addc_co_u32_e32 v30, vcc, 0, v2, vcc
	s_lshl_b32 s3, s2, 1
	v_add_co_u32_e32 v31, vcc, s4, v0
	s_mov_b32 s14, 0xb5e68a13
	s_mov_b32 s18, 0x69efb384
	;; [unrolled: 1-line block ×20, first 2 shown]
	v_addc_co_u32_e64 v32, s[0:1], 0, 0, vcc
	v_add_co_u32_e32 v33, vcc, s3, v0
	s_lshl_b32 s33, s2, 2
	s_lshl_b32 s60, s2, 5
	s_mov_b64 s[12:13], 0
	s_brev_b32 s61, -2
	s_mov_b32 s15, 0x3eeba404
	s_mov_b32 s19, 0x3f4b2bb0
	;; [unrolled: 1-line block ×20, first 2 shown]
	v_mov_b32_e32 v1, 0xbd3237f4
	v_mov_b32_e32 v2, 0xbf23e260
	;; [unrolled: 1-line block ×4, first 2 shown]
	v_addc_co_u32_e64 v34, s[0:1], 0, 0, vcc
	s_branch .LBB65_9
.LBB65_8:                               ;   in Loop: Header=BB65_9 Depth=1
	s_or_b64 exec, exec, s[2:3]
	v_add_co_u32_e32 v13, vcc, s60, v13
	v_addc_co_u32_e32 v14, vcc, 0, v14, vcc
	v_add_co_u32_e32 v15, vcc, s60, v15
	v_addc_co_u32_e32 v16, vcc, 0, v16, vcc
	;; [unrolled: 2-line block ×6, first 2 shown]
	s_add_u32 s12, s12, s33
	v_add_co_u32_e32 v27, vcc, s60, v27
	s_waitcnt vmcnt(0)
	v_mov_b32_e32 v5, s8
	s_addc_u32 s13, s13, 0
	v_addc_co_u32_e32 v28, vcc, 0, v28, vcc
	v_mov_b32_e32 v6, s9
	v_cmp_ge_i64_e32 vcc, s[12:13], v[5:6]
	v_add_co_u32_e64 v29, s[0:1], s60, v29
	v_addc_co_u32_e64 v30, s[0:1], 0, v30, s[0:1]
	s_cbranch_vccnz .LBB65_25
.LBB65_9:                               ; =>This Inner Loop Header: Depth=1
	v_mov_b32_e32 v6, s13
	v_add_co_u32_e32 v5, vcc, s12, v0
	v_addc_co_u32_e32 v6, vcc, 0, v6, vcc
	v_cmp_gt_u64_e32 vcc, s[16:17], v[5:6]
	v_mov_b32_e32 v9, 0
	v_mov_b32_e32 v11, 0
	;; [unrolled: 1-line block ×4, first 2 shown]
	s_and_saveexec_b64 s[2:3], vcc
	s_cbranch_execz .LBB65_11
; %bb.10:                               ;   in Loop: Header=BB65_9 Depth=1
	v_mov_b32_e32 v6, s11
	v_add_co_u32_e64 v5, s[0:1], s10, v13
	v_addc_co_u32_e64 v6, s[0:1], v14, v6, s[0:1]
	global_load_dwordx2 v[11:12], v[5:6], off
.LBB65_11:                              ;   in Loop: Header=BB65_9 Depth=1
	s_or_b64 exec, exec, s[2:3]
	v_mov_b32_e32 v6, s13
	v_add_co_u32_e64 v5, s[0:1], s12, v25
	v_addc_co_u32_e64 v6, s[0:1], v26, v6, s[0:1]
	v_cmp_gt_u64_e64 s[4:5], s[16:17], v[5:6]
	s_and_saveexec_b64 s[2:3], s[4:5]
	s_cbranch_execz .LBB65_13
; %bb.12:                               ;   in Loop: Header=BB65_9 Depth=1
	v_mov_b32_e32 v6, s11
	v_add_co_u32_e64 v5, s[0:1], s10, v27
	v_addc_co_u32_e64 v6, s[0:1], v28, v6, s[0:1]
	global_load_dwordx2 v[9:10], v[5:6], off
.LBB65_13:                              ;   in Loop: Header=BB65_9 Depth=1
	s_or_b64 exec, exec, s[2:3]
	v_mov_b32_e32 v6, s13
	v_add_co_u32_e64 v5, s[0:1], s12, v33
	v_addc_co_u32_e64 v6, s[0:1], v34, v6, s[0:1]
	v_cmp_gt_u64_e64 s[2:3], s[16:17], v[5:6]
	v_mov_b32_e32 v5, 0
	v_mov_b32_e32 v7, 0
	;; [unrolled: 1-line block ×4, first 2 shown]
	s_and_saveexec_b64 s[6:7], s[2:3]
	s_cbranch_execz .LBB65_15
; %bb.14:                               ;   in Loop: Header=BB65_9 Depth=1
	v_mov_b32_e32 v8, s11
	v_add_co_u32_e64 v7, s[0:1], s10, v21
	v_addc_co_u32_e64 v8, s[0:1], v22, v8, s[0:1]
	global_load_dwordx2 v[7:8], v[7:8], off
.LBB65_15:                              ;   in Loop: Header=BB65_9 Depth=1
	s_or_b64 exec, exec, s[6:7]
	v_mov_b32_e32 v36, s13
	v_add_co_u32_e64 v35, s[0:1], s12, v31
	v_addc_co_u32_e64 v36, s[0:1], v32, v36, s[0:1]
	v_cmp_gt_u64_e64 s[0:1], s[16:17], v[35:36]
	s_and_saveexec_b64 s[58:59], s[0:1]
	s_cbranch_execnz .LBB65_20
; %bb.16:                               ;   in Loop: Header=BB65_9 Depth=1
	s_or_b64 exec, exec, s[58:59]
	s_and_saveexec_b64 s[58:59], vcc
	s_cbranch_execnz .LBB65_21
.LBB65_17:                              ;   in Loop: Header=BB65_9 Depth=1
	s_or_b64 exec, exec, s[58:59]
	s_and_saveexec_b64 s[6:7], s[4:5]
	s_cbranch_execnz .LBB65_22
.LBB65_18:                              ;   in Loop: Header=BB65_9 Depth=1
	s_or_b64 exec, exec, s[6:7]
	s_and_saveexec_b64 s[4:5], s[2:3]
	s_cbranch_execnz .LBB65_23
.LBB65_19:                              ;   in Loop: Header=BB65_9 Depth=1
	s_or_b64 exec, exec, s[4:5]
	s_and_saveexec_b64 s[2:3], s[0:1]
	s_cbranch_execz .LBB65_8
	s_branch .LBB65_24
.LBB65_20:                              ;   in Loop: Header=BB65_9 Depth=1
	v_mov_b32_e32 v6, s11
	v_add_co_u32_e64 v5, s[6:7], s10, v17
	v_addc_co_u32_e64 v6, s[6:7], v18, v6, s[6:7]
	global_load_dwordx2 v[5:6], v[5:6], off
	s_or_b64 exec, exec, s[58:59]
	s_and_saveexec_b64 s[58:59], vcc
	s_cbranch_execz .LBB65_17
.LBB65_21:                              ;   in Loop: Header=BB65_9 Depth=1
	s_waitcnt vmcnt(0)
	v_and_b32_e32 v36, 0x7fffffff, v12
	v_mov_b32_e32 v35, v11
	v_div_scale_f64 v[37:38], s[6:7], v[35:36], v[35:36], 1.0
	v_rcp_f64_e32 v[39:40], v[37:38]
	v_fma_f64 v[41:42], -v[37:38], v[39:40], 1.0
	v_fma_f64 v[39:40], v[39:40], v[41:42], v[39:40]
	v_div_scale_f64 v[41:42], vcc, 1.0, v[35:36], 1.0
	v_fma_f64 v[43:44], -v[37:38], v[39:40], 1.0
	v_fma_f64 v[39:40], v[39:40], v[43:44], v[39:40]
	v_mul_f64 v[43:44], v[41:42], v[39:40]
	v_fma_f64 v[37:38], -v[37:38], v[43:44], v[41:42]
	v_div_fmas_f64 v[37:38], v[37:38], v[39:40], v[43:44]
	v_cmp_gt_f64_e64 vcc, |v[11:12]|, 1.0
	v_div_fixup_f64 v[37:38], v[37:38], |v[11:12]|, 1.0
	v_cndmask_b32_e32 v36, v36, v38, vcc
	v_cndmask_b32_e32 v35, v11, v37, vcc
	v_mul_f64 v[37:38], v[35:36], v[35:36]
	v_add_co_u32_e64 v11, s[6:7], s10, v15
	v_fma_f64 v[39:40], v[37:38], s[14:15], v[1:2]
	v_fma_f64 v[39:40], v[37:38], v[39:40], s[18:19]
	;; [unrolled: 1-line block ×19, first 2 shown]
	v_mul_f64 v[37:38], v[37:38], v[39:40]
	v_mov_b32_e32 v39, s11
	v_fma_f64 v[35:36], v[35:36], v[37:38], v[35:36]
	v_fma_f64 v[37:38], s[56:57], v[3:4], -v[35:36]
	v_cndmask_b32_e32 v36, v36, v38, vcc
	v_cndmask_b32_e32 v35, v35, v37, vcc
	v_bfi_b32 v36, s61, v36, v12
	v_addc_co_u32_e64 v12, vcc, v16, v39, s[6:7]
	global_store_dwordx2 v[11:12], v[35:36], off
	s_or_b64 exec, exec, s[58:59]
	s_and_saveexec_b64 s[6:7], s[4:5]
	s_cbranch_execz .LBB65_18
.LBB65_22:                              ;   in Loop: Header=BB65_9 Depth=1
	s_waitcnt vmcnt(0)
	v_and_b32_e32 v12, 0x7fffffff, v10
	v_mov_b32_e32 v11, v9
	v_div_scale_f64 v[35:36], s[4:5], v[11:12], v[11:12], 1.0
	v_rcp_f64_e32 v[37:38], v[35:36]
	v_fma_f64 v[39:40], -v[35:36], v[37:38], 1.0
	v_fma_f64 v[37:38], v[37:38], v[39:40], v[37:38]
	v_div_scale_f64 v[39:40], vcc, 1.0, v[11:12], 1.0
	v_fma_f64 v[41:42], -v[35:36], v[37:38], 1.0
	v_fma_f64 v[37:38], v[37:38], v[41:42], v[37:38]
	v_mul_f64 v[41:42], v[39:40], v[37:38]
	v_fma_f64 v[35:36], -v[35:36], v[41:42], v[39:40]
	v_div_fmas_f64 v[35:36], v[35:36], v[37:38], v[41:42]
	v_cmp_gt_f64_e64 vcc, |v[9:10]|, 1.0
	v_div_fixup_f64 v[35:36], v[35:36], |v[9:10]|, 1.0
	v_cndmask_b32_e32 v12, v12, v36, vcc
	v_cndmask_b32_e32 v11, v9, v35, vcc
	v_mul_f64 v[35:36], v[11:12], v[11:12]
	v_fma_f64 v[37:38], v[35:36], s[14:15], v[1:2]
	v_fma_f64 v[37:38], v[35:36], v[37:38], s[18:19]
	;; [unrolled: 1-line block ×19, first 2 shown]
	v_mul_f64 v[35:36], v[35:36], v[37:38]
	v_mov_b32_e32 v37, s11
	v_fma_f64 v[11:12], v[11:12], v[35:36], v[11:12]
	v_fma_f64 v[35:36], s[56:57], v[3:4], -v[11:12]
	v_cndmask_b32_e32 v9, v11, v35, vcc
	v_cndmask_b32_e32 v11, v12, v36, vcc
	v_bfi_b32 v10, s61, v11, v10
	v_add_co_u32_e32 v11, vcc, s10, v29
	v_addc_co_u32_e32 v12, vcc, v30, v37, vcc
	global_store_dwordx2 v[11:12], v[9:10], off
	s_or_b64 exec, exec, s[6:7]
	s_and_saveexec_b64 s[4:5], s[2:3]
	s_cbranch_execz .LBB65_19
.LBB65_23:                              ;   in Loop: Header=BB65_9 Depth=1
	s_waitcnt vmcnt(0)
	v_and_b32_e32 v10, 0x7fffffff, v8
	v_mov_b32_e32 v9, v7
	v_div_scale_f64 v[11:12], s[2:3], v[9:10], v[9:10], 1.0
	v_rcp_f64_e32 v[35:36], v[11:12]
	v_fma_f64 v[37:38], -v[11:12], v[35:36], 1.0
	v_fma_f64 v[35:36], v[35:36], v[37:38], v[35:36]
	v_div_scale_f64 v[37:38], vcc, 1.0, v[9:10], 1.0
	v_fma_f64 v[39:40], -v[11:12], v[35:36], 1.0
	v_fma_f64 v[35:36], v[35:36], v[39:40], v[35:36]
	v_mul_f64 v[39:40], v[37:38], v[35:36]
	v_fma_f64 v[11:12], -v[11:12], v[39:40], v[37:38]
	v_div_fmas_f64 v[11:12], v[11:12], v[35:36], v[39:40]
	v_cmp_gt_f64_e64 vcc, |v[7:8]|, 1.0
	v_div_fixup_f64 v[11:12], v[11:12], |v[7:8]|, 1.0
	v_cndmask_b32_e32 v10, v10, v12, vcc
	v_cndmask_b32_e32 v9, v7, v11, vcc
	v_mul_f64 v[11:12], v[9:10], v[9:10]
	v_fma_f64 v[35:36], v[11:12], s[14:15], v[1:2]
	v_fma_f64 v[35:36], v[11:12], v[35:36], s[18:19]
	;; [unrolled: 1-line block ×19, first 2 shown]
	v_mul_f64 v[11:12], v[11:12], v[35:36]
	v_mov_b32_e32 v35, s11
	v_fma_f64 v[9:10], v[9:10], v[11:12], v[9:10]
	v_fma_f64 v[11:12], s[56:57], v[3:4], -v[9:10]
	v_cndmask_b32_e32 v7, v9, v11, vcc
	v_cndmask_b32_e32 v9, v10, v12, vcc
	v_bfi_b32 v8, s61, v9, v8
	v_add_co_u32_e32 v9, vcc, s10, v23
	v_addc_co_u32_e32 v10, vcc, v24, v35, vcc
	global_store_dwordx2 v[9:10], v[7:8], off
	s_or_b64 exec, exec, s[4:5]
	s_and_saveexec_b64 s[2:3], s[0:1]
	s_cbranch_execz .LBB65_8
.LBB65_24:                              ;   in Loop: Header=BB65_9 Depth=1
	s_waitcnt vmcnt(0)
	v_and_b32_e32 v8, 0x7fffffff, v6
	v_mov_b32_e32 v7, v5
	v_div_scale_f64 v[9:10], s[0:1], v[7:8], v[7:8], 1.0
	v_rcp_f64_e32 v[11:12], v[9:10]
	v_fma_f64 v[35:36], -v[9:10], v[11:12], 1.0
	v_fma_f64 v[11:12], v[11:12], v[35:36], v[11:12]
	v_div_scale_f64 v[35:36], vcc, 1.0, v[7:8], 1.0
	v_fma_f64 v[37:38], -v[9:10], v[11:12], 1.0
	v_fma_f64 v[11:12], v[11:12], v[37:38], v[11:12]
	v_mul_f64 v[37:38], v[35:36], v[11:12]
	v_fma_f64 v[9:10], -v[9:10], v[37:38], v[35:36]
	v_div_fmas_f64 v[9:10], v[9:10], v[11:12], v[37:38]
	v_cmp_gt_f64_e64 vcc, |v[5:6]|, 1.0
	v_div_fixup_f64 v[9:10], v[9:10], |v[5:6]|, 1.0
	v_cndmask_b32_e32 v8, v8, v10, vcc
	v_cndmask_b32_e32 v7, v5, v9, vcc
	v_mul_f64 v[9:10], v[7:8], v[7:8]
	v_fma_f64 v[11:12], v[9:10], s[14:15], v[1:2]
	v_fma_f64 v[11:12], v[9:10], v[11:12], s[18:19]
	;; [unrolled: 1-line block ×19, first 2 shown]
	v_mul_f64 v[9:10], v[9:10], v[11:12]
	v_mov_b32_e32 v11, s11
	v_fma_f64 v[7:8], v[7:8], v[9:10], v[7:8]
	v_fma_f64 v[9:10], s[56:57], v[3:4], -v[7:8]
	v_cndmask_b32_e32 v5, v7, v9, vcc
	v_cndmask_b32_e32 v7, v8, v10, vcc
	v_bfi_b32 v6, s61, v7, v6
	v_add_co_u32_e32 v7, vcc, s10, v19
	v_addc_co_u32_e32 v8, vcc, v20, v11, vcc
	global_store_dwordx2 v[7:8], v[5:6], off
	s_branch .LBB65_8
.LBB65_25:
	s_endpgm
	.section	.rodata,"a",@progbits
	.p2align	6, 0x0
	.amdhsa_kernel _ZN2at6native12_GLOBAL__N_125multi_tensor_apply_kernelINS1_18TensorListMetadataILi2EEENS1_14UnaryOpFunctorIdLi2ELi1ELi1EEEJNS0_4AtanIdEEEEEvT_T0_DpT1_
		.amdhsa_group_segment_fixed_size 0
		.amdhsa_private_segment_fixed_size 0
		.amdhsa_kernarg_size 3408
		.amdhsa_user_sgpr_count 6
		.amdhsa_user_sgpr_private_segment_buffer 1
		.amdhsa_user_sgpr_dispatch_ptr 0
		.amdhsa_user_sgpr_queue_ptr 0
		.amdhsa_user_sgpr_kernarg_segment_ptr 1
		.amdhsa_user_sgpr_dispatch_id 0
		.amdhsa_user_sgpr_flat_scratch_init 0
		.amdhsa_user_sgpr_private_segment_size 0
		.amdhsa_uses_dynamic_stack 0
		.amdhsa_system_sgpr_private_segment_wavefront_offset 0
		.amdhsa_system_sgpr_workgroup_id_x 1
		.amdhsa_system_sgpr_workgroup_id_y 0
		.amdhsa_system_sgpr_workgroup_id_z 0
		.amdhsa_system_sgpr_workgroup_info 0
		.amdhsa_system_vgpr_workitem_id 0
		.amdhsa_next_free_vgpr 46
		.amdhsa_next_free_sgpr 68
		.amdhsa_reserve_vcc 1
		.amdhsa_reserve_flat_scratch 0
		.amdhsa_float_round_mode_32 0
		.amdhsa_float_round_mode_16_64 0
		.amdhsa_float_denorm_mode_32 3
		.amdhsa_float_denorm_mode_16_64 3
		.amdhsa_dx10_clamp 1
		.amdhsa_ieee_mode 1
		.amdhsa_fp16_overflow 0
		.amdhsa_exception_fp_ieee_invalid_op 0
		.amdhsa_exception_fp_denorm_src 0
		.amdhsa_exception_fp_ieee_div_zero 0
		.amdhsa_exception_fp_ieee_overflow 0
		.amdhsa_exception_fp_ieee_underflow 0
		.amdhsa_exception_fp_ieee_inexact 0
		.amdhsa_exception_int_div_zero 0
	.end_amdhsa_kernel
	.section	.text._ZN2at6native12_GLOBAL__N_125multi_tensor_apply_kernelINS1_18TensorListMetadataILi2EEENS1_14UnaryOpFunctorIdLi2ELi1ELi1EEEJNS0_4AtanIdEEEEEvT_T0_DpT1_,"axG",@progbits,_ZN2at6native12_GLOBAL__N_125multi_tensor_apply_kernelINS1_18TensorListMetadataILi2EEENS1_14UnaryOpFunctorIdLi2ELi1ELi1EEEJNS0_4AtanIdEEEEEvT_T0_DpT1_,comdat
.Lfunc_end65:
	.size	_ZN2at6native12_GLOBAL__N_125multi_tensor_apply_kernelINS1_18TensorListMetadataILi2EEENS1_14UnaryOpFunctorIdLi2ELi1ELi1EEEJNS0_4AtanIdEEEEEvT_T0_DpT1_, .Lfunc_end65-_ZN2at6native12_GLOBAL__N_125multi_tensor_apply_kernelINS1_18TensorListMetadataILi2EEENS1_14UnaryOpFunctorIdLi2ELi1ELi1EEEJNS0_4AtanIdEEEEEvT_T0_DpT1_
                                        ; -- End function
	.set _ZN2at6native12_GLOBAL__N_125multi_tensor_apply_kernelINS1_18TensorListMetadataILi2EEENS1_14UnaryOpFunctorIdLi2ELi1ELi1EEEJNS0_4AtanIdEEEEEvT_T0_DpT1_.num_vgpr, 46
	.set _ZN2at6native12_GLOBAL__N_125multi_tensor_apply_kernelINS1_18TensorListMetadataILi2EEENS1_14UnaryOpFunctorIdLi2ELi1ELi1EEEJNS0_4AtanIdEEEEEvT_T0_DpT1_.num_agpr, 0
	.set _ZN2at6native12_GLOBAL__N_125multi_tensor_apply_kernelINS1_18TensorListMetadataILi2EEENS1_14UnaryOpFunctorIdLi2ELi1ELi1EEEJNS0_4AtanIdEEEEEvT_T0_DpT1_.numbered_sgpr, 68
	.set _ZN2at6native12_GLOBAL__N_125multi_tensor_apply_kernelINS1_18TensorListMetadataILi2EEENS1_14UnaryOpFunctorIdLi2ELi1ELi1EEEJNS0_4AtanIdEEEEEvT_T0_DpT1_.num_named_barrier, 0
	.set _ZN2at6native12_GLOBAL__N_125multi_tensor_apply_kernelINS1_18TensorListMetadataILi2EEENS1_14UnaryOpFunctorIdLi2ELi1ELi1EEEJNS0_4AtanIdEEEEEvT_T0_DpT1_.private_seg_size, 0
	.set _ZN2at6native12_GLOBAL__N_125multi_tensor_apply_kernelINS1_18TensorListMetadataILi2EEENS1_14UnaryOpFunctorIdLi2ELi1ELi1EEEJNS0_4AtanIdEEEEEvT_T0_DpT1_.uses_vcc, 1
	.set _ZN2at6native12_GLOBAL__N_125multi_tensor_apply_kernelINS1_18TensorListMetadataILi2EEENS1_14UnaryOpFunctorIdLi2ELi1ELi1EEEJNS0_4AtanIdEEEEEvT_T0_DpT1_.uses_flat_scratch, 0
	.set _ZN2at6native12_GLOBAL__N_125multi_tensor_apply_kernelINS1_18TensorListMetadataILi2EEENS1_14UnaryOpFunctorIdLi2ELi1ELi1EEEJNS0_4AtanIdEEEEEvT_T0_DpT1_.has_dyn_sized_stack, 0
	.set _ZN2at6native12_GLOBAL__N_125multi_tensor_apply_kernelINS1_18TensorListMetadataILi2EEENS1_14UnaryOpFunctorIdLi2ELi1ELi1EEEJNS0_4AtanIdEEEEEvT_T0_DpT1_.has_recursion, 0
	.set _ZN2at6native12_GLOBAL__N_125multi_tensor_apply_kernelINS1_18TensorListMetadataILi2EEENS1_14UnaryOpFunctorIdLi2ELi1ELi1EEEJNS0_4AtanIdEEEEEvT_T0_DpT1_.has_indirect_call, 0
	.section	.AMDGPU.csdata,"",@progbits
; Kernel info:
; codeLenInByte = 4560
; TotalNumSgprs: 72
; NumVgprs: 46
; ScratchSize: 0
; MemoryBound: 0
; FloatMode: 240
; IeeeMode: 1
; LDSByteSize: 0 bytes/workgroup (compile time only)
; SGPRBlocks: 8
; VGPRBlocks: 11
; NumSGPRsForWavesPerEU: 72
; NumVGPRsForWavesPerEU: 46
; Occupancy: 5
; WaveLimiterHint : 0
; COMPUTE_PGM_RSRC2:SCRATCH_EN: 0
; COMPUTE_PGM_RSRC2:USER_SGPR: 6
; COMPUTE_PGM_RSRC2:TRAP_HANDLER: 0
; COMPUTE_PGM_RSRC2:TGID_X_EN: 1
; COMPUTE_PGM_RSRC2:TGID_Y_EN: 0
; COMPUTE_PGM_RSRC2:TGID_Z_EN: 0
; COMPUTE_PGM_RSRC2:TIDIG_COMP_CNT: 0
	.section	.text._ZN2at6native12_GLOBAL__N_125multi_tensor_apply_kernelINS1_18TensorListMetadataILi2EEENS1_14UnaryOpFunctorIfLi2ELi1ELi1EEEJNS0_4AtanIfEEEEEvT_T0_DpT1_,"axG",@progbits,_ZN2at6native12_GLOBAL__N_125multi_tensor_apply_kernelINS1_18TensorListMetadataILi2EEENS1_14UnaryOpFunctorIfLi2ELi1ELi1EEEJNS0_4AtanIfEEEEEvT_T0_DpT1_,comdat
	.globl	_ZN2at6native12_GLOBAL__N_125multi_tensor_apply_kernelINS1_18TensorListMetadataILi2EEENS1_14UnaryOpFunctorIfLi2ELi1ELi1EEEJNS0_4AtanIfEEEEEvT_T0_DpT1_ ; -- Begin function _ZN2at6native12_GLOBAL__N_125multi_tensor_apply_kernelINS1_18TensorListMetadataILi2EEENS1_14UnaryOpFunctorIfLi2ELi1ELi1EEEJNS0_4AtanIfEEEEEvT_T0_DpT1_
	.p2align	8
	.type	_ZN2at6native12_GLOBAL__N_125multi_tensor_apply_kernelINS1_18TensorListMetadataILi2EEENS1_14UnaryOpFunctorIfLi2ELi1ELi1EEEJNS0_4AtanIfEEEEEvT_T0_DpT1_,@function
_ZN2at6native12_GLOBAL__N_125multi_tensor_apply_kernelINS1_18TensorListMetadataILi2EEENS1_14UnaryOpFunctorIfLi2ELi1ELi1EEEJNS0_4AtanIfEEEEEvT_T0_DpT1_: ; @_ZN2at6native12_GLOBAL__N_125multi_tensor_apply_kernelINS1_18TensorListMetadataILi2EEENS1_14UnaryOpFunctorIfLi2ELi1ELi1EEEJNS0_4AtanIfEEEEEvT_T0_DpT1_
; %bb.0:
	v_mov_b32_e32 v1, s6
	global_load_ubyte v1, v1, s[4:5] offset:1536
	s_add_u32 s0, s4, s6
	s_mul_hi_u32 s2, s6, 3
	s_mul_i32 s6, s6, 3
	s_addc_u32 s7, s5, 0
	s_add_u32 s6, s0, s6
	s_addc_u32 s7, s7, s2
	s_load_dword s6, s[6:7], 0x740
	s_mov_b32 s1, 0
	s_mov_b32 s3, s1
	s_waitcnt lgkmcnt(0)
	s_ashr_i32 s7, s6, 31
	s_lshl_b64 s[8:9], s[6:7], 18
	s_lshl_b64 s[6:7], s[6:7], 16
	s_waitcnt vmcnt(0)
	v_readfirstlane_b32 s0, v1
	s_lshl_b32 s0, s0, 3
	s_load_dwordx2 s[10:11], s[4:5], s0 offset:0x400
	s_load_dwordx2 s[16:17], s[4:5], s0 offset:0x0
	;; [unrolled: 1-line block ×3, first 2 shown]
	s_waitcnt lgkmcnt(0)
	s_add_u32 s0, s16, s8
	s_and_b32 s2, s14, 15
	s_and_b32 s0, s0, 15
	s_sub_u32 s12, s10, s6
	s_subb_u32 s13, s11, s7
	s_and_b32 s6, s10, 3
	s_mov_b32 s7, s1
	s_or_b64 s[2:3], s[2:3], s[6:7]
	s_or_b64 s[0:1], s[2:3], s[0:1]
	s_cmp_eq_u64 s[0:1], 0
	s_mov_b64 s[0:1], -1
	s_cbranch_scc0 .LBB66_5
; %bb.1:
	v_mov_b32_e32 v1, 0x10000
	v_mov_b32_e32 v2, 0
	v_cmp_lt_i64_e32 vcc, s[12:13], v[1:2]
	v_mov_b32_e32 v2, 0
	s_and_b64 s[0:1], vcc, exec
	s_cselect_b32 s11, s13, 0
	s_cselect_b32 s10, s12, 0x10000
	v_lshlrev_b32_e32 v1, 2, v0
	v_cmp_gt_i64_e32 vcc, s[10:11], v[1:2]
	s_and_saveexec_b64 s[18:19], vcc
	s_cbranch_execz .LBB66_4
; %bb.2:
	s_load_dword s0, s[4:5], 0xc5c
	v_mov_b32_e32 v1, v2
	v_lshlrev_b32_e32 v2, 4, v0
	v_mov_b32_e32 v4, s9
	v_add_co_u32_e32 v3, vcc, s8, v2
	s_waitcnt lgkmcnt(0)
	s_and_b32 s22, s0, 0xffff
	v_mov_b32_e32 v2, v1
	v_addc_co_u32_e32 v4, vcc, 0, v4, vcc
	s_lshl_b32 s23, s22, 4
	s_mov_b64 s[20:21], 0
	v_mov_b32_e32 v5, s17
	v_mov_b32_e32 v6, 0x3d29fb3f
	;; [unrolled: 1-line block ×7, first 2 shown]
	s_brev_b32 s24, -2
	v_mov_b32_e32 v12, s15
	v_mov_b32_e32 v1, v0
.LBB66_3:                               ; =>This Inner Loop Header: Depth=1
	v_add_co_u32_e32 v13, vcc, s16, v3
	v_addc_co_u32_e32 v14, vcc, v5, v4, vcc
	global_load_dwordx4 v[13:16], v[13:14], off
	v_add_co_u32_e32 v17, vcc, s14, v3
	v_addc_co_u32_e32 v18, vcc, v12, v4, vcc
	v_add_co_u32_e32 v1, vcc, s22, v1
	v_addc_co_u32_e32 v2, vcc, 0, v2, vcc
	v_add_co_u32_e32 v3, vcc, s23, v3
	v_lshlrev_b64 v[19:20], 2, v[1:2]
	v_addc_co_u32_e32 v4, vcc, 0, v4, vcc
	v_cmp_le_i64_e32 vcc, s[10:11], v[19:20]
	v_mov_b32_e32 v21, 0xbc7a590c
	s_or_b64 s[20:21], vcc, s[20:21]
	v_mov_b32_e32 v22, 0xbc7a590c
	v_mov_b32_e32 v23, 0xbc7a590c
	;; [unrolled: 1-line block ×3, first 2 shown]
	s_waitcnt vmcnt(0)
	v_rcp_f32_e64 v19, |v13|
	v_rcp_f32_e64 v20, |v14|
	;; [unrolled: 1-line block ×4, first 2 shown]
	v_cmp_gt_f32_e64 vcc, |v14|, 1.0
	v_cmp_gt_f32_e64 s[0:1], |v15|, 1.0
	v_cmp_gt_f32_e64 s[2:3], |v16|, 1.0
	;; [unrolled: 1-line block ×3, first 2 shown]
	v_cndmask_b32_e64 v19, |v13|, v19, s[6:7]
	v_cndmask_b32_e64 v20, |v14|, v20, vcc
	v_cndmask_b32_e64 v25, |v15|, v25, s[0:1]
	v_cndmask_b32_e64 v26, |v16|, v26, s[2:3]
	v_mul_f32_e32 v27, v19, v19
	v_mul_f32_e32 v28, v20, v20
	;; [unrolled: 1-line block ×4, first 2 shown]
	v_fmac_f32_e32 v21, 0x3b2d2a58, v27
	v_fmac_f32_e32 v22, 0x3b2d2a58, v28
	;; [unrolled: 1-line block ×4, first 2 shown]
	v_fma_f32 v21, v27, v21, v6
	v_fma_f32 v22, v28, v22, v6
	;; [unrolled: 1-line block ×24, first 2 shown]
	v_mul_f32_e32 v21, v27, v21
	v_mul_f32_e32 v22, v28, v22
	v_mul_f32_e32 v23, v29, v23
	v_mul_f32_e32 v24, v30, v24
	v_fmac_f32_e32 v19, v19, v21
	v_fmac_f32_e32 v20, v20, v22
	;; [unrolled: 1-line block ×4, first 2 shown]
	v_sub_f32_e32 v21, 0x3fc90fdb, v19
	v_sub_f32_e32 v22, 0x3fc90fdb, v20
	v_sub_f32_e32 v23, 0x3fc90fdb, v25
	v_sub_f32_e32 v24, 0x3fc90fdb, v26
	v_cndmask_b32_e64 v19, v19, v21, s[6:7]
	v_cndmask_b32_e32 v20, v20, v22, vcc
	v_cndmask_b32_e64 v21, v25, v23, s[0:1]
	v_cndmask_b32_e64 v22, v26, v24, s[2:3]
	v_bfi_b32 v13, s24, v19, v13
	v_bfi_b32 v14, s24, v20, v14
	;; [unrolled: 1-line block ×4, first 2 shown]
	global_store_dwordx4 v[17:18], v[13:16], off
	s_andn2_b64 exec, exec, s[20:21]
	s_cbranch_execnz .LBB66_3
.LBB66_4:
	s_or_b64 exec, exec, s[18:19]
	s_mov_b64 s[0:1], 0
.LBB66_5:
	s_andn2_b64 vcc, exec, s[0:1]
	s_cbranch_vccnz .LBB66_25
; %bb.6:
	v_cmp_lt_i64_e64 s[0:1], s[12:13], 1
	s_and_b64 vcc, exec, s[0:1]
	s_cbranch_vccnz .LBB66_25
; %bb.7:
	v_mov_b32_e32 v1, 0x10000
	s_load_dword s2, s[4:5], 0xc5c
	v_mov_b32_e32 v2, 0
	v_cmp_lt_i64_e32 vcc, s[12:13], v[1:2]
	v_mov_b32_e32 v10, 0
	s_and_b64 s[0:1], vcc, exec
	v_cmp_lt_u64_e32 vcc, s[12:13], v[1:2]
	s_cselect_b32 s11, s13, 0
	s_cselect_b32 s10, s12, 0x10000
	s_waitcnt lgkmcnt(0)
	s_and_b32 s2, s2, 0xffff
	v_lshlrev_b32_e32 v9, 2, v0
	s_and_b64 s[0:1], vcc, exec
	v_mov_b32_e32 v2, s17
	v_add_co_u32_e32 v1, vcc, s16, v9
	v_mad_u64_u32 v[7:8], s[0:1], s2, 12, v[9:10]
	v_addc_co_u32_e32 v2, vcc, 0, v2, vcc
	v_mov_b32_e32 v4, s15
	v_add_co_u32_e32 v3, vcc, s14, v9
	v_addc_co_u32_e32 v4, vcc, 0, v4, vcc
	v_mov_b32_e32 v6, s17
	v_add_co_u32_e32 v5, vcc, s16, v7
	;; [unrolled: 3-line block ×3, first 2 shown]
	s_cselect_b32 s13, s13, 0
	s_cselect_b32 s12, s12, 0x10000
	v_addc_co_u32_e32 v8, vcc, v10, v8, vcc
	s_lshl_b32 s0, s2, 3
	v_add_co_u32_e32 v11, vcc, s0, v9
	v_addc_co_u32_e64 v12, s[0:1], 0, 0, vcc
	v_mov_b32_e32 v10, s17
	v_add_co_u32_e32 v9, vcc, s16, v11
	v_addc_co_u32_e32 v10, vcc, v10, v12, vcc
	v_mov_b32_e32 v13, s15
	v_add_co_u32_e32 v11, vcc, s14, v11
	v_addc_co_u32_e32 v12, vcc, v13, v12, vcc
	v_add_co_u32_e32 v13, vcc, s2, v0
	v_lshlrev_b32_e32 v17, 2, v13
	v_addc_co_u32_e64 v14, s[0:1], 0, 0, vcc
	v_mov_b32_e32 v16, s17
	v_add_co_u32_e32 v15, vcc, s16, v17
	v_addc_co_u32_e32 v16, vcc, 0, v16, vcc
	v_mov_b32_e32 v18, s15
	v_add_co_u32_e32 v17, vcc, s14, v17
	s_mul_i32 s4, s2, 3
	v_addc_co_u32_e32 v18, vcc, 0, v18, vcc
	s_lshl_b32 s3, s2, 1
	v_add_co_u32_e32 v19, vcc, s4, v0
	v_addc_co_u32_e64 v20, s[0:1], 0, 0, vcc
	v_add_co_u32_e32 v21, vcc, s3, v0
	s_lshl_b32 s18, s2, 2
	s_lshl_b32 s19, s2, 4
	s_mov_b64 s[14:15], 0
	s_brev_b32 s20, -2
	v_addc_co_u32_e64 v22, s[0:1], 0, 0, vcc
	v_mov_b32_e32 v23, 0x3d29fb3f
	v_mov_b32_e32 v24, 0xbd97d4d7
	;; [unrolled: 1-line block ×6, first 2 shown]
	s_branch .LBB66_9
.LBB66_8:                               ;   in Loop: Header=BB66_9 Depth=1
	s_or_b64 exec, exec, s[0:1]
	v_add_co_u32_e32 v1, vcc, s19, v1
	v_addc_co_u32_e32 v2, vcc, 0, v2, vcc
	v_add_co_u32_e32 v3, vcc, s19, v3
	v_addc_co_u32_e32 v4, vcc, 0, v4, vcc
	v_add_co_u32_e32 v5, vcc, s19, v5
	v_addc_co_u32_e32 v6, vcc, 0, v6, vcc
	v_add_co_u32_e32 v7, vcc, s19, v7
	v_addc_co_u32_e32 v8, vcc, 0, v8, vcc
	v_add_co_u32_e32 v9, vcc, s19, v9
	v_addc_co_u32_e32 v10, vcc, 0, v10, vcc
	v_add_co_u32_e32 v11, vcc, s19, v11
	v_addc_co_u32_e32 v12, vcc, 0, v12, vcc
	s_add_u32 s14, s14, s18
	v_add_co_u32_e32 v15, vcc, s19, v15
	s_waitcnt vmcnt(0)
	v_mov_b32_e32 v30, s11
	s_addc_u32 s15, s15, 0
	v_addc_co_u32_e32 v16, vcc, 0, v16, vcc
	v_mov_b32_e32 v29, s10
	v_cmp_ge_i64_e32 vcc, s[14:15], v[29:30]
	v_add_co_u32_e64 v17, s[0:1], s19, v17
	v_addc_co_u32_e64 v18, s[0:1], 0, v18, s[0:1]
	s_cbranch_vccnz .LBB66_25
.LBB66_9:                               ; =>This Inner Loop Header: Depth=1
	v_mov_b32_e32 v30, s15
	v_add_co_u32_e32 v29, vcc, s14, v0
	v_addc_co_u32_e32 v30, vcc, 0, v30, vcc
	v_cmp_gt_u64_e64 s[4:5], s[12:13], v[29:30]
	v_mov_b32_e32 v32, 0
	s_and_saveexec_b64 s[0:1], s[4:5]
	s_cbranch_execz .LBB66_11
; %bb.10:                               ;   in Loop: Header=BB66_9 Depth=1
	v_mov_b32_e32 v30, s9
	v_add_co_u32_e32 v29, vcc, s8, v1
	v_addc_co_u32_e32 v30, vcc, v2, v30, vcc
	global_load_dword v32, v[29:30], off
.LBB66_11:                              ;   in Loop: Header=BB66_9 Depth=1
	s_or_b64 exec, exec, s[0:1]
	v_mov_b32_e32 v30, s15
	v_add_co_u32_e32 v29, vcc, s14, v13
	v_addc_co_u32_e32 v30, vcc, v14, v30, vcc
	v_cmp_gt_u64_e64 s[2:3], s[12:13], v[29:30]
	v_mov_b32_e32 v29, 0
	v_mov_b32_e32 v31, 0
	s_and_saveexec_b64 s[0:1], s[2:3]
	s_cbranch_execz .LBB66_13
; %bb.12:                               ;   in Loop: Header=BB66_9 Depth=1
	v_mov_b32_e32 v31, s9
	v_add_co_u32_e32 v30, vcc, s8, v15
	v_addc_co_u32_e32 v31, vcc, v16, v31, vcc
	global_load_dword v31, v[30:31], off
.LBB66_13:                              ;   in Loop: Header=BB66_9 Depth=1
	s_or_b64 exec, exec, s[0:1]
	v_mov_b32_e32 v30, s15
	v_add_co_u32_e32 v33, vcc, s14, v21
	v_addc_co_u32_e32 v34, vcc, v22, v30, vcc
	v_cmp_gt_u64_e64 s[0:1], s[12:13], v[33:34]
	s_and_saveexec_b64 s[6:7], s[0:1]
	s_cbranch_execz .LBB66_15
; %bb.14:                               ;   in Loop: Header=BB66_9 Depth=1
	v_mov_b32_e32 v30, s9
	v_add_co_u32_e32 v29, vcc, s8, v9
	v_addc_co_u32_e32 v30, vcc, v10, v30, vcc
	global_load_dword v29, v[29:30], off
.LBB66_15:                              ;   in Loop: Header=BB66_9 Depth=1
	s_or_b64 exec, exec, s[6:7]
	v_mov_b32_e32 v30, s15
	v_add_co_u32_e32 v33, vcc, s14, v19
	v_addc_co_u32_e32 v34, vcc, v20, v30, vcc
	v_cmp_gt_u64_e32 vcc, s[12:13], v[33:34]
	v_mov_b32_e32 v30, 0
	s_and_saveexec_b64 s[16:17], vcc
	s_cbranch_execnz .LBB66_20
; %bb.16:                               ;   in Loop: Header=BB66_9 Depth=1
	s_or_b64 exec, exec, s[16:17]
	s_and_saveexec_b64 s[6:7], s[4:5]
	s_cbranch_execnz .LBB66_21
.LBB66_17:                              ;   in Loop: Header=BB66_9 Depth=1
	s_or_b64 exec, exec, s[6:7]
	s_and_saveexec_b64 s[4:5], s[2:3]
	s_cbranch_execnz .LBB66_22
.LBB66_18:                              ;   in Loop: Header=BB66_9 Depth=1
	s_or_b64 exec, exec, s[4:5]
	s_and_saveexec_b64 s[2:3], s[0:1]
	s_cbranch_execnz .LBB66_23
.LBB66_19:                              ;   in Loop: Header=BB66_9 Depth=1
	s_or_b64 exec, exec, s[2:3]
	s_and_saveexec_b64 s[0:1], vcc
	s_cbranch_execz .LBB66_8
	s_branch .LBB66_24
.LBB66_20:                              ;   in Loop: Header=BB66_9 Depth=1
	v_mov_b32_e32 v30, s9
	v_add_co_u32_e64 v33, s[6:7], s8, v5
	v_addc_co_u32_e64 v34, s[6:7], v6, v30, s[6:7]
	global_load_dword v30, v[33:34], off
	s_or_b64 exec, exec, s[16:17]
	s_and_saveexec_b64 s[6:7], s[4:5]
	s_cbranch_execz .LBB66_17
.LBB66_21:                              ;   in Loop: Header=BB66_9 Depth=1
	s_waitcnt vmcnt(0)
	v_rcp_f32_e64 v33, |v32|
	v_cmp_gt_f32_e64 s[4:5], |v32|, 1.0
	v_mov_b32_e32 v34, 0xbc7a590c
	v_mov_b32_e32 v35, s9
	v_cndmask_b32_e64 v33, |v32|, v33, s[4:5]
	v_mul_f32_e32 v36, v33, v33
	v_fmac_f32_e32 v34, 0x3b2d2a58, v36
	v_fma_f32 v34, v36, v34, v23
	v_fma_f32 v34, v36, v34, v24
	;; [unrolled: 1-line block ×6, first 2 shown]
	v_mul_f32_e32 v34, v36, v34
	v_fmac_f32_e32 v33, v33, v34
	v_sub_f32_e32 v34, 0x3fc90fdb, v33
	v_cndmask_b32_e64 v33, v33, v34, s[4:5]
	v_bfi_b32 v34, s20, v33, v32
	v_add_co_u32_e64 v32, s[4:5], s8, v3
	v_addc_co_u32_e64 v33, s[4:5], v4, v35, s[4:5]
	global_store_dword v[32:33], v34, off
	s_or_b64 exec, exec, s[6:7]
	s_and_saveexec_b64 s[4:5], s[2:3]
	s_cbranch_execz .LBB66_18
.LBB66_22:                              ;   in Loop: Header=BB66_9 Depth=1
	s_waitcnt vmcnt(0)
	v_rcp_f32_e64 v32, |v31|
	v_cmp_gt_f32_e64 s[2:3], |v31|, 1.0
	v_mov_b32_e32 v33, 0xbc7a590c
	v_mov_b32_e32 v34, s9
	v_cndmask_b32_e64 v32, |v31|, v32, s[2:3]
	v_mul_f32_e32 v35, v32, v32
	v_fmac_f32_e32 v33, 0x3b2d2a58, v35
	v_fma_f32 v33, v35, v33, v23
	v_fma_f32 v33, v35, v33, v24
	;; [unrolled: 1-line block ×6, first 2 shown]
	v_mul_f32_e32 v33, v35, v33
	v_fmac_f32_e32 v32, v32, v33
	v_sub_f32_e32 v33, 0x3fc90fdb, v32
	v_cndmask_b32_e64 v32, v32, v33, s[2:3]
	v_bfi_b32 v33, s20, v32, v31
	v_add_co_u32_e64 v31, s[2:3], s8, v17
	v_addc_co_u32_e64 v32, s[2:3], v18, v34, s[2:3]
	global_store_dword v[31:32], v33, off
	s_or_b64 exec, exec, s[4:5]
	s_and_saveexec_b64 s[2:3], s[0:1]
	s_cbranch_execz .LBB66_19
.LBB66_23:                              ;   in Loop: Header=BB66_9 Depth=1
	s_waitcnt vmcnt(0)
	v_rcp_f32_e64 v31, |v29|
	v_cmp_gt_f32_e64 s[0:1], |v29|, 1.0
	v_mov_b32_e32 v32, 0xbc7a590c
	v_mov_b32_e32 v33, s9
	v_cndmask_b32_e64 v31, |v29|, v31, s[0:1]
	v_mul_f32_e32 v34, v31, v31
	v_fmac_f32_e32 v32, 0x3b2d2a58, v34
	v_fma_f32 v32, v34, v32, v23
	v_fma_f32 v32, v34, v32, v24
	;; [unrolled: 1-line block ×6, first 2 shown]
	v_mul_f32_e32 v32, v34, v32
	v_fmac_f32_e32 v31, v31, v32
	v_sub_f32_e32 v32, 0x3fc90fdb, v31
	v_cndmask_b32_e64 v31, v31, v32, s[0:1]
	v_bfi_b32 v29, s20, v31, v29
	v_add_co_u32_e64 v31, s[0:1], s8, v11
	v_addc_co_u32_e64 v32, s[0:1], v12, v33, s[0:1]
	global_store_dword v[31:32], v29, off
	s_or_b64 exec, exec, s[2:3]
	s_and_saveexec_b64 s[0:1], vcc
	s_cbranch_execz .LBB66_8
.LBB66_24:                              ;   in Loop: Header=BB66_9 Depth=1
	s_waitcnt vmcnt(0)
	v_rcp_f32_e64 v29, |v30|
	v_cmp_gt_f32_e64 vcc, |v30|, 1.0
	v_mov_b32_e32 v31, 0xbc7a590c
	v_mov_b32_e32 v32, s9
	v_cndmask_b32_e64 v29, |v30|, v29, vcc
	v_mul_f32_e32 v33, v29, v29
	v_fmac_f32_e32 v31, 0x3b2d2a58, v33
	v_fma_f32 v31, v33, v31, v23
	v_fma_f32 v31, v33, v31, v24
	;; [unrolled: 1-line block ×6, first 2 shown]
	v_mul_f32_e32 v31, v33, v31
	v_fmac_f32_e32 v29, v29, v31
	v_sub_f32_e32 v31, 0x3fc90fdb, v29
	v_cndmask_b32_e32 v29, v29, v31, vcc
	v_bfi_b32 v31, s20, v29, v30
	v_add_co_u32_e32 v29, vcc, s8, v7
	v_addc_co_u32_e32 v30, vcc, v8, v32, vcc
	global_store_dword v[29:30], v31, off
	s_branch .LBB66_8
.LBB66_25:
	s_endpgm
	.section	.rodata,"a",@progbits
	.p2align	6, 0x0
	.amdhsa_kernel _ZN2at6native12_GLOBAL__N_125multi_tensor_apply_kernelINS1_18TensorListMetadataILi2EEENS1_14UnaryOpFunctorIfLi2ELi1ELi1EEEJNS0_4AtanIfEEEEEvT_T0_DpT1_
		.amdhsa_group_segment_fixed_size 0
		.amdhsa_private_segment_fixed_size 0
		.amdhsa_kernarg_size 3408
		.amdhsa_user_sgpr_count 6
		.amdhsa_user_sgpr_private_segment_buffer 1
		.amdhsa_user_sgpr_dispatch_ptr 0
		.amdhsa_user_sgpr_queue_ptr 0
		.amdhsa_user_sgpr_kernarg_segment_ptr 1
		.amdhsa_user_sgpr_dispatch_id 0
		.amdhsa_user_sgpr_flat_scratch_init 0
		.amdhsa_user_sgpr_private_segment_size 0
		.amdhsa_uses_dynamic_stack 0
		.amdhsa_system_sgpr_private_segment_wavefront_offset 0
		.amdhsa_system_sgpr_workgroup_id_x 1
		.amdhsa_system_sgpr_workgroup_id_y 0
		.amdhsa_system_sgpr_workgroup_id_z 0
		.amdhsa_system_sgpr_workgroup_info 0
		.amdhsa_system_vgpr_workitem_id 0
		.amdhsa_next_free_vgpr 37
		.amdhsa_next_free_sgpr 25
		.amdhsa_reserve_vcc 1
		.amdhsa_reserve_flat_scratch 0
		.amdhsa_float_round_mode_32 0
		.amdhsa_float_round_mode_16_64 0
		.amdhsa_float_denorm_mode_32 3
		.amdhsa_float_denorm_mode_16_64 3
		.amdhsa_dx10_clamp 1
		.amdhsa_ieee_mode 1
		.amdhsa_fp16_overflow 0
		.amdhsa_exception_fp_ieee_invalid_op 0
		.amdhsa_exception_fp_denorm_src 0
		.amdhsa_exception_fp_ieee_div_zero 0
		.amdhsa_exception_fp_ieee_overflow 0
		.amdhsa_exception_fp_ieee_underflow 0
		.amdhsa_exception_fp_ieee_inexact 0
		.amdhsa_exception_int_div_zero 0
	.end_amdhsa_kernel
	.section	.text._ZN2at6native12_GLOBAL__N_125multi_tensor_apply_kernelINS1_18TensorListMetadataILi2EEENS1_14UnaryOpFunctorIfLi2ELi1ELi1EEEJNS0_4AtanIfEEEEEvT_T0_DpT1_,"axG",@progbits,_ZN2at6native12_GLOBAL__N_125multi_tensor_apply_kernelINS1_18TensorListMetadataILi2EEENS1_14UnaryOpFunctorIfLi2ELi1ELi1EEEJNS0_4AtanIfEEEEEvT_T0_DpT1_,comdat
.Lfunc_end66:
	.size	_ZN2at6native12_GLOBAL__N_125multi_tensor_apply_kernelINS1_18TensorListMetadataILi2EEENS1_14UnaryOpFunctorIfLi2ELi1ELi1EEEJNS0_4AtanIfEEEEEvT_T0_DpT1_, .Lfunc_end66-_ZN2at6native12_GLOBAL__N_125multi_tensor_apply_kernelINS1_18TensorListMetadataILi2EEENS1_14UnaryOpFunctorIfLi2ELi1ELi1EEEJNS0_4AtanIfEEEEEvT_T0_DpT1_
                                        ; -- End function
	.set _ZN2at6native12_GLOBAL__N_125multi_tensor_apply_kernelINS1_18TensorListMetadataILi2EEENS1_14UnaryOpFunctorIfLi2ELi1ELi1EEEJNS0_4AtanIfEEEEEvT_T0_DpT1_.num_vgpr, 37
	.set _ZN2at6native12_GLOBAL__N_125multi_tensor_apply_kernelINS1_18TensorListMetadataILi2EEENS1_14UnaryOpFunctorIfLi2ELi1ELi1EEEJNS0_4AtanIfEEEEEvT_T0_DpT1_.num_agpr, 0
	.set _ZN2at6native12_GLOBAL__N_125multi_tensor_apply_kernelINS1_18TensorListMetadataILi2EEENS1_14UnaryOpFunctorIfLi2ELi1ELi1EEEJNS0_4AtanIfEEEEEvT_T0_DpT1_.numbered_sgpr, 25
	.set _ZN2at6native12_GLOBAL__N_125multi_tensor_apply_kernelINS1_18TensorListMetadataILi2EEENS1_14UnaryOpFunctorIfLi2ELi1ELi1EEEJNS0_4AtanIfEEEEEvT_T0_DpT1_.num_named_barrier, 0
	.set _ZN2at6native12_GLOBAL__N_125multi_tensor_apply_kernelINS1_18TensorListMetadataILi2EEENS1_14UnaryOpFunctorIfLi2ELi1ELi1EEEJNS0_4AtanIfEEEEEvT_T0_DpT1_.private_seg_size, 0
	.set _ZN2at6native12_GLOBAL__N_125multi_tensor_apply_kernelINS1_18TensorListMetadataILi2EEENS1_14UnaryOpFunctorIfLi2ELi1ELi1EEEJNS0_4AtanIfEEEEEvT_T0_DpT1_.uses_vcc, 1
	.set _ZN2at6native12_GLOBAL__N_125multi_tensor_apply_kernelINS1_18TensorListMetadataILi2EEENS1_14UnaryOpFunctorIfLi2ELi1ELi1EEEJNS0_4AtanIfEEEEEvT_T0_DpT1_.uses_flat_scratch, 0
	.set _ZN2at6native12_GLOBAL__N_125multi_tensor_apply_kernelINS1_18TensorListMetadataILi2EEENS1_14UnaryOpFunctorIfLi2ELi1ELi1EEEJNS0_4AtanIfEEEEEvT_T0_DpT1_.has_dyn_sized_stack, 0
	.set _ZN2at6native12_GLOBAL__N_125multi_tensor_apply_kernelINS1_18TensorListMetadataILi2EEENS1_14UnaryOpFunctorIfLi2ELi1ELi1EEEJNS0_4AtanIfEEEEEvT_T0_DpT1_.has_recursion, 0
	.set _ZN2at6native12_GLOBAL__N_125multi_tensor_apply_kernelINS1_18TensorListMetadataILi2EEENS1_14UnaryOpFunctorIfLi2ELi1ELi1EEEJNS0_4AtanIfEEEEEvT_T0_DpT1_.has_indirect_call, 0
	.section	.AMDGPU.csdata,"",@progbits
; Kernel info:
; codeLenInByte = 2288
; TotalNumSgprs: 29
; NumVgprs: 37
; ScratchSize: 0
; MemoryBound: 0
; FloatMode: 240
; IeeeMode: 1
; LDSByteSize: 0 bytes/workgroup (compile time only)
; SGPRBlocks: 3
; VGPRBlocks: 9
; NumSGPRsForWavesPerEU: 29
; NumVGPRsForWavesPerEU: 37
; Occupancy: 6
; WaveLimiterHint : 0
; COMPUTE_PGM_RSRC2:SCRATCH_EN: 0
; COMPUTE_PGM_RSRC2:USER_SGPR: 6
; COMPUTE_PGM_RSRC2:TRAP_HANDLER: 0
; COMPUTE_PGM_RSRC2:TGID_X_EN: 1
; COMPUTE_PGM_RSRC2:TGID_Y_EN: 0
; COMPUTE_PGM_RSRC2:TGID_Z_EN: 0
; COMPUTE_PGM_RSRC2:TIDIG_COMP_CNT: 0
	.section	.text._ZN2at6native12_GLOBAL__N_125multi_tensor_apply_kernelINS1_18TensorListMetadataILi2EEENS1_14UnaryOpFunctorIN3c107complexIdEELi2ELi1ELi1EEEJNS0_4AtanIS8_EEEEEvT_T0_DpT1_,"axG",@progbits,_ZN2at6native12_GLOBAL__N_125multi_tensor_apply_kernelINS1_18TensorListMetadataILi2EEENS1_14UnaryOpFunctorIN3c107complexIdEELi2ELi1ELi1EEEJNS0_4AtanIS8_EEEEEvT_T0_DpT1_,comdat
	.globl	_ZN2at6native12_GLOBAL__N_125multi_tensor_apply_kernelINS1_18TensorListMetadataILi2EEENS1_14UnaryOpFunctorIN3c107complexIdEELi2ELi1ELi1EEEJNS0_4AtanIS8_EEEEEvT_T0_DpT1_ ; -- Begin function _ZN2at6native12_GLOBAL__N_125multi_tensor_apply_kernelINS1_18TensorListMetadataILi2EEENS1_14UnaryOpFunctorIN3c107complexIdEELi2ELi1ELi1EEEJNS0_4AtanIS8_EEEEEvT_T0_DpT1_
	.p2align	8
	.type	_ZN2at6native12_GLOBAL__N_125multi_tensor_apply_kernelINS1_18TensorListMetadataILi2EEENS1_14UnaryOpFunctorIN3c107complexIdEELi2ELi1ELi1EEEJNS0_4AtanIS8_EEEEEvT_T0_DpT1_,@function
_ZN2at6native12_GLOBAL__N_125multi_tensor_apply_kernelINS1_18TensorListMetadataILi2EEENS1_14UnaryOpFunctorIN3c107complexIdEELi2ELi1ELi1EEEJNS0_4AtanIS8_EEEEEvT_T0_DpT1_: ; @_ZN2at6native12_GLOBAL__N_125multi_tensor_apply_kernelINS1_18TensorListMetadataILi2EEENS1_14UnaryOpFunctorIN3c107complexIdEELi2ELi1ELi1EEEJNS0_4AtanIS8_EEEEEvT_T0_DpT1_
; %bb.0:
	v_mov_b32_e32 v1, s6
	global_load_ubyte v1, v1, s[4:5] offset:1536
	s_add_u32 s0, s4, s6
	s_mul_hi_u32 s2, s6, 3
	s_mul_i32 s6, s6, 3
	s_addc_u32 s7, s5, 0
	s_add_u32 s6, s0, s6
	s_addc_u32 s7, s7, s2
	s_load_dword s6, s[6:7], 0x740
	s_mov_b32 s1, 0
	s_mov_b32 s3, s1
	s_waitcnt lgkmcnt(0)
	s_ashr_i32 s7, s6, 31
	s_lshl_b64 s[16:17], s[6:7], 20
	s_waitcnt vmcnt(0)
	v_readfirstlane_b32 s0, v1
	s_lshl_b32 s0, s0, 3
	s_load_dwordx2 s[8:9], s[4:5], s0 offset:0x0
	s_load_dwordx2 s[10:11], s[4:5], s0 offset:0x400
	;; [unrolled: 1-line block ×3, first 2 shown]
	s_waitcnt lgkmcnt(0)
	s_add_u32 s14, s8, s16
	s_addc_u32 s15, s9, s17
	s_and_b32 s0, s14, 63
	s_add_u32 s16, s12, s16
	s_addc_u32 s17, s13, s17
	s_lshl_b64 s[6:7], s[6:7], 16
	s_and_b32 s2, s16, 63
	s_sub_u32 s8, s10, s6
	s_subb_u32 s9, s11, s7
	s_and_b32 s6, s10, 3
	s_mov_b32 s7, s1
	s_or_b64 s[2:3], s[2:3], s[6:7]
	s_or_b64 s[0:1], s[2:3], s[0:1]
	s_cmp_eq_u64 s[0:1], 0
	s_mov_b64 s[0:1], -1
	s_cbranch_scc0 .LBB67_5
; %bb.1:
	v_mov_b32_e32 v1, 0x10000
	v_mov_b32_e32 v2, 0
	v_cmp_lt_i64_e32 vcc, s[8:9], v[1:2]
	v_mov_b32_e32 v2, 0
	s_and_b64 s[0:1], vcc, exec
	s_cselect_b32 s11, s9, 0
	s_cselect_b32 s10, s8, 0x10000
	v_lshlrev_b32_e32 v1, 2, v0
	v_cmp_gt_i64_e32 vcc, s[10:11], v[1:2]
	s_and_saveexec_b64 s[12:13], vcc
	s_cbranch_execz .LBB67_4
; %bb.2:
	s_load_dword s0, s[4:5], 0xc5c
	v_mov_b32_e32 v1, v2
	s_mov_b32 s18, 0x55555555
	s_mov_b32 s19, 0x3fe55555
	;; [unrolled: 1-line block ×3, first 2 shown]
	s_waitcnt lgkmcnt(0)
	s_and_b32 s33, s0, 0xffff
	s_mov_b32 s0, 0x6b47b09a
	s_mov_b32 s1, 0x3fc38538
	v_mov_b32_e32 v18, s1
	v_mov_b32_e32 v17, s0
	s_mov_b32 s0, 0xbd3237f4
	s_mov_b32 s1, 0xbf23e260
	;; [unrolled: 1-line block ×9, first 2 shown]
	v_mov_b32_e32 v20, s1
	s_mov_b32 s40, 0x69efb384
	s_mov_b32 s42, 0xaf56de9b
	;; [unrolled: 1-line block ×19, first 2 shown]
	v_mov_b32_e32 v22, v1
	s_mov_b32 s82, 0
	v_lshlrev_b32_e32 v25, 6, v0
	s_mov_b32 s21, 0x3fc3ab76
	s_mov_b32 s23, 0x3fc7474d
	;; [unrolled: 1-line block ×9, first 2 shown]
	v_mov_b32_e32 v26, 0xfff00000
	s_mov_b32 s39, 0x3eeba404
	v_mov_b32_e32 v19, s0
	s_mov_b32 s41, 0x3f4b2bb0
	s_mov_b32 s43, 0xbf67952d
	s_mov_b32 s45, 0x3f7d6d43
	s_mov_b32 s47, 0xbf8c6ea4
	s_mov_b32 s49, 0x3f967e29
	s_mov_b32 s51, 0xbf9e9ae6
	s_mov_b32 s53, 0x3fa2c15b
	s_mov_b32 s55, 0xbfa59976
	s_mov_b32 s57, 0x3fa82d5d
	s_mov_b32 s59, 0xbfaae5ce
	s_mov_b32 s61, 0x3fae1bb4
	s_mov_b32 s63, 0xbfb110e4
	s_mov_b32 s65, 0x3fb3b136
	s_mov_b32 s67, 0xbfb745d1
	s_mov_b32 s69, 0x3fbc71c7
	s_mov_b32 s71, 0xbfc24924
	s_mov_b32 s73, 0x3fc99999
	s_mov_b32 s75, 0xbfd55555
	v_mov_b32_e32 v27, 0x54442d18
	v_mov_b32_e32 v28, 0x7f3321d2
	;; [unrolled: 1-line block ×4, first 2 shown]
	s_mov_b32 s77, 0x3ff921fb
	s_mov_b32 s79, 0x400921fb
	;; [unrolled: 1-line block ×3, first 2 shown]
	v_mov_b32_e32 v31, 0x7ff80000
	v_mov_b32_e32 v21, v0
	s_lshl_b32 s88, s33, 6
	s_movk_i32 s89, 0x204
	s_brev_b32 s90, -2
	s_mov_b64 s[80:81], 0
	s_brev_b32 s83, 1
	s_mov_b64 s[84:85], s[14:15]
	s_mov_b64 s[86:87], s[16:17]
.LBB67_3:                               ; =>This Inner Loop Header: Depth=1
	v_add_co_u32_e32 v1, vcc, s84, v25
	v_mov_b32_e32 v2, s85
	v_addc_co_u32_e32 v2, vcc, 0, v2, vcc
	global_load_dwordx4 v[5:8], v[1:2], off offset:48
	global_load_dwordx4 v[13:16], v[1:2], off offset:32
	;; [unrolled: 1-line block ×3, first 2 shown]
	s_nop 0
	global_load_dwordx4 v[1:4], v[1:2], off
	s_waitcnt vmcnt(0)
	v_fma_f64 v[23:24], v[1:2], 0, -v[3:4]
	v_fma_f64 v[1:2], v[3:4], 0, v[1:2]
	v_add_f64 v[32:33], v[23:24], 1.0
	v_mul_f64 v[3:4], v[1:2], v[1:2]
	v_add_f64 v[34:35], -v[23:24], 1.0
	v_fma_f64 v[23:24], -v[23:24], v[23:24], 1.0
	v_fma_f64 v[32:33], v[32:33], v[32:33], v[3:4]
	v_fma_f64 v[3:4], v[34:35], v[34:35], v[3:4]
	v_fma_f64 v[23:24], -v[1:2], v[1:2], v[23:24]
	v_add_f64 v[1:2], v[1:2], v[1:2]
	v_frexp_mant_f64_e32 v[34:35], v[32:33]
	v_frexp_exp_i32_f64_e32 v36, v[32:33]
	v_cmp_class_f64_e64 s[2:3], v[23:24], s89
	v_cmp_lt_f64_e64 s[6:7], |v[23:24]|, |v[1:2]|
	v_cmp_gt_f64_e32 vcc, s[18:19], v[34:35]
	v_cndmask_b32_e64 v37, 0, 1, vcc
	v_ldexp_f64 v[34:35], v[34:35], v37
	v_subbrev_co_u32_e32 v48, vcc, 0, v36, vcc
	v_cmp_class_f64_e64 vcc, v[32:33], s89
	v_add_f64 v[38:39], v[34:35], 1.0
	v_add_f64 v[36:37], v[34:35], -1.0
	v_add_f64 v[40:41], v[38:39], -1.0
	v_add_f64 v[34:35], v[34:35], -v[40:41]
	v_rcp_f64_e32 v[40:41], v[38:39]
	v_fma_f64 v[42:43], -v[38:39], v[40:41], 1.0
	v_fma_f64 v[40:41], v[42:43], v[40:41], v[40:41]
	v_fma_f64 v[42:43], -v[38:39], v[40:41], 1.0
	v_fma_f64 v[40:41], v[42:43], v[40:41], v[40:41]
	v_mul_f64 v[42:43], v[36:37], v[40:41]
	v_mul_f64 v[44:45], v[38:39], v[42:43]
	v_fma_f64 v[38:39], v[42:43], v[38:39], -v[44:45]
	v_fma_f64 v[34:35], v[42:43], v[34:35], v[38:39]
	v_add_f64 v[38:39], v[44:45], v[34:35]
	v_add_f64 v[46:47], v[36:37], -v[38:39]
	v_add_f64 v[44:45], v[38:39], -v[44:45]
	;; [unrolled: 1-line block ×5, first 2 shown]
	v_add_f64 v[34:35], v[34:35], v[36:37]
	v_add_f64 v[34:35], v[46:47], v[34:35]
	v_mul_f64 v[34:35], v[40:41], v[34:35]
	v_add_f64 v[36:37], v[42:43], v[34:35]
	v_add_f64 v[38:39], v[36:37], -v[42:43]
	v_ldexp_f64 v[42:43], v[36:37], 1
	v_add_f64 v[34:35], v[34:35], -v[38:39]
	v_mul_f64 v[38:39], v[36:37], v[36:37]
	v_ldexp_f64 v[34:35], v[34:35], 1
	v_fma_f64 v[40:41], v[38:39], s[20:21], v[17:18]
	v_mul_f64 v[36:37], v[36:37], v[38:39]
	v_fma_f64 v[40:41], v[38:39], v[40:41], s[22:23]
	v_fma_f64 v[40:41], v[38:39], v[40:41], s[24:25]
	;; [unrolled: 1-line block ×5, first 2 shown]
	v_mul_f64 v[36:37], v[36:37], v[40:41]
	v_add_f64 v[38:39], v[42:43], v[36:37]
	v_add_f64 v[40:41], v[38:39], -v[42:43]
	v_add_f64 v[36:37], v[36:37], -v[40:41]
	v_add_f64 v[34:35], v[34:35], v[36:37]
	v_add_f64 v[36:37], v[38:39], v[34:35]
	v_add_f64 v[38:39], v[36:37], -v[38:39]
	v_add_f64 v[34:35], v[34:35], -v[38:39]
	v_cvt_f64_i32_e32 v[38:39], v48
	v_mul_f64 v[40:41], v[38:39], s[34:35]
	v_fma_f64 v[42:43], v[38:39], s[34:35], -v[40:41]
	v_fma_f64 v[38:39], v[38:39], s[36:37], v[42:43]
	v_add_f64 v[42:43], v[40:41], v[38:39]
	v_add_f64 v[40:41], v[42:43], -v[40:41]
	v_add_f64 v[38:39], v[38:39], -v[40:41]
	v_add_f64 v[40:41], v[42:43], v[36:37]
	v_add_f64 v[44:45], v[40:41], -v[42:43]
	v_add_f64 v[46:47], v[40:41], -v[44:45]
	;; [unrolled: 1-line block ×4, first 2 shown]
	v_add_f64 v[36:37], v[36:37], v[42:43]
	v_add_f64 v[42:43], v[38:39], v[34:35]
	v_add_f64 v[44:45], v[42:43], -v[38:39]
	v_add_f64 v[36:37], v[42:43], v[36:37]
	v_add_f64 v[46:47], v[42:43], -v[44:45]
	v_add_f64 v[34:35], v[34:35], -v[44:45]
	;; [unrolled: 1-line block ×3, first 2 shown]
	v_add_f64 v[34:35], v[34:35], v[38:39]
	v_add_f64 v[38:39], v[40:41], v[36:37]
	v_add_f64 v[40:41], v[38:39], -v[40:41]
	v_add_f64 v[36:37], v[36:37], -v[40:41]
	v_add_f64 v[34:35], v[34:35], v[36:37]
	v_frexp_exp_i32_f64_e32 v36, v[3:4]
	v_add_f64 v[34:35], v[38:39], v[34:35]
	v_cndmask_b32_e32 v34, v34, v32, vcc
	v_cndmask_b32_e32 v35, v35, v33, vcc
	v_cmp_neq_f64_e32 vcc, 0, v[32:33]
	v_cndmask_b32_e32 v33, v26, v35, vcc
	v_cndmask_b32_e32 v32, 0, v34, vcc
	v_frexp_mant_f64_e32 v[34:35], v[3:4]
	v_cmp_gt_f64_e32 vcc, s[18:19], v[34:35]
	v_cndmask_b32_e64 v37, 0, 1, vcc
	v_ldexp_f64 v[34:35], v[34:35], v37
	v_subbrev_co_u32_e32 v48, vcc, 0, v36, vcc
	v_cmp_class_f64_e64 vcc, v[3:4], s89
	v_add_f64 v[38:39], v[34:35], 1.0
	v_add_f64 v[36:37], v[34:35], -1.0
	v_add_f64 v[40:41], v[38:39], -1.0
	v_add_f64 v[34:35], v[34:35], -v[40:41]
	v_rcp_f64_e32 v[40:41], v[38:39]
	v_fma_f64 v[42:43], -v[38:39], v[40:41], 1.0
	v_fma_f64 v[40:41], v[42:43], v[40:41], v[40:41]
	v_fma_f64 v[42:43], -v[38:39], v[40:41], 1.0
	v_fma_f64 v[40:41], v[42:43], v[40:41], v[40:41]
	v_mul_f64 v[42:43], v[36:37], v[40:41]
	v_mul_f64 v[44:45], v[38:39], v[42:43]
	v_fma_f64 v[38:39], v[42:43], v[38:39], -v[44:45]
	v_fma_f64 v[34:35], v[42:43], v[34:35], v[38:39]
	v_add_f64 v[38:39], v[44:45], v[34:35]
	v_add_f64 v[46:47], v[36:37], -v[38:39]
	v_add_f64 v[44:45], v[38:39], -v[44:45]
	;; [unrolled: 1-line block ×5, first 2 shown]
	v_add_f64 v[34:35], v[34:35], v[36:37]
	v_add_f64 v[34:35], v[46:47], v[34:35]
	v_mul_f64 v[34:35], v[40:41], v[34:35]
	v_add_f64 v[36:37], v[42:43], v[34:35]
	v_add_f64 v[38:39], v[36:37], -v[42:43]
	v_ldexp_f64 v[42:43], v[36:37], 1
	v_add_f64 v[34:35], v[34:35], -v[38:39]
	v_mul_f64 v[38:39], v[36:37], v[36:37]
	v_ldexp_f64 v[34:35], v[34:35], 1
	v_fma_f64 v[40:41], v[38:39], s[20:21], v[17:18]
	v_mul_f64 v[36:37], v[36:37], v[38:39]
	v_fma_f64 v[40:41], v[38:39], v[40:41], s[22:23]
	v_fma_f64 v[40:41], v[38:39], v[40:41], s[24:25]
	;; [unrolled: 1-line block ×5, first 2 shown]
	v_mul_f64 v[36:37], v[36:37], v[40:41]
	v_add_f64 v[38:39], v[42:43], v[36:37]
	v_add_f64 v[40:41], v[38:39], -v[42:43]
	v_add_f64 v[36:37], v[36:37], -v[40:41]
	v_add_f64 v[34:35], v[34:35], v[36:37]
	v_add_f64 v[36:37], v[38:39], v[34:35]
	v_add_f64 v[38:39], v[36:37], -v[38:39]
	v_add_f64 v[34:35], v[34:35], -v[38:39]
	v_cvt_f64_i32_e32 v[38:39], v48
	v_mul_f64 v[40:41], v[38:39], s[34:35]
	v_fma_f64 v[42:43], v[38:39], s[34:35], -v[40:41]
	v_fma_f64 v[38:39], v[38:39], s[36:37], v[42:43]
	v_add_f64 v[42:43], v[40:41], v[38:39]
	v_add_f64 v[40:41], v[42:43], -v[40:41]
	v_add_f64 v[38:39], v[38:39], -v[40:41]
	v_add_f64 v[40:41], v[42:43], v[36:37]
	v_add_f64 v[44:45], v[40:41], -v[42:43]
	v_add_f64 v[46:47], v[40:41], -v[44:45]
	;; [unrolled: 1-line block ×4, first 2 shown]
	v_add_f64 v[36:37], v[36:37], v[42:43]
	v_add_f64 v[42:43], v[38:39], v[34:35]
	v_add_f64 v[44:45], v[42:43], -v[38:39]
	v_add_f64 v[36:37], v[42:43], v[36:37]
	v_add_f64 v[46:47], v[42:43], -v[44:45]
	v_add_f64 v[34:35], v[34:35], -v[44:45]
	;; [unrolled: 1-line block ×3, first 2 shown]
	v_add_f64 v[34:35], v[34:35], v[38:39]
	v_add_f64 v[38:39], v[40:41], v[36:37]
	v_add_f64 v[40:41], v[38:39], -v[40:41]
	v_add_f64 v[36:37], v[36:37], -v[40:41]
	v_add_f64 v[34:35], v[34:35], v[36:37]
	v_add_f64 v[34:35], v[38:39], v[34:35]
	v_cndmask_b32_e32 v34, v34, v3, vcc
	v_cndmask_b32_e32 v35, v35, v4, vcc
	v_cmp_neq_f64_e32 vcc, 0, v[3:4]
	v_cndmask_b32_e32 v4, v26, v35, vcc
	v_cndmask_b32_e32 v3, 0, v34, vcc
	v_add_f64 v[3:4], v[32:33], -v[3:4]
	v_max_f64 v[32:33], |v[23:24]|, |v[1:2]|
	v_min_f64 v[34:35], |v[23:24]|, |v[1:2]|
	v_ldexp_f64 v[3:4], v[3:4], -2
	v_div_scale_f64 v[36:37], s[0:1], v[32:33], v[32:33], v[34:35]
	v_cmp_class_f64_e64 s[0:1], v[1:2], s89
	v_rcp_f64_e32 v[38:39], v[36:37]
	v_fma_f64 v[40:41], -v[36:37], v[38:39], 1.0
	v_fma_f64 v[38:39], v[38:39], v[40:41], v[38:39]
	v_fma_f64 v[40:41], -v[36:37], v[38:39], 1.0
	v_fma_f64 v[38:39], v[38:39], v[40:41], v[38:39]
	v_div_scale_f64 v[40:41], vcc, v[34:35], v[32:33], v[34:35]
	v_mul_f64 v[42:43], v[40:41], v[38:39]
	v_fma_f64 v[36:37], -v[36:37], v[42:43], v[40:41]
	s_nop 1
	v_div_fmas_f64 v[36:37], v[36:37], v[38:39], v[42:43]
	s_and_b64 vcc, s[0:1], s[2:3]
	v_cmp_eq_f64_e64 s[2:3], 0, v[1:2]
	v_cmp_gt_i32_e64 s[0:1], 0, v24
	v_div_fixup_f64 v[32:33], v[36:37], v[32:33], v[34:35]
	v_mul_f64 v[34:35], v[32:33], v[32:33]
	v_fma_f64 v[36:37], v[34:35], s[38:39], v[19:20]
	v_fma_f64 v[36:37], v[34:35], v[36:37], s[40:41]
	;; [unrolled: 1-line block ×19, first 2 shown]
	v_mul_f64 v[34:35], v[34:35], v[36:37]
	v_cndmask_b32_e64 v36, v27, v28, s[0:1]
	v_cndmask_b32_e64 v37, v29, v30, s[0:1]
	v_fma_f64 v[32:33], v[32:33], v[34:35], v[32:33]
	v_ashrrev_i32_e32 v34, 31, v24
	v_and_b32_e32 v38, 0x400921fb, v34
	v_and_b32_e32 v39, 0x54442d18, v34
	v_add_f64 v[34:35], -v[32:33], s[76:77]
	v_cndmask_b32_e64 v33, v33, v35, s[6:7]
	v_cndmask_b32_e64 v32, v32, v34, s[6:7]
	v_add_f64 v[34:35], -v[32:33], s[78:79]
	v_cndmask_b32_e64 v33, v33, v35, s[0:1]
	v_cndmask_b32_e64 v32, v32, v34, s[0:1]
	;; [unrolled: 1-line block ×4, first 2 shown]
	v_cndmask_b32_e32 v33, v33, v37, vcc
	v_cndmask_b32_e32 v32, v32, v36, vcc
	v_cmp_o_f64_e32 vcc, v[23:24], v[1:2]
	v_cndmask_b32_e32 v23, v31, v33, vcc
	v_cndmask_b32_e32 v1, 0, v32, vcc
	v_bfi_b32 v2, s90, v23, v2
	v_mul_f64 v[23:24], v[1:2], 0.5
	v_fma_f64 v[1:2], v[3:4], s[82:83], v[23:24]
	v_fma_f64 v[3:4], v[23:24], s[82:83], -v[3:4]
	v_fma_f64 v[23:24], v[9:10], 0, -v[11:12]
	v_fma_f64 v[9:10], v[11:12], 0, v[9:10]
	v_add_f64 v[32:33], v[23:24], 1.0
	v_mul_f64 v[11:12], v[9:10], v[9:10]
	v_add_f64 v[34:35], -v[23:24], 1.0
	v_fma_f64 v[23:24], -v[23:24], v[23:24], 1.0
	v_fma_f64 v[32:33], v[32:33], v[32:33], v[11:12]
	v_fma_f64 v[11:12], v[34:35], v[34:35], v[11:12]
	v_fma_f64 v[23:24], -v[9:10], v[9:10], v[23:24]
	v_add_f64 v[9:10], v[9:10], v[9:10]
	v_frexp_mant_f64_e32 v[34:35], v[32:33]
	v_frexp_exp_i32_f64_e32 v36, v[32:33]
	v_cmp_class_f64_e64 s[2:3], v[23:24], s89
	v_cmp_lt_f64_e64 s[6:7], |v[23:24]|, |v[9:10]|
	v_cmp_gt_f64_e32 vcc, s[18:19], v[34:35]
	v_cndmask_b32_e64 v37, 0, 1, vcc
	v_ldexp_f64 v[34:35], v[34:35], v37
	v_subbrev_co_u32_e32 v48, vcc, 0, v36, vcc
	v_cmp_class_f64_e64 vcc, v[32:33], s89
	v_add_f64 v[38:39], v[34:35], 1.0
	v_add_f64 v[36:37], v[34:35], -1.0
	v_add_f64 v[40:41], v[38:39], -1.0
	v_add_f64 v[34:35], v[34:35], -v[40:41]
	v_rcp_f64_e32 v[40:41], v[38:39]
	v_fma_f64 v[42:43], -v[38:39], v[40:41], 1.0
	v_fma_f64 v[40:41], v[42:43], v[40:41], v[40:41]
	v_fma_f64 v[42:43], -v[38:39], v[40:41], 1.0
	v_fma_f64 v[40:41], v[42:43], v[40:41], v[40:41]
	v_mul_f64 v[42:43], v[36:37], v[40:41]
	v_mul_f64 v[44:45], v[38:39], v[42:43]
	v_fma_f64 v[38:39], v[42:43], v[38:39], -v[44:45]
	v_fma_f64 v[34:35], v[42:43], v[34:35], v[38:39]
	v_add_f64 v[38:39], v[44:45], v[34:35]
	v_add_f64 v[46:47], v[36:37], -v[38:39]
	v_add_f64 v[44:45], v[38:39], -v[44:45]
	;; [unrolled: 1-line block ×5, first 2 shown]
	v_add_f64 v[34:35], v[34:35], v[36:37]
	v_add_f64 v[34:35], v[46:47], v[34:35]
	v_mul_f64 v[34:35], v[40:41], v[34:35]
	v_add_f64 v[36:37], v[42:43], v[34:35]
	v_add_f64 v[38:39], v[36:37], -v[42:43]
	v_ldexp_f64 v[42:43], v[36:37], 1
	v_add_f64 v[34:35], v[34:35], -v[38:39]
	v_mul_f64 v[38:39], v[36:37], v[36:37]
	v_ldexp_f64 v[34:35], v[34:35], 1
	v_fma_f64 v[40:41], v[38:39], s[20:21], v[17:18]
	v_mul_f64 v[36:37], v[36:37], v[38:39]
	v_fma_f64 v[40:41], v[38:39], v[40:41], s[22:23]
	v_fma_f64 v[40:41], v[38:39], v[40:41], s[24:25]
	;; [unrolled: 1-line block ×5, first 2 shown]
	v_mul_f64 v[36:37], v[36:37], v[40:41]
	v_add_f64 v[38:39], v[42:43], v[36:37]
	v_add_f64 v[40:41], v[38:39], -v[42:43]
	v_add_f64 v[36:37], v[36:37], -v[40:41]
	v_add_f64 v[34:35], v[34:35], v[36:37]
	v_add_f64 v[36:37], v[38:39], v[34:35]
	v_add_f64 v[38:39], v[36:37], -v[38:39]
	v_add_f64 v[34:35], v[34:35], -v[38:39]
	v_cvt_f64_i32_e32 v[38:39], v48
	v_mul_f64 v[40:41], v[38:39], s[34:35]
	v_fma_f64 v[42:43], v[38:39], s[34:35], -v[40:41]
	v_fma_f64 v[38:39], v[38:39], s[36:37], v[42:43]
	v_add_f64 v[42:43], v[40:41], v[38:39]
	v_add_f64 v[40:41], v[42:43], -v[40:41]
	v_add_f64 v[38:39], v[38:39], -v[40:41]
	v_add_f64 v[40:41], v[42:43], v[36:37]
	v_add_f64 v[44:45], v[40:41], -v[42:43]
	v_add_f64 v[46:47], v[40:41], -v[44:45]
	;; [unrolled: 1-line block ×4, first 2 shown]
	v_add_f64 v[36:37], v[36:37], v[42:43]
	v_add_f64 v[42:43], v[38:39], v[34:35]
	v_add_f64 v[44:45], v[42:43], -v[38:39]
	v_add_f64 v[36:37], v[42:43], v[36:37]
	v_add_f64 v[46:47], v[42:43], -v[44:45]
	v_add_f64 v[34:35], v[34:35], -v[44:45]
	;; [unrolled: 1-line block ×3, first 2 shown]
	v_add_f64 v[34:35], v[34:35], v[38:39]
	v_add_f64 v[38:39], v[40:41], v[36:37]
	v_add_f64 v[40:41], v[38:39], -v[40:41]
	v_add_f64 v[36:37], v[36:37], -v[40:41]
	v_add_f64 v[34:35], v[34:35], v[36:37]
	v_frexp_exp_i32_f64_e32 v36, v[11:12]
	v_add_f64 v[34:35], v[38:39], v[34:35]
	v_cndmask_b32_e32 v34, v34, v32, vcc
	v_cndmask_b32_e32 v35, v35, v33, vcc
	v_cmp_neq_f64_e32 vcc, 0, v[32:33]
	v_cndmask_b32_e32 v33, v26, v35, vcc
	v_cndmask_b32_e32 v32, 0, v34, vcc
	v_frexp_mant_f64_e32 v[34:35], v[11:12]
	v_cmp_gt_f64_e32 vcc, s[18:19], v[34:35]
	v_cndmask_b32_e64 v37, 0, 1, vcc
	v_ldexp_f64 v[34:35], v[34:35], v37
	v_subbrev_co_u32_e32 v48, vcc, 0, v36, vcc
	v_cmp_class_f64_e64 vcc, v[11:12], s89
	v_add_f64 v[38:39], v[34:35], 1.0
	v_add_f64 v[36:37], v[34:35], -1.0
	v_add_f64 v[40:41], v[38:39], -1.0
	v_add_f64 v[34:35], v[34:35], -v[40:41]
	v_rcp_f64_e32 v[40:41], v[38:39]
	v_fma_f64 v[42:43], -v[38:39], v[40:41], 1.0
	v_fma_f64 v[40:41], v[42:43], v[40:41], v[40:41]
	v_fma_f64 v[42:43], -v[38:39], v[40:41], 1.0
	v_fma_f64 v[40:41], v[42:43], v[40:41], v[40:41]
	v_mul_f64 v[42:43], v[36:37], v[40:41]
	v_mul_f64 v[44:45], v[38:39], v[42:43]
	v_fma_f64 v[38:39], v[42:43], v[38:39], -v[44:45]
	v_fma_f64 v[34:35], v[42:43], v[34:35], v[38:39]
	v_add_f64 v[38:39], v[44:45], v[34:35]
	v_add_f64 v[46:47], v[36:37], -v[38:39]
	v_add_f64 v[44:45], v[38:39], -v[44:45]
	v_add_f64 v[36:37], v[36:37], -v[46:47]
	v_add_f64 v[34:35], v[44:45], -v[34:35]
	v_add_f64 v[36:37], v[36:37], -v[38:39]
	v_add_f64 v[34:35], v[34:35], v[36:37]
	v_add_f64 v[34:35], v[46:47], v[34:35]
	v_mul_f64 v[34:35], v[40:41], v[34:35]
	v_add_f64 v[36:37], v[42:43], v[34:35]
	v_add_f64 v[38:39], v[36:37], -v[42:43]
	v_ldexp_f64 v[42:43], v[36:37], 1
	v_add_f64 v[34:35], v[34:35], -v[38:39]
	v_mul_f64 v[38:39], v[36:37], v[36:37]
	v_ldexp_f64 v[34:35], v[34:35], 1
	v_fma_f64 v[40:41], v[38:39], s[20:21], v[17:18]
	v_mul_f64 v[36:37], v[36:37], v[38:39]
	v_fma_f64 v[40:41], v[38:39], v[40:41], s[22:23]
	v_fma_f64 v[40:41], v[38:39], v[40:41], s[24:25]
	;; [unrolled: 1-line block ×5, first 2 shown]
	v_mul_f64 v[36:37], v[36:37], v[40:41]
	v_add_f64 v[38:39], v[42:43], v[36:37]
	v_add_f64 v[40:41], v[38:39], -v[42:43]
	v_add_f64 v[36:37], v[36:37], -v[40:41]
	v_add_f64 v[34:35], v[34:35], v[36:37]
	v_add_f64 v[36:37], v[38:39], v[34:35]
	v_add_f64 v[38:39], v[36:37], -v[38:39]
	v_add_f64 v[34:35], v[34:35], -v[38:39]
	v_cvt_f64_i32_e32 v[38:39], v48
	v_mul_f64 v[40:41], v[38:39], s[34:35]
	v_fma_f64 v[42:43], v[38:39], s[34:35], -v[40:41]
	v_fma_f64 v[38:39], v[38:39], s[36:37], v[42:43]
	v_add_f64 v[42:43], v[40:41], v[38:39]
	v_add_f64 v[40:41], v[42:43], -v[40:41]
	v_add_f64 v[38:39], v[38:39], -v[40:41]
	v_add_f64 v[40:41], v[42:43], v[36:37]
	v_add_f64 v[44:45], v[40:41], -v[42:43]
	v_add_f64 v[46:47], v[40:41], -v[44:45]
	;; [unrolled: 1-line block ×4, first 2 shown]
	v_add_f64 v[36:37], v[36:37], v[42:43]
	v_add_f64 v[42:43], v[38:39], v[34:35]
	v_add_f64 v[44:45], v[42:43], -v[38:39]
	v_add_f64 v[36:37], v[42:43], v[36:37]
	v_add_f64 v[46:47], v[42:43], -v[44:45]
	v_add_f64 v[34:35], v[34:35], -v[44:45]
	;; [unrolled: 1-line block ×3, first 2 shown]
	v_add_f64 v[34:35], v[34:35], v[38:39]
	v_add_f64 v[38:39], v[40:41], v[36:37]
	v_add_f64 v[40:41], v[38:39], -v[40:41]
	v_add_f64 v[36:37], v[36:37], -v[40:41]
	v_add_f64 v[34:35], v[34:35], v[36:37]
	v_add_f64 v[34:35], v[38:39], v[34:35]
	v_cndmask_b32_e32 v34, v34, v11, vcc
	v_cndmask_b32_e32 v35, v35, v12, vcc
	v_cmp_neq_f64_e32 vcc, 0, v[11:12]
	v_cndmask_b32_e32 v12, v26, v35, vcc
	v_cndmask_b32_e32 v11, 0, v34, vcc
	v_add_f64 v[11:12], v[32:33], -v[11:12]
	v_max_f64 v[32:33], |v[23:24]|, |v[9:10]|
	v_min_f64 v[34:35], |v[23:24]|, |v[9:10]|
	v_ldexp_f64 v[11:12], v[11:12], -2
	v_div_scale_f64 v[36:37], s[0:1], v[32:33], v[32:33], v[34:35]
	v_cmp_class_f64_e64 s[0:1], v[9:10], s89
	v_rcp_f64_e32 v[38:39], v[36:37]
	v_fma_f64 v[40:41], -v[36:37], v[38:39], 1.0
	v_fma_f64 v[38:39], v[38:39], v[40:41], v[38:39]
	v_fma_f64 v[40:41], -v[36:37], v[38:39], 1.0
	v_fma_f64 v[38:39], v[38:39], v[40:41], v[38:39]
	v_div_scale_f64 v[40:41], vcc, v[34:35], v[32:33], v[34:35]
	v_mul_f64 v[42:43], v[40:41], v[38:39]
	v_fma_f64 v[36:37], -v[36:37], v[42:43], v[40:41]
	s_nop 1
	v_div_fmas_f64 v[36:37], v[36:37], v[38:39], v[42:43]
	s_and_b64 vcc, s[0:1], s[2:3]
	v_cmp_eq_f64_e64 s[2:3], 0, v[9:10]
	v_cmp_gt_i32_e64 s[0:1], 0, v24
	v_div_fixup_f64 v[32:33], v[36:37], v[32:33], v[34:35]
	v_mul_f64 v[34:35], v[32:33], v[32:33]
	v_fma_f64 v[36:37], v[34:35], s[38:39], v[19:20]
	v_fma_f64 v[36:37], v[34:35], v[36:37], s[40:41]
	;; [unrolled: 1-line block ×19, first 2 shown]
	v_mul_f64 v[34:35], v[34:35], v[36:37]
	v_cndmask_b32_e64 v36, v27, v28, s[0:1]
	v_cndmask_b32_e64 v37, v29, v30, s[0:1]
	v_fma_f64 v[32:33], v[32:33], v[34:35], v[32:33]
	v_ashrrev_i32_e32 v34, 31, v24
	v_and_b32_e32 v38, 0x400921fb, v34
	v_and_b32_e32 v39, 0x54442d18, v34
	v_add_f64 v[34:35], -v[32:33], s[76:77]
	v_cndmask_b32_e64 v33, v33, v35, s[6:7]
	v_cndmask_b32_e64 v32, v32, v34, s[6:7]
	v_add_f64 v[34:35], -v[32:33], s[78:79]
	v_cndmask_b32_e64 v33, v33, v35, s[0:1]
	v_cndmask_b32_e64 v32, v32, v34, s[0:1]
	v_cndmask_b32_e64 v32, v32, v39, s[2:3]
	v_cndmask_b32_e64 v33, v33, v38, s[2:3]
	v_cndmask_b32_e32 v33, v33, v37, vcc
	v_cndmask_b32_e32 v32, v32, v36, vcc
	v_cmp_o_f64_e32 vcc, v[23:24], v[9:10]
	v_cndmask_b32_e32 v23, v31, v33, vcc
	v_cndmask_b32_e32 v9, 0, v32, vcc
	v_bfi_b32 v10, s90, v23, v10
	v_mul_f64 v[23:24], v[9:10], 0.5
	v_fma_f64 v[9:10], v[11:12], s[82:83], v[23:24]
	v_fma_f64 v[11:12], v[23:24], s[82:83], -v[11:12]
	v_fma_f64 v[23:24], v[13:14], 0, -v[15:16]
	v_fma_f64 v[13:14], v[15:16], 0, v[13:14]
	v_add_f64 v[32:33], v[23:24], 1.0
	v_mul_f64 v[15:16], v[13:14], v[13:14]
	v_add_f64 v[34:35], -v[23:24], 1.0
	v_fma_f64 v[23:24], -v[23:24], v[23:24], 1.0
	v_fma_f64 v[32:33], v[32:33], v[32:33], v[15:16]
	v_fma_f64 v[15:16], v[34:35], v[34:35], v[15:16]
	v_fma_f64 v[23:24], -v[13:14], v[13:14], v[23:24]
	v_add_f64 v[13:14], v[13:14], v[13:14]
	v_frexp_mant_f64_e32 v[34:35], v[32:33]
	v_frexp_exp_i32_f64_e32 v36, v[32:33]
	v_cmp_class_f64_e64 s[2:3], v[23:24], s89
	v_cmp_lt_f64_e64 s[6:7], |v[23:24]|, |v[13:14]|
	v_cmp_gt_f64_e32 vcc, s[18:19], v[34:35]
	v_cndmask_b32_e64 v37, 0, 1, vcc
	v_ldexp_f64 v[34:35], v[34:35], v37
	v_subbrev_co_u32_e32 v48, vcc, 0, v36, vcc
	v_cmp_class_f64_e64 vcc, v[32:33], s89
	v_add_f64 v[38:39], v[34:35], 1.0
	v_add_f64 v[36:37], v[34:35], -1.0
	v_add_f64 v[40:41], v[38:39], -1.0
	v_add_f64 v[34:35], v[34:35], -v[40:41]
	v_rcp_f64_e32 v[40:41], v[38:39]
	v_fma_f64 v[42:43], -v[38:39], v[40:41], 1.0
	v_fma_f64 v[40:41], v[42:43], v[40:41], v[40:41]
	v_fma_f64 v[42:43], -v[38:39], v[40:41], 1.0
	v_fma_f64 v[40:41], v[42:43], v[40:41], v[40:41]
	v_mul_f64 v[42:43], v[36:37], v[40:41]
	v_mul_f64 v[44:45], v[38:39], v[42:43]
	v_fma_f64 v[38:39], v[42:43], v[38:39], -v[44:45]
	v_fma_f64 v[34:35], v[42:43], v[34:35], v[38:39]
	v_add_f64 v[38:39], v[44:45], v[34:35]
	v_add_f64 v[46:47], v[36:37], -v[38:39]
	v_add_f64 v[44:45], v[38:39], -v[44:45]
	;; [unrolled: 1-line block ×5, first 2 shown]
	v_add_f64 v[34:35], v[34:35], v[36:37]
	v_add_f64 v[34:35], v[46:47], v[34:35]
	v_mul_f64 v[34:35], v[40:41], v[34:35]
	v_add_f64 v[36:37], v[42:43], v[34:35]
	v_add_f64 v[38:39], v[36:37], -v[42:43]
	v_ldexp_f64 v[42:43], v[36:37], 1
	v_add_f64 v[34:35], v[34:35], -v[38:39]
	v_mul_f64 v[38:39], v[36:37], v[36:37]
	v_ldexp_f64 v[34:35], v[34:35], 1
	v_fma_f64 v[40:41], v[38:39], s[20:21], v[17:18]
	v_mul_f64 v[36:37], v[36:37], v[38:39]
	v_fma_f64 v[40:41], v[38:39], v[40:41], s[22:23]
	v_fma_f64 v[40:41], v[38:39], v[40:41], s[24:25]
	;; [unrolled: 1-line block ×5, first 2 shown]
	v_mul_f64 v[36:37], v[36:37], v[40:41]
	v_add_f64 v[38:39], v[42:43], v[36:37]
	v_add_f64 v[40:41], v[38:39], -v[42:43]
	v_add_f64 v[36:37], v[36:37], -v[40:41]
	v_add_f64 v[34:35], v[34:35], v[36:37]
	v_add_f64 v[36:37], v[38:39], v[34:35]
	v_add_f64 v[38:39], v[36:37], -v[38:39]
	v_add_f64 v[34:35], v[34:35], -v[38:39]
	v_cvt_f64_i32_e32 v[38:39], v48
	v_mul_f64 v[40:41], v[38:39], s[34:35]
	v_fma_f64 v[42:43], v[38:39], s[34:35], -v[40:41]
	v_fma_f64 v[38:39], v[38:39], s[36:37], v[42:43]
	v_add_f64 v[42:43], v[40:41], v[38:39]
	v_add_f64 v[40:41], v[42:43], -v[40:41]
	v_add_f64 v[38:39], v[38:39], -v[40:41]
	v_add_f64 v[40:41], v[42:43], v[36:37]
	v_add_f64 v[44:45], v[40:41], -v[42:43]
	v_add_f64 v[46:47], v[40:41], -v[44:45]
	;; [unrolled: 1-line block ×4, first 2 shown]
	v_add_f64 v[36:37], v[36:37], v[42:43]
	v_add_f64 v[42:43], v[38:39], v[34:35]
	v_add_f64 v[44:45], v[42:43], -v[38:39]
	v_add_f64 v[36:37], v[42:43], v[36:37]
	v_add_f64 v[46:47], v[42:43], -v[44:45]
	v_add_f64 v[34:35], v[34:35], -v[44:45]
	;; [unrolled: 1-line block ×3, first 2 shown]
	v_add_f64 v[34:35], v[34:35], v[38:39]
	v_add_f64 v[38:39], v[40:41], v[36:37]
	v_add_f64 v[40:41], v[38:39], -v[40:41]
	v_add_f64 v[36:37], v[36:37], -v[40:41]
	v_add_f64 v[34:35], v[34:35], v[36:37]
	v_frexp_exp_i32_f64_e32 v36, v[15:16]
	v_add_f64 v[34:35], v[38:39], v[34:35]
	v_cndmask_b32_e32 v34, v34, v32, vcc
	v_cndmask_b32_e32 v35, v35, v33, vcc
	v_cmp_neq_f64_e32 vcc, 0, v[32:33]
	v_cndmask_b32_e32 v33, v26, v35, vcc
	v_cndmask_b32_e32 v32, 0, v34, vcc
	v_frexp_mant_f64_e32 v[34:35], v[15:16]
	v_cmp_gt_f64_e32 vcc, s[18:19], v[34:35]
	v_cndmask_b32_e64 v37, 0, 1, vcc
	v_ldexp_f64 v[34:35], v[34:35], v37
	v_subbrev_co_u32_e32 v48, vcc, 0, v36, vcc
	v_cmp_class_f64_e64 vcc, v[15:16], s89
	v_add_f64 v[38:39], v[34:35], 1.0
	v_add_f64 v[36:37], v[34:35], -1.0
	v_add_f64 v[40:41], v[38:39], -1.0
	v_add_f64 v[34:35], v[34:35], -v[40:41]
	v_rcp_f64_e32 v[40:41], v[38:39]
	v_fma_f64 v[42:43], -v[38:39], v[40:41], 1.0
	v_fma_f64 v[40:41], v[42:43], v[40:41], v[40:41]
	v_fma_f64 v[42:43], -v[38:39], v[40:41], 1.0
	v_fma_f64 v[40:41], v[42:43], v[40:41], v[40:41]
	v_mul_f64 v[42:43], v[36:37], v[40:41]
	v_mul_f64 v[44:45], v[38:39], v[42:43]
	v_fma_f64 v[38:39], v[42:43], v[38:39], -v[44:45]
	v_fma_f64 v[34:35], v[42:43], v[34:35], v[38:39]
	v_add_f64 v[38:39], v[44:45], v[34:35]
	v_add_f64 v[46:47], v[36:37], -v[38:39]
	v_add_f64 v[44:45], v[38:39], -v[44:45]
	;; [unrolled: 1-line block ×5, first 2 shown]
	v_add_f64 v[34:35], v[34:35], v[36:37]
	v_add_f64 v[34:35], v[46:47], v[34:35]
	v_mul_f64 v[34:35], v[40:41], v[34:35]
	v_add_f64 v[36:37], v[42:43], v[34:35]
	v_add_f64 v[38:39], v[36:37], -v[42:43]
	v_ldexp_f64 v[42:43], v[36:37], 1
	v_add_f64 v[34:35], v[34:35], -v[38:39]
	v_mul_f64 v[38:39], v[36:37], v[36:37]
	v_ldexp_f64 v[34:35], v[34:35], 1
	v_fma_f64 v[40:41], v[38:39], s[20:21], v[17:18]
	v_mul_f64 v[36:37], v[36:37], v[38:39]
	v_fma_f64 v[40:41], v[38:39], v[40:41], s[22:23]
	v_fma_f64 v[40:41], v[38:39], v[40:41], s[24:25]
	v_fma_f64 v[40:41], v[38:39], v[40:41], s[26:27]
	v_fma_f64 v[40:41], v[38:39], v[40:41], s[28:29]
	v_fma_f64 v[40:41], v[38:39], v[40:41], s[30:31]
	v_mul_f64 v[36:37], v[36:37], v[40:41]
	v_add_f64 v[38:39], v[42:43], v[36:37]
	v_add_f64 v[40:41], v[38:39], -v[42:43]
	v_add_f64 v[36:37], v[36:37], -v[40:41]
	v_add_f64 v[34:35], v[34:35], v[36:37]
	v_add_f64 v[36:37], v[38:39], v[34:35]
	v_add_f64 v[38:39], v[36:37], -v[38:39]
	v_add_f64 v[34:35], v[34:35], -v[38:39]
	v_cvt_f64_i32_e32 v[38:39], v48
	v_mul_f64 v[40:41], v[38:39], s[34:35]
	v_fma_f64 v[42:43], v[38:39], s[34:35], -v[40:41]
	v_fma_f64 v[38:39], v[38:39], s[36:37], v[42:43]
	v_add_f64 v[42:43], v[40:41], v[38:39]
	v_add_f64 v[40:41], v[42:43], -v[40:41]
	v_add_f64 v[38:39], v[38:39], -v[40:41]
	v_add_f64 v[40:41], v[42:43], v[36:37]
	v_add_f64 v[44:45], v[40:41], -v[42:43]
	v_add_f64 v[46:47], v[40:41], -v[44:45]
	;; [unrolled: 1-line block ×4, first 2 shown]
	v_add_f64 v[36:37], v[36:37], v[42:43]
	v_add_f64 v[42:43], v[38:39], v[34:35]
	v_add_f64 v[44:45], v[42:43], -v[38:39]
	v_add_f64 v[36:37], v[42:43], v[36:37]
	v_add_f64 v[46:47], v[42:43], -v[44:45]
	v_add_f64 v[34:35], v[34:35], -v[44:45]
	v_add_f64 v[38:39], v[38:39], -v[46:47]
	v_add_f64 v[34:35], v[34:35], v[38:39]
	v_add_f64 v[38:39], v[40:41], v[36:37]
	v_add_f64 v[40:41], v[38:39], -v[40:41]
	v_add_f64 v[36:37], v[36:37], -v[40:41]
	v_add_f64 v[34:35], v[34:35], v[36:37]
	v_add_f64 v[34:35], v[38:39], v[34:35]
	v_cndmask_b32_e32 v34, v34, v15, vcc
	v_cndmask_b32_e32 v35, v35, v16, vcc
	v_cmp_neq_f64_e32 vcc, 0, v[15:16]
	v_cndmask_b32_e32 v16, v26, v35, vcc
	v_cndmask_b32_e32 v15, 0, v34, vcc
	v_add_f64 v[15:16], v[32:33], -v[15:16]
	v_max_f64 v[32:33], |v[23:24]|, |v[13:14]|
	v_min_f64 v[34:35], |v[23:24]|, |v[13:14]|
	v_ldexp_f64 v[15:16], v[15:16], -2
	v_div_scale_f64 v[36:37], s[0:1], v[32:33], v[32:33], v[34:35]
	v_cmp_class_f64_e64 s[0:1], v[13:14], s89
	v_rcp_f64_e32 v[38:39], v[36:37]
	v_fma_f64 v[40:41], -v[36:37], v[38:39], 1.0
	v_fma_f64 v[38:39], v[38:39], v[40:41], v[38:39]
	v_fma_f64 v[40:41], -v[36:37], v[38:39], 1.0
	v_fma_f64 v[38:39], v[38:39], v[40:41], v[38:39]
	v_div_scale_f64 v[40:41], vcc, v[34:35], v[32:33], v[34:35]
	v_mul_f64 v[42:43], v[40:41], v[38:39]
	v_fma_f64 v[36:37], -v[36:37], v[42:43], v[40:41]
	s_nop 1
	v_div_fmas_f64 v[36:37], v[36:37], v[38:39], v[42:43]
	s_and_b64 vcc, s[0:1], s[2:3]
	v_cmp_eq_f64_e64 s[2:3], 0, v[13:14]
	v_cmp_gt_i32_e64 s[0:1], 0, v24
	v_div_fixup_f64 v[32:33], v[36:37], v[32:33], v[34:35]
	v_mul_f64 v[34:35], v[32:33], v[32:33]
	v_fma_f64 v[36:37], v[34:35], s[38:39], v[19:20]
	v_fma_f64 v[36:37], v[34:35], v[36:37], s[40:41]
	;; [unrolled: 1-line block ×19, first 2 shown]
	v_mul_f64 v[34:35], v[34:35], v[36:37]
	v_cndmask_b32_e64 v36, v27, v28, s[0:1]
	v_cndmask_b32_e64 v37, v29, v30, s[0:1]
	v_fma_f64 v[32:33], v[32:33], v[34:35], v[32:33]
	v_ashrrev_i32_e32 v34, 31, v24
	v_and_b32_e32 v38, 0x400921fb, v34
	v_and_b32_e32 v39, 0x54442d18, v34
	v_add_f64 v[34:35], -v[32:33], s[76:77]
	v_cndmask_b32_e64 v33, v33, v35, s[6:7]
	v_cndmask_b32_e64 v32, v32, v34, s[6:7]
	v_add_f64 v[34:35], -v[32:33], s[78:79]
	v_cndmask_b32_e64 v33, v33, v35, s[0:1]
	v_cndmask_b32_e64 v32, v32, v34, s[0:1]
	;; [unrolled: 1-line block ×4, first 2 shown]
	v_cndmask_b32_e32 v33, v33, v37, vcc
	v_cndmask_b32_e32 v32, v32, v36, vcc
	v_cmp_o_f64_e32 vcc, v[23:24], v[13:14]
	v_cndmask_b32_e32 v23, v31, v33, vcc
	v_cndmask_b32_e32 v13, 0, v32, vcc
	v_bfi_b32 v14, s90, v23, v14
	v_mul_f64 v[23:24], v[13:14], 0.5
	v_fma_f64 v[13:14], v[15:16], s[82:83], v[23:24]
	v_fma_f64 v[15:16], v[23:24], s[82:83], -v[15:16]
	v_fma_f64 v[23:24], v[5:6], 0, -v[7:8]
	v_fma_f64 v[5:6], v[7:8], 0, v[5:6]
	v_add_f64 v[32:33], v[23:24], 1.0
	v_mul_f64 v[7:8], v[5:6], v[5:6]
	v_add_f64 v[34:35], -v[23:24], 1.0
	v_fma_f64 v[23:24], -v[23:24], v[23:24], 1.0
	v_fma_f64 v[32:33], v[32:33], v[32:33], v[7:8]
	v_fma_f64 v[7:8], v[34:35], v[34:35], v[7:8]
	v_fma_f64 v[23:24], -v[5:6], v[5:6], v[23:24]
	v_add_f64 v[5:6], v[5:6], v[5:6]
	v_frexp_mant_f64_e32 v[34:35], v[32:33]
	v_frexp_exp_i32_f64_e32 v36, v[32:33]
	v_cmp_class_f64_e64 s[2:3], v[23:24], s89
	v_cmp_lt_f64_e64 s[6:7], |v[23:24]|, |v[5:6]|
	v_cmp_gt_f64_e32 vcc, s[18:19], v[34:35]
	v_cndmask_b32_e64 v37, 0, 1, vcc
	v_ldexp_f64 v[34:35], v[34:35], v37
	v_subbrev_co_u32_e32 v48, vcc, 0, v36, vcc
	v_cmp_class_f64_e64 vcc, v[32:33], s89
	v_add_f64 v[38:39], v[34:35], 1.0
	v_add_f64 v[36:37], v[34:35], -1.0
	v_add_f64 v[40:41], v[38:39], -1.0
	v_add_f64 v[34:35], v[34:35], -v[40:41]
	v_rcp_f64_e32 v[40:41], v[38:39]
	v_fma_f64 v[42:43], -v[38:39], v[40:41], 1.0
	v_fma_f64 v[40:41], v[42:43], v[40:41], v[40:41]
	v_fma_f64 v[42:43], -v[38:39], v[40:41], 1.0
	v_fma_f64 v[40:41], v[42:43], v[40:41], v[40:41]
	v_mul_f64 v[42:43], v[36:37], v[40:41]
	v_mul_f64 v[44:45], v[38:39], v[42:43]
	v_fma_f64 v[38:39], v[42:43], v[38:39], -v[44:45]
	v_fma_f64 v[34:35], v[42:43], v[34:35], v[38:39]
	v_add_f64 v[38:39], v[44:45], v[34:35]
	v_add_f64 v[46:47], v[36:37], -v[38:39]
	v_add_f64 v[44:45], v[38:39], -v[44:45]
	;; [unrolled: 1-line block ×5, first 2 shown]
	v_add_f64 v[34:35], v[34:35], v[36:37]
	v_add_f64 v[34:35], v[46:47], v[34:35]
	v_mul_f64 v[34:35], v[40:41], v[34:35]
	v_add_f64 v[36:37], v[42:43], v[34:35]
	v_add_f64 v[38:39], v[36:37], -v[42:43]
	v_ldexp_f64 v[42:43], v[36:37], 1
	v_add_f64 v[34:35], v[34:35], -v[38:39]
	v_mul_f64 v[38:39], v[36:37], v[36:37]
	v_ldexp_f64 v[34:35], v[34:35], 1
	v_fma_f64 v[40:41], v[38:39], s[20:21], v[17:18]
	v_mul_f64 v[36:37], v[36:37], v[38:39]
	v_fma_f64 v[40:41], v[38:39], v[40:41], s[22:23]
	v_fma_f64 v[40:41], v[38:39], v[40:41], s[24:25]
	;; [unrolled: 1-line block ×5, first 2 shown]
	v_mul_f64 v[36:37], v[36:37], v[40:41]
	v_add_f64 v[38:39], v[42:43], v[36:37]
	v_add_f64 v[40:41], v[38:39], -v[42:43]
	v_add_f64 v[36:37], v[36:37], -v[40:41]
	v_add_f64 v[34:35], v[34:35], v[36:37]
	v_add_f64 v[36:37], v[38:39], v[34:35]
	v_add_f64 v[38:39], v[36:37], -v[38:39]
	v_add_f64 v[34:35], v[34:35], -v[38:39]
	v_cvt_f64_i32_e32 v[38:39], v48
	v_mul_f64 v[40:41], v[38:39], s[34:35]
	v_fma_f64 v[42:43], v[38:39], s[34:35], -v[40:41]
	v_fma_f64 v[38:39], v[38:39], s[36:37], v[42:43]
	v_add_f64 v[42:43], v[40:41], v[38:39]
	v_add_f64 v[40:41], v[42:43], -v[40:41]
	v_add_f64 v[38:39], v[38:39], -v[40:41]
	v_add_f64 v[40:41], v[42:43], v[36:37]
	v_add_f64 v[44:45], v[40:41], -v[42:43]
	v_add_f64 v[46:47], v[40:41], -v[44:45]
	;; [unrolled: 1-line block ×4, first 2 shown]
	v_add_f64 v[36:37], v[36:37], v[42:43]
	v_add_f64 v[42:43], v[38:39], v[34:35]
	v_add_f64 v[44:45], v[42:43], -v[38:39]
	v_add_f64 v[36:37], v[42:43], v[36:37]
	v_add_f64 v[46:47], v[42:43], -v[44:45]
	v_add_f64 v[34:35], v[34:35], -v[44:45]
	;; [unrolled: 1-line block ×3, first 2 shown]
	v_add_f64 v[34:35], v[34:35], v[38:39]
	v_add_f64 v[38:39], v[40:41], v[36:37]
	v_add_f64 v[40:41], v[38:39], -v[40:41]
	v_add_f64 v[36:37], v[36:37], -v[40:41]
	v_add_f64 v[34:35], v[34:35], v[36:37]
	v_frexp_exp_i32_f64_e32 v36, v[7:8]
	v_add_f64 v[34:35], v[38:39], v[34:35]
	v_cndmask_b32_e32 v34, v34, v32, vcc
	v_cndmask_b32_e32 v35, v35, v33, vcc
	v_cmp_neq_f64_e32 vcc, 0, v[32:33]
	v_cndmask_b32_e32 v33, v26, v35, vcc
	v_cndmask_b32_e32 v32, 0, v34, vcc
	v_frexp_mant_f64_e32 v[34:35], v[7:8]
	v_cmp_gt_f64_e32 vcc, s[18:19], v[34:35]
	v_cndmask_b32_e64 v37, 0, 1, vcc
	v_ldexp_f64 v[34:35], v[34:35], v37
	v_subbrev_co_u32_e32 v48, vcc, 0, v36, vcc
	v_cmp_class_f64_e64 vcc, v[7:8], s89
	v_add_f64 v[38:39], v[34:35], 1.0
	v_add_f64 v[36:37], v[34:35], -1.0
	v_add_f64 v[40:41], v[38:39], -1.0
	v_add_f64 v[34:35], v[34:35], -v[40:41]
	v_rcp_f64_e32 v[40:41], v[38:39]
	v_fma_f64 v[42:43], -v[38:39], v[40:41], 1.0
	v_fma_f64 v[40:41], v[42:43], v[40:41], v[40:41]
	v_fma_f64 v[42:43], -v[38:39], v[40:41], 1.0
	v_fma_f64 v[40:41], v[42:43], v[40:41], v[40:41]
	v_mul_f64 v[42:43], v[36:37], v[40:41]
	v_mul_f64 v[44:45], v[38:39], v[42:43]
	v_fma_f64 v[38:39], v[42:43], v[38:39], -v[44:45]
	v_fma_f64 v[34:35], v[42:43], v[34:35], v[38:39]
	v_add_f64 v[38:39], v[44:45], v[34:35]
	v_add_f64 v[46:47], v[36:37], -v[38:39]
	v_add_f64 v[44:45], v[38:39], -v[44:45]
	;; [unrolled: 1-line block ×5, first 2 shown]
	v_add_f64 v[34:35], v[34:35], v[36:37]
	v_add_f64 v[34:35], v[46:47], v[34:35]
	v_mul_f64 v[34:35], v[40:41], v[34:35]
	v_add_f64 v[36:37], v[42:43], v[34:35]
	v_add_f64 v[38:39], v[36:37], -v[42:43]
	v_ldexp_f64 v[42:43], v[36:37], 1
	v_add_f64 v[34:35], v[34:35], -v[38:39]
	v_mul_f64 v[38:39], v[36:37], v[36:37]
	v_ldexp_f64 v[34:35], v[34:35], 1
	v_fma_f64 v[40:41], v[38:39], s[20:21], v[17:18]
	v_mul_f64 v[36:37], v[36:37], v[38:39]
	v_fma_f64 v[40:41], v[38:39], v[40:41], s[22:23]
	v_fma_f64 v[40:41], v[38:39], v[40:41], s[24:25]
	;; [unrolled: 1-line block ×5, first 2 shown]
	v_mul_f64 v[36:37], v[36:37], v[40:41]
	v_add_f64 v[38:39], v[42:43], v[36:37]
	v_add_f64 v[40:41], v[38:39], -v[42:43]
	v_add_f64 v[36:37], v[36:37], -v[40:41]
	v_add_f64 v[34:35], v[34:35], v[36:37]
	v_add_f64 v[36:37], v[38:39], v[34:35]
	v_add_f64 v[38:39], v[36:37], -v[38:39]
	v_add_f64 v[34:35], v[34:35], -v[38:39]
	v_cvt_f64_i32_e32 v[38:39], v48
	v_mul_f64 v[40:41], v[38:39], s[34:35]
	v_fma_f64 v[42:43], v[38:39], s[34:35], -v[40:41]
	v_fma_f64 v[38:39], v[38:39], s[36:37], v[42:43]
	v_add_f64 v[42:43], v[40:41], v[38:39]
	v_add_f64 v[40:41], v[42:43], -v[40:41]
	v_add_f64 v[38:39], v[38:39], -v[40:41]
	v_add_f64 v[40:41], v[42:43], v[36:37]
	v_add_f64 v[44:45], v[40:41], -v[42:43]
	v_add_f64 v[46:47], v[40:41], -v[44:45]
	;; [unrolled: 1-line block ×4, first 2 shown]
	v_add_f64 v[36:37], v[36:37], v[42:43]
	v_add_f64 v[42:43], v[38:39], v[34:35]
	v_add_f64 v[44:45], v[42:43], -v[38:39]
	v_add_f64 v[36:37], v[42:43], v[36:37]
	v_add_f64 v[46:47], v[42:43], -v[44:45]
	v_add_f64 v[34:35], v[34:35], -v[44:45]
	;; [unrolled: 1-line block ×3, first 2 shown]
	v_add_f64 v[34:35], v[34:35], v[38:39]
	v_add_f64 v[38:39], v[40:41], v[36:37]
	v_add_f64 v[40:41], v[38:39], -v[40:41]
	v_add_f64 v[36:37], v[36:37], -v[40:41]
	v_add_f64 v[34:35], v[34:35], v[36:37]
	v_add_f64 v[34:35], v[38:39], v[34:35]
	v_cndmask_b32_e32 v34, v34, v7, vcc
	v_cndmask_b32_e32 v35, v35, v8, vcc
	v_cmp_neq_f64_e32 vcc, 0, v[7:8]
	v_cndmask_b32_e32 v8, v26, v35, vcc
	v_cndmask_b32_e32 v7, 0, v34, vcc
	v_add_f64 v[7:8], v[32:33], -v[7:8]
	v_max_f64 v[32:33], |v[23:24]|, |v[5:6]|
	v_min_f64 v[34:35], |v[23:24]|, |v[5:6]|
	v_ldexp_f64 v[7:8], v[7:8], -2
	v_div_scale_f64 v[36:37], s[0:1], v[32:33], v[32:33], v[34:35]
	v_cmp_class_f64_e64 s[0:1], v[5:6], s89
	v_rcp_f64_e32 v[38:39], v[36:37]
	v_fma_f64 v[40:41], -v[36:37], v[38:39], 1.0
	v_fma_f64 v[38:39], v[38:39], v[40:41], v[38:39]
	v_fma_f64 v[40:41], -v[36:37], v[38:39], 1.0
	v_fma_f64 v[38:39], v[38:39], v[40:41], v[38:39]
	v_div_scale_f64 v[40:41], vcc, v[34:35], v[32:33], v[34:35]
	v_mul_f64 v[42:43], v[40:41], v[38:39]
	v_fma_f64 v[36:37], -v[36:37], v[42:43], v[40:41]
	s_nop 1
	v_div_fmas_f64 v[36:37], v[36:37], v[38:39], v[42:43]
	s_and_b64 vcc, s[0:1], s[2:3]
	v_cmp_eq_f64_e64 s[2:3], 0, v[5:6]
	v_cmp_gt_i32_e64 s[0:1], 0, v24
	v_div_fixup_f64 v[32:33], v[36:37], v[32:33], v[34:35]
	v_mul_f64 v[34:35], v[32:33], v[32:33]
	v_fma_f64 v[36:37], v[34:35], s[38:39], v[19:20]
	v_fma_f64 v[36:37], v[34:35], v[36:37], s[40:41]
	;; [unrolled: 1-line block ×19, first 2 shown]
	v_mul_f64 v[34:35], v[34:35], v[36:37]
	v_cndmask_b32_e64 v36, v27, v28, s[0:1]
	v_cndmask_b32_e64 v37, v29, v30, s[0:1]
	v_fma_f64 v[32:33], v[32:33], v[34:35], v[32:33]
	v_ashrrev_i32_e32 v34, 31, v24
	v_and_b32_e32 v38, 0x400921fb, v34
	v_and_b32_e32 v39, 0x54442d18, v34
	v_add_f64 v[34:35], -v[32:33], s[76:77]
	v_cndmask_b32_e64 v33, v33, v35, s[6:7]
	v_cndmask_b32_e64 v32, v32, v34, s[6:7]
	v_add_f64 v[34:35], -v[32:33], s[78:79]
	v_cndmask_b32_e64 v33, v33, v35, s[0:1]
	v_cndmask_b32_e64 v32, v32, v34, s[0:1]
	;; [unrolled: 1-line block ×4, first 2 shown]
	v_cndmask_b32_e32 v33, v33, v37, vcc
	v_cndmask_b32_e32 v32, v32, v36, vcc
	v_cmp_o_f64_e32 vcc, v[23:24], v[5:6]
	v_cndmask_b32_e32 v23, v31, v33, vcc
	v_cndmask_b32_e32 v5, 0, v32, vcc
	v_bfi_b32 v6, s90, v23, v6
	v_mul_f64 v[23:24], v[5:6], 0.5
	v_fma_f64 v[5:6], v[7:8], s[82:83], v[23:24]
	v_fma_f64 v[7:8], v[23:24], s[82:83], -v[7:8]
	v_add_co_u32_e32 v23, vcc, s86, v25
	v_mov_b32_e32 v24, s87
	v_addc_co_u32_e32 v24, vcc, 0, v24, vcc
	v_add_co_u32_e32 v21, vcc, s33, v21
	v_addc_co_u32_e32 v22, vcc, 0, v22, vcc
	global_store_dwordx4 v[23:24], v[1:4], off
	global_store_dwordx4 v[23:24], v[9:12], off offset:16
	global_store_dwordx4 v[23:24], v[13:16], off offset:32
	;; [unrolled: 1-line block ×3, first 2 shown]
	v_lshlrev_b64 v[1:2], 2, v[21:22]
	s_add_u32 s86, s86, s88
	s_addc_u32 s87, s87, 0
	s_add_u32 s84, s84, s88
	v_cmp_le_i64_e32 vcc, s[10:11], v[1:2]
	s_addc_u32 s85, s85, 0
	s_or_b64 s[80:81], vcc, s[80:81]
	s_andn2_b64 exec, exec, s[80:81]
	s_cbranch_execnz .LBB67_3
.LBB67_4:
	s_or_b64 exec, exec, s[12:13]
	s_mov_b64 s[0:1], 0
.LBB67_5:
	s_andn2_b64 vcc, exec, s[0:1]
	s_cbranch_vccnz .LBB67_25
; %bb.6:
	v_cmp_lt_i64_e64 s[0:1], s[8:9], 1
	s_and_b64 vcc, exec, s[0:1]
	s_cbranch_vccnz .LBB67_25
; %bb.7:
	v_mov_b32_e32 v1, 0x10000
	s_load_dword s2, s[4:5], 0xc5c
	v_mov_b32_e32 v2, 0
	v_cmp_lt_i64_e32 vcc, s[8:9], v[1:2]
	s_mov_b32 s22, 0x54442d18
	s_and_b64 s[0:1], vcc, exec
	v_cmp_lt_u64_e32 vcc, s[8:9], v[1:2]
	s_cselect_b32 s19, s9, 0
	s_cselect_b32 s18, s8, 0x10000
	s_waitcnt lgkmcnt(0)
	s_and_b32 s33, s2, 0xffff
	s_and_b64 s[0:1], vcc, exec
	s_mov_b32 s24, 0xb5e68a13
	s_mov_b32 s26, 0x69efb384
	;; [unrolled: 1-line block ×29, first 2 shown]
	s_cselect_b32 s21, s9, 0
	s_cselect_b32 s20, s8, 0x10000
	s_mov_b32 s23, 0x3ff921fb
	s_mov_b32 s25, 0x3eeba404
	s_mov_b32 s27, 0x3f4b2bb0
	s_mov_b32 s29, 0xbf67952d
	s_mov_b32 s31, 0x3f7d6d43
	s_mov_b32 s35, 0xbf8c6ea4
	s_mov_b32 s37, 0x3f967e29
	s_mov_b32 s39, 0xbf9e9ae6
	s_mov_b32 s41, 0x3fa2c15b
	s_mov_b32 s43, 0xbfa59976
	s_mov_b32 s45, 0x3fa82d5d
	s_mov_b32 s47, 0xbfaae5ce
	s_mov_b32 s49, 0x3fae1bb4
	s_mov_b32 s51, 0xbfb110e4
	s_mov_b32 s53, 0x3fb3b136
	s_mov_b32 s55, 0xbfb745d1
	s_mov_b32 s57, 0x3fbc71c7
	s_mov_b32 s59, 0xbfc24924
	s_mov_b32 s61, 0x3fc99999
	s_mov_b32 s63, 0xbfd55555
	s_mov_b32 s65, 0x3fe55555
	s_mov_b32 s67, 0x3fe62e42
	s_mov_b32 s69, 0x3c7abc9e
	s_mov_b32 s71, 0x3fc38538
	s_mov_b32 s73, 0x3fc3ab76
	s_mov_b32 s75, 0x3fc7474d
	s_mov_b32 s77, 0x3fcc71c0
	s_mov_b32 s79, 0x3fd24924
	s_mov_b32 s81, 0x3fd99999
	v_mov_b32_e32 v33, 0x54442d18
	v_mov_b32_e32 v34, 0x7f3321d2
	v_mov_b32_e32 v35, 0x3fe921fb
	v_mov_b32_e32 v36, 0x4002d97c
	v_mov_b32_e32 v17, 0xbd3237f4
	v_mov_b32_e32 v18, 0xbf23e260
	v_mov_b32_e32 v37, 0x7ff80000
	v_mov_b32_e32 v38, 0xfff00000
	s_lshl_b32 s92, s33, 1
	s_mul_i32 s12, s33, 3
	s_lshl_b32 s94, s33, 2
	s_movk_i32 s95, 0x204
	s_brev_b32 s93, -2
	s_mov_b64 s[82:83], 0
	s_mov_b32 s85, 0x400921fb
	s_brev_b32 s87, 1
	s_mov_b32 s88, 0x55555780
	s_branch .LBB67_9
.LBB67_8:                               ;   in Loop: Header=BB67_9 Depth=1
	s_or_b64 exec, exec, s[6:7]
	s_add_u32 s82, s82, s94
	s_waitcnt vmcnt(0)
	v_mov_b32_e32 v1, s18
	s_addc_u32 s83, s83, 0
	v_mov_b32_e32 v2, s19
	v_cmp_ge_i64_e32 vcc, s[82:83], v[1:2]
	s_cbranch_vccnz .LBB67_25
.LBB67_9:                               ; =>This Inner Loop Header: Depth=1
	v_mov_b32_e32 v1, s83
	v_add_co_u32_e32 v25, vcc, s82, v0
	v_addc_co_u32_e32 v26, vcc, 0, v1, vcc
	v_cmp_gt_u64_e32 vcc, s[20:21], v[25:26]
	v_mov_b32_e32 v11, 0
	v_mov_b32_e32 v15, 0
	;; [unrolled: 1-line block ×6, first 2 shown]
	s_and_saveexec_b64 s[2:3], vcc
	s_cbranch_execz .LBB67_11
; %bb.10:                               ;   in Loop: Header=BB67_9 Depth=1
	v_lshlrev_b64 v[1:2], 4, v[25:26]
	v_mov_b32_e32 v3, s15
	v_add_co_u32_e64 v1, s[0:1], s14, v1
	v_addc_co_u32_e64 v2, s[0:1], v3, v2, s[0:1]
	global_load_dwordx4 v[13:16], v[1:2], off
.LBB67_11:                              ;   in Loop: Header=BB67_9 Depth=1
	s_or_b64 exec, exec, s[2:3]
	v_add_co_u32_e64 v23, s[0:1], s33, v25
	v_addc_co_u32_e64 v24, s[0:1], 0, v26, s[0:1]
	v_cmp_gt_u64_e64 s[4:5], s[20:21], v[23:24]
	v_mov_b32_e32 v9, 0
	v_mov_b32_e32 v10, 0
	s_and_saveexec_b64 s[2:3], s[4:5]
	s_cbranch_execz .LBB67_13
; %bb.12:                               ;   in Loop: Header=BB67_9 Depth=1
	v_lshlrev_b64 v[1:2], 4, v[23:24]
	v_mov_b32_e32 v3, s15
	v_add_co_u32_e64 v1, s[0:1], s14, v1
	v_addc_co_u32_e64 v2, s[0:1], v3, v2, s[0:1]
	global_load_dwordx4 v[9:12], v[1:2], off
.LBB67_13:                              ;   in Loop: Header=BB67_9 Depth=1
	s_or_b64 exec, exec, s[2:3]
	v_add_co_u32_e64 v21, s[0:1], s92, v25
	v_addc_co_u32_e64 v22, s[0:1], 0, v26, s[0:1]
	v_cmp_gt_u64_e64 s[2:3], s[20:21], v[21:22]
	v_mov_b32_e32 v3, 0
	v_mov_b32_e32 v7, 0
	;; [unrolled: 1-line block ×6, first 2 shown]
	s_and_saveexec_b64 s[6:7], s[2:3]
	s_cbranch_execz .LBB67_15
; %bb.14:                               ;   in Loop: Header=BB67_9 Depth=1
	v_lshlrev_b64 v[1:2], 4, v[21:22]
	v_mov_b32_e32 v5, s15
	v_add_co_u32_e64 v1, s[0:1], s14, v1
	v_addc_co_u32_e64 v2, s[0:1], v5, v2, s[0:1]
	global_load_dwordx4 v[5:8], v[1:2], off
.LBB67_15:                              ;   in Loop: Header=BB67_9 Depth=1
	s_or_b64 exec, exec, s[6:7]
	v_add_co_u32_e64 v19, s[0:1], s12, v25
	v_addc_co_u32_e64 v20, s[0:1], 0, v26, s[0:1]
	v_cmp_gt_u64_e64 s[0:1], s[20:21], v[19:20]
	v_mov_b32_e32 v1, 0
	v_mov_b32_e32 v2, 0
	s_and_saveexec_b64 s[8:9], s[0:1]
	s_cbranch_execnz .LBB67_20
; %bb.16:                               ;   in Loop: Header=BB67_9 Depth=1
	s_or_b64 exec, exec, s[8:9]
	s_and_saveexec_b64 s[90:91], vcc
	s_cbranch_execnz .LBB67_21
.LBB67_17:                              ;   in Loop: Header=BB67_9 Depth=1
	s_or_b64 exec, exec, s[90:91]
	s_and_saveexec_b64 s[10:11], s[4:5]
	s_cbranch_execnz .LBB67_22
.LBB67_18:                              ;   in Loop: Header=BB67_9 Depth=1
	s_or_b64 exec, exec, s[10:11]
	s_and_saveexec_b64 s[8:9], s[2:3]
	s_cbranch_execnz .LBB67_23
.LBB67_19:                              ;   in Loop: Header=BB67_9 Depth=1
	s_or_b64 exec, exec, s[8:9]
	s_and_saveexec_b64 s[6:7], s[0:1]
	s_cbranch_execz .LBB67_8
	s_branch .LBB67_24
.LBB67_20:                              ;   in Loop: Header=BB67_9 Depth=1
	v_lshlrev_b64 v[1:2], 4, v[19:20]
	v_mov_b32_e32 v3, s15
	v_add_co_u32_e64 v1, s[6:7], s14, v1
	v_addc_co_u32_e64 v2, s[6:7], v3, v2, s[6:7]
	global_load_dwordx4 v[1:4], v[1:2], off
	s_or_b64 exec, exec, s[8:9]
	s_and_saveexec_b64 s[90:91], vcc
	s_cbranch_execz .LBB67_17
.LBB67_21:                              ;   in Loop: Header=BB67_9 Depth=1
	s_waitcnt vmcnt(0)
	v_fma_f64 v[27:28], v[13:14], 0, -v[15:16]
	v_fma_f64 v[13:14], v[15:16], 0, v[13:14]
	s_mov_b32 s84, s12
	s_mov_b32 s89, s65
	v_lshlrev_b64 v[25:26], 4, v[25:26]
	v_fma_f64 v[31:32], -v[27:28], v[27:28], 1.0
	v_mul_f64 v[29:30], v[13:14], v[13:14]
	v_fma_f64 v[15:16], -v[13:14], v[13:14], v[31:32]
	v_add_f64 v[13:14], v[13:14], v[13:14]
	v_ashrrev_i32_e32 v31, 31, v16
	v_and_b32_e32 v51, 0x400921fb, v31
	v_and_b32_e32 v52, 0x54442d18, v31
	v_min_f64 v[31:32], |v[15:16]|, |v[13:14]|
	v_max_f64 v[39:40], |v[15:16]|, |v[13:14]|
	v_cmp_lt_f64_e64 s[12:13], |v[15:16]|, |v[13:14]|
	v_cmp_class_f64_e64 s[6:7], v[13:14], s95
	v_cmp_class_f64_e64 s[8:9], v[15:16], s95
	v_cmp_eq_f64_e64 s[10:11], 0, v[13:14]
	v_div_scale_f64 v[41:42], vcc, v[39:40], v[39:40], v[31:32]
	s_and_b64 s[6:7], s[6:7], s[8:9]
	v_cmp_gt_i32_e64 s[8:9], 0, v16
	v_cndmask_b32_e64 v50, v35, v36, s[8:9]
	v_cndmask_b32_e64 v49, v33, v34, s[8:9]
	v_rcp_f64_e32 v[43:44], v[41:42]
	v_fma_f64 v[45:46], -v[41:42], v[43:44], 1.0
	v_fma_f64 v[43:44], v[43:44], v[45:46], v[43:44]
	v_fma_f64 v[45:46], -v[41:42], v[43:44], 1.0
	v_fma_f64 v[43:44], v[43:44], v[45:46], v[43:44]
	v_div_scale_f64 v[45:46], vcc, v[31:32], v[39:40], v[31:32]
	v_mul_f64 v[47:48], v[45:46], v[43:44]
	v_fma_f64 v[41:42], -v[41:42], v[47:48], v[45:46]
	s_nop 1
	v_div_fmas_f64 v[41:42], v[41:42], v[43:44], v[47:48]
	v_cmp_o_f64_e32 vcc, v[15:16], v[13:14]
	v_div_fixup_f64 v[31:32], v[41:42], v[39:40], v[31:32]
	v_mul_f64 v[39:40], v[31:32], v[31:32]
	v_fma_f64 v[41:42], v[39:40], s[24:25], v[17:18]
	v_fma_f64 v[41:42], v[39:40], v[41:42], s[26:27]
	;; [unrolled: 1-line block ×19, first 2 shown]
	v_mul_f64 v[39:40], v[39:40], v[41:42]
	v_fma_f64 v[31:32], v[31:32], v[39:40], v[31:32]
	v_add_f64 v[39:40], -v[31:32], s[22:23]
	v_cndmask_b32_e64 v32, v32, v40, s[12:13]
	v_cndmask_b32_e64 v31, v31, v39, s[12:13]
	s_mov_b32 s12, s84
	s_mov_b32 s84, s22
	v_add_f64 v[39:40], -v[31:32], s[84:85]
	v_cndmask_b32_e64 v32, v32, v40, s[8:9]
	v_cndmask_b32_e64 v32, v32, v51, s[10:11]
	;; [unrolled: 1-line block ×3, first 2 shown]
	v_cndmask_b32_e32 v15, v37, v32, vcc
	v_bfi_b32 v14, s93, v15, v14
	v_add_f64 v[15:16], v[27:28], 1.0
	v_cndmask_b32_e64 v31, v31, v39, s[8:9]
	v_cndmask_b32_e64 v31, v31, v52, s[10:11]
	;; [unrolled: 1-line block ×3, first 2 shown]
	v_cndmask_b32_e32 v13, 0, v31, vcc
	v_add_f64 v[27:28], -v[27:28], 1.0
	v_mul_f64 v[13:14], v[13:14], 0.5
	v_fma_f64 v[15:16], v[15:16], v[15:16], v[29:30]
	v_fma_f64 v[27:28], v[27:28], v[27:28], v[29:30]
	v_frexp_mant_f64_e32 v[31:32], v[15:16]
	v_frexp_exp_i32_f64_e32 v39, v[15:16]
	v_cmp_class_f64_e64 vcc, v[15:16], s95
	v_frexp_mant_f64_e32 v[29:30], v[27:28]
	v_cmp_gt_f64_e64 s[6:7], s[64:65], v[31:32]
	v_cndmask_b32_e64 v45, 0, 1, s[6:7]
	v_ldexp_f64 v[31:32], v[31:32], v45
	v_subbrev_co_u32_e64 v39, s[8:9], 0, v39, s[6:7]
	v_cvt_f64_i32_e32 v[39:40], v39
	v_cmp_gt_f64_e64 s[6:7], s[64:65], v[29:30]
	v_mul_f64 v[41:42], v[39:40], s[66:67]
	v_add_f64 v[47:48], v[31:32], 1.0
	v_add_f64 v[45:46], v[31:32], -1.0
	v_fma_f64 v[43:44], v[39:40], s[66:67], -v[41:42]
	v_rcp_f64_e32 v[49:50], v[47:48]
	v_add_f64 v[55:56], v[47:48], -1.0
	v_fma_f64 v[39:40], v[39:40], s[68:69], v[43:44]
	v_add_f64 v[31:32], v[31:32], -v[55:56]
	v_add_f64 v[43:44], v[41:42], v[39:40]
	v_fma_f64 v[51:52], -v[47:48], v[49:50], 1.0
	v_add_f64 v[41:42], v[43:44], -v[41:42]
	v_fma_f64 v[49:50], v[51:52], v[49:50], v[49:50]
	v_add_f64 v[39:40], v[39:40], -v[41:42]
	v_fma_f64 v[51:52], -v[47:48], v[49:50], 1.0
	v_fma_f64 v[49:50], v[51:52], v[49:50], v[49:50]
	v_mul_f64 v[51:52], v[45:46], v[49:50]
	v_mul_f64 v[53:54], v[47:48], v[51:52]
	v_fma_f64 v[47:48], v[51:52], v[47:48], -v[53:54]
	v_fma_f64 v[31:32], v[51:52], v[31:32], v[47:48]
	v_add_f64 v[47:48], v[53:54], v[31:32]
	v_add_f64 v[55:56], v[45:46], -v[47:48]
	v_add_f64 v[53:54], v[47:48], -v[53:54]
	;; [unrolled: 1-line block ×5, first 2 shown]
	v_add_f64 v[31:32], v[31:32], v[45:46]
	v_add_f64 v[31:32], v[55:56], v[31:32]
	v_mul_f64 v[45:46], v[49:50], v[31:32]
	v_mov_b32_e32 v31, s70
	v_mov_b32_e32 v32, s71
	v_add_f64 v[47:48], v[51:52], v[45:46]
	v_mul_f64 v[53:54], v[47:48], v[47:48]
	v_ldexp_f64 v[49:50], v[47:48], 1
	v_fma_f64 v[57:58], v[53:54], s[72:73], v[31:32]
	v_mul_f64 v[55:56], v[47:48], v[53:54]
	v_add_f64 v[47:48], v[47:48], -v[51:52]
	v_fma_f64 v[57:58], v[53:54], v[57:58], s[74:75]
	v_add_f64 v[45:46], v[45:46], -v[47:48]
	v_fma_f64 v[57:58], v[53:54], v[57:58], s[76:77]
	v_ldexp_f64 v[45:46], v[45:46], 1
	v_fma_f64 v[57:58], v[53:54], v[57:58], s[78:79]
	v_fma_f64 v[57:58], v[53:54], v[57:58], s[80:81]
	;; [unrolled: 1-line block ×3, first 2 shown]
	v_mul_f64 v[53:54], v[55:56], v[53:54]
	v_add_f64 v[55:56], v[49:50], v[53:54]
	v_add_f64 v[47:48], v[55:56], -v[49:50]
	v_add_f64 v[47:48], v[53:54], -v[47:48]
	v_add_f64 v[45:46], v[45:46], v[47:48]
	v_add_f64 v[47:48], v[55:56], v[45:46]
	;; [unrolled: 1-line block ×3, first 2 shown]
	v_add_f64 v[41:42], v[47:48], -v[55:56]
	v_add_f64 v[51:52], v[49:50], -v[43:44]
	;; [unrolled: 1-line block ×5, first 2 shown]
	v_add_f64 v[45:46], v[39:40], v[41:42]
	v_add_f64 v[43:44], v[43:44], -v[51:52]
	v_add_f64 v[51:52], v[45:46], -v[39:40]
	v_add_f64 v[43:44], v[47:48], v[43:44]
	v_add_f64 v[41:42], v[41:42], -v[51:52]
	v_add_f64 v[43:44], v[45:46], v[43:44]
	v_add_f64 v[45:46], v[45:46], -v[51:52]
	v_add_f64 v[47:48], v[49:50], v[43:44]
	v_add_f64 v[39:40], v[39:40], -v[45:46]
	v_cndmask_b32_e64 v45, 0, 1, s[6:7]
	v_ldexp_f64 v[29:30], v[29:30], v45
	v_add_f64 v[39:40], v[41:42], v[39:40]
	v_add_f64 v[41:42], v[47:48], -v[49:50]
	v_add_f64 v[45:46], v[29:30], -1.0
	v_add_f64 v[41:42], v[43:44], -v[41:42]
	v_add_f64 v[39:40], v[39:40], v[41:42]
	v_add_f64 v[39:40], v[47:48], v[39:40]
	v_add_f64 v[47:48], v[29:30], 1.0
	v_cndmask_b32_e32 v39, v39, v15, vcc
	v_rcp_f64_e32 v[49:50], v[47:48]
	v_add_f64 v[55:56], v[47:48], -1.0
	v_cndmask_b32_e32 v40, v40, v16, vcc
	v_cmp_neq_f64_e32 vcc, 0, v[15:16]
	v_add_f64 v[29:30], v[29:30], -v[55:56]
	v_cndmask_b32_e32 v15, 0, v39, vcc
	v_frexp_exp_i32_f64_e32 v39, v[27:28]
	v_cndmask_b32_e32 v16, v38, v40, vcc
	v_cmp_class_f64_e64 vcc, v[27:28], s95
	v_fma_f64 v[51:52], -v[47:48], v[49:50], 1.0
	v_subbrev_co_u32_e64 v39, s[8:9], 0, v39, s[6:7]
	v_cvt_f64_i32_e32 v[39:40], v39
	v_fma_f64 v[49:50], v[51:52], v[49:50], v[49:50]
	v_mul_f64 v[41:42], v[39:40], s[66:67]
	v_fma_f64 v[51:52], -v[47:48], v[49:50], 1.0
	v_fma_f64 v[43:44], v[39:40], s[66:67], -v[41:42]
	v_fma_f64 v[49:50], v[51:52], v[49:50], v[49:50]
	v_fma_f64 v[39:40], v[39:40], s[68:69], v[43:44]
	v_mul_f64 v[51:52], v[45:46], v[49:50]
	v_add_f64 v[43:44], v[41:42], v[39:40]
	v_mul_f64 v[53:54], v[47:48], v[51:52]
	v_add_f64 v[41:42], v[43:44], -v[41:42]
	v_fma_f64 v[47:48], v[51:52], v[47:48], -v[53:54]
	v_add_f64 v[39:40], v[39:40], -v[41:42]
	v_fma_f64 v[29:30], v[51:52], v[29:30], v[47:48]
	v_add_f64 v[47:48], v[53:54], v[29:30]
	v_add_f64 v[55:56], v[45:46], -v[47:48]
	v_add_f64 v[53:54], v[47:48], -v[53:54]
	;; [unrolled: 1-line block ×5, first 2 shown]
	v_add_f64 v[29:30], v[29:30], v[45:46]
	v_add_f64 v[29:30], v[55:56], v[29:30]
	v_mul_f64 v[29:30], v[49:50], v[29:30]
	v_add_f64 v[45:46], v[51:52], v[29:30]
	v_mul_f64 v[49:50], v[45:46], v[45:46]
	v_ldexp_f64 v[47:48], v[45:46], 1
	v_fma_f64 v[31:32], v[49:50], s[72:73], v[31:32]
	v_mul_f64 v[53:54], v[45:46], v[49:50]
	v_add_f64 v[45:46], v[45:46], -v[51:52]
	v_fma_f64 v[31:32], v[49:50], v[31:32], s[74:75]
	v_add_f64 v[29:30], v[29:30], -v[45:46]
	v_fma_f64 v[31:32], v[49:50], v[31:32], s[76:77]
	v_ldexp_f64 v[29:30], v[29:30], 1
	v_fma_f64 v[31:32], v[49:50], v[31:32], s[78:79]
	v_fma_f64 v[31:32], v[49:50], v[31:32], s[80:81]
	;; [unrolled: 1-line block ×3, first 2 shown]
	v_mul_f64 v[31:32], v[53:54], v[31:32]
	v_add_f64 v[49:50], v[47:48], v[31:32]
	v_add_f64 v[45:46], v[49:50], -v[47:48]
	v_add_f64 v[31:32], v[31:32], -v[45:46]
	v_add_f64 v[29:30], v[29:30], v[31:32]
	v_add_f64 v[31:32], v[49:50], v[29:30]
	;; [unrolled: 1-line block ×3, first 2 shown]
	v_add_f64 v[41:42], v[31:32], -v[49:50]
	v_add_f64 v[47:48], v[45:46], -v[43:44]
	;; [unrolled: 1-line block ×5, first 2 shown]
	v_add_f64 v[41:42], v[39:40], v[29:30]
	v_add_f64 v[43:44], v[43:44], -v[47:48]
	v_add_f64 v[47:48], v[41:42], -v[39:40]
	v_add_f64 v[31:32], v[31:32], v[43:44]
	v_add_f64 v[29:30], v[29:30], -v[47:48]
	v_add_f64 v[31:32], v[41:42], v[31:32]
	;; [unrolled: 2-line block ×4, first 2 shown]
	v_add_f64 v[39:40], v[43:44], -v[45:46]
	v_add_f64 v[31:32], v[31:32], -v[39:40]
	v_add_f64 v[29:30], v[29:30], v[31:32]
	v_add_f64 v[29:30], v[43:44], v[29:30]
	v_cndmask_b32_e32 v29, v29, v27, vcc
	v_cndmask_b32_e32 v30, v30, v28, vcc
	v_cmp_neq_f64_e32 vcc, 0, v[27:28]
	v_cndmask_b32_e32 v28, v38, v30, vcc
	v_cndmask_b32_e32 v27, 0, v29, vcc
	v_add_f64 v[15:16], v[15:16], -v[27:28]
	v_add_co_u32_e32 v25, vcc, s16, v25
	v_ldexp_f64 v[27:28], v[15:16], -2
	v_fma_f64 v[15:16], v[13:14], s[86:87], -v[27:28]
	v_fma_f64 v[13:14], v[27:28], s[86:87], v[13:14]
	v_mov_b32_e32 v27, s17
	v_addc_co_u32_e32 v26, vcc, v27, v26, vcc
	global_store_dwordx4 v[25:26], v[13:16], off
	s_or_b64 exec, exec, s[90:91]
	s_and_saveexec_b64 s[10:11], s[4:5]
	s_cbranch_execz .LBB67_18
.LBB67_22:                              ;   in Loop: Header=BB67_9 Depth=1
	s_waitcnt vmcnt(0)
	v_fma_f64 v[13:14], v[9:10], 0, -v[11:12]
	v_fma_f64 v[11:12], v[11:12], 0, v[9:10]
	s_mov_b32 s89, s65
	s_mov_b32 s84, s22
	v_add_f64 v[15:16], v[13:14], 1.0
	v_mul_f64 v[9:10], v[11:12], v[11:12]
	v_add_f64 v[25:26], -v[13:14], 1.0
	v_fma_f64 v[13:14], -v[13:14], v[13:14], 1.0
	v_fma_f64 v[15:16], v[15:16], v[15:16], v[9:10]
	v_fma_f64 v[9:10], v[25:26], v[25:26], v[9:10]
	v_fma_f64 v[13:14], -v[11:12], v[11:12], v[13:14]
	v_add_f64 v[11:12], v[11:12], v[11:12]
	v_frexp_mant_f64_e32 v[25:26], v[15:16]
	v_frexp_exp_i32_f64_e32 v27, v[15:16]
	v_cmp_class_f64_e64 s[6:7], v[13:14], s95
	v_cmp_lt_f64_e64 s[8:9], |v[13:14]|, |v[11:12]|
	v_cmp_gt_f64_e32 vcc, s[64:65], v[25:26]
	v_cndmask_b32_e64 v28, 0, 1, vcc
	v_ldexp_f64 v[25:26], v[25:26], v28
	v_subbrev_co_u32_e32 v45, vcc, 0, v27, vcc
	v_cmp_class_f64_e64 vcc, v[15:16], s95
	v_add_f64 v[29:30], v[25:26], 1.0
	v_add_f64 v[27:28], v[25:26], -1.0
	v_add_f64 v[31:32], v[29:30], -1.0
	v_add_f64 v[25:26], v[25:26], -v[31:32]
	v_rcp_f64_e32 v[31:32], v[29:30]
	v_fma_f64 v[39:40], -v[29:30], v[31:32], 1.0
	v_fma_f64 v[31:32], v[39:40], v[31:32], v[31:32]
	v_fma_f64 v[39:40], -v[29:30], v[31:32], 1.0
	v_fma_f64 v[31:32], v[39:40], v[31:32], v[31:32]
	v_mul_f64 v[39:40], v[27:28], v[31:32]
	v_mul_f64 v[41:42], v[29:30], v[39:40]
	v_fma_f64 v[29:30], v[39:40], v[29:30], -v[41:42]
	v_fma_f64 v[25:26], v[39:40], v[25:26], v[29:30]
	v_add_f64 v[29:30], v[41:42], v[25:26]
	v_add_f64 v[43:44], v[27:28], -v[29:30]
	v_add_f64 v[41:42], v[29:30], -v[41:42]
	;; [unrolled: 1-line block ×5, first 2 shown]
	v_add_f64 v[25:26], v[25:26], v[27:28]
	v_add_f64 v[25:26], v[43:44], v[25:26]
	v_mul_f64 v[25:26], v[31:32], v[25:26]
	v_mov_b32_e32 v31, s70
	v_mov_b32_e32 v32, s71
	v_add_f64 v[27:28], v[39:40], v[25:26]
	v_add_f64 v[29:30], v[27:28], -v[39:40]
	v_ldexp_f64 v[41:42], v[27:28], 1
	v_add_f64 v[25:26], v[25:26], -v[29:30]
	v_mul_f64 v[29:30], v[27:28], v[27:28]
	v_ldexp_f64 v[25:26], v[25:26], 1
	v_fma_f64 v[39:40], v[29:30], s[72:73], v[31:32]
	v_mul_f64 v[27:28], v[27:28], v[29:30]
	v_fma_f64 v[39:40], v[29:30], v[39:40], s[74:75]
	v_fma_f64 v[39:40], v[29:30], v[39:40], s[76:77]
	;; [unrolled: 1-line block ×5, first 2 shown]
	v_mul_f64 v[27:28], v[27:28], v[39:40]
	v_add_f64 v[29:30], v[41:42], v[27:28]
	v_add_f64 v[39:40], v[29:30], -v[41:42]
	v_add_f64 v[27:28], v[27:28], -v[39:40]
	v_add_f64 v[25:26], v[25:26], v[27:28]
	v_add_f64 v[27:28], v[29:30], v[25:26]
	v_add_f64 v[29:30], v[27:28], -v[29:30]
	v_add_f64 v[25:26], v[25:26], -v[29:30]
	v_cvt_f64_i32_e32 v[29:30], v45
	v_mul_f64 v[39:40], v[29:30], s[66:67]
	v_fma_f64 v[41:42], v[29:30], s[66:67], -v[39:40]
	v_fma_f64 v[29:30], v[29:30], s[68:69], v[41:42]
	v_add_f64 v[41:42], v[39:40], v[29:30]
	v_add_f64 v[39:40], v[41:42], -v[39:40]
	v_add_f64 v[29:30], v[29:30], -v[39:40]
	v_add_f64 v[39:40], v[41:42], v[27:28]
	v_add_f64 v[43:44], v[39:40], -v[41:42]
	v_add_f64 v[45:46], v[39:40], -v[43:44]
	;; [unrolled: 1-line block ×4, first 2 shown]
	v_add_f64 v[27:28], v[27:28], v[41:42]
	v_add_f64 v[41:42], v[29:30], v[25:26]
	v_add_f64 v[43:44], v[41:42], -v[29:30]
	v_add_f64 v[27:28], v[41:42], v[27:28]
	v_add_f64 v[45:46], v[41:42], -v[43:44]
	v_add_f64 v[25:26], v[25:26], -v[43:44]
	;; [unrolled: 1-line block ×3, first 2 shown]
	v_add_f64 v[25:26], v[25:26], v[29:30]
	v_add_f64 v[29:30], v[39:40], v[27:28]
	v_add_f64 v[39:40], v[29:30], -v[39:40]
	v_add_f64 v[27:28], v[27:28], -v[39:40]
	v_add_f64 v[25:26], v[25:26], v[27:28]
	v_frexp_exp_i32_f64_e32 v27, v[9:10]
	v_add_f64 v[25:26], v[29:30], v[25:26]
	v_cndmask_b32_e32 v25, v25, v15, vcc
	v_cndmask_b32_e32 v26, v26, v16, vcc
	v_cmp_neq_f64_e32 vcc, 0, v[15:16]
	v_cndmask_b32_e32 v16, v38, v26, vcc
	v_cndmask_b32_e32 v15, 0, v25, vcc
	v_frexp_mant_f64_e32 v[25:26], v[9:10]
	v_cmp_gt_f64_e32 vcc, s[64:65], v[25:26]
	v_cndmask_b32_e64 v28, 0, 1, vcc
	v_ldexp_f64 v[25:26], v[25:26], v28
	v_subbrev_co_u32_e32 v47, vcc, 0, v27, vcc
	v_cmp_class_f64_e64 vcc, v[9:10], s95
	v_add_f64 v[29:30], v[25:26], 1.0
	v_add_f64 v[27:28], v[25:26], -1.0
	v_add_f64 v[39:40], v[29:30], -1.0
	v_add_f64 v[25:26], v[25:26], -v[39:40]
	v_rcp_f64_e32 v[39:40], v[29:30]
	v_fma_f64 v[41:42], -v[29:30], v[39:40], 1.0
	v_fma_f64 v[39:40], v[41:42], v[39:40], v[39:40]
	v_fma_f64 v[41:42], -v[29:30], v[39:40], 1.0
	v_fma_f64 v[39:40], v[41:42], v[39:40], v[39:40]
	v_mul_f64 v[41:42], v[27:28], v[39:40]
	v_mul_f64 v[43:44], v[29:30], v[41:42]
	v_fma_f64 v[29:30], v[41:42], v[29:30], -v[43:44]
	v_fma_f64 v[25:26], v[41:42], v[25:26], v[29:30]
	v_add_f64 v[29:30], v[43:44], v[25:26]
	v_add_f64 v[45:46], v[27:28], -v[29:30]
	v_add_f64 v[43:44], v[29:30], -v[43:44]
	v_add_f64 v[27:28], v[27:28], -v[45:46]
	v_add_f64 v[25:26], v[43:44], -v[25:26]
	v_add_f64 v[27:28], v[27:28], -v[29:30]
	v_add_f64 v[25:26], v[25:26], v[27:28]
	v_add_f64 v[25:26], v[45:46], v[25:26]
	v_mul_f64 v[25:26], v[39:40], v[25:26]
	v_add_f64 v[27:28], v[41:42], v[25:26]
	v_add_f64 v[29:30], v[27:28], -v[41:42]
	v_ldexp_f64 v[39:40], v[27:28], 1
	v_add_f64 v[25:26], v[25:26], -v[29:30]
	v_mul_f64 v[29:30], v[27:28], v[27:28]
	v_ldexp_f64 v[25:26], v[25:26], 1
	v_fma_f64 v[31:32], v[29:30], s[72:73], v[31:32]
	v_mul_f64 v[27:28], v[27:28], v[29:30]
	v_fma_f64 v[31:32], v[29:30], v[31:32], s[74:75]
	v_fma_f64 v[31:32], v[29:30], v[31:32], s[76:77]
	;; [unrolled: 1-line block ×5, first 2 shown]
	v_mul_f64 v[27:28], v[27:28], v[31:32]
	v_add_f64 v[29:30], v[39:40], v[27:28]
	v_add_f64 v[31:32], v[29:30], -v[39:40]
	v_add_f64 v[27:28], v[27:28], -v[31:32]
	v_add_f64 v[25:26], v[25:26], v[27:28]
	v_add_f64 v[27:28], v[29:30], v[25:26]
	v_add_f64 v[29:30], v[27:28], -v[29:30]
	v_add_f64 v[25:26], v[25:26], -v[29:30]
	v_cvt_f64_i32_e32 v[29:30], v47
	v_mul_f64 v[31:32], v[29:30], s[66:67]
	v_fma_f64 v[39:40], v[29:30], s[66:67], -v[31:32]
	v_fma_f64 v[29:30], v[29:30], s[68:69], v[39:40]
	v_add_f64 v[39:40], v[31:32], v[29:30]
	v_add_f64 v[31:32], v[39:40], -v[31:32]
	v_add_f64 v[29:30], v[29:30], -v[31:32]
	v_add_f64 v[31:32], v[39:40], v[27:28]
	v_add_f64 v[41:42], v[31:32], -v[39:40]
	v_add_f64 v[43:44], v[31:32], -v[41:42]
	;; [unrolled: 1-line block ×4, first 2 shown]
	v_add_f64 v[27:28], v[27:28], v[39:40]
	v_add_f64 v[39:40], v[29:30], v[25:26]
	v_add_f64 v[41:42], v[39:40], -v[29:30]
	v_add_f64 v[27:28], v[39:40], v[27:28]
	v_add_f64 v[43:44], v[39:40], -v[41:42]
	v_add_f64 v[25:26], v[25:26], -v[41:42]
	;; [unrolled: 1-line block ×3, first 2 shown]
	v_add_f64 v[25:26], v[25:26], v[29:30]
	v_add_f64 v[29:30], v[31:32], v[27:28]
	v_add_f64 v[31:32], v[29:30], -v[31:32]
	v_add_f64 v[27:28], v[27:28], -v[31:32]
	v_add_f64 v[25:26], v[25:26], v[27:28]
	v_add_f64 v[25:26], v[29:30], v[25:26]
	v_cndmask_b32_e32 v25, v25, v9, vcc
	v_cndmask_b32_e32 v26, v26, v10, vcc
	v_cmp_neq_f64_e32 vcc, 0, v[9:10]
	v_cndmask_b32_e32 v10, v38, v26, vcc
	v_cndmask_b32_e32 v9, 0, v25, vcc
	v_add_f64 v[9:10], v[15:16], -v[9:10]
	v_max_f64 v[15:16], |v[13:14]|, |v[11:12]|
	v_min_f64 v[25:26], |v[13:14]|, |v[11:12]|
	v_ldexp_f64 v[9:10], v[9:10], -2
	v_div_scale_f64 v[27:28], s[4:5], v[15:16], v[15:16], v[25:26]
	v_cmp_class_f64_e64 s[4:5], v[11:12], s95
	v_rcp_f64_e32 v[29:30], v[27:28]
	v_fma_f64 v[31:32], -v[27:28], v[29:30], 1.0
	v_fma_f64 v[29:30], v[29:30], v[31:32], v[29:30]
	v_fma_f64 v[31:32], -v[27:28], v[29:30], 1.0
	v_fma_f64 v[29:30], v[29:30], v[31:32], v[29:30]
	v_div_scale_f64 v[31:32], vcc, v[25:26], v[15:16], v[25:26]
	v_mul_f64 v[39:40], v[31:32], v[29:30]
	v_fma_f64 v[27:28], -v[27:28], v[39:40], v[31:32]
	s_nop 1
	v_div_fmas_f64 v[27:28], v[27:28], v[29:30], v[39:40]
	s_and_b64 vcc, s[4:5], s[6:7]
	v_cmp_eq_f64_e64 s[6:7], 0, v[11:12]
	v_cmp_gt_i32_e64 s[4:5], 0, v14
	v_div_fixup_f64 v[15:16], v[27:28], v[15:16], v[25:26]
	v_mul_f64 v[25:26], v[15:16], v[15:16]
	v_fma_f64 v[27:28], v[25:26], s[24:25], v[17:18]
	v_fma_f64 v[27:28], v[25:26], v[27:28], s[26:27]
	;; [unrolled: 1-line block ×19, first 2 shown]
	v_mul_f64 v[25:26], v[25:26], v[27:28]
	v_cndmask_b32_e64 v27, v33, v34, s[4:5]
	v_cndmask_b32_e64 v28, v35, v36, s[4:5]
	v_fma_f64 v[15:16], v[15:16], v[25:26], v[15:16]
	v_ashrrev_i32_e32 v25, 31, v14
	v_and_b32_e32 v29, 0x400921fb, v25
	v_and_b32_e32 v30, 0x54442d18, v25
	v_add_f64 v[25:26], -v[15:16], s[22:23]
	v_cndmask_b32_e64 v16, v16, v26, s[8:9]
	v_cndmask_b32_e64 v15, v15, v25, s[8:9]
	v_add_f64 v[25:26], -v[15:16], s[84:85]
	v_cndmask_b32_e64 v16, v16, v26, s[4:5]
	v_cndmask_b32_e64 v15, v15, v25, s[4:5]
	;; [unrolled: 1-line block ×4, first 2 shown]
	v_cndmask_b32_e32 v16, v16, v28, vcc
	v_cndmask_b32_e32 v15, v15, v27, vcc
	v_cmp_o_f64_e32 vcc, v[13:14], v[11:12]
	v_cndmask_b32_e32 v13, v37, v16, vcc
	v_cndmask_b32_e32 v11, 0, v15, vcc
	v_bfi_b32 v12, s93, v13, v12
	v_mul_f64 v[13:14], v[11:12], 0.5
	v_mov_b32_e32 v15, s17
	v_fma_f64 v[11:12], v[9:10], s[86:87], v[13:14]
	v_fma_f64 v[13:14], v[13:14], s[86:87], -v[9:10]
	v_lshlrev_b64 v[9:10], 4, v[23:24]
	v_add_co_u32_e32 v9, vcc, s16, v9
	v_addc_co_u32_e32 v10, vcc, v15, v10, vcc
	global_store_dwordx4 v[9:10], v[11:14], off
	s_or_b64 exec, exec, s[10:11]
	s_and_saveexec_b64 s[8:9], s[2:3]
	s_cbranch_execz .LBB67_19
.LBB67_23:                              ;   in Loop: Header=BB67_9 Depth=1
	s_waitcnt vmcnt(0)
	v_fma_f64 v[9:10], v[5:6], 0, -v[7:8]
	v_fma_f64 v[7:8], v[7:8], 0, v[5:6]
	s_mov_b32 s89, s65
	s_mov_b32 s84, s22
	v_add_f64 v[11:12], v[9:10], 1.0
	v_mul_f64 v[5:6], v[7:8], v[7:8]
	v_add_f64 v[13:14], -v[9:10], 1.0
	v_fma_f64 v[9:10], -v[9:10], v[9:10], 1.0
	v_fma_f64 v[11:12], v[11:12], v[11:12], v[5:6]
	v_fma_f64 v[5:6], v[13:14], v[13:14], v[5:6]
	v_fma_f64 v[9:10], -v[7:8], v[7:8], v[9:10]
	v_add_f64 v[7:8], v[7:8], v[7:8]
	v_frexp_mant_f64_e32 v[13:14], v[11:12]
	v_frexp_exp_i32_f64_e32 v15, v[11:12]
	v_cmp_class_f64_e64 s[4:5], v[9:10], s95
	v_cmp_lt_f64_e64 s[6:7], |v[9:10]|, |v[7:8]|
	v_cmp_gt_f64_e32 vcc, s[64:65], v[13:14]
	v_cndmask_b32_e64 v16, 0, 1, vcc
	v_ldexp_f64 v[13:14], v[13:14], v16
	v_subbrev_co_u32_e32 v39, vcc, 0, v15, vcc
	v_cmp_class_f64_e64 vcc, v[11:12], s95
	v_add_f64 v[23:24], v[13:14], 1.0
	v_add_f64 v[15:16], v[13:14], -1.0
	v_add_f64 v[25:26], v[23:24], -1.0
	v_add_f64 v[13:14], v[13:14], -v[25:26]
	v_rcp_f64_e32 v[25:26], v[23:24]
	v_fma_f64 v[27:28], -v[23:24], v[25:26], 1.0
	v_fma_f64 v[25:26], v[27:28], v[25:26], v[25:26]
	v_fma_f64 v[27:28], -v[23:24], v[25:26], 1.0
	v_fma_f64 v[25:26], v[27:28], v[25:26], v[25:26]
	v_mul_f64 v[27:28], v[15:16], v[25:26]
	v_mul_f64 v[29:30], v[23:24], v[27:28]
	v_fma_f64 v[23:24], v[27:28], v[23:24], -v[29:30]
	v_fma_f64 v[13:14], v[27:28], v[13:14], v[23:24]
	v_add_f64 v[23:24], v[29:30], v[13:14]
	v_add_f64 v[31:32], v[15:16], -v[23:24]
	v_add_f64 v[29:30], v[23:24], -v[29:30]
	;; [unrolled: 1-line block ×5, first 2 shown]
	v_add_f64 v[13:14], v[13:14], v[15:16]
	v_add_f64 v[13:14], v[31:32], v[13:14]
	v_mul_f64 v[13:14], v[25:26], v[13:14]
	v_mov_b32_e32 v25, s70
	v_mov_b32_e32 v26, s71
	v_add_f64 v[15:16], v[27:28], v[13:14]
	v_add_f64 v[23:24], v[15:16], -v[27:28]
	v_ldexp_f64 v[29:30], v[15:16], 1
	v_add_f64 v[13:14], v[13:14], -v[23:24]
	v_mul_f64 v[23:24], v[15:16], v[15:16]
	v_ldexp_f64 v[13:14], v[13:14], 1
	v_fma_f64 v[27:28], v[23:24], s[72:73], v[25:26]
	v_mul_f64 v[15:16], v[15:16], v[23:24]
	v_fma_f64 v[27:28], v[23:24], v[27:28], s[74:75]
	v_fma_f64 v[27:28], v[23:24], v[27:28], s[76:77]
	;; [unrolled: 1-line block ×5, first 2 shown]
	v_mul_f64 v[15:16], v[15:16], v[27:28]
	v_add_f64 v[23:24], v[29:30], v[15:16]
	v_add_f64 v[27:28], v[23:24], -v[29:30]
	v_add_f64 v[15:16], v[15:16], -v[27:28]
	v_add_f64 v[13:14], v[13:14], v[15:16]
	v_add_f64 v[15:16], v[23:24], v[13:14]
	v_add_f64 v[23:24], v[15:16], -v[23:24]
	v_add_f64 v[13:14], v[13:14], -v[23:24]
	v_cvt_f64_i32_e32 v[23:24], v39
	v_mul_f64 v[27:28], v[23:24], s[66:67]
	v_fma_f64 v[29:30], v[23:24], s[66:67], -v[27:28]
	v_fma_f64 v[23:24], v[23:24], s[68:69], v[29:30]
	v_add_f64 v[29:30], v[27:28], v[23:24]
	v_add_f64 v[27:28], v[29:30], -v[27:28]
	v_add_f64 v[23:24], v[23:24], -v[27:28]
	v_add_f64 v[27:28], v[29:30], v[15:16]
	v_add_f64 v[31:32], v[27:28], -v[29:30]
	v_add_f64 v[39:40], v[27:28], -v[31:32]
	;; [unrolled: 1-line block ×4, first 2 shown]
	v_add_f64 v[15:16], v[15:16], v[29:30]
	v_add_f64 v[29:30], v[23:24], v[13:14]
	v_add_f64 v[31:32], v[29:30], -v[23:24]
	v_add_f64 v[15:16], v[29:30], v[15:16]
	v_add_f64 v[39:40], v[29:30], -v[31:32]
	v_add_f64 v[13:14], v[13:14], -v[31:32]
	;; [unrolled: 1-line block ×3, first 2 shown]
	v_add_f64 v[13:14], v[13:14], v[23:24]
	v_add_f64 v[23:24], v[27:28], v[15:16]
	v_add_f64 v[27:28], v[23:24], -v[27:28]
	v_add_f64 v[15:16], v[15:16], -v[27:28]
	v_add_f64 v[13:14], v[13:14], v[15:16]
	v_frexp_exp_i32_f64_e32 v15, v[5:6]
	v_add_f64 v[13:14], v[23:24], v[13:14]
	v_cndmask_b32_e32 v13, v13, v11, vcc
	v_cndmask_b32_e32 v14, v14, v12, vcc
	v_cmp_neq_f64_e32 vcc, 0, v[11:12]
	v_cndmask_b32_e32 v12, v38, v14, vcc
	v_cndmask_b32_e32 v11, 0, v13, vcc
	v_frexp_mant_f64_e32 v[13:14], v[5:6]
	v_cmp_gt_f64_e32 vcc, s[64:65], v[13:14]
	v_cndmask_b32_e64 v16, 0, 1, vcc
	v_ldexp_f64 v[13:14], v[13:14], v16
	v_subbrev_co_u32_e32 v41, vcc, 0, v15, vcc
	v_cmp_class_f64_e64 vcc, v[5:6], s95
	v_add_f64 v[23:24], v[13:14], 1.0
	v_add_f64 v[15:16], v[13:14], -1.0
	v_add_f64 v[27:28], v[23:24], -1.0
	v_add_f64 v[13:14], v[13:14], -v[27:28]
	v_rcp_f64_e32 v[27:28], v[23:24]
	v_fma_f64 v[29:30], -v[23:24], v[27:28], 1.0
	v_fma_f64 v[27:28], v[29:30], v[27:28], v[27:28]
	v_fma_f64 v[29:30], -v[23:24], v[27:28], 1.0
	v_fma_f64 v[27:28], v[29:30], v[27:28], v[27:28]
	v_mul_f64 v[29:30], v[15:16], v[27:28]
	v_mul_f64 v[31:32], v[23:24], v[29:30]
	v_fma_f64 v[23:24], v[29:30], v[23:24], -v[31:32]
	v_fma_f64 v[13:14], v[29:30], v[13:14], v[23:24]
	v_add_f64 v[23:24], v[31:32], v[13:14]
	v_add_f64 v[39:40], v[15:16], -v[23:24]
	v_add_f64 v[31:32], v[23:24], -v[31:32]
	;; [unrolled: 1-line block ×5, first 2 shown]
	v_add_f64 v[13:14], v[13:14], v[15:16]
	v_add_f64 v[13:14], v[39:40], v[13:14]
	v_mul_f64 v[13:14], v[27:28], v[13:14]
	v_add_f64 v[15:16], v[29:30], v[13:14]
	v_add_f64 v[23:24], v[15:16], -v[29:30]
	v_ldexp_f64 v[27:28], v[15:16], 1
	v_add_f64 v[13:14], v[13:14], -v[23:24]
	v_mul_f64 v[23:24], v[15:16], v[15:16]
	v_ldexp_f64 v[13:14], v[13:14], 1
	v_fma_f64 v[25:26], v[23:24], s[72:73], v[25:26]
	v_mul_f64 v[15:16], v[15:16], v[23:24]
	v_fma_f64 v[25:26], v[23:24], v[25:26], s[74:75]
	v_fma_f64 v[25:26], v[23:24], v[25:26], s[76:77]
	;; [unrolled: 1-line block ×5, first 2 shown]
	v_mul_f64 v[15:16], v[15:16], v[25:26]
	v_add_f64 v[23:24], v[27:28], v[15:16]
	v_add_f64 v[25:26], v[23:24], -v[27:28]
	v_add_f64 v[15:16], v[15:16], -v[25:26]
	v_add_f64 v[13:14], v[13:14], v[15:16]
	v_add_f64 v[15:16], v[23:24], v[13:14]
	v_add_f64 v[23:24], v[15:16], -v[23:24]
	v_add_f64 v[13:14], v[13:14], -v[23:24]
	v_cvt_f64_i32_e32 v[23:24], v41
	v_mul_f64 v[25:26], v[23:24], s[66:67]
	v_fma_f64 v[27:28], v[23:24], s[66:67], -v[25:26]
	v_fma_f64 v[23:24], v[23:24], s[68:69], v[27:28]
	v_add_f64 v[27:28], v[25:26], v[23:24]
	v_add_f64 v[25:26], v[27:28], -v[25:26]
	v_add_f64 v[23:24], v[23:24], -v[25:26]
	v_add_f64 v[25:26], v[27:28], v[15:16]
	v_add_f64 v[29:30], v[25:26], -v[27:28]
	v_add_f64 v[31:32], v[25:26], -v[29:30]
	;; [unrolled: 1-line block ×4, first 2 shown]
	v_add_f64 v[15:16], v[15:16], v[27:28]
	v_add_f64 v[27:28], v[23:24], v[13:14]
	v_add_f64 v[29:30], v[27:28], -v[23:24]
	v_add_f64 v[15:16], v[27:28], v[15:16]
	v_add_f64 v[31:32], v[27:28], -v[29:30]
	v_add_f64 v[13:14], v[13:14], -v[29:30]
	;; [unrolled: 1-line block ×3, first 2 shown]
	v_add_f64 v[13:14], v[13:14], v[23:24]
	v_add_f64 v[23:24], v[25:26], v[15:16]
	v_add_f64 v[25:26], v[23:24], -v[25:26]
	v_add_f64 v[15:16], v[15:16], -v[25:26]
	v_add_f64 v[13:14], v[13:14], v[15:16]
	v_add_f64 v[13:14], v[23:24], v[13:14]
	v_cndmask_b32_e32 v13, v13, v5, vcc
	v_cndmask_b32_e32 v14, v14, v6, vcc
	v_cmp_neq_f64_e32 vcc, 0, v[5:6]
	v_cndmask_b32_e32 v6, v38, v14, vcc
	v_cndmask_b32_e32 v5, 0, v13, vcc
	v_add_f64 v[5:6], v[11:12], -v[5:6]
	v_max_f64 v[11:12], |v[9:10]|, |v[7:8]|
	v_min_f64 v[13:14], |v[9:10]|, |v[7:8]|
	v_ldexp_f64 v[5:6], v[5:6], -2
	v_div_scale_f64 v[15:16], s[2:3], v[11:12], v[11:12], v[13:14]
	v_cmp_class_f64_e64 s[2:3], v[7:8], s95
	v_rcp_f64_e32 v[23:24], v[15:16]
	v_fma_f64 v[25:26], -v[15:16], v[23:24], 1.0
	v_fma_f64 v[23:24], v[23:24], v[25:26], v[23:24]
	v_fma_f64 v[25:26], -v[15:16], v[23:24], 1.0
	v_fma_f64 v[23:24], v[23:24], v[25:26], v[23:24]
	v_div_scale_f64 v[25:26], vcc, v[13:14], v[11:12], v[13:14]
	v_mul_f64 v[27:28], v[25:26], v[23:24]
	v_fma_f64 v[15:16], -v[15:16], v[27:28], v[25:26]
	s_nop 1
	v_div_fmas_f64 v[15:16], v[15:16], v[23:24], v[27:28]
	s_and_b64 vcc, s[2:3], s[4:5]
	v_cmp_eq_f64_e64 s[4:5], 0, v[7:8]
	v_cmp_gt_i32_e64 s[2:3], 0, v10
	v_div_fixup_f64 v[11:12], v[15:16], v[11:12], v[13:14]
	v_mul_f64 v[13:14], v[11:12], v[11:12]
	v_fma_f64 v[15:16], v[13:14], s[24:25], v[17:18]
	v_fma_f64 v[15:16], v[13:14], v[15:16], s[26:27]
	;; [unrolled: 1-line block ×19, first 2 shown]
	v_mul_f64 v[13:14], v[13:14], v[15:16]
	v_cndmask_b32_e64 v15, v33, v34, s[2:3]
	v_cndmask_b32_e64 v16, v35, v36, s[2:3]
	v_fma_f64 v[11:12], v[11:12], v[13:14], v[11:12]
	v_ashrrev_i32_e32 v13, 31, v10
	v_and_b32_e32 v23, 0x400921fb, v13
	v_and_b32_e32 v24, 0x54442d18, v13
	v_add_f64 v[13:14], -v[11:12], s[22:23]
	v_cndmask_b32_e64 v12, v12, v14, s[6:7]
	v_cndmask_b32_e64 v11, v11, v13, s[6:7]
	v_add_f64 v[13:14], -v[11:12], s[84:85]
	v_cndmask_b32_e64 v12, v12, v14, s[2:3]
	v_cndmask_b32_e64 v11, v11, v13, s[2:3]
	;; [unrolled: 1-line block ×4, first 2 shown]
	v_cndmask_b32_e32 v12, v12, v16, vcc
	v_cndmask_b32_e32 v11, v11, v15, vcc
	v_cmp_o_f64_e32 vcc, v[9:10], v[7:8]
	v_cndmask_b32_e32 v9, v37, v12, vcc
	v_cndmask_b32_e32 v7, 0, v11, vcc
	v_bfi_b32 v8, s93, v9, v8
	v_mul_f64 v[9:10], v[7:8], 0.5
	v_mov_b32_e32 v11, s17
	v_fma_f64 v[7:8], v[5:6], s[86:87], v[9:10]
	v_fma_f64 v[9:10], v[9:10], s[86:87], -v[5:6]
	v_lshlrev_b64 v[5:6], 4, v[21:22]
	v_add_co_u32_e32 v5, vcc, s16, v5
	v_addc_co_u32_e32 v6, vcc, v11, v6, vcc
	global_store_dwordx4 v[5:6], v[7:10], off
	s_or_b64 exec, exec, s[8:9]
	s_and_saveexec_b64 s[6:7], s[0:1]
	s_cbranch_execz .LBB67_8
.LBB67_24:                              ;   in Loop: Header=BB67_9 Depth=1
	s_waitcnt vmcnt(0)
	v_fma_f64 v[7:8], v[3:4], 0, v[1:2]
	v_fma_f64 v[5:6], v[1:2], 0, -v[3:4]
	s_mov_b32 s89, s65
	s_mov_b32 s84, s22
	v_mul_f64 v[1:2], v[7:8], v[7:8]
	v_add_f64 v[3:4], v[5:6], 1.0
	v_add_f64 v[9:10], -v[5:6], 1.0
	v_fma_f64 v[23:24], -v[5:6], v[5:6], 1.0
	v_add_f64 v[5:6], v[7:8], v[7:8]
	v_fma_f64 v[3:4], v[3:4], v[3:4], v[1:2]
	v_fma_f64 v[1:2], v[9:10], v[9:10], v[1:2]
	v_fma_f64 v[7:8], -v[7:8], v[7:8], v[23:24]
	v_cmp_class_f64_e64 s[8:9], v[5:6], s95
	v_frexp_mant_f64_e32 v[9:10], v[3:4]
	v_frexp_mant_f64_e32 v[11:12], v[1:2]
	v_max_f64 v[27:28], |v[7:8]|, |v[5:6]|
	v_min_f64 v[29:30], |v[7:8]|, |v[5:6]|
	v_cmp_class_f64_e64 s[10:11], v[7:8], s95
	v_cmp_gt_f64_e64 s[2:3], s[64:65], v[9:10]
	v_cmp_gt_f64_e64 s[0:1], s[64:65], v[11:12]
	v_cndmask_b32_e64 v13, 0, 1, s[2:3]
	v_ldexp_f64 v[9:10], v[9:10], v13
	v_cndmask_b32_e64 v13, 0, 1, s[0:1]
	v_ldexp_f64 v[11:12], v[11:12], v13
	v_add_f64 v[13:14], v[9:10], 1.0
	v_add_f64 v[41:42], v[9:10], -1.0
	v_add_f64 v[15:16], v[11:12], 1.0
	v_add_f64 v[43:44], v[11:12], -1.0
	v_rcp_f64_e32 v[21:22], v[13:14]
	v_add_f64 v[47:48], v[13:14], -1.0
	v_rcp_f64_e32 v[25:26], v[15:16]
	v_add_f64 v[53:54], v[15:16], -1.0
	v_add_f64 v[9:10], v[9:10], -v[47:48]
	v_add_f64 v[11:12], v[11:12], -v[53:54]
	v_fma_f64 v[23:24], -v[13:14], v[21:22], 1.0
	v_fma_f64 v[31:32], -v[15:16], v[25:26], 1.0
	v_fma_f64 v[21:22], v[23:24], v[21:22], v[21:22]
	v_div_scale_f64 v[23:24], s[4:5], v[27:28], v[27:28], v[29:30]
	v_fma_f64 v[25:26], v[31:32], v[25:26], v[25:26]
	v_cmp_class_f64_e64 s[4:5], v[1:2], s95
	v_fma_f64 v[31:32], -v[13:14], v[21:22], 1.0
	v_fma_f64 v[39:40], -v[15:16], v[25:26], 1.0
	v_fma_f64 v[21:22], v[31:32], v[21:22], v[21:22]
	v_rcp_f64_e32 v[31:32], v[23:24]
	v_fma_f64 v[25:26], v[39:40], v[25:26], v[25:26]
	v_mul_f64 v[39:40], v[41:42], v[21:22]
	v_mul_f64 v[45:46], v[43:44], v[25:26]
	;; [unrolled: 1-line block ×3, first 2 shown]
	v_fma_f64 v[51:52], -v[23:24], v[31:32], 1.0
	v_mul_f64 v[55:56], v[15:16], v[45:46]
	v_fma_f64 v[13:14], v[39:40], v[13:14], -v[49:50]
	v_fma_f64 v[31:32], v[31:32], v[51:52], v[31:32]
	v_fma_f64 v[15:16], v[45:46], v[15:16], -v[55:56]
	v_fma_f64 v[9:10], v[39:40], v[9:10], v[13:14]
	v_div_scale_f64 v[13:14], vcc, v[29:30], v[27:28], v[29:30]
	v_fma_f64 v[47:48], -v[23:24], v[31:32], 1.0
	v_fma_f64 v[11:12], v[45:46], v[11:12], v[15:16]
	v_add_f64 v[15:16], v[49:50], v[9:10]
	v_fma_f64 v[31:32], v[31:32], v[47:48], v[31:32]
	v_add_f64 v[47:48], v[55:56], v[11:12]
	v_add_f64 v[51:52], v[41:42], -v[15:16]
	v_add_f64 v[49:50], v[15:16], -v[49:50]
	v_mul_f64 v[53:54], v[13:14], v[31:32]
	v_add_f64 v[57:58], v[43:44], -v[47:48]
	v_add_f64 v[41:42], v[41:42], -v[51:52]
	;; [unrolled: 1-line block ×3, first 2 shown]
	v_fma_f64 v[13:14], -v[23:24], v[53:54], v[13:14]
	v_add_f64 v[23:24], v[47:48], -v[55:56]
	v_add_f64 v[43:44], v[43:44], -v[57:58]
	;; [unrolled: 1-line block ×3, first 2 shown]
	v_div_fmas_f64 v[13:14], v[13:14], v[31:32], v[53:54]
	v_add_f64 v[11:12], v[23:24], -v[11:12]
	v_add_f64 v[23:24], v[43:44], -v[47:48]
	v_mov_b32_e32 v31, s70
	v_mov_b32_e32 v32, s71
	v_add_f64 v[9:10], v[9:10], v[15:16]
	v_frexp_exp_i32_f64_e32 v47, v[3:4]
	v_frexp_exp_i32_f64_e32 v48, v[1:2]
	v_add_f64 v[11:12], v[11:12], v[23:24]
	v_add_f64 v[9:10], v[51:52], v[9:10]
	v_subbrev_co_u32_e64 v47, vcc, 0, v47, s[2:3]
	v_div_fixup_f64 v[13:14], v[13:14], v[27:28], v[29:30]
	v_subbrev_co_u32_e64 v48, vcc, 0, v48, s[0:1]
	v_add_f64 v[11:12], v[57:58], v[11:12]
	v_cmp_lt_f64_e64 vcc, |v[7:8]|, |v[5:6]|
	v_mul_f64 v[9:10], v[21:22], v[9:10]
	v_cmp_eq_f64_e64 s[0:1], 0, v[5:6]
	v_cmp_class_f64_e64 s[2:3], v[3:4], s95
	v_mul_f64 v[15:16], v[13:14], v[13:14]
	v_mul_f64 v[11:12], v[25:26], v[11:12]
	v_add_f64 v[21:22], v[39:40], v[9:10]
	v_fma_f64 v[23:24], v[15:16], s[24:25], v[17:18]
	v_add_f64 v[25:26], v[45:46], v[11:12]
	v_mul_f64 v[27:28], v[21:22], v[21:22]
	v_fma_f64 v[23:24], v[15:16], v[23:24], s[26:27]
	v_mul_f64 v[29:30], v[25:26], v[25:26]
	v_fma_f64 v[41:42], v[27:28], s[72:73], v[31:32]
	;; [unrolled: 2-line block ×3, first 2 shown]
	v_fma_f64 v[31:32], v[29:30], s[72:73], v[31:32]
	v_fma_f64 v[41:42], v[27:28], v[41:42], s[74:75]
	;; [unrolled: 1-line block ×14, first 2 shown]
	v_mul_f64 v[41:42], v[25:26], v[29:30]
	v_fma_f64 v[23:24], v[15:16], v[23:24], s[40:41]
	v_fma_f64 v[29:30], v[29:30], v[31:32], s[88:89]
	v_ldexp_f64 v[31:32], v[21:22], 1
	v_mul_f64 v[27:28], v[43:44], v[27:28]
	v_ldexp_f64 v[43:44], v[25:26], 1
	v_add_f64 v[21:22], v[21:22], -v[39:40]
	v_fma_f64 v[23:24], v[15:16], v[23:24], s[42:43]
	v_add_f64 v[25:26], v[25:26], -v[45:46]
	v_mul_f64 v[29:30], v[41:42], v[29:30]
	v_cvt_f64_i32_e32 v[41:42], v47
	v_add_f64 v[39:40], v[31:32], v[27:28]
	v_cvt_f64_i32_e32 v[47:48], v48
	v_add_f64 v[9:10], v[9:10], -v[21:22]
	v_fma_f64 v[23:24], v[15:16], v[23:24], s[44:45]
	v_mul_f64 v[49:50], v[41:42], s[66:67]
	v_add_f64 v[11:12], v[11:12], -v[25:26]
	v_add_f64 v[45:46], v[43:44], v[29:30]
	v_add_f64 v[21:22], v[39:40], -v[31:32]
	v_mul_f64 v[31:32], v[47:48], s[66:67]
	v_ldexp_f64 v[9:10], v[9:10], 1
	v_fma_f64 v[23:24], v[15:16], v[23:24], s[46:47]
	v_ldexp_f64 v[11:12], v[11:12], 1
	v_add_f64 v[25:26], v[45:46], -v[43:44]
	v_fma_f64 v[43:44], v[41:42], s[66:67], -v[49:50]
	v_add_f64 v[21:22], v[27:28], -v[21:22]
	v_fma_f64 v[27:28], v[47:48], s[66:67], -v[31:32]
	v_fma_f64 v[23:24], v[15:16], v[23:24], s[48:49]
	v_add_f64 v[25:26], v[29:30], -v[25:26]
	v_fma_f64 v[29:30], v[41:42], s[68:69], v[43:44]
	v_add_f64 v[9:10], v[9:10], v[21:22]
	v_fma_f64 v[21:22], v[47:48], s[68:69], v[27:28]
	v_fma_f64 v[23:24], v[15:16], v[23:24], s[50:51]
	v_add_f64 v[11:12], v[11:12], v[25:26]
	v_add_f64 v[25:26], v[49:50], v[29:30]
	;; [unrolled: 1-line block ×4, first 2 shown]
	v_fma_f64 v[23:24], v[15:16], v[23:24], s[52:53]
	v_add_f64 v[43:44], v[45:46], v[11:12]
	v_add_f64 v[49:50], v[25:26], -v[49:50]
	v_add_f64 v[47:48], v[25:26], v[27:28]
	v_add_f64 v[39:40], v[27:28], -v[39:40]
	v_add_f64 v[31:32], v[41:42], -v[31:32]
	v_fma_f64 v[23:24], v[15:16], v[23:24], s[54:55]
	v_add_f64 v[51:52], v[41:42], v[43:44]
	v_add_f64 v[45:46], v[43:44], -v[45:46]
	v_add_f64 v[53:54], v[47:48], -v[25:26]
	;; [unrolled: 1-line block ×4, first 2 shown]
	v_fma_f64 v[23:24], v[15:16], v[23:24], s[56:57]
	v_add_f64 v[21:22], v[21:22], -v[31:32]
	v_add_f64 v[55:56], v[51:52], -v[41:42]
	;; [unrolled: 1-line block ×5, first 2 shown]
	v_fma_f64 v[23:24], v[15:16], v[23:24], s[58:59]
	v_add_f64 v[49:50], v[51:52], -v[55:56]
	v_add_f64 v[31:32], v[43:44], -v[55:56]
	v_add_f64 v[25:26], v[25:26], -v[57:58]
	v_fma_f64 v[23:24], v[15:16], v[23:24], s[60:61]
	v_add_f64 v[39:40], v[41:42], -v[49:50]
	v_add_f64 v[41:42], v[29:30], v[9:10]
	v_add_f64 v[25:26], v[27:28], v[25:26]
	;; [unrolled: 1-line block ×3, first 2 shown]
	v_fma_f64 v[23:24], v[15:16], v[23:24], s[62:63]
	v_add_f64 v[31:32], v[31:32], v[39:40]
	v_add_f64 v[39:40], v[41:42], -v[29:30]
	v_add_f64 v[25:26], v[41:42], v[25:26]
	v_add_f64 v[43:44], v[27:28], -v[21:22]
	v_mul_f64 v[15:16], v[15:16], v[23:24]
	v_add_f64 v[31:32], v[27:28], v[31:32]
	v_add_f64 v[23:24], v[41:42], -v[39:40]
	v_add_f64 v[41:42], v[47:48], v[25:26]
	v_add_f64 v[27:28], v[27:28], -v[43:44]
	v_add_f64 v[9:10], v[9:10], -v[39:40]
	v_fma_f64 v[13:14], v[13:14], v[15:16], v[13:14]
	v_add_f64 v[11:12], v[11:12], -v[43:44]
	v_add_f64 v[45:46], v[51:52], v[31:32]
	v_add_f64 v[15:16], v[29:30], -v[23:24]
	v_add_f64 v[23:24], v[41:42], -v[47:48]
	;; [unrolled: 1-line block ×3, first 2 shown]
	v_add_f64 v[29:30], -v[13:14], s[22:23]
	v_add_f64 v[27:28], v[45:46], -v[51:52]
	v_add_f64 v[9:10], v[9:10], v[15:16]
	v_add_f64 v[15:16], v[25:26], -v[23:24]
	v_add_f64 v[11:12], v[11:12], v[21:22]
	v_cndmask_b32_e32 v14, v14, v30, vcc
	v_cndmask_b32_e32 v13, v13, v29, vcc
	v_add_f64 v[23:24], -v[13:14], s[84:85]
	v_add_f64 v[21:22], v[31:32], -v[27:28]
	v_cmp_gt_i32_e32 vcc, 0, v8
	v_add_f64 v[9:10], v[9:10], v[15:16]
	v_ashrrev_i32_e32 v16, 31, v8
	v_cndmask_b32_e32 v15, v33, v34, vcc
	v_cndmask_b32_e32 v13, v13, v23, vcc
	v_add_f64 v[11:12], v[11:12], v[21:22]
	v_and_b32_e32 v22, 0x54442d18, v16
	v_add_f64 v[9:10], v[41:42], v[9:10]
	v_and_b32_e32 v16, 0x400921fb, v16
	v_cndmask_b32_e32 v14, v14, v24, vcc
	v_cndmask_b32_e32 v21, v35, v36, vcc
	v_cndmask_b32_e64 v13, v13, v22, s[0:1]
	v_cndmask_b32_e64 v14, v14, v16, s[0:1]
	v_add_f64 v[11:12], v[45:46], v[11:12]
	v_cmp_neq_f64_e32 vcc, 0, v[3:4]
	v_cmp_neq_f64_e64 s[0:1], 0, v[1:2]
	v_cndmask_b32_e64 v9, v9, v3, s[2:3]
	v_cndmask_b32_e64 v10, v10, v4, s[2:3]
	s_and_b64 s[2:3], s[8:9], s[10:11]
	v_cndmask_b32_e64 v3, v11, v1, s[4:5]
	v_cndmask_b32_e64 v4, v12, v2, s[4:5]
	v_cndmask_b32_e64 v11, v14, v21, s[2:3]
	v_cndmask_b32_e64 v12, v13, v15, s[2:3]
	v_cmp_o_f64_e64 s[2:3], v[7:8], v[5:6]
	v_cndmask_b32_e32 v2, v38, v10, vcc
	v_cndmask_b32_e64 v4, v38, v4, s[0:1]
	v_cndmask_b32_e32 v1, 0, v9, vcc
	v_cndmask_b32_e64 v3, 0, v3, s[0:1]
	v_add_f64 v[1:2], v[1:2], -v[3:4]
	v_mov_b32_e32 v7, s17
	v_cndmask_b32_e64 v4, v37, v11, s[2:3]
	v_cndmask_b32_e64 v3, 0, v12, s[2:3]
	v_bfi_b32 v4, s93, v4, v6
	v_mul_f64 v[3:4], v[3:4], 0.5
	v_ldexp_f64 v[5:6], v[1:2], -2
	v_fma_f64 v[1:2], v[5:6], s[86:87], v[3:4]
	v_fma_f64 v[3:4], v[3:4], s[86:87], -v[5:6]
	v_lshlrev_b64 v[5:6], 4, v[19:20]
	v_add_co_u32_e32 v5, vcc, s16, v5
	v_addc_co_u32_e32 v6, vcc, v7, v6, vcc
	global_store_dwordx4 v[5:6], v[1:4], off
	s_branch .LBB67_8
.LBB67_25:
	s_endpgm
	.section	.rodata,"a",@progbits
	.p2align	6, 0x0
	.amdhsa_kernel _ZN2at6native12_GLOBAL__N_125multi_tensor_apply_kernelINS1_18TensorListMetadataILi2EEENS1_14UnaryOpFunctorIN3c107complexIdEELi2ELi1ELi1EEEJNS0_4AtanIS8_EEEEEvT_T0_DpT1_
		.amdhsa_group_segment_fixed_size 0
		.amdhsa_private_segment_fixed_size 0
		.amdhsa_kernarg_size 3408
		.amdhsa_user_sgpr_count 6
		.amdhsa_user_sgpr_private_segment_buffer 1
		.amdhsa_user_sgpr_dispatch_ptr 0
		.amdhsa_user_sgpr_queue_ptr 0
		.amdhsa_user_sgpr_kernarg_segment_ptr 1
		.amdhsa_user_sgpr_dispatch_id 0
		.amdhsa_user_sgpr_flat_scratch_init 0
		.amdhsa_user_sgpr_private_segment_size 0
		.amdhsa_uses_dynamic_stack 0
		.amdhsa_system_sgpr_private_segment_wavefront_offset 0
		.amdhsa_system_sgpr_workgroup_id_x 1
		.amdhsa_system_sgpr_workgroup_id_y 0
		.amdhsa_system_sgpr_workgroup_id_z 0
		.amdhsa_system_sgpr_workgroup_info 0
		.amdhsa_system_vgpr_workitem_id 0
		.amdhsa_next_free_vgpr 59
		.amdhsa_next_free_sgpr 96
		.amdhsa_reserve_vcc 1
		.amdhsa_reserve_flat_scratch 0
		.amdhsa_float_round_mode_32 0
		.amdhsa_float_round_mode_16_64 0
		.amdhsa_float_denorm_mode_32 3
		.amdhsa_float_denorm_mode_16_64 3
		.amdhsa_dx10_clamp 1
		.amdhsa_ieee_mode 1
		.amdhsa_fp16_overflow 0
		.amdhsa_exception_fp_ieee_invalid_op 0
		.amdhsa_exception_fp_denorm_src 0
		.amdhsa_exception_fp_ieee_div_zero 0
		.amdhsa_exception_fp_ieee_overflow 0
		.amdhsa_exception_fp_ieee_underflow 0
		.amdhsa_exception_fp_ieee_inexact 0
		.amdhsa_exception_int_div_zero 0
	.end_amdhsa_kernel
	.section	.text._ZN2at6native12_GLOBAL__N_125multi_tensor_apply_kernelINS1_18TensorListMetadataILi2EEENS1_14UnaryOpFunctorIN3c107complexIdEELi2ELi1ELi1EEEJNS0_4AtanIS8_EEEEEvT_T0_DpT1_,"axG",@progbits,_ZN2at6native12_GLOBAL__N_125multi_tensor_apply_kernelINS1_18TensorListMetadataILi2EEENS1_14UnaryOpFunctorIN3c107complexIdEELi2ELi1ELi1EEEJNS0_4AtanIS8_EEEEEvT_T0_DpT1_,comdat
.Lfunc_end67:
	.size	_ZN2at6native12_GLOBAL__N_125multi_tensor_apply_kernelINS1_18TensorListMetadataILi2EEENS1_14UnaryOpFunctorIN3c107complexIdEELi2ELi1ELi1EEEJNS0_4AtanIS8_EEEEEvT_T0_DpT1_, .Lfunc_end67-_ZN2at6native12_GLOBAL__N_125multi_tensor_apply_kernelINS1_18TensorListMetadataILi2EEENS1_14UnaryOpFunctorIN3c107complexIdEELi2ELi1ELi1EEEJNS0_4AtanIS8_EEEEEvT_T0_DpT1_
                                        ; -- End function
	.set _ZN2at6native12_GLOBAL__N_125multi_tensor_apply_kernelINS1_18TensorListMetadataILi2EEENS1_14UnaryOpFunctorIN3c107complexIdEELi2ELi1ELi1EEEJNS0_4AtanIS8_EEEEEvT_T0_DpT1_.num_vgpr, 59
	.set _ZN2at6native12_GLOBAL__N_125multi_tensor_apply_kernelINS1_18TensorListMetadataILi2EEENS1_14UnaryOpFunctorIN3c107complexIdEELi2ELi1ELi1EEEJNS0_4AtanIS8_EEEEEvT_T0_DpT1_.num_agpr, 0
	.set _ZN2at6native12_GLOBAL__N_125multi_tensor_apply_kernelINS1_18TensorListMetadataILi2EEENS1_14UnaryOpFunctorIN3c107complexIdEELi2ELi1ELi1EEEJNS0_4AtanIS8_EEEEEvT_T0_DpT1_.numbered_sgpr, 96
	.set _ZN2at6native12_GLOBAL__N_125multi_tensor_apply_kernelINS1_18TensorListMetadataILi2EEENS1_14UnaryOpFunctorIN3c107complexIdEELi2ELi1ELi1EEEJNS0_4AtanIS8_EEEEEvT_T0_DpT1_.num_named_barrier, 0
	.set _ZN2at6native12_GLOBAL__N_125multi_tensor_apply_kernelINS1_18TensorListMetadataILi2EEENS1_14UnaryOpFunctorIN3c107complexIdEELi2ELi1ELi1EEEJNS0_4AtanIS8_EEEEEvT_T0_DpT1_.private_seg_size, 0
	.set _ZN2at6native12_GLOBAL__N_125multi_tensor_apply_kernelINS1_18TensorListMetadataILi2EEENS1_14UnaryOpFunctorIN3c107complexIdEELi2ELi1ELi1EEEJNS0_4AtanIS8_EEEEEvT_T0_DpT1_.uses_vcc, 1
	.set _ZN2at6native12_GLOBAL__N_125multi_tensor_apply_kernelINS1_18TensorListMetadataILi2EEENS1_14UnaryOpFunctorIN3c107complexIdEELi2ELi1ELi1EEEJNS0_4AtanIS8_EEEEEvT_T0_DpT1_.uses_flat_scratch, 0
	.set _ZN2at6native12_GLOBAL__N_125multi_tensor_apply_kernelINS1_18TensorListMetadataILi2EEENS1_14UnaryOpFunctorIN3c107complexIdEELi2ELi1ELi1EEEJNS0_4AtanIS8_EEEEEvT_T0_DpT1_.has_dyn_sized_stack, 0
	.set _ZN2at6native12_GLOBAL__N_125multi_tensor_apply_kernelINS1_18TensorListMetadataILi2EEENS1_14UnaryOpFunctorIN3c107complexIdEELi2ELi1ELi1EEEJNS0_4AtanIS8_EEEEEvT_T0_DpT1_.has_recursion, 0
	.set _ZN2at6native12_GLOBAL__N_125multi_tensor_apply_kernelINS1_18TensorListMetadataILi2EEENS1_14UnaryOpFunctorIN3c107complexIdEELi2ELi1ELi1EEEJNS0_4AtanIS8_EEEEEvT_T0_DpT1_.has_indirect_call, 0
	.section	.AMDGPU.csdata,"",@progbits
; Kernel info:
; codeLenInByte = 16532
; TotalNumSgprs: 100
; NumVgprs: 59
; ScratchSize: 0
; MemoryBound: 1
; FloatMode: 240
; IeeeMode: 1
; LDSByteSize: 0 bytes/workgroup (compile time only)
; SGPRBlocks: 12
; VGPRBlocks: 14
; NumSGPRsForWavesPerEU: 100
; NumVGPRsForWavesPerEU: 59
; Occupancy: 4
; WaveLimiterHint : 0
; COMPUTE_PGM_RSRC2:SCRATCH_EN: 0
; COMPUTE_PGM_RSRC2:USER_SGPR: 6
; COMPUTE_PGM_RSRC2:TRAP_HANDLER: 0
; COMPUTE_PGM_RSRC2:TGID_X_EN: 1
; COMPUTE_PGM_RSRC2:TGID_Y_EN: 0
; COMPUTE_PGM_RSRC2:TGID_Z_EN: 0
; COMPUTE_PGM_RSRC2:TIDIG_COMP_CNT: 0
	.section	.text._ZN2at6native12_GLOBAL__N_125multi_tensor_apply_kernelINS1_18TensorListMetadataILi2EEENS1_14UnaryOpFunctorIN3c107complexIfEELi2ELi1ELi1EEEJNS0_4AtanIS8_EEEEEvT_T0_DpT1_,"axG",@progbits,_ZN2at6native12_GLOBAL__N_125multi_tensor_apply_kernelINS1_18TensorListMetadataILi2EEENS1_14UnaryOpFunctorIN3c107complexIfEELi2ELi1ELi1EEEJNS0_4AtanIS8_EEEEEvT_T0_DpT1_,comdat
	.globl	_ZN2at6native12_GLOBAL__N_125multi_tensor_apply_kernelINS1_18TensorListMetadataILi2EEENS1_14UnaryOpFunctorIN3c107complexIfEELi2ELi1ELi1EEEJNS0_4AtanIS8_EEEEEvT_T0_DpT1_ ; -- Begin function _ZN2at6native12_GLOBAL__N_125multi_tensor_apply_kernelINS1_18TensorListMetadataILi2EEENS1_14UnaryOpFunctorIN3c107complexIfEELi2ELi1ELi1EEEJNS0_4AtanIS8_EEEEEvT_T0_DpT1_
	.p2align	8
	.type	_ZN2at6native12_GLOBAL__N_125multi_tensor_apply_kernelINS1_18TensorListMetadataILi2EEENS1_14UnaryOpFunctorIN3c107complexIfEELi2ELi1ELi1EEEJNS0_4AtanIS8_EEEEEvT_T0_DpT1_,@function
_ZN2at6native12_GLOBAL__N_125multi_tensor_apply_kernelINS1_18TensorListMetadataILi2EEENS1_14UnaryOpFunctorIN3c107complexIfEELi2ELi1ELi1EEEJNS0_4AtanIS8_EEEEEvT_T0_DpT1_: ; @_ZN2at6native12_GLOBAL__N_125multi_tensor_apply_kernelINS1_18TensorListMetadataILi2EEENS1_14UnaryOpFunctorIN3c107complexIfEELi2ELi1ELi1EEEJNS0_4AtanIS8_EEEEEvT_T0_DpT1_
; %bb.0:
	v_mov_b32_e32 v1, s8
	global_load_ubyte v1, v1, s[4:5] offset:1536
	s_add_u32 flat_scratch_lo, s6, s9
	s_addc_u32 flat_scratch_hi, s7, 0
	s_add_u32 s0, s0, s9
	s_addc_u32 s1, s1, 0
	s_add_u32 s6, s4, s8
	s_mul_hi_u32 s9, s8, 3
	s_mul_i32 s8, s8, 3
	s_addc_u32 s10, s5, 0
	s_add_u32 s8, s6, s8
	s_addc_u32 s9, s10, s9
	s_load_dword s8, s[8:9], 0x740
	s_mov_b32 s7, 0
	s_mov_b32 s11, s7
	s_waitcnt lgkmcnt(0)
	s_ashr_i32 s9, s8, 31
	s_lshl_b64 s[18:19], s[8:9], 19
	s_waitcnt vmcnt(0)
	v_readfirstlane_b32 s6, v1
	s_lshl_b32 s6, s6, 3
	s_load_dwordx2 s[12:13], s[4:5], s6 offset:0x0
	s_load_dwordx2 s[14:15], s[4:5], s6 offset:0x400
	;; [unrolled: 1-line block ×3, first 2 shown]
	s_waitcnt lgkmcnt(0)
	s_add_u32 s33, s12, s18
	s_addc_u32 s44, s13, s19
	s_and_b32 s6, s33, 31
	s_add_u32 s45, s16, s18
	s_addc_u32 s46, s17, s19
	s_lshl_b64 s[8:9], s[8:9], 16
	s_and_b32 s10, s45, 31
	s_sub_u32 s8, s14, s8
	s_subb_u32 s9, s15, s9
	s_and_b32 s12, s14, 3
	s_mov_b32 s13, s7
	s_or_b64 s[10:11], s[10:11], s[12:13]
	s_or_b64 s[6:7], s[10:11], s[6:7]
	s_cmp_eq_u64 s[6:7], 0
	s_mov_b64 s[6:7], -1
	s_cbranch_scc0 .LBB68_213
; %bb.1:
	v_mov_b32_e32 v1, 0x10000
	v_mov_b32_e32 v2, 0
	v_cmp_lt_i64_e32 vcc, s[8:9], v[1:2]
	v_mov_b32_e32 v2, 0
	s_and_b64 s[6:7], vcc, exec
	s_cselect_b32 s11, s9, 0
	s_cselect_b32 s10, s8, 0x10000
	v_lshlrev_b32_e32 v1, 2, v0
	v_cmp_gt_i64_e32 vcc, s[10:11], v[1:2]
	s_and_saveexec_b64 s[12:13], vcc
	s_cbranch_execz .LBB68_212
; %bb.2:
	s_mov_b64 s[14:15], src_private_base
	v_mov_b32_e32 v1, v2
	s_mov_b32 s14, 8
	s_add_u32 s16, s4, 0xc50
	v_mov_b32_e32 v13, s14
	v_mov_b32_e32 v16, v1
	s_addc_u32 s17, s5, 0
	s_mov_b32 s18, 0
	s_mov_b32 s19, s15
	;; [unrolled: 1-line block ×4, first 2 shown]
	s_mov_b64 s[22:23], 0
	v_mov_b32_e32 v19, s44
	v_mov_b32_e32 v20, 0x248d3132
	;; [unrolled: 1-line block ×3, first 2 shown]
	s_mov_b32 s42, 0x4b000000
	s_mov_b32 s43, 0x399cc471
	s_brev_b32 s47, 44
	s_brev_b32 s48, 4
	s_mov_b32 s49, 0x3f2aaaab
	v_mov_b32_e32 v21, 0x3f2aaada
	s_mov_b32 s50, 0x3f317218
	s_mov_b32 s51, 0x7f800000
	;; [unrolled: 1-line block ×5, first 2 shown]
	v_mov_b32_e32 v22, 0x3d29fb3f
	v_mov_b32_e32 v23, 0xbd97d4d7
	;; [unrolled: 1-line block ×6, first 2 shown]
	s_movk_i32 s55, 0x204
	s_brev_b32 s56, -2
	v_mov_b32_e32 v28, 0xd800000
	s_mov_b32 s57, 0x6800000
	s_mov_b32 s58, 0x59000000
	s_mov_b32 s59, 0x39800000
	v_mov_b32_e32 v29, 0x7f800000
	v_mov_b32_e32 v30, 0x7fc00000
	;; [unrolled: 1-line block ×8, first 2 shown]
	s_branch .LBB68_4
.LBB68_3:                               ;   in Loop: Header=BB68_4 Depth=1
	s_or_b64 exec, exec, s[6:7]
	v_mov_b32_e32 v2, s46
	s_waitcnt lgkmcnt(0)
	v_add_co_u32_e32 v1, vcc, s45, v17
	v_addc_co_u32_e32 v2, vcc, v2, v18, vcc
	global_store_dwordx4 v[1:2], v[5:8], off
	global_store_dwordx4 v[1:2], v[9:12], off offset:16
	s_load_dword s6, s[16:17], 0xc
	s_waitcnt lgkmcnt(0)
	s_and_b32 s6, s6, 0xffff
	v_add_co_u32_e32 v15, vcc, s6, v15
	v_addc_co_u32_e32 v16, vcc, 0, v16, vcc
	v_lshlrev_b64 v[1:2], 2, v[15:16]
	v_cmp_le_i64_e32 vcc, s[10:11], v[1:2]
	s_or_b64 s[22:23], vcc, s[22:23]
	s_andn2_b64 exec, exec, s[22:23]
	s_cbranch_execz .LBB68_212
.LBB68_4:                               ; =>This Inner Loop Header: Depth=1
	v_lshlrev_b64 v[17:18], 5, v[15:16]
	v_add_co_u32_e32 v5, vcc, s33, v17
	v_addc_co_u32_e32 v6, vcc, v19, v18, vcc
	global_load_dwordx4 v[9:12], v[5:6], off
	global_load_dwordx4 v[1:4], v[5:6], off offset:16
                                        ; implicit-def: $vgpr5
	s_waitcnt vmcnt(1)
	v_cmp_neq_f32_e32 vcc, 0, v9
	v_cmp_nle_f32_e64 s[6:7], |v10|, 1.0
	s_or_b64 s[6:7], vcc, s[6:7]
	flat_store_dword v[13:14], v20
	s_waitcnt vmcnt(0)
	s_and_saveexec_b64 s[24:25], s[6:7]
	s_xor_b64 s[24:25], exec, s[24:25]
	s_cbranch_execz .LBB68_54
; %bb.5:                                ;   in Loop: Header=BB68_4 Depth=1
	v_cmp_neq_f32_e32 vcc, 0, v10
                                        ; implicit-def: $vgpr5
	s_and_saveexec_b64 s[6:7], vcc
	s_xor_b64 s[26:27], exec, s[6:7]
	s_cbranch_execz .LBB68_51
; %bb.6:                                ;   in Loop: Header=BB68_4 Depth=1
	v_cmp_o_f32_e32 vcc, v10, v9
                                        ; implicit-def: $vgpr5
	s_and_saveexec_b64 s[6:7], vcc
	s_xor_b64 s[28:29], exec, s[6:7]
	s_cbranch_execz .LBB68_40
; %bb.7:                                ;   in Loop: Header=BB68_4 Depth=1
	v_max_f32_e64 v5, |v10|, |v10|
	v_max_f32_e64 v6, |v9|, |v9|
	v_max_f32_e32 v5, v6, v5
	v_cmp_nlt_f32_e32 vcc, s42, v5
                                        ; implicit-def: $vgpr5
	s_and_saveexec_b64 s[6:7], vcc
	s_xor_b64 s[30:31], exec, s[6:7]
	s_cbranch_execz .LBB68_25
; %bb.8:                                ;   in Loop: Header=BB68_4 Depth=1
	v_cmp_nlt_f32_e64 s[6:7], |v10|, s43
	v_cmp_nlt_f32_e64 s[34:35], |v9|, s43
	s_or_b64 s[6:7], s[34:35], s[6:7]
                                        ; implicit-def: $vgpr5
	s_and_saveexec_b64 s[34:35], s[6:7]
	s_xor_b64 s[34:35], exec, s[34:35]
	s_cbranch_execz .LBB68_22
; %bb.9:                                ;   in Loop: Header=BB68_4 Depth=1
	v_cmp_neq_f32_e64 s[38:39], |v10|, 1.0
	v_cmp_nlt_f32_e64 s[36:37], |v9|, s47
	s_or_b64 s[6:7], s[36:37], s[38:39]
                                        ; implicit-def: $vgpr5
	s_and_saveexec_b64 s[40:41], s[6:7]
	s_xor_b64 s[6:7], exec, s[40:41]
	s_cbranch_execz .LBB68_11
; %bb.10:                               ;   in Loop: Header=BB68_4 Depth=1
	v_add_f32_e64 v7, |v10|, -1.0
	v_mul_f32_e32 v7, v7, v7
	v_fma_f32 v8, v9, v9, v7
	v_cmp_lt_f32_e64 vcc, |v9|, s48
	v_mul_f32_e64 v5, |v10|, 4.0
	v_cndmask_b32_e32 v7, v8, v7, vcc
	v_div_scale_f32 v8, s[40:41], v7, v7, v5
	v_div_scale_f32 v36, vcc, v5, v7, v5
	v_rcp_f32_e32 v37, v8
	v_fma_f32 v38, -v8, v37, 1.0
	v_fmac_f32_e32 v37, v38, v37
	v_mul_f32_e32 v38, v36, v37
	v_fma_f32 v39, -v8, v38, v36
	v_fmac_f32_e32 v38, v39, v37
	v_fma_f32 v8, -v8, v38, v36
	v_div_fmas_f32 v8, v8, v37, v38
	v_mov_b32_e32 v37, 0x3ecc95a3
	v_div_fixup_f32 v5, v8, v7, v5
	v_add_f32_e32 v36, 1.0, v5
	v_cvt_f64_f32_e32 v[7:8], v36
	v_add_f32_e32 v38, -1.0, v36
	v_sub_f32_e32 v39, v38, v36
	v_sub_f32_e32 v38, v5, v38
	v_frexp_exp_i32_f64_e32 v7, v[7:8]
	v_frexp_mant_f32_e32 v8, v36
	v_cmp_gt_f32_e32 vcc, s49, v8
	v_add_f32_e32 v39, 1.0, v39
	v_add_f32_e32 v38, v38, v39
	v_subbrev_co_u32_e32 v7, vcc, 0, v7, vcc
	v_sub_u32_e32 v8, 0, v7
	v_cvt_f32_i32_e32 v7, v7
	v_ldexp_f32 v36, v36, v8
	v_ldexp_f32 v8, v38, v8
	v_add_f32_e32 v38, -1.0, v36
	v_add_f32_e32 v39, 1.0, v36
	v_add_f32_e32 v40, 1.0, v38
	v_add_f32_e32 v41, -1.0, v39
	v_sub_f32_e32 v40, v36, v40
	v_sub_f32_e32 v36, v36, v41
	v_mul_f32_e32 v41, 0x3f317218, v7
	v_add_f32_e32 v40, v8, v40
	v_add_f32_e32 v8, v8, v36
	v_fma_f32 v36, v7, s50, -v41
	v_add_f32_e32 v42, v38, v40
	v_add_f32_e32 v43, v39, v8
	v_fmac_f32_e32 v36, 0xb102e308, v7
	v_sub_f32_e32 v7, v42, v38
	v_sub_f32_e32 v38, v43, v39
	v_rcp_f32_e32 v39, v43
	v_add_f32_e32 v44, v41, v36
	v_sub_f32_e32 v8, v8, v38
	v_sub_f32_e32 v38, v44, v41
	;; [unrolled: 1-line block ×3, first 2 shown]
	v_mul_f32_e32 v38, v42, v39
	v_sub_f32_e32 v7, v40, v7
	v_mul_f32_e32 v40, v43, v38
	v_fma_f32 v41, v38, v43, -v40
	v_fmac_f32_e32 v41, v38, v8
	v_add_f32_e32 v45, v40, v41
	v_sub_f32_e32 v46, v42, v45
	v_sub_f32_e32 v40, v45, v40
	;; [unrolled: 1-line block ×5, first 2 shown]
	v_add_f32_e32 v7, v7, v41
	v_add_f32_e32 v7, v40, v7
	;; [unrolled: 1-line block ×3, first 2 shown]
	v_mul_f32_e32 v41, v39, v40
	v_sub_f32_e32 v42, v46, v40
	v_mul_f32_e32 v45, v43, v41
	v_add_f32_e32 v7, v7, v42
	v_add_f32_e32 v42, v38, v41
	v_fma_f32 v43, v41, v43, -v45
	v_sub_f32_e32 v38, v42, v38
	v_fmac_f32_e32 v43, v41, v8
	v_sub_f32_e32 v8, v41, v38
	v_add_f32_e32 v38, v45, v43
	v_sub_f32_e32 v41, v38, v45
	v_sub_f32_e32 v45, v40, v38
	;; [unrolled: 1-line block ×5, first 2 shown]
	v_add_f32_e32 v7, v7, v38
	v_add_f32_e32 v7, v41, v7
	;; [unrolled: 1-line block ×3, first 2 shown]
	v_mul_f32_e32 v7, v39, v7
	v_add_f32_e32 v7, v8, v7
	v_add_f32_e32 v8, v42, v7
	v_mul_f32_e32 v38, v8, v8
	v_fmac_f32_e32 v37, 0x3e9b6dac, v38
	v_sub_f32_e32 v39, v8, v42
	v_ldexp_f32 v40, v8, 1
	v_mul_f32_e32 v8, v8, v38
	v_fma_f32 v37, v38, v37, v21
	v_mul_f32_e32 v8, v8, v37
	v_add_f32_e32 v37, v40, v8
	v_sub_f32_e32 v7, v7, v39
	v_sub_f32_e32 v38, v37, v40
	v_ldexp_f32 v7, v7, 1
	v_sub_f32_e32 v8, v8, v38
	v_add_f32_e32 v7, v7, v8
	v_add_f32_e32 v8, v37, v7
	v_sub_f32_e32 v37, v8, v37
	v_sub_f32_e32 v7, v7, v37
	v_add_f32_e32 v37, v44, v8
	v_sub_f32_e32 v38, v37, v44
	v_sub_f32_e32 v39, v37, v38
	;; [unrolled: 1-line block ×4, first 2 shown]
	v_add_f32_e32 v38, v36, v7
	v_add_f32_e32 v8, v8, v39
	v_sub_f32_e32 v39, v38, v36
	v_sub_f32_e32 v40, v38, v39
	;; [unrolled: 1-line block ×4, first 2 shown]
	v_add_f32_e32 v8, v38, v8
	v_add_f32_e32 v7, v7, v36
	;; [unrolled: 1-line block ×3, first 2 shown]
	v_sub_f32_e32 v37, v36, v37
	v_sub_f32_e32 v8, v8, v37
	v_add_f32_e32 v7, v7, v8
	v_add_f32_e32 v7, v36, v7
	v_cmp_neq_f32_e32 vcc, s51, v5
	v_cndmask_b32_e32 v7, v29, v7, vcc
	v_cmp_ngt_f32_e32 vcc, -1.0, v5
	v_cndmask_b32_e32 v7, v30, v7, vcc
	v_cmp_neq_f32_e32 vcc, -1.0, v5
	v_cndmask_b32_e32 v7, v31, v7, vcc
	v_cmp_lt_f32_e64 vcc, |v5|, s52
	v_cndmask_b32_e32 v5, v7, v5, vcc
	v_mul_f32_e32 v5, 0x3e800000, v5
	s_andn2_saveexec_b64 s[40:41], s[6:7]
	s_cbranch_execz .LBB68_13
	s_branch .LBB68_12
.LBB68_11:                              ;   in Loop: Header=BB68_4 Depth=1
	s_andn2_saveexec_b64 s[40:41], s[6:7]
	s_cbranch_execz .LBB68_13
.LBB68_12:                              ;   in Loop: Header=BB68_4 Depth=1
	v_cmp_lt_f32_e64 vcc, |v9|, s53
	v_cndmask_b32_e64 v5, 0, 32, vcc
	v_ldexp_f32 v5, |v9|, v5
	v_log_f32_e32 v5, v5
	v_mul_f32_e32 v7, 0x3f317217, v5
	v_fma_f32 v7, v5, s54, -v7
	v_fmac_f32_e32 v7, 0x3377d1cf, v5
	v_fmac_f32_e32 v7, 0x3f317217, v5
	v_cmp_lt_f32_e64 s[6:7], |v5|, s51
	v_cndmask_b32_e64 v5, v5, v7, s[6:7]
	v_cndmask_b32_e32 v7, 0, v32, vcc
	v_sub_f32_e32 v5, v5, v7
	v_sub_f32_e32 v5, 0x3f317218, v5
	v_mul_f32_e32 v5, 0.5, v5
.LBB68_13:                              ;   in Loop: Header=BB68_4 Depth=1
	s_or_b64 exec, exec, s[40:41]
                                        ; implicit-def: $vgpr8
	s_and_saveexec_b64 s[6:7], s[38:39]
	s_xor_b64 s[38:39], exec, s[6:7]
	s_cbranch_execz .LBB68_19
; %bb.14:                               ;   in Loop: Header=BB68_4 Depth=1
	v_add_f32_e64 v6, |v9|, |v9|
	v_sub_f32_e64 v7, 1.0, |v10|
	v_add_f32_e64 v8, |v10|, 1.0
	v_mul_f32_e32 v7, v7, v8
	v_max_f32_e32 v36, v6, v6
                                        ; implicit-def: $vgpr8
	s_and_saveexec_b64 s[6:7], s[36:37]
	s_xor_b64 s[36:37], exec, s[6:7]
	s_cbranch_execz .LBB68_16
; %bb.15:                               ;   in Loop: Header=BB68_4 Depth=1
	v_fma_f32 v7, -v9, v9, v7
	v_min_f32_e64 v8, |v7|, v36
	v_max_f32_e64 v36, |v7|, v36
	v_frexp_mant_f32_e32 v37, v36
	v_rcp_f32_e32 v37, v37
	v_frexp_exp_i32_f32_e32 v36, v36
	v_frexp_exp_i32_f32_e32 v38, v8
	v_frexp_mant_f32_e32 v8, v8
	v_mul_f32_e32 v8, v8, v37
	v_sub_u32_e32 v36, v38, v36
	v_ldexp_f32 v8, v8, v36
	v_mul_f32_e32 v36, v8, v8
	v_mov_b32_e32 v37, 0xbc7a590c
	v_fmac_f32_e32 v37, 0x3b2d2a58, v36
	v_fma_f32 v37, v36, v37, v22
	v_fma_f32 v37, v36, v37, v23
	;; [unrolled: 1-line block ×6, first 2 shown]
	v_mul_f32_e32 v36, v36, v37
	v_fmac_f32_e32 v8, v8, v36
	v_sub_f32_e32 v36, 0x3fc90fdb, v8
	v_cmp_gt_f32_e64 vcc, v6, |v7|
	v_cndmask_b32_e32 v8, v8, v36, vcc
	v_sub_f32_e32 v36, 0x40490fdb, v8
	v_cmp_gt_f32_e32 vcc, 0, v7
	v_cmp_gt_i32_e64 s[6:7], 0, v7
	v_cndmask_b32_e32 v8, v8, v36, vcc
	v_cndmask_b32_e64 v36, 0, v33, s[6:7]
	v_cndmask_b32_e32 v37, v34, v35, vcc
	v_cmp_class_f32_e64 s[40:41], v7, s55
	v_cmp_eq_f32_e32 vcc, s51, v6
	v_cmp_eq_f32_e64 s[6:7], 0, v6
	v_cndmask_b32_e64 v6, |v8|, v36, s[6:7]
	s_and_b64 vcc, vcc, s[40:41]
	v_cndmask_b32_e32 v6, v6, v37, vcc
	v_cmp_o_f32_e32 vcc, v7, v7
	v_cndmask_b32_e32 v8, v30, v6, vcc
                                        ; implicit-def: $vgpr7
                                        ; implicit-def: $vgpr36
                                        ; implicit-def: $vgpr6
.LBB68_16:                              ;   in Loop: Header=BB68_4 Depth=1
	s_andn2_saveexec_b64 s[36:37], s[36:37]
	s_cbranch_execz .LBB68_18
; %bb.17:                               ;   in Loop: Header=BB68_4 Depth=1
	v_max_f32_e64 v8, |v7|, |v7|
	v_min_f32_e32 v37, v8, v36
	v_max_f32_e32 v8, v8, v36
	v_frexp_mant_f32_e32 v36, v8
	v_rcp_f32_e32 v36, v36
	v_frexp_exp_i32_f32_e32 v8, v8
	v_frexp_exp_i32_f32_e32 v38, v37
	v_frexp_mant_f32_e32 v37, v37
	v_mul_f32_e32 v36, v37, v36
	v_sub_u32_e32 v8, v38, v8
	v_ldexp_f32 v8, v36, v8
	v_mul_f32_e32 v36, v8, v8
	v_mov_b32_e32 v37, 0xbc7a590c
	v_fmac_f32_e32 v37, 0x3b2d2a58, v36
	v_fma_f32 v37, v36, v37, v22
	v_fma_f32 v37, v36, v37, v23
	;; [unrolled: 1-line block ×6, first 2 shown]
	v_mul_f32_e32 v36, v36, v37
	v_fmac_f32_e32 v8, v8, v36
	v_sub_f32_e32 v36, 0x3fc90fdb, v8
	v_cmp_gt_f32_e64 vcc, v6, |v7|
	v_cndmask_b32_e32 v8, v8, v36, vcc
	v_sub_f32_e32 v36, 0x40490fdb, v8
	v_cmp_gt_f32_e32 vcc, 0, v7
	v_cmp_gt_i32_e64 s[6:7], 0, v7
	v_cndmask_b32_e32 v8, v8, v36, vcc
	v_cndmask_b32_e64 v36, 0, v33, s[6:7]
	v_cndmask_b32_e32 v37, v34, v35, vcc
	v_cmp_class_f32_e64 s[40:41], v7, s55
	v_cmp_eq_f32_e32 vcc, s51, v6
	v_cmp_eq_f32_e64 s[6:7], 0, v6
	v_cndmask_b32_e64 v6, |v8|, v36, s[6:7]
	s_and_b64 vcc, vcc, s[40:41]
	v_cndmask_b32_e32 v6, v6, v37, vcc
	v_cmp_o_f32_e32 vcc, v7, v7
	v_cndmask_b32_e32 v8, v30, v6, vcc
.LBB68_18:                              ;   in Loop: Header=BB68_4 Depth=1
	s_or_b64 exec, exec, s[36:37]
                                        ; implicit-def: $vgpr6
	s_andn2_saveexec_b64 s[6:7], s[38:39]
	s_cbranch_execnz .LBB68_20
	s_branch .LBB68_21
.LBB68_19:                              ;   in Loop: Header=BB68_4 Depth=1
	s_andn2_saveexec_b64 s[6:7], s[38:39]
	s_cbranch_execz .LBB68_21
.LBB68_20:                              ;   in Loop: Header=BB68_4 Depth=1
	v_min_f32_e32 v7, 2.0, v6
	v_max_f32_e32 v6, 2.0, v6
	v_frexp_mant_f32_e32 v8, v6
	v_rcp_f32_e32 v8, v8
	v_frexp_exp_i32_f32_e32 v6, v6
	v_frexp_exp_i32_f32_e32 v36, v7
	v_frexp_mant_f32_e32 v7, v7
	v_mul_f32_e32 v7, v7, v8
	v_sub_u32_e32 v6, v36, v6
	v_ldexp_f32 v6, v7, v6
	v_mul_f32_e32 v7, v6, v6
	v_mov_b32_e32 v8, 0xbc7a590c
	v_fmac_f32_e32 v8, 0x3b2d2a58, v7
	v_fma_f32 v8, v7, v8, v22
	v_fma_f32 v8, v7, v8, v23
	;; [unrolled: 1-line block ×6, first 2 shown]
	v_mul_f32_e32 v7, v7, v8
	v_fmac_f32_e32 v6, v6, v7
	v_sub_f32_e32 v7, 0x3fc90fdb, v6
	v_cmp_lt_f32_e64 vcc, |v9|, 2.0
	v_cndmask_b32_e32 v6, v6, v7, vcc
	v_sub_f32_e32 v7, 0x40490fdb, v6
	v_cmp_lg_f32_e32 vcc, 0, v9
	v_cndmask_b32_e32 v6, v6, v7, vcc
	v_and_b32_e32 v8, 0x7fffffff, v6
.LBB68_21:                              ;   in Loop: Header=BB68_4 Depth=1
	s_or_b64 exec, exec, s[6:7]
	v_mul_f32_e32 v7, 0.5, v8
	v_bfi_b32 v6, s56, v5, v10
	v_bfi_b32 v5, s56, v7, v9
.LBB68_22:                              ;   in Loop: Header=BB68_4 Depth=1
	s_andn2_saveexec_b64 s[6:7], s[34:35]
	s_cbranch_execz .LBB68_24
; %bb.23:                               ;   in Loop: Header=BB68_4 Depth=1
	v_mov_b32_e32 v5, s18
	v_mov_b32_e32 v6, s19
	flat_store_dword v[5:6], v28
	s_waitcnt vmcnt(0)
	flat_load_dword v5, v[5:6] glc
	s_waitcnt vmcnt(0) lgkmcnt(0)
	v_add_f32_e32 v7, 1.0, v5
	v_mov_b32_e32 v5, s20
	v_mov_b32_e32 v6, s21
	flat_store_dword v[5:6], v7
	s_waitcnt vmcnt(0)
	flat_load_dword v5, v[5:6] glc
	s_waitcnt vmcnt(0) lgkmcnt(0)
	v_mov_b32_e32 v5, v9
	v_mov_b32_e32 v6, v10
.LBB68_24:                              ;   in Loop: Header=BB68_4 Depth=1
	s_or_b64 exec, exec, s[6:7]
.LBB68_25:                              ;   in Loop: Header=BB68_4 Depth=1
	s_andn2_saveexec_b64 s[6:7], s[30:31]
	s_cbranch_execz .LBB68_39
; %bb.26:                               ;   in Loop: Header=BB68_4 Depth=1
	v_and_b32_e32 v5, 0x7f800000, v10
	v_and_b32_e32 v7, 0x7f800000, v9
	v_sub_u32_e32 v6, v5, v7
	v_cmp_gt_i32_e32 vcc, s57, v6
	v_cmp_neq_f32_e64 s[30:31], |v10|, s51
	s_and_b64 s[30:31], s[30:31], vcc
                                        ; implicit-def: $vgpr6
	s_and_saveexec_b64 s[34:35], s[30:31]
	s_xor_b64 s[30:31], exec, s[34:35]
	s_cbranch_execz .LBB68_36
; %bb.27:                               ;   in Loop: Header=BB68_4 Depth=1
	v_sub_u32_e32 v6, v7, v5
	v_cmp_gt_i32_e32 vcc, s57, v6
                                        ; implicit-def: $vgpr6
	s_and_saveexec_b64 s[34:35], vcc
	s_xor_b64 s[34:35], exec, s[34:35]
	s_cbranch_execz .LBB68_33
; %bb.28:                               ;   in Loop: Header=BB68_4 Depth=1
	v_cmp_lt_u32_e32 vcc, s58, v5
                                        ; implicit-def: $vgpr6
	s_and_saveexec_b64 s[36:37], vcc
	s_xor_b64 s[36:37], exec, s[36:37]
	s_cbranch_execz .LBB68_30
; %bb.29:                               ;   in Loop: Header=BB68_4 Depth=1
	v_sub_u32_e32 v5, 0x7f800000, v5
	v_mul_f32_e32 v7, v9, v5
	v_mul_f32_e32 v6, v10, v5
	v_mul_f32_e32 v7, v7, v7
	v_fmac_f32_e32 v7, v6, v6
	v_div_scale_f32 v8, s[38:39], v7, v7, v6
	v_div_scale_f32 v36, vcc, v6, v7, v6
	v_rcp_f32_e32 v37, v8
	v_fma_f32 v38, -v8, v37, 1.0
	v_fmac_f32_e32 v37, v38, v37
	v_mul_f32_e32 v38, v36, v37
	v_fma_f32 v39, -v8, v38, v36
	v_fmac_f32_e32 v38, v39, v37
	v_fma_f32 v8, -v8, v38, v36
	v_div_fmas_f32 v8, v8, v37, v38
	v_div_fixup_f32 v6, v8, v7, v6
	v_mul_f32_e32 v6, v6, v5
.LBB68_30:                              ;   in Loop: Header=BB68_4 Depth=1
	s_andn2_saveexec_b64 s[36:37], s[36:37]
	s_cbranch_execz .LBB68_32
; %bb.31:                               ;   in Loop: Header=BB68_4 Depth=1
	v_mul_f32_e32 v5, v10, v10
	v_fmac_f32_e32 v5, v9, v9
	v_div_scale_f32 v6, s[38:39], v5, v5, v10
	v_div_scale_f32 v7, vcc, v10, v5, v10
	v_rcp_f32_e32 v8, v6
	v_fma_f32 v36, -v6, v8, 1.0
	v_fmac_f32_e32 v8, v36, v8
	v_mul_f32_e32 v36, v7, v8
	v_fma_f32 v37, -v6, v36, v7
	v_fmac_f32_e32 v36, v37, v8
	v_fma_f32 v6, -v6, v36, v7
	v_div_fmas_f32 v6, v6, v8, v36
	v_div_fixup_f32 v6, v6, v5, v10
.LBB68_32:                              ;   in Loop: Header=BB68_4 Depth=1
	s_or_b64 exec, exec, s[36:37]
.LBB68_33:                              ;   in Loop: Header=BB68_4 Depth=1
	s_andn2_saveexec_b64 s[34:35], s[34:35]
	s_cbranch_execz .LBB68_35
; %bb.34:                               ;   in Loop: Header=BB68_4 Depth=1
	v_div_scale_f32 v5, s[36:37], v9, v9, v10
	v_div_scale_f32 v6, vcc, v10, v9, v10
	v_rcp_f32_e32 v7, v5
	v_fma_f32 v8, -v5, v7, 1.0
	v_fmac_f32_e32 v7, v8, v7
	v_mul_f32_e32 v8, v6, v7
	v_fma_f32 v36, -v5, v8, v6
	v_fmac_f32_e32 v8, v36, v7
	v_fma_f32 v5, -v5, v8, v6
	v_div_fmas_f32 v5, v5, v7, v8
	v_div_fixup_f32 v5, v5, v9, v10
	v_div_scale_f32 v6, s[36:37], v9, v9, v5
	v_div_scale_f32 v7, vcc, v5, v9, v5
	v_rcp_f32_e32 v8, v6
	v_fma_f32 v36, -v6, v8, 1.0
	v_fmac_f32_e32 v8, v36, v8
	v_mul_f32_e32 v36, v7, v8
	v_fma_f32 v37, -v6, v36, v7
	v_fmac_f32_e32 v36, v37, v8
	v_fma_f32 v6, -v6, v36, v7
	v_div_fmas_f32 v6, v6, v8, v36
	v_div_fixup_f32 v6, v6, v9, v5
.LBB68_35:                              ;   in Loop: Header=BB68_4 Depth=1
	s_or_b64 exec, exec, s[34:35]
.LBB68_36:                              ;   in Loop: Header=BB68_4 Depth=1
	s_andn2_saveexec_b64 s[30:31], s[30:31]
	s_cbranch_execz .LBB68_38
; %bb.37:                               ;   in Loop: Header=BB68_4 Depth=1
	v_div_scale_f32 v5, s[34:35], v10, v10, 1.0
	v_div_scale_f32 v6, vcc, 1.0, v10, 1.0
	v_rcp_f32_e32 v7, v5
	v_fma_f32 v8, -v5, v7, 1.0
	v_fmac_f32_e32 v7, v8, v7
	v_mul_f32_e32 v8, v6, v7
	v_fma_f32 v36, -v5, v8, v6
	v_fmac_f32_e32 v8, v36, v7
	v_fma_f32 v5, -v5, v8, v6
	v_div_fmas_f32 v5, v5, v7, v8
	v_div_fixup_f32 v6, v5, v10, 1.0
.LBB68_38:                              ;   in Loop: Header=BB68_4 Depth=1
	s_or_b64 exec, exec, s[30:31]
	v_mov_b32_e32 v7, s14
	v_mov_b32_e32 v8, s15
	flat_load_dword v5, v[7:8] glc
	s_waitcnt vmcnt(0) lgkmcnt(0)
	v_add_f32_e32 v5, 0x3fc90fdb, v5
	v_bfi_b32 v5, s56, v5, v9
.LBB68_39:                              ;   in Loop: Header=BB68_4 Depth=1
	s_or_b64 exec, exec, s[6:7]
.LBB68_40:                              ;   in Loop: Header=BB68_4 Depth=1
	s_andn2_saveexec_b64 s[6:7], s[28:29]
	s_cbranch_execz .LBB68_50
; %bb.41:                               ;   in Loop: Header=BB68_4 Depth=1
	v_cmp_neq_f32_e64 s[28:29], |v10|, s51
                                        ; implicit-def: $vgpr5
	s_and_saveexec_b64 s[30:31], s[28:29]
	s_xor_b64 s[28:29], exec, s[30:31]
	s_cbranch_execz .LBB68_47
; %bb.42:                               ;   in Loop: Header=BB68_4 Depth=1
	v_cmp_neq_f32_e64 s[30:31], |v9|, s51
                                        ; implicit-def: $vgpr5
	s_and_saveexec_b64 s[34:35], s[30:31]
	s_xor_b64 s[30:31], exec, s[34:35]
; %bb.43:                               ;   in Loop: Header=BB68_4 Depth=1
	v_add_f32_e32 v5, 0, v9
	v_add_f32_e32 v5, v5, v10
; %bb.44:                               ;   in Loop: Header=BB68_4 Depth=1
	s_or_saveexec_b64 s[30:31], s[30:31]
	v_mov_b32_e32 v6, v5
	s_xor_b64 exec, exec, s[30:31]
	s_cbranch_execz .LBB68_46
; %bb.45:                               ;   in Loop: Header=BB68_4 Depth=1
	v_mov_b32_e32 v5, s14
	v_mov_b32_e32 v6, s15
	flat_load_dword v5, v[5:6] glc
	s_waitcnt vmcnt(0)
	v_bfi_b32 v6, s56, 0, v10
	s_waitcnt lgkmcnt(0)
	v_add_f32_e32 v5, 0x3fc90fdb, v5
	v_bfi_b32 v5, s56, v5, v9
.LBB68_46:                              ;   in Loop: Header=BB68_4 Depth=1
	s_or_b64 exec, exec, s[30:31]
.LBB68_47:                              ;   in Loop: Header=BB68_4 Depth=1
	s_andn2_saveexec_b64 s[28:29], s[28:29]
; %bb.48:                               ;   in Loop: Header=BB68_4 Depth=1
	v_bfi_b32 v6, s56, 0, v10
	v_add_f32_e32 v5, v9, v9
; %bb.49:                               ;   in Loop: Header=BB68_4 Depth=1
	s_or_b64 exec, exec, s[28:29]
.LBB68_50:                              ;   in Loop: Header=BB68_4 Depth=1
	s_or_b64 exec, exec, s[6:7]
.LBB68_51:                              ;   in Loop: Header=BB68_4 Depth=1
	s_andn2_saveexec_b64 s[6:7], s[26:27]
	s_cbranch_execz .LBB68_53
; %bb.52:                               ;   in Loop: Header=BB68_4 Depth=1
	v_rcp_f32_e64 v5, |v9|
	v_cmp_gt_f32_e64 vcc, |v9|, 1.0
	v_mov_b32_e32 v6, 0xbc7a590c
	v_cndmask_b32_e64 v5, |v9|, v5, vcc
	v_mul_f32_e32 v7, v5, v5
	v_fmac_f32_e32 v6, 0x3b2d2a58, v7
	v_fma_f32 v6, v7, v6, v22
	v_fma_f32 v6, v7, v6, v23
	;; [unrolled: 1-line block ×6, first 2 shown]
	v_mul_f32_e32 v6, v7, v6
	v_fmac_f32_e32 v5, v5, v6
	v_sub_f32_e32 v6, 0x3fc90fdb, v5
	v_cndmask_b32_e32 v5, v5, v6, vcc
	v_bfi_b32 v5, s56, v5, v9
	v_mov_b32_e32 v6, v10
.LBB68_53:                              ;   in Loop: Header=BB68_4 Depth=1
	s_or_b64 exec, exec, s[6:7]
.LBB68_54:                              ;   in Loop: Header=BB68_4 Depth=1
	s_andn2_saveexec_b64 s[6:7], s[24:25]
	s_cbranch_execz .LBB68_56
; %bb.55:                               ;   in Loop: Header=BB68_4 Depth=1
	v_sub_f32_e64 v5, 1.0, |v10|
	v_rcp_f32_e32 v6, v5
	v_add_f32_e64 v7, |v10|, 1.0
	v_sub_f32_e32 v8, 1.0, v5
	v_sub_f32_e64 v8, v8, |v10|
	v_mul_f32_e32 v36, v7, v6
	v_mul_f32_e32 v37, v5, v36
	v_fma_f32 v5, v36, v5, -v37
	v_fmac_f32_e32 v5, v36, v8
	v_add_f32_e32 v38, v37, v5
	v_sub_f32_e32 v39, v7, v38
	v_add_f32_e32 v8, -1.0, v7
	v_sub_f32_e32 v37, v38, v37
	v_sub_f32_e32 v7, v7, v39
	;; [unrolled: 1-line block ×4, first 2 shown]
	v_sub_f32_e64 v8, |v10|, v8
	v_add_f32_e32 v5, v5, v7
	v_add_f32_e32 v5, v8, v5
	;; [unrolled: 1-line block ×3, first 2 shown]
	v_mul_f32_e32 v7, v6, v5
	v_add_f32_e32 v8, v36, v7
	v_cvt_f64_f32_e32 v[5:6], v8
	v_cmp_lt_f32_e64 s[24:25], |v10|, s59
	v_frexp_exp_i32_f64_e32 v5, v[5:6]
	v_sub_f32_e32 v6, v8, v36
	v_frexp_mant_f32_e32 v36, v8
	v_cmp_gt_f32_e32 vcc, s49, v36
	v_sub_f32_e32 v6, v7, v6
	v_subbrev_co_u32_e32 v5, vcc, 0, v5, vcc
	v_sub_u32_e32 v7, 0, v5
	v_ldexp_f32 v8, v8, v7
	v_ldexp_f32 v6, v6, v7
	v_add_f32_e32 v7, -1.0, v8
	v_add_f32_e32 v38, 1.0, v8
	v_add_f32_e32 v36, 1.0, v7
	v_add_f32_e32 v39, -1.0, v38
	v_sub_f32_e32 v36, v8, v36
	v_sub_f32_e32 v8, v8, v39
	v_add_f32_e32 v36, v6, v36
	v_add_f32_e32 v6, v6, v8
	v_add_f32_e32 v8, v38, v6
	v_rcp_f32_e32 v39, v8
	v_add_f32_e32 v37, v7, v36
	v_sub_f32_e32 v7, v37, v7
	v_sub_f32_e32 v7, v36, v7
	;; [unrolled: 1-line block ×4, first 2 shown]
	v_mul_f32_e32 v36, v37, v39
	v_mul_f32_e32 v38, v8, v36
	v_fma_f32 v40, v36, v8, -v38
	v_fmac_f32_e32 v40, v36, v6
	v_add_f32_e32 v41, v38, v40
	v_sub_f32_e32 v42, v37, v41
	v_sub_f32_e32 v37, v37, v42
	;; [unrolled: 1-line block ×4, first 2 shown]
	v_add_f32_e32 v7, v7, v37
	v_sub_f32_e32 v37, v38, v40
	v_add_f32_e32 v7, v37, v7
	v_add_f32_e32 v37, v42, v7
	v_mul_f32_e32 v38, v39, v37
	v_mul_f32_e32 v40, v8, v38
	v_fma_f32 v8, v38, v8, -v40
	v_fmac_f32_e32 v8, v38, v6
	v_sub_f32_e32 v6, v42, v37
	v_add_f32_e32 v6, v7, v6
	v_add_f32_e32 v7, v40, v8
	v_sub_f32_e32 v41, v37, v7
	v_sub_f32_e32 v37, v37, v41
	;; [unrolled: 1-line block ×4, first 2 shown]
	v_add_f32_e32 v6, v6, v7
	v_sub_f32_e32 v7, v40, v8
	v_cvt_f32_i32_e32 v5, v5
	v_add_f32_e32 v6, v7, v6
	v_add_f32_e32 v7, v36, v38
	;; [unrolled: 1-line block ×3, first 2 shown]
	v_sub_f32_e32 v8, v7, v36
	v_mul_f32_e32 v6, v39, v6
	v_sub_f32_e32 v8, v38, v8
	v_add_f32_e32 v6, v8, v6
	v_mul_f32_e32 v38, 0x3f317218, v5
	v_add_f32_e32 v8, v7, v6
	v_fma_f32 v39, v5, s50, -v38
	v_mul_f32_e32 v36, v8, v8
	v_mov_b32_e32 v37, 0x3ecc95a3
	v_fmac_f32_e32 v39, 0xb102e308, v5
	v_sub_f32_e32 v5, v8, v7
	v_fmac_f32_e32 v37, 0x3e9b6dac, v36
	v_sub_f32_e32 v5, v6, v5
	v_add_f32_e32 v6, v38, v39
	v_fma_f32 v37, v36, v37, v21
	v_sub_f32_e32 v7, v6, v38
	v_ldexp_f32 v38, v8, 1
	v_mul_f32_e32 v8, v8, v36
	v_mul_f32_e32 v8, v8, v37
	v_add_f32_e32 v36, v38, v8
	v_sub_f32_e32 v37, v36, v38
	v_ldexp_f32 v5, v5, 1
	v_sub_f32_e32 v8, v8, v37
	v_add_f32_e32 v5, v5, v8
	v_add_f32_e32 v8, v36, v5
	v_sub_f32_e32 v36, v8, v36
	v_sub_f32_e32 v5, v5, v36
	v_add_f32_e32 v36, v6, v8
	v_sub_f32_e32 v37, v36, v6
	v_sub_f32_e32 v38, v36, v37
	;; [unrolled: 1-line block ×5, first 2 shown]
	v_add_f32_e32 v6, v8, v6
	v_add_f32_e32 v8, v7, v5
	v_sub_f32_e32 v37, v8, v7
	v_sub_f32_e32 v38, v8, v37
	;; [unrolled: 1-line block ×4, first 2 shown]
	v_add_f32_e32 v6, v8, v6
	v_add_f32_e32 v5, v5, v7
	;; [unrolled: 1-line block ×3, first 2 shown]
	v_sub_f32_e32 v8, v7, v36
	v_sub_f32_e32 v6, v6, v8
	v_add_f32_e32 v5, v5, v6
	v_add_f32_e32 v5, v7, v5
	v_mul_f32_e32 v5, 0.5, v5
	v_cndmask_b32_e64 v5, v5, |v10|, s[24:25]
	v_cmp_neq_f32_e64 vcc, |v10|, 1.0
	v_cndmask_b32_e32 v5, v29, v5, vcc
	v_bfi_b32 v6, s56, v5, v10
	v_mov_b32_e32 v5, v9
.LBB68_56:                              ;   in Loop: Header=BB68_4 Depth=1
	s_or_b64 exec, exec, s[6:7]
	v_mov_b32_e32 v7, s14
	v_cmp_neq_f32_e32 vcc, 0, v11
	v_cmp_nle_f32_e64 s[6:7], |v12|, 1.0
	v_mov_b32_e32 v8, s15
	s_or_b64 s[6:7], vcc, s[6:7]
	flat_store_dword v[7:8], v20
	s_waitcnt vmcnt(0)
	s_and_saveexec_b64 s[24:25], s[6:7]
	s_xor_b64 s[24:25], exec, s[24:25]
	s_cbranch_execz .LBB68_106
; %bb.57:                               ;   in Loop: Header=BB68_4 Depth=1
	v_cmp_neq_f32_e32 vcc, 0, v12
	s_and_saveexec_b64 s[6:7], vcc
	s_xor_b64 s[26:27], exec, s[6:7]
	s_cbranch_execz .LBB68_103
; %bb.58:                               ;   in Loop: Header=BB68_4 Depth=1
	v_cmp_o_f32_e32 vcc, v12, v11
	s_and_saveexec_b64 s[6:7], vcc
	s_xor_b64 s[28:29], exec, s[6:7]
	s_cbranch_execz .LBB68_92
; %bb.59:                               ;   in Loop: Header=BB68_4 Depth=1
	v_max_f32_e64 v8, |v12|, |v12|
	v_max_f32_e64 v7, |v11|, |v11|
	v_max_f32_e32 v8, v7, v8
	v_cmp_nlt_f32_e32 vcc, s42, v8
	s_and_saveexec_b64 s[6:7], vcc
	s_xor_b64 s[30:31], exec, s[6:7]
	s_cbranch_execz .LBB68_77
; %bb.60:                               ;   in Loop: Header=BB68_4 Depth=1
	v_cmp_nlt_f32_e64 s[6:7], |v12|, s43
	v_cmp_nlt_f32_e64 s[34:35], |v11|, s43
	s_or_b64 s[6:7], s[34:35], s[6:7]
	s_and_saveexec_b64 s[34:35], s[6:7]
	s_xor_b64 s[34:35], exec, s[34:35]
	s_cbranch_execz .LBB68_74
; %bb.61:                               ;   in Loop: Header=BB68_4 Depth=1
	v_cmp_neq_f32_e64 s[38:39], |v12|, 1.0
	v_cmp_nlt_f32_e64 s[36:37], |v11|, s47
	s_or_b64 s[6:7], s[36:37], s[38:39]
                                        ; implicit-def: $vgpr8
	s_and_saveexec_b64 s[40:41], s[6:7]
	s_xor_b64 s[6:7], exec, s[40:41]
	s_cbranch_execz .LBB68_63
; %bb.62:                               ;   in Loop: Header=BB68_4 Depth=1
	v_add_f32_e64 v9, |v12|, -1.0
	v_mul_f32_e32 v9, v9, v9
	v_fma_f32 v10, v11, v11, v9
	v_cmp_lt_f32_e64 vcc, |v11|, s48
	v_mul_f32_e64 v8, |v12|, 4.0
	v_cndmask_b32_e32 v9, v10, v9, vcc
	v_div_scale_f32 v10, s[40:41], v9, v9, v8
	v_div_scale_f32 v36, vcc, v8, v9, v8
	v_rcp_f32_e32 v37, v10
	v_fma_f32 v38, -v10, v37, 1.0
	v_fmac_f32_e32 v37, v38, v37
	v_mul_f32_e32 v38, v36, v37
	v_fma_f32 v39, -v10, v38, v36
	v_fmac_f32_e32 v38, v39, v37
	v_fma_f32 v10, -v10, v38, v36
	v_div_fmas_f32 v10, v10, v37, v38
	v_mov_b32_e32 v37, 0x3ecc95a3
	v_div_fixup_f32 v10, v10, v9, v8
	v_add_f32_e32 v36, 1.0, v10
	v_cvt_f64_f32_e32 v[8:9], v36
	v_add_f32_e32 v38, -1.0, v36
	v_sub_f32_e32 v39, v38, v36
	v_sub_f32_e32 v38, v10, v38
	v_frexp_exp_i32_f64_e32 v8, v[8:9]
	v_frexp_mant_f32_e32 v9, v36
	v_cmp_gt_f32_e32 vcc, s49, v9
	v_add_f32_e32 v39, 1.0, v39
	v_add_f32_e32 v38, v38, v39
	v_subbrev_co_u32_e32 v8, vcc, 0, v8, vcc
	v_sub_u32_e32 v9, 0, v8
	v_cvt_f32_i32_e32 v8, v8
	v_ldexp_f32 v36, v36, v9
	v_ldexp_f32 v9, v38, v9
	v_add_f32_e32 v38, -1.0, v36
	v_add_f32_e32 v39, 1.0, v36
	v_add_f32_e32 v40, 1.0, v38
	v_add_f32_e32 v41, -1.0, v39
	v_sub_f32_e32 v40, v36, v40
	v_sub_f32_e32 v36, v36, v41
	v_mul_f32_e32 v41, 0x3f317218, v8
	v_add_f32_e32 v40, v9, v40
	v_add_f32_e32 v9, v9, v36
	v_fma_f32 v36, v8, s50, -v41
	v_add_f32_e32 v42, v38, v40
	v_add_f32_e32 v43, v39, v9
	v_fmac_f32_e32 v36, 0xb102e308, v8
	v_sub_f32_e32 v8, v42, v38
	v_sub_f32_e32 v38, v43, v39
	v_rcp_f32_e32 v39, v43
	v_add_f32_e32 v44, v41, v36
	v_sub_f32_e32 v9, v9, v38
	v_sub_f32_e32 v38, v44, v41
	;; [unrolled: 1-line block ×3, first 2 shown]
	v_mul_f32_e32 v38, v42, v39
	v_sub_f32_e32 v8, v40, v8
	v_mul_f32_e32 v40, v43, v38
	v_fma_f32 v41, v38, v43, -v40
	v_fmac_f32_e32 v41, v38, v9
	v_add_f32_e32 v45, v40, v41
	v_sub_f32_e32 v46, v42, v45
	v_sub_f32_e32 v40, v45, v40
	v_sub_f32_e32 v42, v42, v46
	v_sub_f32_e32 v40, v40, v41
	v_sub_f32_e32 v41, v42, v45
	v_add_f32_e32 v8, v8, v41
	v_add_f32_e32 v8, v40, v8
	;; [unrolled: 1-line block ×3, first 2 shown]
	v_mul_f32_e32 v41, v39, v40
	v_sub_f32_e32 v42, v46, v40
	v_mul_f32_e32 v45, v43, v41
	v_add_f32_e32 v8, v8, v42
	v_add_f32_e32 v42, v38, v41
	v_fma_f32 v43, v41, v43, -v45
	v_sub_f32_e32 v38, v42, v38
	v_fmac_f32_e32 v43, v41, v9
	v_sub_f32_e32 v9, v41, v38
	v_add_f32_e32 v38, v45, v43
	v_sub_f32_e32 v41, v38, v45
	v_sub_f32_e32 v45, v40, v38
	;; [unrolled: 1-line block ×5, first 2 shown]
	v_add_f32_e32 v8, v8, v38
	v_add_f32_e32 v8, v41, v8
	v_add_f32_e32 v8, v45, v8
	v_mul_f32_e32 v8, v39, v8
	v_add_f32_e32 v8, v9, v8
	v_add_f32_e32 v9, v42, v8
	v_mul_f32_e32 v38, v9, v9
	v_fmac_f32_e32 v37, 0x3e9b6dac, v38
	v_sub_f32_e32 v39, v9, v42
	v_ldexp_f32 v40, v9, 1
	v_mul_f32_e32 v9, v9, v38
	v_fma_f32 v37, v38, v37, v21
	v_mul_f32_e32 v9, v9, v37
	v_add_f32_e32 v37, v40, v9
	v_sub_f32_e32 v8, v8, v39
	v_sub_f32_e32 v38, v37, v40
	v_ldexp_f32 v8, v8, 1
	v_sub_f32_e32 v9, v9, v38
	v_add_f32_e32 v8, v8, v9
	v_add_f32_e32 v9, v37, v8
	v_sub_f32_e32 v37, v9, v37
	v_sub_f32_e32 v8, v8, v37
	v_add_f32_e32 v37, v44, v9
	v_sub_f32_e32 v38, v37, v44
	v_sub_f32_e32 v39, v37, v38
	;; [unrolled: 1-line block ×4, first 2 shown]
	v_add_f32_e32 v38, v36, v8
	v_add_f32_e32 v9, v9, v39
	v_sub_f32_e32 v39, v38, v36
	v_sub_f32_e32 v40, v38, v39
	;; [unrolled: 1-line block ×4, first 2 shown]
	v_add_f32_e32 v9, v38, v9
	v_add_f32_e32 v8, v8, v36
	;; [unrolled: 1-line block ×3, first 2 shown]
	v_sub_f32_e32 v37, v36, v37
	v_sub_f32_e32 v9, v9, v37
	v_add_f32_e32 v8, v8, v9
	v_add_f32_e32 v8, v36, v8
	v_cmp_neq_f32_e32 vcc, s51, v10
	v_cndmask_b32_e32 v8, v29, v8, vcc
	v_cmp_ngt_f32_e32 vcc, -1.0, v10
	v_cndmask_b32_e32 v8, v30, v8, vcc
	v_cmp_neq_f32_e32 vcc, -1.0, v10
	v_cndmask_b32_e32 v8, v31, v8, vcc
	v_cmp_lt_f32_e64 vcc, |v10|, s52
	v_cndmask_b32_e32 v8, v8, v10, vcc
	v_mul_f32_e32 v8, 0x3e800000, v8
	s_andn2_saveexec_b64 s[40:41], s[6:7]
	s_cbranch_execz .LBB68_65
	s_branch .LBB68_64
.LBB68_63:                              ;   in Loop: Header=BB68_4 Depth=1
	s_andn2_saveexec_b64 s[40:41], s[6:7]
	s_cbranch_execz .LBB68_65
.LBB68_64:                              ;   in Loop: Header=BB68_4 Depth=1
	v_cmp_lt_f32_e64 vcc, |v11|, s53
	v_cndmask_b32_e64 v8, 0, 32, vcc
	v_ldexp_f32 v8, |v11|, v8
	v_log_f32_e32 v8, v8
	v_mul_f32_e32 v9, 0x3f317217, v8
	v_fma_f32 v9, v8, s54, -v9
	v_fmac_f32_e32 v9, 0x3377d1cf, v8
	v_fmac_f32_e32 v9, 0x3f317217, v8
	v_cmp_lt_f32_e64 s[6:7], |v8|, s51
	v_cndmask_b32_e64 v8, v8, v9, s[6:7]
	v_cndmask_b32_e32 v9, 0, v32, vcc
	v_sub_f32_e32 v8, v8, v9
	v_sub_f32_e32 v8, 0x3f317218, v8
	v_mul_f32_e32 v8, 0.5, v8
.LBB68_65:                              ;   in Loop: Header=BB68_4 Depth=1
	s_or_b64 exec, exec, s[40:41]
                                        ; implicit-def: $vgpr10
	s_and_saveexec_b64 s[6:7], s[38:39]
	s_xor_b64 s[38:39], exec, s[6:7]
	s_cbranch_execz .LBB68_71
; %bb.66:                               ;   in Loop: Header=BB68_4 Depth=1
	v_add_f32_e64 v7, |v11|, |v11|
	v_sub_f32_e64 v9, 1.0, |v12|
	v_add_f32_e64 v10, |v12|, 1.0
	v_mul_f32_e32 v9, v9, v10
	v_max_f32_e32 v36, v7, v7
                                        ; implicit-def: $vgpr10
	s_and_saveexec_b64 s[6:7], s[36:37]
	s_xor_b64 s[36:37], exec, s[6:7]
	s_cbranch_execz .LBB68_68
; %bb.67:                               ;   in Loop: Header=BB68_4 Depth=1
	v_fma_f32 v9, -v11, v11, v9
	v_min_f32_e64 v10, |v9|, v36
	v_max_f32_e64 v36, |v9|, v36
	v_frexp_mant_f32_e32 v37, v36
	v_rcp_f32_e32 v37, v37
	v_frexp_exp_i32_f32_e32 v36, v36
	v_frexp_exp_i32_f32_e32 v38, v10
	v_frexp_mant_f32_e32 v10, v10
	v_mul_f32_e32 v10, v10, v37
	v_sub_u32_e32 v36, v38, v36
	v_ldexp_f32 v10, v10, v36
	v_mul_f32_e32 v36, v10, v10
	v_mov_b32_e32 v37, 0xbc7a590c
	v_fmac_f32_e32 v37, 0x3b2d2a58, v36
	v_fma_f32 v37, v36, v37, v22
	v_fma_f32 v37, v36, v37, v23
	v_fma_f32 v37, v36, v37, v24
	v_fma_f32 v37, v36, v37, v25
	v_fma_f32 v37, v36, v37, v26
	v_fma_f32 v37, v36, v37, v27
	v_mul_f32_e32 v36, v36, v37
	v_fmac_f32_e32 v10, v10, v36
	v_sub_f32_e32 v36, 0x3fc90fdb, v10
	v_cmp_gt_f32_e64 vcc, v7, |v9|
	v_cndmask_b32_e32 v10, v10, v36, vcc
	v_sub_f32_e32 v36, 0x40490fdb, v10
	v_cmp_gt_f32_e32 vcc, 0, v9
	v_cmp_gt_i32_e64 s[6:7], 0, v9
	v_cndmask_b32_e32 v10, v10, v36, vcc
	v_cndmask_b32_e64 v36, 0, v33, s[6:7]
	v_cndmask_b32_e32 v37, v34, v35, vcc
	v_cmp_class_f32_e64 s[40:41], v9, s55
	v_cmp_eq_f32_e32 vcc, s51, v7
	v_cmp_eq_f32_e64 s[6:7], 0, v7
	v_cndmask_b32_e64 v7, |v10|, v36, s[6:7]
	s_and_b64 vcc, vcc, s[40:41]
	v_cndmask_b32_e32 v7, v7, v37, vcc
	v_cmp_o_f32_e32 vcc, v9, v9
	v_cndmask_b32_e32 v10, v30, v7, vcc
                                        ; implicit-def: $vgpr9
                                        ; implicit-def: $vgpr36
                                        ; implicit-def: $vgpr7
.LBB68_68:                              ;   in Loop: Header=BB68_4 Depth=1
	s_andn2_saveexec_b64 s[36:37], s[36:37]
	s_cbranch_execz .LBB68_70
; %bb.69:                               ;   in Loop: Header=BB68_4 Depth=1
	v_max_f32_e64 v10, |v9|, |v9|
	v_min_f32_e32 v37, v10, v36
	v_max_f32_e32 v10, v10, v36
	v_frexp_mant_f32_e32 v36, v10
	v_rcp_f32_e32 v36, v36
	v_frexp_exp_i32_f32_e32 v10, v10
	v_frexp_exp_i32_f32_e32 v38, v37
	v_frexp_mant_f32_e32 v37, v37
	v_mul_f32_e32 v36, v37, v36
	v_sub_u32_e32 v10, v38, v10
	v_ldexp_f32 v10, v36, v10
	v_mul_f32_e32 v36, v10, v10
	v_mov_b32_e32 v37, 0xbc7a590c
	v_fmac_f32_e32 v37, 0x3b2d2a58, v36
	v_fma_f32 v37, v36, v37, v22
	v_fma_f32 v37, v36, v37, v23
	;; [unrolled: 1-line block ×6, first 2 shown]
	v_mul_f32_e32 v36, v36, v37
	v_fmac_f32_e32 v10, v10, v36
	v_sub_f32_e32 v36, 0x3fc90fdb, v10
	v_cmp_gt_f32_e64 vcc, v7, |v9|
	v_cndmask_b32_e32 v10, v10, v36, vcc
	v_sub_f32_e32 v36, 0x40490fdb, v10
	v_cmp_gt_f32_e32 vcc, 0, v9
	v_cmp_gt_i32_e64 s[6:7], 0, v9
	v_cndmask_b32_e32 v10, v10, v36, vcc
	v_cndmask_b32_e64 v36, 0, v33, s[6:7]
	v_cndmask_b32_e32 v37, v34, v35, vcc
	v_cmp_class_f32_e64 s[40:41], v9, s55
	v_cmp_eq_f32_e32 vcc, s51, v7
	v_cmp_eq_f32_e64 s[6:7], 0, v7
	v_cndmask_b32_e64 v7, |v10|, v36, s[6:7]
	s_and_b64 vcc, vcc, s[40:41]
	v_cndmask_b32_e32 v7, v7, v37, vcc
	v_cmp_o_f32_e32 vcc, v9, v9
	v_cndmask_b32_e32 v10, v30, v7, vcc
.LBB68_70:                              ;   in Loop: Header=BB68_4 Depth=1
	s_or_b64 exec, exec, s[36:37]
                                        ; implicit-def: $vgpr7
	s_andn2_saveexec_b64 s[6:7], s[38:39]
	s_cbranch_execnz .LBB68_72
	s_branch .LBB68_73
.LBB68_71:                              ;   in Loop: Header=BB68_4 Depth=1
	s_andn2_saveexec_b64 s[6:7], s[38:39]
	s_cbranch_execz .LBB68_73
.LBB68_72:                              ;   in Loop: Header=BB68_4 Depth=1
	v_min_f32_e32 v9, 2.0, v7
	v_max_f32_e32 v7, 2.0, v7
	v_frexp_mant_f32_e32 v10, v7
	v_rcp_f32_e32 v10, v10
	v_frexp_exp_i32_f32_e32 v7, v7
	v_frexp_exp_i32_f32_e32 v36, v9
	v_frexp_mant_f32_e32 v9, v9
	v_mul_f32_e32 v9, v9, v10
	v_sub_u32_e32 v7, v36, v7
	v_ldexp_f32 v7, v9, v7
	v_mul_f32_e32 v9, v7, v7
	v_mov_b32_e32 v10, 0xbc7a590c
	v_fmac_f32_e32 v10, 0x3b2d2a58, v9
	v_fma_f32 v10, v9, v10, v22
	v_fma_f32 v10, v9, v10, v23
	v_fma_f32 v10, v9, v10, v24
	v_fma_f32 v10, v9, v10, v25
	v_fma_f32 v10, v9, v10, v26
	v_fma_f32 v10, v9, v10, v27
	v_mul_f32_e32 v9, v9, v10
	v_fmac_f32_e32 v7, v7, v9
	v_sub_f32_e32 v9, 0x3fc90fdb, v7
	v_cmp_lt_f32_e64 vcc, |v11|, 2.0
	v_cndmask_b32_e32 v7, v7, v9, vcc
	v_sub_f32_e32 v9, 0x40490fdb, v7
	v_cmp_lg_f32_e32 vcc, 0, v11
	v_cndmask_b32_e32 v7, v7, v9, vcc
	v_and_b32_e32 v10, 0x7fffffff, v7
.LBB68_73:                              ;   in Loop: Header=BB68_4 Depth=1
	s_or_b64 exec, exec, s[6:7]
	v_mul_f32_e32 v7, 0.5, v10
	v_bfi_b32 v8, s56, v8, v12
	v_bfi_b32 v7, s56, v7, v11
                                        ; implicit-def: $vgpr11
.LBB68_74:                              ;   in Loop: Header=BB68_4 Depth=1
	s_andn2_saveexec_b64 s[6:7], s[34:35]
	s_cbranch_execz .LBB68_76
; %bb.75:                               ;   in Loop: Header=BB68_4 Depth=1
	v_mov_b32_e32 v7, s18
	v_mov_b32_e32 v8, s19
	flat_store_dword v[7:8], v28
	s_waitcnt vmcnt(0)
	flat_load_dword v7, v[7:8] glc
	s_waitcnt vmcnt(0) lgkmcnt(0)
	v_add_f32_e32 v9, 1.0, v7
	v_mov_b32_e32 v7, s20
	v_mov_b32_e32 v8, s21
	flat_store_dword v[7:8], v9
	s_waitcnt vmcnt(0)
	flat_load_dword v7, v[7:8] glc
	s_waitcnt vmcnt(0) lgkmcnt(0)
	v_mov_b32_e32 v7, v11
	v_mov_b32_e32 v8, v12
.LBB68_76:                              ;   in Loop: Header=BB68_4 Depth=1
	s_or_b64 exec, exec, s[6:7]
                                        ; implicit-def: $vgpr9_vgpr10_vgpr11_vgpr12
.LBB68_77:                              ;   in Loop: Header=BB68_4 Depth=1
	s_andn2_saveexec_b64 s[6:7], s[30:31]
	s_cbranch_execz .LBB68_91
; %bb.78:                               ;   in Loop: Header=BB68_4 Depth=1
	v_and_b32_e32 v7, 0x7f800000, v12
	v_and_b32_e32 v8, 0x7f800000, v11
	v_sub_u32_e32 v9, v7, v8
	v_cmp_gt_i32_e32 vcc, s57, v9
	v_cmp_neq_f32_e64 s[30:31], |v12|, s51
	s_and_b64 s[30:31], s[30:31], vcc
	s_and_saveexec_b64 s[34:35], s[30:31]
	s_xor_b64 s[30:31], exec, s[34:35]
	s_cbranch_execz .LBB68_88
; %bb.79:                               ;   in Loop: Header=BB68_4 Depth=1
	v_sub_u32_e32 v8, v8, v7
	v_cmp_gt_i32_e32 vcc, s57, v8
	s_and_saveexec_b64 s[34:35], vcc
	s_xor_b64 s[34:35], exec, s[34:35]
	s_cbranch_execz .LBB68_85
; %bb.80:                               ;   in Loop: Header=BB68_4 Depth=1
	v_cmp_lt_u32_e32 vcc, s58, v7
	s_and_saveexec_b64 s[36:37], vcc
	s_xor_b64 s[36:37], exec, s[36:37]
	s_cbranch_execz .LBB68_82
; %bb.81:                               ;   in Loop: Header=BB68_4 Depth=1
	v_sub_u32_e32 v7, 0x7f800000, v7
	v_mul_f32_e32 v9, v11, v7
	v_mul_f32_e32 v8, v12, v7
	;; [unrolled: 1-line block ×3, first 2 shown]
	v_fmac_f32_e32 v9, v8, v8
	v_div_scale_f32 v10, s[38:39], v9, v9, v8
	v_div_scale_f32 v36, vcc, v8, v9, v8
	v_rcp_f32_e32 v37, v10
	v_fma_f32 v38, -v10, v37, 1.0
	v_fmac_f32_e32 v37, v38, v37
	v_mul_f32_e32 v38, v36, v37
	v_fma_f32 v39, -v10, v38, v36
	v_fmac_f32_e32 v38, v39, v37
	v_fma_f32 v10, -v10, v38, v36
	v_div_fmas_f32 v10, v10, v37, v38
	v_div_fixup_f32 v8, v10, v9, v8
	v_mul_f32_e32 v8, v8, v7
.LBB68_82:                              ;   in Loop: Header=BB68_4 Depth=1
	s_andn2_saveexec_b64 s[36:37], s[36:37]
	s_cbranch_execz .LBB68_84
; %bb.83:                               ;   in Loop: Header=BB68_4 Depth=1
	v_mul_f32_e32 v7, v12, v12
	v_fmac_f32_e32 v7, v11, v11
	v_div_scale_f32 v8, s[38:39], v7, v7, v12
	v_div_scale_f32 v9, vcc, v12, v7, v12
	v_rcp_f32_e32 v10, v8
	v_fma_f32 v36, -v8, v10, 1.0
	v_fmac_f32_e32 v10, v36, v10
	v_mul_f32_e32 v36, v9, v10
	v_fma_f32 v37, -v8, v36, v9
	v_fmac_f32_e32 v36, v37, v10
	v_fma_f32 v8, -v8, v36, v9
	v_div_fmas_f32 v8, v8, v10, v36
	v_div_fixup_f32 v8, v8, v7, v12
.LBB68_84:                              ;   in Loop: Header=BB68_4 Depth=1
	s_or_b64 exec, exec, s[36:37]
.LBB68_85:                              ;   in Loop: Header=BB68_4 Depth=1
	s_andn2_saveexec_b64 s[34:35], s[34:35]
	s_cbranch_execz .LBB68_87
; %bb.86:                               ;   in Loop: Header=BB68_4 Depth=1
	v_div_scale_f32 v7, s[36:37], v11, v11, v12
	v_div_scale_f32 v8, vcc, v12, v11, v12
	v_rcp_f32_e32 v9, v7
	v_fma_f32 v10, -v7, v9, 1.0
	v_fmac_f32_e32 v9, v10, v9
	v_mul_f32_e32 v10, v8, v9
	v_fma_f32 v36, -v7, v10, v8
	v_fmac_f32_e32 v10, v36, v9
	v_fma_f32 v7, -v7, v10, v8
	v_div_fmas_f32 v7, v7, v9, v10
	v_div_fixup_f32 v7, v7, v11, v12
	v_div_scale_f32 v8, s[36:37], v11, v11, v7
	v_div_scale_f32 v9, vcc, v7, v11, v7
	v_rcp_f32_e32 v10, v8
	v_fma_f32 v36, -v8, v10, 1.0
	v_fmac_f32_e32 v10, v36, v10
	v_mul_f32_e32 v36, v9, v10
	v_fma_f32 v37, -v8, v36, v9
	v_fmac_f32_e32 v36, v37, v10
	v_fma_f32 v8, -v8, v36, v9
	v_div_fmas_f32 v8, v8, v10, v36
	v_div_fixup_f32 v8, v8, v11, v7
.LBB68_87:                              ;   in Loop: Header=BB68_4 Depth=1
	s_or_b64 exec, exec, s[34:35]
.LBB68_88:                              ;   in Loop: Header=BB68_4 Depth=1
	s_andn2_saveexec_b64 s[30:31], s[30:31]
	s_cbranch_execz .LBB68_90
; %bb.89:                               ;   in Loop: Header=BB68_4 Depth=1
	v_div_scale_f32 v7, s[34:35], v12, v12, 1.0
	v_div_scale_f32 v8, vcc, 1.0, v12, 1.0
	v_rcp_f32_e32 v9, v7
	v_fma_f32 v10, -v7, v9, 1.0
	v_fmac_f32_e32 v9, v10, v9
	v_mul_f32_e32 v10, v8, v9
	v_fma_f32 v36, -v7, v10, v8
	v_fmac_f32_e32 v10, v36, v9
	v_fma_f32 v7, -v7, v10, v8
	v_div_fmas_f32 v7, v7, v9, v10
	v_div_fixup_f32 v8, v7, v12, 1.0
.LBB68_90:                              ;   in Loop: Header=BB68_4 Depth=1
	s_or_b64 exec, exec, s[30:31]
	v_mov_b32_e32 v9, s14
	v_mov_b32_e32 v10, s15
	flat_load_dword v7, v[9:10] glc
	s_waitcnt vmcnt(0) lgkmcnt(0)
	v_add_f32_e32 v7, 0x3fc90fdb, v7
	v_bfi_b32 v7, s56, v7, v11
.LBB68_91:                              ;   in Loop: Header=BB68_4 Depth=1
	s_or_b64 exec, exec, s[6:7]
                                        ; implicit-def: $vgpr9_vgpr10_vgpr11_vgpr12
.LBB68_92:                              ;   in Loop: Header=BB68_4 Depth=1
	s_andn2_saveexec_b64 s[6:7], s[28:29]
	s_cbranch_execz .LBB68_102
; %bb.93:                               ;   in Loop: Header=BB68_4 Depth=1
	v_cmp_neq_f32_e64 s[28:29], |v12|, s51
	s_and_saveexec_b64 s[30:31], s[28:29]
	s_xor_b64 s[28:29], exec, s[30:31]
	s_cbranch_execz .LBB68_99
; %bb.94:                               ;   in Loop: Header=BB68_4 Depth=1
	v_cmp_neq_f32_e64 s[30:31], |v11|, s51
	s_and_saveexec_b64 s[34:35], s[30:31]
	s_xor_b64 s[30:31], exec, s[34:35]
; %bb.95:                               ;   in Loop: Header=BB68_4 Depth=1
	v_add_f32_e32 v7, 0, v11
	v_add_f32_e32 v7, v7, v12
                                        ; implicit-def: $vgpr9_vgpr10_vgpr11_vgpr12
; %bb.96:                               ;   in Loop: Header=BB68_4 Depth=1
	s_or_saveexec_b64 s[30:31], s[30:31]
	v_mov_b32_e32 v8, v7
	s_xor_b64 exec, exec, s[30:31]
	s_cbranch_execz .LBB68_98
; %bb.97:                               ;   in Loop: Header=BB68_4 Depth=1
	v_mov_b32_e32 v7, s14
	v_mov_b32_e32 v8, s15
	flat_load_dword v7, v[7:8] glc
	s_waitcnt vmcnt(0)
	v_bfi_b32 v8, s56, 0, v12
	s_waitcnt lgkmcnt(0)
	v_add_f32_e32 v7, 0x3fc90fdb, v7
	v_bfi_b32 v7, s56, v7, v11
.LBB68_98:                              ;   in Loop: Header=BB68_4 Depth=1
	s_or_b64 exec, exec, s[30:31]
                                        ; implicit-def: $vgpr9_vgpr10_vgpr11_vgpr12
.LBB68_99:                              ;   in Loop: Header=BB68_4 Depth=1
	s_andn2_saveexec_b64 s[28:29], s[28:29]
; %bb.100:                              ;   in Loop: Header=BB68_4 Depth=1
	v_bfi_b32 v8, s56, 0, v12
	v_add_f32_e32 v7, v11, v11
; %bb.101:                              ;   in Loop: Header=BB68_4 Depth=1
	s_or_b64 exec, exec, s[28:29]
.LBB68_102:                             ;   in Loop: Header=BB68_4 Depth=1
	s_or_b64 exec, exec, s[6:7]
                                        ; implicit-def: $vgpr9_vgpr10_vgpr11_vgpr12
.LBB68_103:                             ;   in Loop: Header=BB68_4 Depth=1
	s_andn2_saveexec_b64 s[6:7], s[26:27]
	s_cbranch_execz .LBB68_105
; %bb.104:                              ;   in Loop: Header=BB68_4 Depth=1
	v_rcp_f32_e64 v7, |v11|
	v_cmp_gt_f32_e64 vcc, |v11|, 1.0
	v_mov_b32_e32 v8, 0xbc7a590c
	v_cndmask_b32_e64 v7, |v11|, v7, vcc
	v_mul_f32_e32 v9, v7, v7
	v_fmac_f32_e32 v8, 0x3b2d2a58, v9
	v_fma_f32 v8, v9, v8, v22
	v_fma_f32 v8, v9, v8, v23
	;; [unrolled: 1-line block ×6, first 2 shown]
	v_mul_f32_e32 v8, v9, v8
	v_fmac_f32_e32 v7, v7, v8
	v_sub_f32_e32 v8, 0x3fc90fdb, v7
	v_cndmask_b32_e32 v7, v7, v8, vcc
	v_bfi_b32 v7, s56, v7, v11
	v_mov_b32_e32 v8, v12
.LBB68_105:                             ;   in Loop: Header=BB68_4 Depth=1
	s_or_b64 exec, exec, s[6:7]
                                        ; implicit-def: $vgpr9_vgpr10_vgpr11_vgpr12
.LBB68_106:                             ;   in Loop: Header=BB68_4 Depth=1
	s_andn2_saveexec_b64 s[6:7], s[24:25]
	s_cbranch_execz .LBB68_108
; %bb.107:                              ;   in Loop: Header=BB68_4 Depth=1
	v_sub_f32_e64 v7, 1.0, |v12|
	v_rcp_f32_e32 v8, v7
	v_add_f32_e64 v9, |v12|, 1.0
	v_sub_f32_e32 v10, 1.0, v7
	v_sub_f32_e64 v10, v10, |v12|
	v_mul_f32_e32 v36, v9, v8
	v_mul_f32_e32 v37, v7, v36
	v_fma_f32 v7, v36, v7, -v37
	v_fmac_f32_e32 v7, v36, v10
	v_add_f32_e32 v38, v37, v7
	v_sub_f32_e32 v39, v9, v38
	v_add_f32_e32 v10, -1.0, v9
	v_sub_f32_e32 v37, v38, v37
	v_sub_f32_e32 v9, v9, v39
	;; [unrolled: 1-line block ×4, first 2 shown]
	v_sub_f32_e64 v10, |v12|, v10
	v_add_f32_e32 v7, v7, v9
	v_add_f32_e32 v7, v10, v7
	;; [unrolled: 1-line block ×3, first 2 shown]
	v_mul_f32_e32 v9, v8, v7
	v_add_f32_e32 v10, v36, v9
	v_cvt_f64_f32_e32 v[7:8], v10
	v_cmp_lt_f32_e64 s[24:25], |v12|, s59
	v_frexp_exp_i32_f64_e32 v7, v[7:8]
	v_sub_f32_e32 v8, v10, v36
	v_frexp_mant_f32_e32 v36, v10
	v_cmp_gt_f32_e32 vcc, s49, v36
	v_sub_f32_e32 v8, v9, v8
	v_subbrev_co_u32_e32 v7, vcc, 0, v7, vcc
	v_sub_u32_e32 v9, 0, v7
	v_ldexp_f32 v10, v10, v9
	v_ldexp_f32 v8, v8, v9
	v_add_f32_e32 v9, -1.0, v10
	v_add_f32_e32 v38, 1.0, v10
	v_add_f32_e32 v36, 1.0, v9
	v_add_f32_e32 v39, -1.0, v38
	v_sub_f32_e32 v36, v10, v36
	v_sub_f32_e32 v10, v10, v39
	v_add_f32_e32 v36, v8, v36
	v_add_f32_e32 v8, v8, v10
	;; [unrolled: 1-line block ×3, first 2 shown]
	v_rcp_f32_e32 v39, v10
	v_add_f32_e32 v37, v9, v36
	v_sub_f32_e32 v9, v37, v9
	v_sub_f32_e32 v9, v36, v9
	;; [unrolled: 1-line block ×4, first 2 shown]
	v_mul_f32_e32 v36, v37, v39
	v_mul_f32_e32 v38, v10, v36
	v_fma_f32 v40, v36, v10, -v38
	v_fmac_f32_e32 v40, v36, v8
	v_add_f32_e32 v41, v38, v40
	v_sub_f32_e32 v42, v37, v41
	v_sub_f32_e32 v37, v37, v42
	;; [unrolled: 1-line block ×4, first 2 shown]
	v_add_f32_e32 v9, v9, v37
	v_sub_f32_e32 v37, v38, v40
	v_add_f32_e32 v9, v37, v9
	v_add_f32_e32 v37, v42, v9
	v_mul_f32_e32 v38, v39, v37
	v_mul_f32_e32 v40, v10, v38
	v_fma_f32 v10, v38, v10, -v40
	v_fmac_f32_e32 v10, v38, v8
	v_sub_f32_e32 v8, v42, v37
	v_add_f32_e32 v8, v9, v8
	v_add_f32_e32 v9, v40, v10
	v_sub_f32_e32 v41, v37, v9
	v_sub_f32_e32 v37, v37, v41
	;; [unrolled: 1-line block ×4, first 2 shown]
	v_add_f32_e32 v8, v8, v9
	v_sub_f32_e32 v9, v40, v10
	v_cvt_f32_i32_e32 v7, v7
	v_add_f32_e32 v8, v9, v8
	v_add_f32_e32 v9, v36, v38
	v_add_f32_e32 v8, v41, v8
	v_sub_f32_e32 v10, v9, v36
	v_mul_f32_e32 v8, v39, v8
	v_sub_f32_e32 v10, v38, v10
	v_add_f32_e32 v8, v10, v8
	v_mul_f32_e32 v38, 0x3f317218, v7
	v_add_f32_e32 v10, v9, v8
	v_fma_f32 v39, v7, s50, -v38
	v_mul_f32_e32 v36, v10, v10
	v_mov_b32_e32 v37, 0x3ecc95a3
	v_fmac_f32_e32 v39, 0xb102e308, v7
	v_sub_f32_e32 v7, v10, v9
	v_fmac_f32_e32 v37, 0x3e9b6dac, v36
	v_sub_f32_e32 v7, v8, v7
	v_add_f32_e32 v8, v38, v39
	v_fma_f32 v37, v36, v37, v21
	v_sub_f32_e32 v9, v8, v38
	v_ldexp_f32 v38, v10, 1
	v_mul_f32_e32 v10, v10, v36
	v_mul_f32_e32 v10, v10, v37
	v_add_f32_e32 v36, v38, v10
	v_sub_f32_e32 v37, v36, v38
	v_ldexp_f32 v7, v7, 1
	v_sub_f32_e32 v10, v10, v37
	v_add_f32_e32 v7, v7, v10
	v_add_f32_e32 v10, v36, v7
	v_sub_f32_e32 v36, v10, v36
	v_sub_f32_e32 v7, v7, v36
	v_add_f32_e32 v36, v8, v10
	v_sub_f32_e32 v37, v36, v8
	v_sub_f32_e32 v38, v36, v37
	v_sub_f32_e32 v9, v39, v9
	v_sub_f32_e32 v8, v8, v38
	v_sub_f32_e32 v10, v10, v37
	v_add_f32_e32 v8, v10, v8
	v_add_f32_e32 v10, v9, v7
	v_sub_f32_e32 v37, v10, v9
	v_sub_f32_e32 v38, v10, v37
	;; [unrolled: 1-line block ×4, first 2 shown]
	v_add_f32_e32 v8, v10, v8
	v_add_f32_e32 v7, v7, v9
	;; [unrolled: 1-line block ×3, first 2 shown]
	v_sub_f32_e32 v10, v9, v36
	v_sub_f32_e32 v8, v8, v10
	v_add_f32_e32 v7, v7, v8
	v_add_f32_e32 v7, v9, v7
	v_mul_f32_e32 v7, 0.5, v7
	v_cndmask_b32_e64 v7, v7, |v12|, s[24:25]
	v_cmp_neq_f32_e64 vcc, |v12|, 1.0
	v_cndmask_b32_e32 v7, v29, v7, vcc
	v_bfi_b32 v8, s56, v7, v12
	v_mov_b32_e32 v7, v11
.LBB68_108:                             ;   in Loop: Header=BB68_4 Depth=1
	s_or_b64 exec, exec, s[6:7]
	v_mov_b32_e32 v9, s14
	v_cmp_neq_f32_e32 vcc, 0, v1
	v_cmp_nle_f32_e64 s[6:7], |v2|, 1.0
	v_mov_b32_e32 v10, s15
	s_or_b64 s[6:7], vcc, s[6:7]
	flat_store_dword v[9:10], v20
	s_waitcnt vmcnt(0)
                                        ; implicit-def: $vgpr9
	s_and_saveexec_b64 s[24:25], s[6:7]
	s_xor_b64 s[24:25], exec, s[24:25]
	s_cbranch_execz .LBB68_158
; %bb.109:                              ;   in Loop: Header=BB68_4 Depth=1
	v_cmp_neq_f32_e32 vcc, 0, v2
                                        ; implicit-def: $vgpr9
	s_and_saveexec_b64 s[6:7], vcc
	s_xor_b64 s[26:27], exec, s[6:7]
	s_cbranch_execz .LBB68_155
; %bb.110:                              ;   in Loop: Header=BB68_4 Depth=1
	v_cmp_o_f32_e32 vcc, v2, v1
                                        ; implicit-def: $vgpr9
	s_and_saveexec_b64 s[6:7], vcc
	s_xor_b64 s[28:29], exec, s[6:7]
	s_cbranch_execz .LBB68_144
; %bb.111:                              ;   in Loop: Header=BB68_4 Depth=1
	v_max_f32_e64 v9, |v2|, |v2|
	v_max_f32_e64 v10, |v1|, |v1|
	v_max_f32_e32 v9, v10, v9
	v_cmp_nlt_f32_e32 vcc, s42, v9
                                        ; implicit-def: $vgpr9
	s_and_saveexec_b64 s[6:7], vcc
	s_xor_b64 s[30:31], exec, s[6:7]
	s_cbranch_execz .LBB68_129
; %bb.112:                              ;   in Loop: Header=BB68_4 Depth=1
	v_cmp_nlt_f32_e64 s[6:7], |v2|, s43
	v_cmp_nlt_f32_e64 s[34:35], |v1|, s43
	s_or_b64 s[6:7], s[34:35], s[6:7]
                                        ; implicit-def: $vgpr9
	s_and_saveexec_b64 s[34:35], s[6:7]
	s_xor_b64 s[34:35], exec, s[34:35]
	s_cbranch_execz .LBB68_126
; %bb.113:                              ;   in Loop: Header=BB68_4 Depth=1
	v_cmp_neq_f32_e64 s[38:39], |v2|, 1.0
	v_cmp_nlt_f32_e64 s[36:37], |v1|, s47
	s_or_b64 s[6:7], s[36:37], s[38:39]
                                        ; implicit-def: $vgpr9
	s_and_saveexec_b64 s[40:41], s[6:7]
	s_xor_b64 s[6:7], exec, s[40:41]
	s_cbranch_execz .LBB68_115
; %bb.114:                              ;   in Loop: Header=BB68_4 Depth=1
	v_add_f32_e64 v11, |v2|, -1.0
	v_mul_f32_e32 v11, v11, v11
	v_fma_f32 v12, v1, v1, v11
	v_cmp_lt_f32_e64 vcc, |v1|, s48
	v_mul_f32_e64 v9, |v2|, 4.0
	v_cndmask_b32_e32 v11, v12, v11, vcc
	v_div_scale_f32 v12, s[40:41], v11, v11, v9
	v_div_scale_f32 v36, vcc, v9, v11, v9
	v_rcp_f32_e32 v37, v12
	v_fma_f32 v38, -v12, v37, 1.0
	v_fmac_f32_e32 v37, v38, v37
	v_mul_f32_e32 v38, v36, v37
	v_fma_f32 v39, -v12, v38, v36
	v_fmac_f32_e32 v38, v39, v37
	v_fma_f32 v12, -v12, v38, v36
	v_div_fmas_f32 v12, v12, v37, v38
	v_mov_b32_e32 v37, 0x3ecc95a3
	v_div_fixup_f32 v9, v12, v11, v9
	v_add_f32_e32 v36, 1.0, v9
	v_cvt_f64_f32_e32 v[11:12], v36
	v_add_f32_e32 v38, -1.0, v36
	v_sub_f32_e32 v39, v38, v36
	v_sub_f32_e32 v38, v9, v38
	v_frexp_exp_i32_f64_e32 v11, v[11:12]
	v_frexp_mant_f32_e32 v12, v36
	v_cmp_gt_f32_e32 vcc, s49, v12
	v_add_f32_e32 v39, 1.0, v39
	v_add_f32_e32 v38, v38, v39
	v_subbrev_co_u32_e32 v11, vcc, 0, v11, vcc
	v_sub_u32_e32 v12, 0, v11
	v_cvt_f32_i32_e32 v11, v11
	v_ldexp_f32 v36, v36, v12
	v_ldexp_f32 v12, v38, v12
	v_add_f32_e32 v38, -1.0, v36
	v_add_f32_e32 v39, 1.0, v36
	v_add_f32_e32 v40, 1.0, v38
	v_add_f32_e32 v41, -1.0, v39
	v_sub_f32_e32 v40, v36, v40
	v_sub_f32_e32 v36, v36, v41
	v_mul_f32_e32 v41, 0x3f317218, v11
	v_add_f32_e32 v40, v12, v40
	v_add_f32_e32 v12, v12, v36
	v_fma_f32 v36, v11, s50, -v41
	v_add_f32_e32 v42, v38, v40
	v_add_f32_e32 v43, v39, v12
	v_fmac_f32_e32 v36, 0xb102e308, v11
	v_sub_f32_e32 v11, v42, v38
	v_sub_f32_e32 v38, v43, v39
	v_rcp_f32_e32 v39, v43
	v_add_f32_e32 v44, v41, v36
	v_sub_f32_e32 v12, v12, v38
	v_sub_f32_e32 v38, v44, v41
	;; [unrolled: 1-line block ×3, first 2 shown]
	v_mul_f32_e32 v38, v42, v39
	v_sub_f32_e32 v11, v40, v11
	v_mul_f32_e32 v40, v43, v38
	v_fma_f32 v41, v38, v43, -v40
	v_fmac_f32_e32 v41, v38, v12
	v_add_f32_e32 v45, v40, v41
	v_sub_f32_e32 v46, v42, v45
	v_sub_f32_e32 v40, v45, v40
	;; [unrolled: 1-line block ×5, first 2 shown]
	v_add_f32_e32 v11, v11, v41
	v_add_f32_e32 v11, v40, v11
	;; [unrolled: 1-line block ×3, first 2 shown]
	v_mul_f32_e32 v41, v39, v40
	v_sub_f32_e32 v42, v46, v40
	v_mul_f32_e32 v45, v43, v41
	v_add_f32_e32 v11, v11, v42
	v_add_f32_e32 v42, v38, v41
	v_fma_f32 v43, v41, v43, -v45
	v_sub_f32_e32 v38, v42, v38
	v_fmac_f32_e32 v43, v41, v12
	v_sub_f32_e32 v12, v41, v38
	v_add_f32_e32 v38, v45, v43
	v_sub_f32_e32 v41, v38, v45
	v_sub_f32_e32 v45, v40, v38
	;; [unrolled: 1-line block ×5, first 2 shown]
	v_add_f32_e32 v11, v11, v38
	v_add_f32_e32 v11, v41, v11
	;; [unrolled: 1-line block ×3, first 2 shown]
	v_mul_f32_e32 v11, v39, v11
	v_add_f32_e32 v11, v12, v11
	v_add_f32_e32 v12, v42, v11
	v_mul_f32_e32 v38, v12, v12
	v_fmac_f32_e32 v37, 0x3e9b6dac, v38
	v_sub_f32_e32 v39, v12, v42
	v_ldexp_f32 v40, v12, 1
	v_mul_f32_e32 v12, v12, v38
	v_fma_f32 v37, v38, v37, v21
	v_mul_f32_e32 v12, v12, v37
	v_add_f32_e32 v37, v40, v12
	v_sub_f32_e32 v11, v11, v39
	v_sub_f32_e32 v38, v37, v40
	v_ldexp_f32 v11, v11, 1
	v_sub_f32_e32 v12, v12, v38
	v_add_f32_e32 v11, v11, v12
	v_add_f32_e32 v12, v37, v11
	v_sub_f32_e32 v37, v12, v37
	v_sub_f32_e32 v11, v11, v37
	v_add_f32_e32 v37, v44, v12
	v_sub_f32_e32 v38, v37, v44
	v_sub_f32_e32 v39, v37, v38
	;; [unrolled: 1-line block ×4, first 2 shown]
	v_add_f32_e32 v38, v36, v11
	v_add_f32_e32 v12, v12, v39
	v_sub_f32_e32 v39, v38, v36
	v_sub_f32_e32 v40, v38, v39
	v_sub_f32_e32 v36, v36, v40
	v_sub_f32_e32 v11, v11, v39
	v_add_f32_e32 v12, v38, v12
	v_add_f32_e32 v11, v11, v36
	v_add_f32_e32 v36, v37, v12
	v_sub_f32_e32 v37, v36, v37
	v_sub_f32_e32 v12, v12, v37
	v_add_f32_e32 v11, v11, v12
	v_add_f32_e32 v11, v36, v11
	v_cmp_neq_f32_e32 vcc, s51, v9
	v_cndmask_b32_e32 v11, v29, v11, vcc
	v_cmp_ngt_f32_e32 vcc, -1.0, v9
	v_cndmask_b32_e32 v11, v30, v11, vcc
	v_cmp_neq_f32_e32 vcc, -1.0, v9
	v_cndmask_b32_e32 v11, v31, v11, vcc
	v_cmp_lt_f32_e64 vcc, |v9|, s52
	v_cndmask_b32_e32 v9, v11, v9, vcc
	v_mul_f32_e32 v9, 0x3e800000, v9
	s_andn2_saveexec_b64 s[40:41], s[6:7]
	s_cbranch_execz .LBB68_117
	s_branch .LBB68_116
.LBB68_115:                             ;   in Loop: Header=BB68_4 Depth=1
	s_andn2_saveexec_b64 s[40:41], s[6:7]
	s_cbranch_execz .LBB68_117
.LBB68_116:                             ;   in Loop: Header=BB68_4 Depth=1
	v_cmp_lt_f32_e64 vcc, |v1|, s53
	v_cndmask_b32_e64 v9, 0, 32, vcc
	v_ldexp_f32 v9, |v1|, v9
	v_log_f32_e32 v9, v9
	v_mul_f32_e32 v11, 0x3f317217, v9
	v_fma_f32 v11, v9, s54, -v11
	v_fmac_f32_e32 v11, 0x3377d1cf, v9
	v_fmac_f32_e32 v11, 0x3f317217, v9
	v_cmp_lt_f32_e64 s[6:7], |v9|, s51
	v_cndmask_b32_e64 v9, v9, v11, s[6:7]
	v_cndmask_b32_e32 v11, 0, v32, vcc
	v_sub_f32_e32 v9, v9, v11
	v_sub_f32_e32 v9, 0x3f317218, v9
	v_mul_f32_e32 v9, 0.5, v9
.LBB68_117:                             ;   in Loop: Header=BB68_4 Depth=1
	s_or_b64 exec, exec, s[40:41]
                                        ; implicit-def: $vgpr12
	s_and_saveexec_b64 s[6:7], s[38:39]
	s_xor_b64 s[38:39], exec, s[6:7]
	s_cbranch_execz .LBB68_123
; %bb.118:                              ;   in Loop: Header=BB68_4 Depth=1
	v_add_f32_e64 v10, |v1|, |v1|
	v_sub_f32_e64 v11, 1.0, |v2|
	v_add_f32_e64 v12, |v2|, 1.0
	v_mul_f32_e32 v11, v11, v12
	v_max_f32_e32 v36, v10, v10
                                        ; implicit-def: $vgpr12
	s_and_saveexec_b64 s[6:7], s[36:37]
	s_xor_b64 s[36:37], exec, s[6:7]
	s_cbranch_execz .LBB68_120
; %bb.119:                              ;   in Loop: Header=BB68_4 Depth=1
	v_fma_f32 v11, -v1, v1, v11
	v_min_f32_e64 v12, |v11|, v36
	v_max_f32_e64 v36, |v11|, v36
	v_frexp_mant_f32_e32 v37, v36
	v_rcp_f32_e32 v37, v37
	v_frexp_exp_i32_f32_e32 v36, v36
	v_frexp_exp_i32_f32_e32 v38, v12
	v_frexp_mant_f32_e32 v12, v12
	v_mul_f32_e32 v12, v12, v37
	v_sub_u32_e32 v36, v38, v36
	v_ldexp_f32 v12, v12, v36
	v_mul_f32_e32 v36, v12, v12
	v_mov_b32_e32 v37, 0xbc7a590c
	v_fmac_f32_e32 v37, 0x3b2d2a58, v36
	v_fma_f32 v37, v36, v37, v22
	v_fma_f32 v37, v36, v37, v23
	v_fma_f32 v37, v36, v37, v24
	v_fma_f32 v37, v36, v37, v25
	v_fma_f32 v37, v36, v37, v26
	v_fma_f32 v37, v36, v37, v27
	v_mul_f32_e32 v36, v36, v37
	v_fmac_f32_e32 v12, v12, v36
	v_sub_f32_e32 v36, 0x3fc90fdb, v12
	v_cmp_gt_f32_e64 vcc, v10, |v11|
	v_cndmask_b32_e32 v12, v12, v36, vcc
	v_sub_f32_e32 v36, 0x40490fdb, v12
	v_cmp_gt_f32_e32 vcc, 0, v11
	v_cmp_gt_i32_e64 s[6:7], 0, v11
	v_cndmask_b32_e32 v12, v12, v36, vcc
	v_cndmask_b32_e64 v36, 0, v33, s[6:7]
	v_cndmask_b32_e32 v37, v34, v35, vcc
	v_cmp_class_f32_e64 s[40:41], v11, s55
	v_cmp_eq_f32_e32 vcc, s51, v10
	v_cmp_eq_f32_e64 s[6:7], 0, v10
	v_cndmask_b32_e64 v10, |v12|, v36, s[6:7]
	s_and_b64 vcc, vcc, s[40:41]
	v_cndmask_b32_e32 v10, v10, v37, vcc
	v_cmp_o_f32_e32 vcc, v11, v11
	v_cndmask_b32_e32 v12, v30, v10, vcc
                                        ; implicit-def: $vgpr11
                                        ; implicit-def: $vgpr36
                                        ; implicit-def: $vgpr10
.LBB68_120:                             ;   in Loop: Header=BB68_4 Depth=1
	s_andn2_saveexec_b64 s[36:37], s[36:37]
	s_cbranch_execz .LBB68_122
; %bb.121:                              ;   in Loop: Header=BB68_4 Depth=1
	v_max_f32_e64 v12, |v11|, |v11|
	v_min_f32_e32 v37, v12, v36
	v_max_f32_e32 v12, v12, v36
	v_frexp_mant_f32_e32 v36, v12
	v_rcp_f32_e32 v36, v36
	v_frexp_exp_i32_f32_e32 v12, v12
	v_frexp_exp_i32_f32_e32 v38, v37
	v_frexp_mant_f32_e32 v37, v37
	v_mul_f32_e32 v36, v37, v36
	v_sub_u32_e32 v12, v38, v12
	v_ldexp_f32 v12, v36, v12
	v_mul_f32_e32 v36, v12, v12
	v_mov_b32_e32 v37, 0xbc7a590c
	v_fmac_f32_e32 v37, 0x3b2d2a58, v36
	v_fma_f32 v37, v36, v37, v22
	v_fma_f32 v37, v36, v37, v23
	;; [unrolled: 1-line block ×6, first 2 shown]
	v_mul_f32_e32 v36, v36, v37
	v_fmac_f32_e32 v12, v12, v36
	v_sub_f32_e32 v36, 0x3fc90fdb, v12
	v_cmp_gt_f32_e64 vcc, v10, |v11|
	v_cndmask_b32_e32 v12, v12, v36, vcc
	v_sub_f32_e32 v36, 0x40490fdb, v12
	v_cmp_gt_f32_e32 vcc, 0, v11
	v_cmp_gt_i32_e64 s[6:7], 0, v11
	v_cndmask_b32_e32 v12, v12, v36, vcc
	v_cndmask_b32_e64 v36, 0, v33, s[6:7]
	v_cndmask_b32_e32 v37, v34, v35, vcc
	v_cmp_class_f32_e64 s[40:41], v11, s55
	v_cmp_eq_f32_e32 vcc, s51, v10
	v_cmp_eq_f32_e64 s[6:7], 0, v10
	v_cndmask_b32_e64 v10, |v12|, v36, s[6:7]
	s_and_b64 vcc, vcc, s[40:41]
	v_cndmask_b32_e32 v10, v10, v37, vcc
	v_cmp_o_f32_e32 vcc, v11, v11
	v_cndmask_b32_e32 v12, v30, v10, vcc
.LBB68_122:                             ;   in Loop: Header=BB68_4 Depth=1
	s_or_b64 exec, exec, s[36:37]
                                        ; implicit-def: $vgpr10
	s_andn2_saveexec_b64 s[6:7], s[38:39]
	s_cbranch_execnz .LBB68_124
	s_branch .LBB68_125
.LBB68_123:                             ;   in Loop: Header=BB68_4 Depth=1
	s_andn2_saveexec_b64 s[6:7], s[38:39]
	s_cbranch_execz .LBB68_125
.LBB68_124:                             ;   in Loop: Header=BB68_4 Depth=1
	v_min_f32_e32 v11, 2.0, v10
	v_max_f32_e32 v10, 2.0, v10
	v_frexp_mant_f32_e32 v12, v10
	v_rcp_f32_e32 v12, v12
	v_frexp_exp_i32_f32_e32 v10, v10
	v_frexp_exp_i32_f32_e32 v36, v11
	v_frexp_mant_f32_e32 v11, v11
	v_mul_f32_e32 v11, v11, v12
	v_sub_u32_e32 v10, v36, v10
	v_ldexp_f32 v10, v11, v10
	v_mul_f32_e32 v11, v10, v10
	v_mov_b32_e32 v12, 0xbc7a590c
	v_fmac_f32_e32 v12, 0x3b2d2a58, v11
	v_fma_f32 v12, v11, v12, v22
	v_fma_f32 v12, v11, v12, v23
	;; [unrolled: 1-line block ×6, first 2 shown]
	v_mul_f32_e32 v11, v11, v12
	v_fmac_f32_e32 v10, v10, v11
	v_sub_f32_e32 v11, 0x3fc90fdb, v10
	v_cmp_lt_f32_e64 vcc, |v1|, 2.0
	v_cndmask_b32_e32 v10, v10, v11, vcc
	v_sub_f32_e32 v11, 0x40490fdb, v10
	v_cmp_lg_f32_e32 vcc, 0, v1
	v_cndmask_b32_e32 v10, v10, v11, vcc
	v_and_b32_e32 v12, 0x7fffffff, v10
.LBB68_125:                             ;   in Loop: Header=BB68_4 Depth=1
	s_or_b64 exec, exec, s[6:7]
	v_mul_f32_e32 v11, 0.5, v12
	v_bfi_b32 v10, s56, v9, v2
	v_bfi_b32 v9, s56, v11, v1
.LBB68_126:                             ;   in Loop: Header=BB68_4 Depth=1
	s_andn2_saveexec_b64 s[6:7], s[34:35]
	s_cbranch_execz .LBB68_128
; %bb.127:                              ;   in Loop: Header=BB68_4 Depth=1
	v_mov_b32_e32 v9, s18
	v_mov_b32_e32 v10, s19
	flat_store_dword v[9:10], v28
	s_waitcnt vmcnt(0)
	flat_load_dword v9, v[9:10] glc
	s_waitcnt vmcnt(0) lgkmcnt(0)
	v_add_f32_e32 v11, 1.0, v9
	v_mov_b32_e32 v9, s20
	v_mov_b32_e32 v10, s21
	flat_store_dword v[9:10], v11
	s_waitcnt vmcnt(0)
	flat_load_dword v9, v[9:10] glc
	s_waitcnt vmcnt(0) lgkmcnt(0)
	v_mov_b32_e32 v9, v1
	v_mov_b32_e32 v10, v2
.LBB68_128:                             ;   in Loop: Header=BB68_4 Depth=1
	s_or_b64 exec, exec, s[6:7]
.LBB68_129:                             ;   in Loop: Header=BB68_4 Depth=1
	s_andn2_saveexec_b64 s[6:7], s[30:31]
	s_cbranch_execz .LBB68_143
; %bb.130:                              ;   in Loop: Header=BB68_4 Depth=1
	v_and_b32_e32 v9, 0x7f800000, v2
	v_and_b32_e32 v11, 0x7f800000, v1
	v_sub_u32_e32 v10, v9, v11
	v_cmp_gt_i32_e32 vcc, s57, v10
	v_cmp_neq_f32_e64 s[30:31], |v2|, s51
	s_and_b64 s[30:31], s[30:31], vcc
                                        ; implicit-def: $vgpr10
	s_and_saveexec_b64 s[34:35], s[30:31]
	s_xor_b64 s[30:31], exec, s[34:35]
	s_cbranch_execz .LBB68_140
; %bb.131:                              ;   in Loop: Header=BB68_4 Depth=1
	v_sub_u32_e32 v10, v11, v9
	v_cmp_gt_i32_e32 vcc, s57, v10
                                        ; implicit-def: $vgpr10
	s_and_saveexec_b64 s[34:35], vcc
	s_xor_b64 s[34:35], exec, s[34:35]
	s_cbranch_execz .LBB68_137
; %bb.132:                              ;   in Loop: Header=BB68_4 Depth=1
	v_cmp_lt_u32_e32 vcc, s58, v9
                                        ; implicit-def: $vgpr10
	s_and_saveexec_b64 s[36:37], vcc
	s_xor_b64 s[36:37], exec, s[36:37]
	s_cbranch_execz .LBB68_134
; %bb.133:                              ;   in Loop: Header=BB68_4 Depth=1
	v_sub_u32_e32 v9, 0x7f800000, v9
	v_mul_f32_e32 v11, v1, v9
	v_mul_f32_e32 v10, v2, v9
	;; [unrolled: 1-line block ×3, first 2 shown]
	v_fmac_f32_e32 v11, v10, v10
	v_div_scale_f32 v12, s[38:39], v11, v11, v10
	v_div_scale_f32 v36, vcc, v10, v11, v10
	v_rcp_f32_e32 v37, v12
	v_fma_f32 v38, -v12, v37, 1.0
	v_fmac_f32_e32 v37, v38, v37
	v_mul_f32_e32 v38, v36, v37
	v_fma_f32 v39, -v12, v38, v36
	v_fmac_f32_e32 v38, v39, v37
	v_fma_f32 v12, -v12, v38, v36
	v_div_fmas_f32 v12, v12, v37, v38
	v_div_fixup_f32 v10, v12, v11, v10
	v_mul_f32_e32 v10, v10, v9
.LBB68_134:                             ;   in Loop: Header=BB68_4 Depth=1
	s_andn2_saveexec_b64 s[36:37], s[36:37]
	s_cbranch_execz .LBB68_136
; %bb.135:                              ;   in Loop: Header=BB68_4 Depth=1
	v_mul_f32_e32 v9, v2, v2
	v_fmac_f32_e32 v9, v1, v1
	v_div_scale_f32 v10, s[38:39], v9, v9, v2
	v_div_scale_f32 v11, vcc, v2, v9, v2
	v_rcp_f32_e32 v12, v10
	v_fma_f32 v36, -v10, v12, 1.0
	v_fmac_f32_e32 v12, v36, v12
	v_mul_f32_e32 v36, v11, v12
	v_fma_f32 v37, -v10, v36, v11
	v_fmac_f32_e32 v36, v37, v12
	v_fma_f32 v10, -v10, v36, v11
	v_div_fmas_f32 v10, v10, v12, v36
	v_div_fixup_f32 v10, v10, v9, v2
.LBB68_136:                             ;   in Loop: Header=BB68_4 Depth=1
	s_or_b64 exec, exec, s[36:37]
.LBB68_137:                             ;   in Loop: Header=BB68_4 Depth=1
	s_andn2_saveexec_b64 s[34:35], s[34:35]
	s_cbranch_execz .LBB68_139
; %bb.138:                              ;   in Loop: Header=BB68_4 Depth=1
	v_div_scale_f32 v9, s[36:37], v1, v1, v2
	v_div_scale_f32 v10, vcc, v2, v1, v2
	v_rcp_f32_e32 v11, v9
	v_fma_f32 v12, -v9, v11, 1.0
	v_fmac_f32_e32 v11, v12, v11
	v_mul_f32_e32 v12, v10, v11
	v_fma_f32 v36, -v9, v12, v10
	v_fmac_f32_e32 v12, v36, v11
	v_fma_f32 v9, -v9, v12, v10
	v_div_fmas_f32 v9, v9, v11, v12
	v_div_fixup_f32 v9, v9, v1, v2
	v_div_scale_f32 v10, s[36:37], v1, v1, v9
	v_div_scale_f32 v11, vcc, v9, v1, v9
	v_rcp_f32_e32 v12, v10
	v_fma_f32 v36, -v10, v12, 1.0
	v_fmac_f32_e32 v12, v36, v12
	v_mul_f32_e32 v36, v11, v12
	v_fma_f32 v37, -v10, v36, v11
	v_fmac_f32_e32 v36, v37, v12
	v_fma_f32 v10, -v10, v36, v11
	v_div_fmas_f32 v10, v10, v12, v36
	v_div_fixup_f32 v10, v10, v1, v9
.LBB68_139:                             ;   in Loop: Header=BB68_4 Depth=1
	s_or_b64 exec, exec, s[34:35]
.LBB68_140:                             ;   in Loop: Header=BB68_4 Depth=1
	s_andn2_saveexec_b64 s[30:31], s[30:31]
	s_cbranch_execz .LBB68_142
; %bb.141:                              ;   in Loop: Header=BB68_4 Depth=1
	v_div_scale_f32 v9, s[34:35], v2, v2, 1.0
	v_div_scale_f32 v10, vcc, 1.0, v2, 1.0
	v_rcp_f32_e32 v11, v9
	v_fma_f32 v12, -v9, v11, 1.0
	v_fmac_f32_e32 v11, v12, v11
	v_mul_f32_e32 v12, v10, v11
	v_fma_f32 v36, -v9, v12, v10
	v_fmac_f32_e32 v12, v36, v11
	v_fma_f32 v9, -v9, v12, v10
	v_div_fmas_f32 v9, v9, v11, v12
	v_div_fixup_f32 v10, v9, v2, 1.0
.LBB68_142:                             ;   in Loop: Header=BB68_4 Depth=1
	s_or_b64 exec, exec, s[30:31]
	v_mov_b32_e32 v11, s14
	v_mov_b32_e32 v12, s15
	flat_load_dword v9, v[11:12] glc
	s_waitcnt vmcnt(0) lgkmcnt(0)
	v_add_f32_e32 v9, 0x3fc90fdb, v9
	v_bfi_b32 v9, s56, v9, v1
.LBB68_143:                             ;   in Loop: Header=BB68_4 Depth=1
	s_or_b64 exec, exec, s[6:7]
.LBB68_144:                             ;   in Loop: Header=BB68_4 Depth=1
	s_andn2_saveexec_b64 s[6:7], s[28:29]
	s_cbranch_execz .LBB68_154
; %bb.145:                              ;   in Loop: Header=BB68_4 Depth=1
	v_cmp_neq_f32_e64 s[28:29], |v2|, s51
                                        ; implicit-def: $vgpr9
	s_and_saveexec_b64 s[30:31], s[28:29]
	s_xor_b64 s[28:29], exec, s[30:31]
	s_cbranch_execz .LBB68_151
; %bb.146:                              ;   in Loop: Header=BB68_4 Depth=1
	v_cmp_neq_f32_e64 s[30:31], |v1|, s51
                                        ; implicit-def: $vgpr9
	s_and_saveexec_b64 s[34:35], s[30:31]
	s_xor_b64 s[30:31], exec, s[34:35]
; %bb.147:                              ;   in Loop: Header=BB68_4 Depth=1
	v_add_f32_e32 v9, 0, v1
	v_add_f32_e32 v9, v9, v2
; %bb.148:                              ;   in Loop: Header=BB68_4 Depth=1
	s_or_saveexec_b64 s[30:31], s[30:31]
	v_mov_b32_e32 v10, v9
	s_xor_b64 exec, exec, s[30:31]
	s_cbranch_execz .LBB68_150
; %bb.149:                              ;   in Loop: Header=BB68_4 Depth=1
	v_mov_b32_e32 v9, s14
	v_mov_b32_e32 v10, s15
	flat_load_dword v9, v[9:10] glc
	s_waitcnt vmcnt(0)
	v_bfi_b32 v10, s56, 0, v2
	s_waitcnt lgkmcnt(0)
	v_add_f32_e32 v9, 0x3fc90fdb, v9
	v_bfi_b32 v9, s56, v9, v1
.LBB68_150:                             ;   in Loop: Header=BB68_4 Depth=1
	s_or_b64 exec, exec, s[30:31]
.LBB68_151:                             ;   in Loop: Header=BB68_4 Depth=1
	s_andn2_saveexec_b64 s[28:29], s[28:29]
; %bb.152:                              ;   in Loop: Header=BB68_4 Depth=1
	v_bfi_b32 v10, s56, 0, v2
	v_add_f32_e32 v9, v1, v1
; %bb.153:                              ;   in Loop: Header=BB68_4 Depth=1
	s_or_b64 exec, exec, s[28:29]
.LBB68_154:                             ;   in Loop: Header=BB68_4 Depth=1
	s_or_b64 exec, exec, s[6:7]
.LBB68_155:                             ;   in Loop: Header=BB68_4 Depth=1
	s_andn2_saveexec_b64 s[6:7], s[26:27]
	s_cbranch_execz .LBB68_157
; %bb.156:                              ;   in Loop: Header=BB68_4 Depth=1
	v_rcp_f32_e64 v9, |v1|
	v_cmp_gt_f32_e64 vcc, |v1|, 1.0
	v_mov_b32_e32 v10, 0xbc7a590c
	v_cndmask_b32_e64 v9, |v1|, v9, vcc
	v_mul_f32_e32 v11, v9, v9
	v_fmac_f32_e32 v10, 0x3b2d2a58, v11
	v_fma_f32 v10, v11, v10, v22
	v_fma_f32 v10, v11, v10, v23
	;; [unrolled: 1-line block ×6, first 2 shown]
	v_mul_f32_e32 v10, v11, v10
	v_fmac_f32_e32 v9, v9, v10
	v_sub_f32_e32 v10, 0x3fc90fdb, v9
	v_cndmask_b32_e32 v9, v9, v10, vcc
	v_bfi_b32 v9, s56, v9, v1
	v_mov_b32_e32 v10, v2
.LBB68_157:                             ;   in Loop: Header=BB68_4 Depth=1
	s_or_b64 exec, exec, s[6:7]
.LBB68_158:                             ;   in Loop: Header=BB68_4 Depth=1
	s_andn2_saveexec_b64 s[6:7], s[24:25]
	s_cbranch_execz .LBB68_160
; %bb.159:                              ;   in Loop: Header=BB68_4 Depth=1
	v_sub_f32_e64 v9, 1.0, |v2|
	v_rcp_f32_e32 v10, v9
	v_add_f32_e64 v11, |v2|, 1.0
	v_sub_f32_e32 v12, 1.0, v9
	v_sub_f32_e64 v12, v12, |v2|
	v_mul_f32_e32 v36, v11, v10
	v_mul_f32_e32 v37, v9, v36
	v_fma_f32 v9, v36, v9, -v37
	v_fmac_f32_e32 v9, v36, v12
	v_add_f32_e32 v38, v37, v9
	v_sub_f32_e32 v39, v11, v38
	v_add_f32_e32 v12, -1.0, v11
	v_sub_f32_e32 v37, v38, v37
	v_sub_f32_e32 v11, v11, v39
	;; [unrolled: 1-line block ×4, first 2 shown]
	v_sub_f32_e64 v12, |v2|, v12
	v_add_f32_e32 v9, v9, v11
	v_add_f32_e32 v9, v12, v9
	;; [unrolled: 1-line block ×3, first 2 shown]
	v_mul_f32_e32 v11, v10, v9
	v_add_f32_e32 v12, v36, v11
	v_cvt_f64_f32_e32 v[9:10], v12
	v_cmp_lt_f32_e64 s[24:25], |v2|, s59
	v_frexp_exp_i32_f64_e32 v9, v[9:10]
	v_sub_f32_e32 v10, v12, v36
	v_frexp_mant_f32_e32 v36, v12
	v_cmp_gt_f32_e32 vcc, s49, v36
	v_sub_f32_e32 v10, v11, v10
	v_subbrev_co_u32_e32 v9, vcc, 0, v9, vcc
	v_sub_u32_e32 v11, 0, v9
	v_ldexp_f32 v12, v12, v11
	v_ldexp_f32 v10, v10, v11
	v_add_f32_e32 v11, -1.0, v12
	v_add_f32_e32 v38, 1.0, v12
	v_add_f32_e32 v36, 1.0, v11
	v_add_f32_e32 v39, -1.0, v38
	v_sub_f32_e32 v36, v12, v36
	v_sub_f32_e32 v12, v12, v39
	v_add_f32_e32 v36, v10, v36
	v_add_f32_e32 v10, v10, v12
	v_add_f32_e32 v12, v38, v10
	v_rcp_f32_e32 v39, v12
	v_add_f32_e32 v37, v11, v36
	v_sub_f32_e32 v11, v37, v11
	v_sub_f32_e32 v11, v36, v11
	;; [unrolled: 1-line block ×4, first 2 shown]
	v_mul_f32_e32 v36, v37, v39
	v_mul_f32_e32 v38, v12, v36
	v_fma_f32 v40, v36, v12, -v38
	v_fmac_f32_e32 v40, v36, v10
	v_add_f32_e32 v41, v38, v40
	v_sub_f32_e32 v42, v37, v41
	v_sub_f32_e32 v37, v37, v42
	;; [unrolled: 1-line block ×4, first 2 shown]
	v_add_f32_e32 v11, v11, v37
	v_sub_f32_e32 v37, v38, v40
	v_add_f32_e32 v11, v37, v11
	v_add_f32_e32 v37, v42, v11
	v_mul_f32_e32 v38, v39, v37
	v_mul_f32_e32 v40, v12, v38
	v_fma_f32 v12, v38, v12, -v40
	v_fmac_f32_e32 v12, v38, v10
	v_sub_f32_e32 v10, v42, v37
	v_add_f32_e32 v10, v11, v10
	v_add_f32_e32 v11, v40, v12
	v_sub_f32_e32 v41, v37, v11
	v_sub_f32_e32 v37, v37, v41
	;; [unrolled: 1-line block ×4, first 2 shown]
	v_add_f32_e32 v10, v10, v11
	v_sub_f32_e32 v11, v40, v12
	v_cvt_f32_i32_e32 v9, v9
	v_add_f32_e32 v10, v11, v10
	v_add_f32_e32 v11, v36, v38
	;; [unrolled: 1-line block ×3, first 2 shown]
	v_sub_f32_e32 v12, v11, v36
	v_mul_f32_e32 v10, v39, v10
	v_sub_f32_e32 v12, v38, v12
	v_add_f32_e32 v10, v12, v10
	v_mul_f32_e32 v38, 0x3f317218, v9
	v_add_f32_e32 v12, v11, v10
	v_fma_f32 v39, v9, s50, -v38
	v_mul_f32_e32 v36, v12, v12
	v_mov_b32_e32 v37, 0x3ecc95a3
	v_fmac_f32_e32 v39, 0xb102e308, v9
	v_sub_f32_e32 v9, v12, v11
	v_fmac_f32_e32 v37, 0x3e9b6dac, v36
	v_sub_f32_e32 v9, v10, v9
	v_add_f32_e32 v10, v38, v39
	v_fma_f32 v37, v36, v37, v21
	v_sub_f32_e32 v11, v10, v38
	v_ldexp_f32 v38, v12, 1
	v_mul_f32_e32 v12, v12, v36
	v_mul_f32_e32 v12, v12, v37
	v_add_f32_e32 v36, v38, v12
	v_sub_f32_e32 v37, v36, v38
	v_ldexp_f32 v9, v9, 1
	v_sub_f32_e32 v12, v12, v37
	v_add_f32_e32 v9, v9, v12
	v_add_f32_e32 v12, v36, v9
	v_sub_f32_e32 v36, v12, v36
	v_sub_f32_e32 v9, v9, v36
	v_add_f32_e32 v36, v10, v12
	v_sub_f32_e32 v37, v36, v10
	v_sub_f32_e32 v38, v36, v37
	;; [unrolled: 1-line block ×5, first 2 shown]
	v_add_f32_e32 v10, v12, v10
	v_add_f32_e32 v12, v11, v9
	v_sub_f32_e32 v37, v12, v11
	v_sub_f32_e32 v38, v12, v37
	;; [unrolled: 1-line block ×4, first 2 shown]
	v_add_f32_e32 v10, v12, v10
	v_add_f32_e32 v9, v9, v11
	;; [unrolled: 1-line block ×3, first 2 shown]
	v_sub_f32_e32 v12, v11, v36
	v_sub_f32_e32 v10, v10, v12
	v_add_f32_e32 v9, v9, v10
	v_add_f32_e32 v9, v11, v9
	v_mul_f32_e32 v9, 0.5, v9
	v_cndmask_b32_e64 v9, v9, |v2|, s[24:25]
	v_cmp_neq_f32_e64 vcc, |v2|, 1.0
	v_cndmask_b32_e32 v9, v29, v9, vcc
	v_bfi_b32 v10, s56, v9, v2
	v_mov_b32_e32 v9, v1
.LBB68_160:                             ;   in Loop: Header=BB68_4 Depth=1
	s_or_b64 exec, exec, s[6:7]
	v_mov_b32_e32 v1, s14
	v_cmp_neq_f32_e32 vcc, 0, v3
	v_cmp_nle_f32_e64 s[6:7], |v4|, 1.0
	v_mov_b32_e32 v2, s15
	s_or_b64 s[6:7], vcc, s[6:7]
	flat_store_dword v[1:2], v20
	s_waitcnt vmcnt(0)
	s_and_saveexec_b64 s[24:25], s[6:7]
	s_xor_b64 s[24:25], exec, s[24:25]
	s_cbranch_execz .LBB68_210
; %bb.161:                              ;   in Loop: Header=BB68_4 Depth=1
	v_cmp_neq_f32_e32 vcc, 0, v4
	s_and_saveexec_b64 s[6:7], vcc
	s_xor_b64 s[26:27], exec, s[6:7]
	s_cbranch_execz .LBB68_207
; %bb.162:                              ;   in Loop: Header=BB68_4 Depth=1
	v_cmp_o_f32_e32 vcc, v4, v3
	s_and_saveexec_b64 s[6:7], vcc
	s_xor_b64 s[28:29], exec, s[6:7]
	s_cbranch_execz .LBB68_196
; %bb.163:                              ;   in Loop: Header=BB68_4 Depth=1
	v_max_f32_e64 v2, |v4|, |v4|
	v_max_f32_e64 v1, |v3|, |v3|
	v_max_f32_e32 v2, v1, v2
	v_cmp_nlt_f32_e32 vcc, s42, v2
	s_and_saveexec_b64 s[6:7], vcc
	s_xor_b64 s[30:31], exec, s[6:7]
	s_cbranch_execz .LBB68_181
; %bb.164:                              ;   in Loop: Header=BB68_4 Depth=1
	v_cmp_nlt_f32_e64 s[6:7], |v4|, s43
	v_cmp_nlt_f32_e64 s[34:35], |v3|, s43
	s_or_b64 s[6:7], s[34:35], s[6:7]
	s_and_saveexec_b64 s[34:35], s[6:7]
	s_xor_b64 s[34:35], exec, s[34:35]
	s_cbranch_execz .LBB68_178
; %bb.165:                              ;   in Loop: Header=BB68_4 Depth=1
	v_cmp_neq_f32_e64 s[38:39], |v4|, 1.0
	v_cmp_nlt_f32_e64 s[36:37], |v3|, s47
	s_or_b64 s[6:7], s[36:37], s[38:39]
                                        ; implicit-def: $vgpr2
	s_and_saveexec_b64 s[40:41], s[6:7]
	s_xor_b64 s[6:7], exec, s[40:41]
	s_cbranch_execz .LBB68_167
; %bb.166:                              ;   in Loop: Header=BB68_4 Depth=1
	v_add_f32_e64 v11, |v4|, -1.0
	v_mul_f32_e32 v11, v11, v11
	v_fma_f32 v12, v3, v3, v11
	v_cmp_lt_f32_e64 vcc, |v3|, s48
	v_mul_f32_e64 v2, |v4|, 4.0
	v_cndmask_b32_e32 v11, v12, v11, vcc
	v_div_scale_f32 v12, s[40:41], v11, v11, v2
	v_div_scale_f32 v36, vcc, v2, v11, v2
	v_rcp_f32_e32 v37, v12
	v_fma_f32 v38, -v12, v37, 1.0
	v_fmac_f32_e32 v37, v38, v37
	v_mul_f32_e32 v38, v36, v37
	v_fma_f32 v39, -v12, v38, v36
	v_fmac_f32_e32 v38, v39, v37
	v_fma_f32 v12, -v12, v38, v36
	v_div_fmas_f32 v12, v12, v37, v38
	v_mov_b32_e32 v37, 0x3ecc95a3
	v_div_fixup_f32 v2, v12, v11, v2
	v_add_f32_e32 v36, 1.0, v2
	v_cvt_f64_f32_e32 v[11:12], v36
	v_add_f32_e32 v38, -1.0, v36
	v_sub_f32_e32 v39, v38, v36
	v_sub_f32_e32 v38, v2, v38
	v_frexp_exp_i32_f64_e32 v11, v[11:12]
	v_frexp_mant_f32_e32 v12, v36
	v_cmp_gt_f32_e32 vcc, s49, v12
	v_add_f32_e32 v39, 1.0, v39
	v_add_f32_e32 v38, v38, v39
	v_subbrev_co_u32_e32 v11, vcc, 0, v11, vcc
	v_sub_u32_e32 v12, 0, v11
	v_cvt_f32_i32_e32 v11, v11
	v_ldexp_f32 v36, v36, v12
	v_ldexp_f32 v12, v38, v12
	v_add_f32_e32 v38, -1.0, v36
	v_add_f32_e32 v39, 1.0, v36
	v_add_f32_e32 v40, 1.0, v38
	v_add_f32_e32 v41, -1.0, v39
	v_sub_f32_e32 v40, v36, v40
	v_sub_f32_e32 v36, v36, v41
	v_mul_f32_e32 v41, 0x3f317218, v11
	v_add_f32_e32 v40, v12, v40
	v_add_f32_e32 v12, v12, v36
	v_fma_f32 v36, v11, s50, -v41
	v_add_f32_e32 v42, v38, v40
	v_add_f32_e32 v43, v39, v12
	v_fmac_f32_e32 v36, 0xb102e308, v11
	v_sub_f32_e32 v11, v42, v38
	v_sub_f32_e32 v38, v43, v39
	v_rcp_f32_e32 v39, v43
	v_add_f32_e32 v44, v41, v36
	v_sub_f32_e32 v12, v12, v38
	v_sub_f32_e32 v38, v44, v41
	v_sub_f32_e32 v36, v36, v38
	v_mul_f32_e32 v38, v42, v39
	v_sub_f32_e32 v11, v40, v11
	v_mul_f32_e32 v40, v43, v38
	v_fma_f32 v41, v38, v43, -v40
	v_fmac_f32_e32 v41, v38, v12
	v_add_f32_e32 v45, v40, v41
	v_sub_f32_e32 v46, v42, v45
	v_sub_f32_e32 v40, v45, v40
	;; [unrolled: 1-line block ×5, first 2 shown]
	v_add_f32_e32 v11, v11, v41
	v_add_f32_e32 v11, v40, v11
	v_add_f32_e32 v40, v46, v11
	v_mul_f32_e32 v41, v39, v40
	v_sub_f32_e32 v42, v46, v40
	v_mul_f32_e32 v45, v43, v41
	v_add_f32_e32 v11, v11, v42
	v_add_f32_e32 v42, v38, v41
	v_fma_f32 v43, v41, v43, -v45
	v_sub_f32_e32 v38, v42, v38
	v_fmac_f32_e32 v43, v41, v12
	v_sub_f32_e32 v12, v41, v38
	v_add_f32_e32 v38, v45, v43
	v_sub_f32_e32 v41, v38, v45
	v_sub_f32_e32 v45, v40, v38
	v_sub_f32_e32 v40, v40, v45
	v_sub_f32_e32 v38, v40, v38
	v_sub_f32_e32 v41, v41, v43
	v_add_f32_e32 v11, v11, v38
	v_add_f32_e32 v11, v41, v11
	;; [unrolled: 1-line block ×3, first 2 shown]
	v_mul_f32_e32 v11, v39, v11
	v_add_f32_e32 v11, v12, v11
	v_add_f32_e32 v12, v42, v11
	v_mul_f32_e32 v38, v12, v12
	v_fmac_f32_e32 v37, 0x3e9b6dac, v38
	v_sub_f32_e32 v39, v12, v42
	v_ldexp_f32 v40, v12, 1
	v_mul_f32_e32 v12, v12, v38
	v_fma_f32 v37, v38, v37, v21
	v_mul_f32_e32 v12, v12, v37
	v_add_f32_e32 v37, v40, v12
	v_sub_f32_e32 v11, v11, v39
	v_sub_f32_e32 v38, v37, v40
	v_ldexp_f32 v11, v11, 1
	v_sub_f32_e32 v12, v12, v38
	v_add_f32_e32 v11, v11, v12
	v_add_f32_e32 v12, v37, v11
	v_sub_f32_e32 v37, v12, v37
	v_sub_f32_e32 v11, v11, v37
	v_add_f32_e32 v37, v44, v12
	v_sub_f32_e32 v38, v37, v44
	v_sub_f32_e32 v39, v37, v38
	;; [unrolled: 1-line block ×4, first 2 shown]
	v_add_f32_e32 v38, v36, v11
	v_add_f32_e32 v12, v12, v39
	v_sub_f32_e32 v39, v38, v36
	v_sub_f32_e32 v40, v38, v39
	;; [unrolled: 1-line block ×4, first 2 shown]
	v_add_f32_e32 v12, v38, v12
	v_add_f32_e32 v11, v11, v36
	;; [unrolled: 1-line block ×3, first 2 shown]
	v_sub_f32_e32 v37, v36, v37
	v_sub_f32_e32 v12, v12, v37
	v_add_f32_e32 v11, v11, v12
	v_add_f32_e32 v11, v36, v11
	v_cmp_neq_f32_e32 vcc, s51, v2
	v_cndmask_b32_e32 v11, v29, v11, vcc
	v_cmp_ngt_f32_e32 vcc, -1.0, v2
	v_cndmask_b32_e32 v11, v30, v11, vcc
	v_cmp_neq_f32_e32 vcc, -1.0, v2
	v_cndmask_b32_e32 v11, v31, v11, vcc
	v_cmp_lt_f32_e64 vcc, |v2|, s52
	v_cndmask_b32_e32 v2, v11, v2, vcc
	v_mul_f32_e32 v2, 0x3e800000, v2
	s_andn2_saveexec_b64 s[40:41], s[6:7]
	s_cbranch_execz .LBB68_169
	s_branch .LBB68_168
.LBB68_167:                             ;   in Loop: Header=BB68_4 Depth=1
	s_andn2_saveexec_b64 s[40:41], s[6:7]
	s_cbranch_execz .LBB68_169
.LBB68_168:                             ;   in Loop: Header=BB68_4 Depth=1
	v_cmp_lt_f32_e64 vcc, |v3|, s53
	v_cndmask_b32_e64 v2, 0, 32, vcc
	v_ldexp_f32 v2, |v3|, v2
	v_log_f32_e32 v2, v2
	v_mul_f32_e32 v11, 0x3f317217, v2
	v_fma_f32 v11, v2, s54, -v11
	v_fmac_f32_e32 v11, 0x3377d1cf, v2
	v_fmac_f32_e32 v11, 0x3f317217, v2
	v_cmp_lt_f32_e64 s[6:7], |v2|, s51
	v_cndmask_b32_e64 v2, v2, v11, s[6:7]
	v_cndmask_b32_e32 v11, 0, v32, vcc
	v_sub_f32_e32 v2, v2, v11
	v_sub_f32_e32 v2, 0x3f317218, v2
	v_mul_f32_e32 v2, 0.5, v2
.LBB68_169:                             ;   in Loop: Header=BB68_4 Depth=1
	s_or_b64 exec, exec, s[40:41]
                                        ; implicit-def: $vgpr12
	s_and_saveexec_b64 s[6:7], s[38:39]
	s_xor_b64 s[38:39], exec, s[6:7]
	s_cbranch_execz .LBB68_175
; %bb.170:                              ;   in Loop: Header=BB68_4 Depth=1
	v_add_f32_e64 v1, |v3|, |v3|
	v_sub_f32_e64 v11, 1.0, |v4|
	v_add_f32_e64 v12, |v4|, 1.0
	v_mul_f32_e32 v11, v11, v12
	v_max_f32_e32 v36, v1, v1
                                        ; implicit-def: $vgpr12
	s_and_saveexec_b64 s[6:7], s[36:37]
	s_xor_b64 s[36:37], exec, s[6:7]
	s_cbranch_execz .LBB68_172
; %bb.171:                              ;   in Loop: Header=BB68_4 Depth=1
	v_fma_f32 v11, -v3, v3, v11
	v_min_f32_e64 v12, |v11|, v36
	v_max_f32_e64 v36, |v11|, v36
	v_frexp_mant_f32_e32 v37, v36
	v_rcp_f32_e32 v37, v37
	v_frexp_exp_i32_f32_e32 v36, v36
	v_frexp_exp_i32_f32_e32 v38, v12
	v_frexp_mant_f32_e32 v12, v12
	v_mul_f32_e32 v12, v12, v37
	v_sub_u32_e32 v36, v38, v36
	v_ldexp_f32 v12, v12, v36
	v_mul_f32_e32 v36, v12, v12
	v_mov_b32_e32 v37, 0xbc7a590c
	v_fmac_f32_e32 v37, 0x3b2d2a58, v36
	v_fma_f32 v37, v36, v37, v22
	v_fma_f32 v37, v36, v37, v23
	;; [unrolled: 1-line block ×6, first 2 shown]
	v_mul_f32_e32 v36, v36, v37
	v_fmac_f32_e32 v12, v12, v36
	v_sub_f32_e32 v36, 0x3fc90fdb, v12
	v_cmp_gt_f32_e64 vcc, v1, |v11|
	v_cndmask_b32_e32 v12, v12, v36, vcc
	v_sub_f32_e32 v36, 0x40490fdb, v12
	v_cmp_gt_f32_e32 vcc, 0, v11
	v_cmp_gt_i32_e64 s[6:7], 0, v11
	v_cndmask_b32_e32 v12, v12, v36, vcc
	v_cndmask_b32_e64 v36, 0, v33, s[6:7]
	v_cndmask_b32_e32 v37, v34, v35, vcc
	v_cmp_class_f32_e64 s[40:41], v11, s55
	v_cmp_eq_f32_e32 vcc, s51, v1
	v_cmp_eq_f32_e64 s[6:7], 0, v1
	v_cndmask_b32_e64 v1, |v12|, v36, s[6:7]
	s_and_b64 vcc, vcc, s[40:41]
	v_cndmask_b32_e32 v1, v1, v37, vcc
	v_cmp_o_f32_e32 vcc, v11, v11
	v_cndmask_b32_e32 v12, v30, v1, vcc
                                        ; implicit-def: $vgpr11
                                        ; implicit-def: $vgpr36
                                        ; implicit-def: $vgpr1
.LBB68_172:                             ;   in Loop: Header=BB68_4 Depth=1
	s_andn2_saveexec_b64 s[36:37], s[36:37]
	s_cbranch_execz .LBB68_174
; %bb.173:                              ;   in Loop: Header=BB68_4 Depth=1
	v_max_f32_e64 v12, |v11|, |v11|
	v_min_f32_e32 v37, v12, v36
	v_max_f32_e32 v12, v12, v36
	v_frexp_mant_f32_e32 v36, v12
	v_rcp_f32_e32 v36, v36
	v_frexp_exp_i32_f32_e32 v12, v12
	v_frexp_exp_i32_f32_e32 v38, v37
	v_frexp_mant_f32_e32 v37, v37
	v_mul_f32_e32 v36, v37, v36
	v_sub_u32_e32 v12, v38, v12
	v_ldexp_f32 v12, v36, v12
	v_mul_f32_e32 v36, v12, v12
	v_mov_b32_e32 v37, 0xbc7a590c
	v_fmac_f32_e32 v37, 0x3b2d2a58, v36
	v_fma_f32 v37, v36, v37, v22
	v_fma_f32 v37, v36, v37, v23
	;; [unrolled: 1-line block ×6, first 2 shown]
	v_mul_f32_e32 v36, v36, v37
	v_fmac_f32_e32 v12, v12, v36
	v_sub_f32_e32 v36, 0x3fc90fdb, v12
	v_cmp_gt_f32_e64 vcc, v1, |v11|
	v_cndmask_b32_e32 v12, v12, v36, vcc
	v_sub_f32_e32 v36, 0x40490fdb, v12
	v_cmp_gt_f32_e32 vcc, 0, v11
	v_cmp_gt_i32_e64 s[6:7], 0, v11
	v_cndmask_b32_e32 v12, v12, v36, vcc
	v_cndmask_b32_e64 v36, 0, v33, s[6:7]
	v_cndmask_b32_e32 v37, v34, v35, vcc
	v_cmp_class_f32_e64 s[40:41], v11, s55
	v_cmp_eq_f32_e32 vcc, s51, v1
	v_cmp_eq_f32_e64 s[6:7], 0, v1
	v_cndmask_b32_e64 v1, |v12|, v36, s[6:7]
	s_and_b64 vcc, vcc, s[40:41]
	v_cndmask_b32_e32 v1, v1, v37, vcc
	v_cmp_o_f32_e32 vcc, v11, v11
	v_cndmask_b32_e32 v12, v30, v1, vcc
.LBB68_174:                             ;   in Loop: Header=BB68_4 Depth=1
	s_or_b64 exec, exec, s[36:37]
                                        ; implicit-def: $vgpr1
	s_andn2_saveexec_b64 s[6:7], s[38:39]
	s_cbranch_execnz .LBB68_176
	s_branch .LBB68_177
.LBB68_175:                             ;   in Loop: Header=BB68_4 Depth=1
	s_andn2_saveexec_b64 s[6:7], s[38:39]
	s_cbranch_execz .LBB68_177
.LBB68_176:                             ;   in Loop: Header=BB68_4 Depth=1
	v_min_f32_e32 v11, 2.0, v1
	v_max_f32_e32 v1, 2.0, v1
	v_frexp_mant_f32_e32 v12, v1
	v_rcp_f32_e32 v12, v12
	v_frexp_exp_i32_f32_e32 v1, v1
	v_frexp_exp_i32_f32_e32 v36, v11
	v_frexp_mant_f32_e32 v11, v11
	v_mul_f32_e32 v11, v11, v12
	v_sub_u32_e32 v1, v36, v1
	v_ldexp_f32 v1, v11, v1
	v_mul_f32_e32 v11, v1, v1
	v_mov_b32_e32 v12, 0xbc7a590c
	v_fmac_f32_e32 v12, 0x3b2d2a58, v11
	v_fma_f32 v12, v11, v12, v22
	v_fma_f32 v12, v11, v12, v23
	;; [unrolled: 1-line block ×6, first 2 shown]
	v_mul_f32_e32 v11, v11, v12
	v_fmac_f32_e32 v1, v1, v11
	v_sub_f32_e32 v11, 0x3fc90fdb, v1
	v_cmp_lt_f32_e64 vcc, |v3|, 2.0
	v_cndmask_b32_e32 v1, v1, v11, vcc
	v_sub_f32_e32 v11, 0x40490fdb, v1
	v_cmp_lg_f32_e32 vcc, 0, v3
	v_cndmask_b32_e32 v1, v1, v11, vcc
	v_and_b32_e32 v12, 0x7fffffff, v1
.LBB68_177:                             ;   in Loop: Header=BB68_4 Depth=1
	s_or_b64 exec, exec, s[6:7]
	v_mul_f32_e32 v1, 0.5, v12
	v_bfi_b32 v12, s56, v2, v4
	v_bfi_b32 v11, s56, v1, v3
                                        ; implicit-def: $vgpr3
.LBB68_178:                             ;   in Loop: Header=BB68_4 Depth=1
	s_andn2_saveexec_b64 s[6:7], s[34:35]
	s_cbranch_execz .LBB68_180
; %bb.179:                              ;   in Loop: Header=BB68_4 Depth=1
	v_mov_b32_e32 v1, s18
	v_mov_b32_e32 v2, s19
	flat_store_dword v[1:2], v28
	s_waitcnt vmcnt(0)
	flat_load_dword v1, v[1:2] glc
	s_waitcnt vmcnt(0)
	v_mov_b32_e32 v12, v4
	s_waitcnt lgkmcnt(0)
	v_add_f32_e32 v11, 1.0, v1
	v_mov_b32_e32 v1, s20
	v_mov_b32_e32 v2, s21
	flat_store_dword v[1:2], v11
	s_waitcnt vmcnt(0)
	flat_load_dword v1, v[1:2] glc
	s_waitcnt vmcnt(0)
	v_mov_b32_e32 v11, v3
.LBB68_180:                             ;   in Loop: Header=BB68_4 Depth=1
	s_or_b64 exec, exec, s[6:7]
                                        ; implicit-def: $vgpr1_vgpr2_vgpr3_vgpr4
.LBB68_181:                             ;   in Loop: Header=BB68_4 Depth=1
	s_andn2_saveexec_b64 s[6:7], s[30:31]
	s_cbranch_execz .LBB68_195
; %bb.182:                              ;   in Loop: Header=BB68_4 Depth=1
	s_waitcnt lgkmcnt(0)
	v_and_b32_e32 v1, 0x7f800000, v4
	v_and_b32_e32 v2, 0x7f800000, v3
	v_sub_u32_e32 v11, v1, v2
	v_cmp_gt_i32_e32 vcc, s57, v11
	v_cmp_neq_f32_e64 s[30:31], |v4|, s51
	s_and_b64 s[30:31], s[30:31], vcc
	s_and_saveexec_b64 s[34:35], s[30:31]
	s_xor_b64 s[30:31], exec, s[34:35]
	s_cbranch_execz .LBB68_192
; %bb.183:                              ;   in Loop: Header=BB68_4 Depth=1
	v_sub_u32_e32 v2, v2, v1
	v_cmp_gt_i32_e32 vcc, s57, v2
	s_and_saveexec_b64 s[34:35], vcc
	s_xor_b64 s[34:35], exec, s[34:35]
	s_cbranch_execz .LBB68_189
; %bb.184:                              ;   in Loop: Header=BB68_4 Depth=1
	v_cmp_lt_u32_e32 vcc, s58, v1
	s_and_saveexec_b64 s[36:37], vcc
	s_xor_b64 s[36:37], exec, s[36:37]
	s_cbranch_execz .LBB68_186
; %bb.185:                              ;   in Loop: Header=BB68_4 Depth=1
	v_sub_u32_e32 v1, 0x7f800000, v1
	v_mul_f32_e32 v11, v3, v1
	v_mul_f32_e32 v2, v4, v1
	;; [unrolled: 1-line block ×3, first 2 shown]
	v_fmac_f32_e32 v11, v2, v2
	v_div_scale_f32 v12, s[38:39], v11, v11, v2
	v_div_scale_f32 v36, vcc, v2, v11, v2
	v_rcp_f32_e32 v37, v12
	v_fma_f32 v38, -v12, v37, 1.0
	v_fmac_f32_e32 v37, v38, v37
	v_mul_f32_e32 v38, v36, v37
	v_fma_f32 v39, -v12, v38, v36
	v_fmac_f32_e32 v38, v39, v37
	v_fma_f32 v12, -v12, v38, v36
	v_div_fmas_f32 v12, v12, v37, v38
	v_div_fixup_f32 v2, v12, v11, v2
	v_mul_f32_e32 v12, v2, v1
.LBB68_186:                             ;   in Loop: Header=BB68_4 Depth=1
	s_andn2_saveexec_b64 s[36:37], s[36:37]
	s_cbranch_execz .LBB68_188
; %bb.187:                              ;   in Loop: Header=BB68_4 Depth=1
	v_mul_f32_e32 v1, v4, v4
	v_fmac_f32_e32 v1, v3, v3
	v_div_scale_f32 v2, s[38:39], v1, v1, v4
	v_div_scale_f32 v11, vcc, v4, v1, v4
	v_rcp_f32_e32 v12, v2
	v_fma_f32 v36, -v2, v12, 1.0
	v_fmac_f32_e32 v12, v36, v12
	v_mul_f32_e32 v36, v11, v12
	v_fma_f32 v37, -v2, v36, v11
	v_fmac_f32_e32 v36, v37, v12
	v_fma_f32 v2, -v2, v36, v11
	v_div_fmas_f32 v2, v2, v12, v36
	v_div_fixup_f32 v12, v2, v1, v4
.LBB68_188:                             ;   in Loop: Header=BB68_4 Depth=1
	s_or_b64 exec, exec, s[36:37]
.LBB68_189:                             ;   in Loop: Header=BB68_4 Depth=1
	s_andn2_saveexec_b64 s[34:35], s[34:35]
	s_cbranch_execz .LBB68_191
; %bb.190:                              ;   in Loop: Header=BB68_4 Depth=1
	v_div_scale_f32 v1, s[36:37], v3, v3, v4
	v_div_scale_f32 v2, vcc, v4, v3, v4
	v_rcp_f32_e32 v11, v1
	v_fma_f32 v12, -v1, v11, 1.0
	v_fmac_f32_e32 v11, v12, v11
	v_mul_f32_e32 v12, v2, v11
	v_fma_f32 v36, -v1, v12, v2
	v_fmac_f32_e32 v12, v36, v11
	v_fma_f32 v1, -v1, v12, v2
	v_div_fmas_f32 v1, v1, v11, v12
	v_div_fixup_f32 v1, v1, v3, v4
	v_div_scale_f32 v2, s[36:37], v3, v3, v1
	v_div_scale_f32 v11, vcc, v1, v3, v1
	v_rcp_f32_e32 v12, v2
	v_fma_f32 v36, -v2, v12, 1.0
	v_fmac_f32_e32 v12, v36, v12
	v_mul_f32_e32 v36, v11, v12
	v_fma_f32 v37, -v2, v36, v11
	v_fmac_f32_e32 v36, v37, v12
	v_fma_f32 v2, -v2, v36, v11
	v_div_fmas_f32 v2, v2, v12, v36
	v_div_fixup_f32 v12, v2, v3, v1
.LBB68_191:                             ;   in Loop: Header=BB68_4 Depth=1
	s_or_b64 exec, exec, s[34:35]
.LBB68_192:                             ;   in Loop: Header=BB68_4 Depth=1
	s_andn2_saveexec_b64 s[30:31], s[30:31]
	s_cbranch_execz .LBB68_194
; %bb.193:                              ;   in Loop: Header=BB68_4 Depth=1
	v_div_scale_f32 v1, s[34:35], v4, v4, 1.0
	v_div_scale_f32 v2, vcc, 1.0, v4, 1.0
	v_rcp_f32_e32 v11, v1
	v_fma_f32 v12, -v1, v11, 1.0
	v_fmac_f32_e32 v11, v12, v11
	v_mul_f32_e32 v12, v2, v11
	v_fma_f32 v36, -v1, v12, v2
	v_fmac_f32_e32 v12, v36, v11
	v_fma_f32 v1, -v1, v12, v2
	v_div_fmas_f32 v1, v1, v11, v12
	v_div_fixup_f32 v12, v1, v4, 1.0
.LBB68_194:                             ;   in Loop: Header=BB68_4 Depth=1
	s_or_b64 exec, exec, s[30:31]
	v_mov_b32_e32 v1, s14
	v_mov_b32_e32 v2, s15
	flat_load_dword v1, v[1:2] glc
	s_waitcnt vmcnt(0) lgkmcnt(0)
	v_add_f32_e32 v1, 0x3fc90fdb, v1
	v_bfi_b32 v11, s56, v1, v3
.LBB68_195:                             ;   in Loop: Header=BB68_4 Depth=1
	s_or_b64 exec, exec, s[6:7]
                                        ; implicit-def: $vgpr1_vgpr2_vgpr3_vgpr4
.LBB68_196:                             ;   in Loop: Header=BB68_4 Depth=1
	s_andn2_saveexec_b64 s[6:7], s[28:29]
	s_cbranch_execz .LBB68_206
; %bb.197:                              ;   in Loop: Header=BB68_4 Depth=1
	v_cmp_neq_f32_e64 s[28:29], |v4|, s51
	s_and_saveexec_b64 s[30:31], s[28:29]
	s_xor_b64 s[28:29], exec, s[30:31]
	s_cbranch_execz .LBB68_203
; %bb.198:                              ;   in Loop: Header=BB68_4 Depth=1
	v_cmp_neq_f32_e64 s[30:31], |v3|, s51
	s_and_saveexec_b64 s[34:35], s[30:31]
	s_xor_b64 s[30:31], exec, s[34:35]
	s_cbranch_execz .LBB68_200
; %bb.199:                              ;   in Loop: Header=BB68_4 Depth=1
	s_waitcnt lgkmcnt(0)
	v_add_f32_e32 v1, 0, v3
	v_add_f32_e32 v11, v1, v4
                                        ; implicit-def: $vgpr1_vgpr2_vgpr3_vgpr4
.LBB68_200:                             ;   in Loop: Header=BB68_4 Depth=1
	s_or_saveexec_b64 s[30:31], s[30:31]
	v_mov_b32_e32 v12, v11
	s_xor_b64 exec, exec, s[30:31]
	s_cbranch_execz .LBB68_202
; %bb.201:                              ;   in Loop: Header=BB68_4 Depth=1
	s_waitcnt lgkmcnt(0)
	v_mov_b32_e32 v1, s14
	v_mov_b32_e32 v2, s15
	flat_load_dword v1, v[1:2] glc
	s_waitcnt vmcnt(0)
	v_bfi_b32 v12, s56, 0, v4
	s_waitcnt lgkmcnt(0)
	v_add_f32_e32 v1, 0x3fc90fdb, v1
	v_bfi_b32 v11, s56, v1, v3
.LBB68_202:                             ;   in Loop: Header=BB68_4 Depth=1
	s_or_b64 exec, exec, s[30:31]
                                        ; implicit-def: $vgpr1_vgpr2_vgpr3_vgpr4
.LBB68_203:                             ;   in Loop: Header=BB68_4 Depth=1
	s_andn2_saveexec_b64 s[28:29], s[28:29]
; %bb.204:                              ;   in Loop: Header=BB68_4 Depth=1
	v_bfi_b32 v12, s56, 0, v4
	v_add_f32_e32 v11, v3, v3
; %bb.205:                              ;   in Loop: Header=BB68_4 Depth=1
	s_or_b64 exec, exec, s[28:29]
.LBB68_206:                             ;   in Loop: Header=BB68_4 Depth=1
	s_or_b64 exec, exec, s[6:7]
                                        ; implicit-def: $vgpr1_vgpr2_vgpr3_vgpr4
.LBB68_207:                             ;   in Loop: Header=BB68_4 Depth=1
	s_andn2_saveexec_b64 s[6:7], s[26:27]
	s_cbranch_execz .LBB68_209
; %bb.208:                              ;   in Loop: Header=BB68_4 Depth=1
	s_waitcnt lgkmcnt(0)
	v_rcp_f32_e64 v1, |v3|
	v_cmp_gt_f32_e64 vcc, |v3|, 1.0
	v_mov_b32_e32 v2, 0xbc7a590c
	v_mov_b32_e32 v12, v4
	v_cndmask_b32_e64 v1, |v3|, v1, vcc
	v_mul_f32_e32 v11, v1, v1
	v_fmac_f32_e32 v2, 0x3b2d2a58, v11
	v_fma_f32 v2, v11, v2, v22
	v_fma_f32 v2, v11, v2, v23
	;; [unrolled: 1-line block ×6, first 2 shown]
	v_mul_f32_e32 v2, v11, v2
	v_fmac_f32_e32 v1, v1, v2
	v_sub_f32_e32 v2, 0x3fc90fdb, v1
	v_cndmask_b32_e32 v1, v1, v2, vcc
	v_bfi_b32 v11, s56, v1, v3
.LBB68_209:                             ;   in Loop: Header=BB68_4 Depth=1
	s_or_b64 exec, exec, s[6:7]
                                        ; implicit-def: $vgpr1_vgpr2_vgpr3_vgpr4
.LBB68_210:                             ;   in Loop: Header=BB68_4 Depth=1
	s_andn2_saveexec_b64 s[6:7], s[24:25]
	s_cbranch_execz .LBB68_3
; %bb.211:                              ;   in Loop: Header=BB68_4 Depth=1
	s_waitcnt lgkmcnt(0)
	v_sub_f32_e64 v1, 1.0, |v4|
	v_rcp_f32_e32 v2, v1
	v_add_f32_e64 v11, |v4|, 1.0
	v_sub_f32_e32 v12, 1.0, v1
	v_sub_f32_e64 v12, v12, |v4|
	v_mul_f32_e32 v36, v11, v2
	v_mul_f32_e32 v37, v1, v36
	v_fma_f32 v1, v36, v1, -v37
	v_fmac_f32_e32 v1, v36, v12
	v_add_f32_e32 v38, v37, v1
	v_sub_f32_e32 v39, v11, v38
	v_add_f32_e32 v12, -1.0, v11
	v_sub_f32_e32 v37, v38, v37
	v_sub_f32_e32 v11, v11, v39
	;; [unrolled: 1-line block ×4, first 2 shown]
	v_sub_f32_e64 v12, |v4|, v12
	v_add_f32_e32 v1, v1, v11
	v_add_f32_e32 v1, v12, v1
	;; [unrolled: 1-line block ×3, first 2 shown]
	v_mul_f32_e32 v11, v2, v1
	v_add_f32_e32 v12, v36, v11
	v_cvt_f64_f32_e32 v[1:2], v12
	v_cmp_lt_f32_e64 s[24:25], |v4|, s59
	v_frexp_exp_i32_f64_e32 v1, v[1:2]
	v_sub_f32_e32 v2, v12, v36
	v_frexp_mant_f32_e32 v36, v12
	v_cmp_gt_f32_e32 vcc, s49, v36
	v_sub_f32_e32 v2, v11, v2
	v_subbrev_co_u32_e32 v1, vcc, 0, v1, vcc
	v_sub_u32_e32 v11, 0, v1
	v_ldexp_f32 v12, v12, v11
	v_ldexp_f32 v2, v2, v11
	v_add_f32_e32 v11, -1.0, v12
	v_add_f32_e32 v38, 1.0, v12
	v_add_f32_e32 v36, 1.0, v11
	v_add_f32_e32 v39, -1.0, v38
	v_sub_f32_e32 v36, v12, v36
	v_sub_f32_e32 v12, v12, v39
	v_add_f32_e32 v36, v2, v36
	v_add_f32_e32 v2, v2, v12
	;; [unrolled: 1-line block ×3, first 2 shown]
	v_rcp_f32_e32 v39, v12
	v_add_f32_e32 v37, v11, v36
	v_sub_f32_e32 v11, v37, v11
	v_sub_f32_e32 v11, v36, v11
	;; [unrolled: 1-line block ×4, first 2 shown]
	v_mul_f32_e32 v36, v37, v39
	v_mul_f32_e32 v38, v12, v36
	v_fma_f32 v40, v36, v12, -v38
	v_fmac_f32_e32 v40, v36, v2
	v_add_f32_e32 v41, v38, v40
	v_sub_f32_e32 v42, v37, v41
	v_sub_f32_e32 v37, v37, v42
	;; [unrolled: 1-line block ×4, first 2 shown]
	v_add_f32_e32 v11, v11, v37
	v_sub_f32_e32 v37, v38, v40
	v_add_f32_e32 v11, v37, v11
	v_add_f32_e32 v37, v42, v11
	v_mul_f32_e32 v38, v39, v37
	v_mul_f32_e32 v40, v12, v38
	v_fma_f32 v12, v38, v12, -v40
	v_fmac_f32_e32 v12, v38, v2
	v_sub_f32_e32 v2, v42, v37
	v_add_f32_e32 v2, v11, v2
	v_add_f32_e32 v11, v40, v12
	v_sub_f32_e32 v41, v37, v11
	v_sub_f32_e32 v37, v37, v41
	;; [unrolled: 1-line block ×4, first 2 shown]
	v_add_f32_e32 v2, v2, v11
	v_sub_f32_e32 v11, v40, v12
	v_cvt_f32_i32_e32 v1, v1
	v_add_f32_e32 v2, v11, v2
	v_add_f32_e32 v11, v36, v38
	;; [unrolled: 1-line block ×3, first 2 shown]
	v_sub_f32_e32 v12, v11, v36
	v_mul_f32_e32 v2, v39, v2
	v_sub_f32_e32 v12, v38, v12
	v_add_f32_e32 v2, v12, v2
	v_mul_f32_e32 v38, 0x3f317218, v1
	v_add_f32_e32 v12, v11, v2
	v_fma_f32 v39, v1, s50, -v38
	v_mul_f32_e32 v36, v12, v12
	v_mov_b32_e32 v37, 0x3ecc95a3
	v_fmac_f32_e32 v39, 0xb102e308, v1
	v_sub_f32_e32 v1, v12, v11
	v_fmac_f32_e32 v37, 0x3e9b6dac, v36
	v_sub_f32_e32 v1, v2, v1
	v_add_f32_e32 v2, v38, v39
	v_fma_f32 v37, v36, v37, v21
	v_sub_f32_e32 v11, v2, v38
	v_ldexp_f32 v38, v12, 1
	v_mul_f32_e32 v12, v12, v36
	v_mul_f32_e32 v12, v12, v37
	v_add_f32_e32 v36, v38, v12
	v_sub_f32_e32 v37, v36, v38
	v_ldexp_f32 v1, v1, 1
	v_sub_f32_e32 v12, v12, v37
	v_add_f32_e32 v1, v1, v12
	v_add_f32_e32 v12, v36, v1
	v_sub_f32_e32 v36, v12, v36
	v_sub_f32_e32 v1, v1, v36
	v_add_f32_e32 v36, v2, v12
	v_sub_f32_e32 v37, v36, v2
	v_sub_f32_e32 v38, v36, v37
	v_sub_f32_e32 v11, v39, v11
	v_sub_f32_e32 v2, v2, v38
	v_sub_f32_e32 v12, v12, v37
	v_add_f32_e32 v2, v12, v2
	v_add_f32_e32 v12, v11, v1
	v_sub_f32_e32 v37, v12, v11
	v_sub_f32_e32 v38, v12, v37
	;; [unrolled: 1-line block ×4, first 2 shown]
	v_add_f32_e32 v2, v12, v2
	v_add_f32_e32 v1, v1, v11
	;; [unrolled: 1-line block ×3, first 2 shown]
	v_sub_f32_e32 v12, v11, v36
	v_sub_f32_e32 v2, v2, v12
	v_add_f32_e32 v1, v1, v2
	v_add_f32_e32 v1, v11, v1
	v_mul_f32_e32 v1, 0.5, v1
	v_cndmask_b32_e64 v1, v1, |v4|, s[24:25]
	v_cmp_neq_f32_e64 vcc, |v4|, 1.0
	v_cndmask_b32_e32 v1, v29, v1, vcc
	v_bfi_b32 v12, s56, v1, v4
	v_mov_b32_e32 v11, v3
	s_branch .LBB68_3
.LBB68_212:
	s_or_b64 exec, exec, s[12:13]
	s_mov_b64 s[6:7], 0
.LBB68_213:
	s_andn2_b64 vcc, exec, s[6:7]
	s_cbranch_vccnz .LBB68_441
; %bb.214:
	v_cmp_lt_i64_e64 s[6:7], s[8:9], 1
	s_and_b64 vcc, exec, s[6:7]
	s_cbranch_vccnz .LBB68_441
; %bb.215:
	v_mov_b32_e32 v1, 0x10000
	s_load_dword s6, s[4:5], 0xc5c
	v_mov_b32_e32 v2, 0
	v_cmp_lt_i64_e32 vcc, s[8:9], v[1:2]
	s_mov_b64 s[14:15], src_private_base
	s_and_b64 s[4:5], vcc, exec
	v_cmp_lt_u64_e32 vcc, s[8:9], v[1:2]
	s_cselect_b32 s17, s9, 0
	s_cselect_b32 s16, s8, 0x10000
	s_waitcnt lgkmcnt(0)
	s_and_b32 s47, s6, 0xffff
	s_and_b64 s[4:5], vcc, exec
	s_cselect_b32 s19, s9, 0
	s_cselect_b32 s18, s8, 0x10000
	s_lshl_b32 s48, s47, 1
	s_mul_i32 s49, s47, 3
	s_lshl_b32 s50, s47, 2
	s_mov_b32 s14, 8
	s_mov_b32 s20, 0
	;; [unrolled: 1-line block ×5, first 2 shown]
	s_mov_b64 s[24:25], 0
	v_mov_b32_e32 v19, 0x248d3132
	s_mov_b32 s51, 0x4b000000
	s_mov_b32 s52, 0x399cc471
	s_brev_b32 s53, 44
	s_brev_b32 s54, 4
	s_mov_b32 s55, 0x3f2aaaab
	v_mov_b32_e32 v20, 0x3f2aaada
	s_mov_b32 s56, 0x3f317218
	s_mov_b32 s57, 0x7f800000
	;; [unrolled: 1-line block ×5, first 2 shown]
	v_mov_b32_e32 v21, 0x3d29fb3f
	v_mov_b32_e32 v22, 0xbd97d4d7
	;; [unrolled: 1-line block ×6, first 2 shown]
	s_movk_i32 s61, 0x204
	s_brev_b32 s62, -2
	v_mov_b32_e32 v27, 0xd800000
	s_mov_b32 s63, 0x6800000
	s_mov_b32 s64, 0x59000000
	;; [unrolled: 1-line block ×3, first 2 shown]
	v_mov_b32_e32 v28, 0x7f800000
	v_mov_b32_e32 v29, 0x7fc00000
	;; [unrolled: 1-line block ×7, first 2 shown]
	s_branch .LBB68_217
.LBB68_216:                             ;   in Loop: Header=BB68_217 Depth=1
	s_or_b64 exec, exec, s[4:5]
	s_add_u32 s24, s24, s50
	v_mov_b32_e32 v1, s16
	s_addc_u32 s25, s25, 0
	v_mov_b32_e32 v2, s17
	v_cmp_ge_i64_e32 vcc, s[24:25], v[1:2]
	s_cbranch_vccnz .LBB68_441
.LBB68_217:                             ; =>This Inner Loop Header: Depth=1
	v_mov_b32_e32 v2, s25
	v_add_co_u32_e32 v1, vcc, s24, v0
	v_addc_co_u32_e32 v2, vcc, 0, v2, vcc
	v_cmp_gt_u64_e64 s[4:5], s[18:19], v[1:2]
	v_mov_b32_e32 v16, 0
	v_mov_b32_e32 v15, 0
	s_and_saveexec_b64 s[6:7], s[4:5]
	s_cbranch_execz .LBB68_219
; %bb.218:                              ;   in Loop: Header=BB68_217 Depth=1
	v_lshlrev_b64 v[3:4], 3, v[1:2]
	v_mov_b32_e32 v5, s44
	v_add_co_u32_e32 v3, vcc, s33, v3
	v_addc_co_u32_e32 v4, vcc, v5, v4, vcc
	global_load_dwordx2 v[15:16], v[3:4], off
.LBB68_219:                             ;   in Loop: Header=BB68_217 Depth=1
	s_or_b64 exec, exec, s[6:7]
	v_add_co_u32_e32 v3, vcc, s47, v1
	v_addc_co_u32_e32 v4, vcc, 0, v2, vcc
	v_cmp_gt_u64_e64 s[6:7], s[18:19], v[3:4]
	v_mov_b32_e32 v14, 0
	v_mov_b32_e32 v18, 0
	;; [unrolled: 1-line block ×3, first 2 shown]
	s_and_saveexec_b64 s[8:9], s[6:7]
	s_cbranch_execz .LBB68_221
; %bb.220:                              ;   in Loop: Header=BB68_217 Depth=1
	v_lshlrev_b64 v[5:6], 3, v[3:4]
	v_mov_b32_e32 v7, s44
	v_add_co_u32_e32 v5, vcc, s33, v5
	v_addc_co_u32_e32 v6, vcc, v7, v6, vcc
	global_load_dwordx2 v[17:18], v[5:6], off
.LBB68_221:                             ;   in Loop: Header=BB68_217 Depth=1
	s_or_b64 exec, exec, s[8:9]
	v_add_co_u32_e32 v5, vcc, s48, v1
	v_addc_co_u32_e32 v6, vcc, 0, v2, vcc
	v_cmp_gt_u64_e64 s[8:9], s[18:19], v[5:6]
	v_mov_b32_e32 v13, 0
	s_and_saveexec_b64 s[10:11], s[8:9]
	s_cbranch_execz .LBB68_223
; %bb.222:                              ;   in Loop: Header=BB68_217 Depth=1
	v_lshlrev_b64 v[7:8], 3, v[5:6]
	v_mov_b32_e32 v9, s44
	v_add_co_u32_e32 v7, vcc, s33, v7
	v_addc_co_u32_e32 v8, vcc, v9, v8, vcc
	global_load_dwordx2 v[13:14], v[7:8], off
.LBB68_223:                             ;   in Loop: Header=BB68_217 Depth=1
	s_or_b64 exec, exec, s[10:11]
	v_add_co_u32_e32 v7, vcc, s49, v1
	v_addc_co_u32_e32 v8, vcc, 0, v2, vcc
	v_cmp_gt_u64_e64 s[10:11], s[18:19], v[7:8]
	v_mov_b32_e32 v10, 0
	v_mov_b32_e32 v9, 0
	s_and_saveexec_b64 s[12:13], s[10:11]
	s_cbranch_execz .LBB68_225
; %bb.224:                              ;   in Loop: Header=BB68_217 Depth=1
	v_lshlrev_b64 v[9:10], 3, v[7:8]
	v_mov_b32_e32 v11, s44
	v_add_co_u32_e32 v9, vcc, s33, v9
	v_addc_co_u32_e32 v10, vcc, v11, v10, vcc
	global_load_dwordx2 v[9:10], v[9:10], off
.LBB68_225:                             ;   in Loop: Header=BB68_217 Depth=1
	s_or_b64 exec, exec, s[12:13]
	v_mov_b32_e32 v11, s14
	s_waitcnt vmcnt(0)
	v_cmp_neq_f32_e32 vcc, 0, v15
	v_cmp_nle_f32_e64 s[12:13], |v16|, 1.0
	v_mov_b32_e32 v12, s15
	s_or_b64 s[12:13], vcc, s[12:13]
	flat_store_dword v[11:12], v19
	s_waitcnt vmcnt(0)
                                        ; implicit-def: $vgpr11
	s_and_saveexec_b64 s[26:27], s[12:13]
	s_xor_b64 s[26:27], exec, s[26:27]
	s_cbranch_execz .LBB68_275
; %bb.226:                              ;   in Loop: Header=BB68_217 Depth=1
	v_cmp_neq_f32_e32 vcc, 0, v16
                                        ; implicit-def: $vgpr11
	s_and_saveexec_b64 s[12:13], vcc
	s_xor_b64 s[28:29], exec, s[12:13]
	s_cbranch_execz .LBB68_272
; %bb.227:                              ;   in Loop: Header=BB68_217 Depth=1
	v_cmp_o_f32_e32 vcc, v16, v15
                                        ; implicit-def: $vgpr11
	s_and_saveexec_b64 s[12:13], vcc
	s_xor_b64 s[30:31], exec, s[12:13]
	s_cbranch_execz .LBB68_261
; %bb.228:                              ;   in Loop: Header=BB68_217 Depth=1
	v_max_f32_e64 v12, |v15|, |v15|
	v_max_f32_e64 v11, |v16|, |v16|
	v_max_f32_e32 v11, v11, v12
	v_cmp_nlt_f32_e32 vcc, s51, v11
                                        ; implicit-def: $vgpr11
	s_and_saveexec_b64 s[12:13], vcc
	s_xor_b64 s[34:35], exec, s[12:13]
	s_cbranch_execz .LBB68_246
; %bb.229:                              ;   in Loop: Header=BB68_217 Depth=1
	v_cmp_nlt_f32_e64 s[12:13], |v16|, s52
	v_cmp_nlt_f32_e64 s[36:37], |v15|, s52
	s_or_b64 s[12:13], s[12:13], s[36:37]
                                        ; implicit-def: $vgpr11
	s_and_saveexec_b64 s[36:37], s[12:13]
	s_xor_b64 s[36:37], exec, s[36:37]
	s_cbranch_execz .LBB68_243
; %bb.230:                              ;   in Loop: Header=BB68_217 Depth=1
	v_cmp_neq_f32_e64 s[40:41], |v16|, 1.0
	v_cmp_nlt_f32_e64 s[38:39], |v15|, s53
	s_or_b64 s[12:13], s[40:41], s[38:39]
                                        ; implicit-def: $vgpr11
	s_and_saveexec_b64 s[42:43], s[12:13]
	s_xor_b64 s[12:13], exec, s[42:43]
	s_cbranch_execz .LBB68_232
; %bb.231:                              ;   in Loop: Header=BB68_217 Depth=1
	v_add_f32_e64 v35, |v16|, -1.0
	v_mul_f32_e32 v35, v35, v35
	v_cmp_lt_f32_e64 vcc, |v15|, s54
	v_fma_f32 v36, v15, v15, v35
	v_mul_f32_e64 v11, |v16|, 4.0
	v_cndmask_b32_e32 v35, v36, v35, vcc
	v_div_scale_f32 v36, s[42:43], v35, v35, v11
	v_rcp_f32_e32 v37, v36
	v_fma_f32 v38, -v36, v37, 1.0
	v_fmac_f32_e32 v37, v38, v37
	v_div_scale_f32 v38, vcc, v11, v35, v11
	v_mul_f32_e32 v39, v38, v37
	v_fma_f32 v40, -v36, v39, v38
	v_fmac_f32_e32 v39, v40, v37
	v_fma_f32 v36, -v36, v39, v38
	v_div_fmas_f32 v36, v36, v37, v39
	v_div_fixup_f32 v11, v36, v35, v11
	v_add_f32_e32 v37, 1.0, v11
	v_add_f32_e32 v35, -1.0, v37
	v_sub_f32_e32 v36, v35, v37
	v_add_f32_e32 v36, 1.0, v36
	v_sub_f32_e32 v35, v11, v35
	v_add_f32_e32 v38, v35, v36
	v_frexp_mant_f32_e32 v35, v37
	v_cmp_gt_f32_e32 vcc, s55, v35
	v_cvt_f64_f32_e32 v[35:36], v37
	v_frexp_exp_i32_f64_e32 v35, v[35:36]
	v_subbrev_co_u32_e32 v35, vcc, 0, v35, vcc
	v_sub_u32_e32 v36, 0, v35
	v_ldexp_f32 v37, v37, v36
	v_ldexp_f32 v36, v38, v36
	v_add_f32_e32 v38, -1.0, v37
	v_add_f32_e32 v39, 1.0, v38
	v_sub_f32_e32 v39, v37, v39
	v_add_f32_e32 v39, v36, v39
	v_add_f32_e32 v40, v38, v39
	v_sub_f32_e32 v38, v40, v38
	v_sub_f32_e32 v38, v39, v38
	v_add_f32_e32 v39, 1.0, v37
	v_add_f32_e32 v41, -1.0, v39
	v_sub_f32_e32 v37, v37, v41
	v_add_f32_e32 v36, v36, v37
	v_add_f32_e32 v37, v39, v36
	v_sub_f32_e32 v39, v37, v39
	v_sub_f32_e32 v36, v36, v39
	v_rcp_f32_e32 v39, v37
	v_cvt_f32_i32_e32 v35, v35
	v_cmp_neq_f32_e32 vcc, s57, v11
	v_mul_f32_e32 v41, v40, v39
	v_mul_f32_e32 v42, v37, v41
	v_fma_f32 v43, v41, v37, -v42
	v_fmac_f32_e32 v43, v41, v36
	v_add_f32_e32 v44, v42, v43
	v_sub_f32_e32 v45, v40, v44
	v_sub_f32_e32 v40, v40, v45
	;; [unrolled: 1-line block ×4, first 2 shown]
	v_add_f32_e32 v38, v38, v40
	v_sub_f32_e32 v40, v42, v43
	v_add_f32_e32 v38, v40, v38
	v_add_f32_e32 v40, v45, v38
	v_mul_f32_e32 v42, v39, v40
	v_mul_f32_e32 v43, v37, v42
	v_fma_f32 v37, v42, v37, -v43
	v_fmac_f32_e32 v37, v42, v36
	v_sub_f32_e32 v36, v45, v40
	v_add_f32_e32 v36, v38, v36
	v_add_f32_e32 v38, v43, v37
	v_sub_f32_e32 v44, v40, v38
	v_sub_f32_e32 v40, v40, v44
	;; [unrolled: 1-line block ×4, first 2 shown]
	v_add_f32_e32 v36, v36, v38
	v_sub_f32_e32 v37, v43, v37
	v_add_f32_e32 v36, v37, v36
	v_add_f32_e32 v37, v41, v42
	;; [unrolled: 1-line block ×3, first 2 shown]
	v_sub_f32_e32 v38, v37, v41
	v_mul_f32_e32 v36, v39, v36
	v_sub_f32_e32 v38, v42, v38
	v_add_f32_e32 v36, v38, v36
	v_mul_f32_e32 v41, 0x3f317218, v35
	v_add_f32_e32 v38, v37, v36
	v_fma_f32 v42, v35, s56, -v41
	v_mul_f32_e32 v39, v38, v38
	v_mov_b32_e32 v40, 0x3ecc95a3
	v_fmac_f32_e32 v42, 0xb102e308, v35
	v_sub_f32_e32 v35, v38, v37
	v_fmac_f32_e32 v40, 0x3e9b6dac, v39
	v_sub_f32_e32 v35, v36, v35
	v_add_f32_e32 v36, v41, v42
	v_fma_f32 v40, v39, v40, v20
	v_sub_f32_e32 v37, v36, v41
	v_ldexp_f32 v41, v38, 1
	v_mul_f32_e32 v38, v38, v39
	v_mul_f32_e32 v38, v38, v40
	v_add_f32_e32 v39, v41, v38
	v_sub_f32_e32 v40, v39, v41
	v_ldexp_f32 v35, v35, 1
	v_sub_f32_e32 v38, v38, v40
	v_add_f32_e32 v35, v35, v38
	v_add_f32_e32 v38, v39, v35
	v_sub_f32_e32 v39, v38, v39
	v_sub_f32_e32 v35, v35, v39
	v_add_f32_e32 v39, v36, v38
	v_sub_f32_e32 v40, v39, v36
	v_sub_f32_e32 v41, v39, v40
	;; [unrolled: 1-line block ×5, first 2 shown]
	v_add_f32_e32 v36, v38, v36
	v_add_f32_e32 v38, v37, v35
	v_sub_f32_e32 v40, v38, v37
	v_sub_f32_e32 v41, v38, v40
	;; [unrolled: 1-line block ×4, first 2 shown]
	v_add_f32_e32 v36, v38, v36
	v_add_f32_e32 v35, v35, v37
	;; [unrolled: 1-line block ×3, first 2 shown]
	v_sub_f32_e32 v38, v37, v39
	v_sub_f32_e32 v36, v36, v38
	v_add_f32_e32 v35, v35, v36
	v_add_f32_e32 v35, v37, v35
	v_cndmask_b32_e32 v35, v28, v35, vcc
	v_cmp_ngt_f32_e32 vcc, -1.0, v11
	v_cndmask_b32_e32 v35, v29, v35, vcc
	v_cmp_neq_f32_e32 vcc, -1.0, v11
	v_cndmask_b32_e32 v35, v30, v35, vcc
	v_cmp_lt_f32_e64 vcc, |v11|, s58
	v_cndmask_b32_e32 v11, v35, v11, vcc
	v_mul_f32_e32 v11, 0x3e800000, v11
	s_andn2_saveexec_b64 s[42:43], s[12:13]
	s_cbranch_execz .LBB68_234
	s_branch .LBB68_233
.LBB68_232:                             ;   in Loop: Header=BB68_217 Depth=1
	s_andn2_saveexec_b64 s[42:43], s[12:13]
	s_cbranch_execz .LBB68_234
.LBB68_233:                             ;   in Loop: Header=BB68_217 Depth=1
	v_cmp_lt_f32_e64 vcc, |v15|, s59
	v_cndmask_b32_e64 v11, 0, 32, vcc
	v_ldexp_f32 v11, |v15|, v11
	v_log_f32_e32 v11, v11
	v_mul_f32_e32 v35, 0x3f317217, v11
	v_fma_f32 v35, v11, s60, -v35
	v_fmac_f32_e32 v35, 0x3377d1cf, v11
	v_fmac_f32_e32 v35, 0x3f317217, v11
	v_cmp_lt_f32_e64 s[12:13], |v11|, s57
	v_cndmask_b32_e64 v11, v11, v35, s[12:13]
	v_cndmask_b32_e32 v35, 0, v31, vcc
	v_sub_f32_e32 v11, v11, v35
	v_sub_f32_e32 v11, 0x3f317218, v11
	v_mul_f32_e32 v11, 0.5, v11
.LBB68_234:                             ;   in Loop: Header=BB68_217 Depth=1
	s_or_b64 exec, exec, s[42:43]
                                        ; implicit-def: $vgpr36
	s_and_saveexec_b64 s[12:13], s[40:41]
	s_xor_b64 s[40:41], exec, s[12:13]
	s_cbranch_execz .LBB68_240
; %bb.235:                              ;   in Loop: Header=BB68_217 Depth=1
	v_sub_f32_e64 v35, 1.0, |v16|
	v_add_f32_e64 v36, |v16|, 1.0
	v_add_f32_e64 v12, |v15|, |v15|
	v_mul_f32_e32 v35, v35, v36
                                        ; implicit-def: $vgpr36
	s_and_saveexec_b64 s[12:13], s[38:39]
	s_xor_b64 s[38:39], exec, s[12:13]
	s_cbranch_execz .LBB68_237
; %bb.236:                              ;   in Loop: Header=BB68_217 Depth=1
	v_fma_f32 v35, -v15, v15, v35
	v_max_f32_e32 v36, v12, v12
	v_min_f32_e64 v37, |v35|, v36
	v_max_f32_e64 v36, |v35|, v36
	v_frexp_mant_f32_e32 v38, v36
	v_rcp_f32_e32 v38, v38
	v_frexp_exp_i32_f32_e32 v36, v36
	v_frexp_exp_i32_f32_e32 v39, v37
	v_frexp_mant_f32_e32 v37, v37
	v_mul_f32_e32 v37, v37, v38
	v_sub_u32_e32 v36, v39, v36
	v_ldexp_f32 v36, v37, v36
	v_mul_f32_e32 v37, v36, v36
	v_mov_b32_e32 v38, 0xbc7a590c
	v_fmac_f32_e32 v38, 0x3b2d2a58, v37
	v_fma_f32 v38, v37, v38, v21
	v_fma_f32 v38, v37, v38, v22
	;; [unrolled: 1-line block ×6, first 2 shown]
	v_mul_f32_e32 v37, v37, v38
	v_fmac_f32_e32 v36, v36, v37
	v_sub_f32_e32 v37, 0x3fc90fdb, v36
	v_cmp_gt_f32_e64 vcc, v12, |v35|
	v_cndmask_b32_e32 v36, v36, v37, vcc
	v_sub_f32_e32 v37, 0x40490fdb, v36
	v_cmp_gt_f32_e32 vcc, 0, v35
	v_cmp_gt_i32_e64 s[12:13], 0, v35
	v_cndmask_b32_e32 v36, v36, v37, vcc
	v_cndmask_b32_e64 v37, 0, v32, s[12:13]
	v_cndmask_b32_e32 v38, v33, v34, vcc
	v_cmp_class_f32_e64 s[42:43], v35, s61
	v_cmp_eq_f32_e32 vcc, s57, v12
	v_cmp_eq_f32_e64 s[12:13], 0, v12
	v_cndmask_b32_e64 v12, |v36|, v37, s[12:13]
	s_and_b64 vcc, vcc, s[42:43]
	v_cndmask_b32_e32 v12, v12, v38, vcc
	v_cmp_o_f32_e32 vcc, v35, v35
	v_cndmask_b32_e32 v36, v29, v12, vcc
                                        ; implicit-def: $vgpr12
                                        ; implicit-def: $vgpr35
.LBB68_237:                             ;   in Loop: Header=BB68_217 Depth=1
	s_andn2_saveexec_b64 s[38:39], s[38:39]
	s_cbranch_execz .LBB68_239
; %bb.238:                              ;   in Loop: Header=BB68_217 Depth=1
	v_max_f32_e32 v36, v12, v12
	v_max_f32_e64 v37, |v35|, |v35|
	v_min_f32_e32 v38, v37, v36
	v_max_f32_e32 v36, v37, v36
	v_frexp_mant_f32_e32 v37, v36
	v_rcp_f32_e32 v37, v37
	v_frexp_exp_i32_f32_e32 v36, v36
	v_frexp_exp_i32_f32_e32 v39, v38
	v_frexp_mant_f32_e32 v38, v38
	v_mul_f32_e32 v37, v38, v37
	v_sub_u32_e32 v36, v39, v36
	v_ldexp_f32 v36, v37, v36
	v_mul_f32_e32 v37, v36, v36
	v_mov_b32_e32 v38, 0xbc7a590c
	v_fmac_f32_e32 v38, 0x3b2d2a58, v37
	v_fma_f32 v38, v37, v38, v21
	v_fma_f32 v38, v37, v38, v22
	;; [unrolled: 1-line block ×6, first 2 shown]
	v_mul_f32_e32 v37, v37, v38
	v_fmac_f32_e32 v36, v36, v37
	v_sub_f32_e32 v37, 0x3fc90fdb, v36
	v_cmp_gt_f32_e64 vcc, v12, |v35|
	v_cndmask_b32_e32 v36, v36, v37, vcc
	v_sub_f32_e32 v37, 0x40490fdb, v36
	v_cmp_gt_f32_e32 vcc, 0, v35
	v_cmp_gt_i32_e64 s[12:13], 0, v35
	v_cndmask_b32_e32 v36, v36, v37, vcc
	v_cndmask_b32_e64 v37, 0, v32, s[12:13]
	v_cndmask_b32_e32 v38, v33, v34, vcc
	v_cmp_class_f32_e64 s[42:43], v35, s61
	v_cmp_eq_f32_e32 vcc, s57, v12
	v_cmp_eq_f32_e64 s[12:13], 0, v12
	v_cndmask_b32_e64 v12, |v36|, v37, s[12:13]
	s_and_b64 vcc, vcc, s[42:43]
	v_cndmask_b32_e32 v12, v12, v38, vcc
	v_cmp_o_f32_e32 vcc, v35, v35
	v_cndmask_b32_e32 v36, v29, v12, vcc
.LBB68_239:                             ;   in Loop: Header=BB68_217 Depth=1
	s_or_b64 exec, exec, s[38:39]
                                        ; implicit-def: $vgpr12
	s_andn2_saveexec_b64 s[12:13], s[40:41]
	s_cbranch_execnz .LBB68_241
	s_branch .LBB68_242
.LBB68_240:                             ;   in Loop: Header=BB68_217 Depth=1
	s_andn2_saveexec_b64 s[12:13], s[40:41]
	s_cbranch_execz .LBB68_242
.LBB68_241:                             ;   in Loop: Header=BB68_217 Depth=1
	v_min_f32_e32 v35, 2.0, v12
	v_max_f32_e32 v12, 2.0, v12
	v_frexp_mant_f32_e32 v36, v12
	v_rcp_f32_e32 v36, v36
	v_frexp_exp_i32_f32_e32 v12, v12
	v_frexp_exp_i32_f32_e32 v37, v35
	v_frexp_mant_f32_e32 v35, v35
	v_mul_f32_e32 v35, v35, v36
	v_sub_u32_e32 v12, v37, v12
	v_ldexp_f32 v12, v35, v12
	v_mul_f32_e32 v35, v12, v12
	v_mov_b32_e32 v36, 0xbc7a590c
	v_fmac_f32_e32 v36, 0x3b2d2a58, v35
	v_fma_f32 v36, v35, v36, v21
	v_fma_f32 v36, v35, v36, v22
	;; [unrolled: 1-line block ×6, first 2 shown]
	v_mul_f32_e32 v35, v35, v36
	v_fmac_f32_e32 v12, v12, v35
	v_sub_f32_e32 v35, 0x3fc90fdb, v12
	v_cmp_lt_f32_e64 vcc, |v15|, 2.0
	v_cndmask_b32_e32 v12, v12, v35, vcc
	v_sub_f32_e32 v35, 0x40490fdb, v12
	v_cmp_lg_f32_e32 vcc, 0, v15
	v_cndmask_b32_e32 v12, v12, v35, vcc
	v_and_b32_e32 v36, 0x7fffffff, v12
.LBB68_242:                             ;   in Loop: Header=BB68_217 Depth=1
	s_or_b64 exec, exec, s[12:13]
	v_mul_f32_e32 v35, 0.5, v36
	v_bfi_b32 v12, s62, v11, v16
	v_bfi_b32 v11, s62, v35, v15
                                        ; implicit-def: $vgpr15
.LBB68_243:                             ;   in Loop: Header=BB68_217 Depth=1
	s_andn2_saveexec_b64 s[12:13], s[36:37]
	s_cbranch_execz .LBB68_245
; %bb.244:                              ;   in Loop: Header=BB68_217 Depth=1
	v_mov_b32_e32 v11, s20
	v_mov_b32_e32 v12, s21
	flat_store_dword v[11:12], v27
	s_waitcnt vmcnt(0)
	flat_load_dword v11, v[11:12] glc
	s_waitcnt vmcnt(0) lgkmcnt(0)
	v_add_f32_e32 v35, 1.0, v11
	v_mov_b32_e32 v11, s22
	v_mov_b32_e32 v12, s23
	flat_store_dword v[11:12], v35
	s_waitcnt vmcnt(0)
	flat_load_dword v11, v[11:12] glc
	s_waitcnt vmcnt(0) lgkmcnt(0)
	v_mov_b32_e32 v11, v15
	v_mov_b32_e32 v12, v16
.LBB68_245:                             ;   in Loop: Header=BB68_217 Depth=1
	s_or_b64 exec, exec, s[12:13]
                                        ; implicit-def: $vgpr15
.LBB68_246:                             ;   in Loop: Header=BB68_217 Depth=1
	s_andn2_saveexec_b64 s[12:13], s[34:35]
	s_cbranch_execz .LBB68_260
; %bb.247:                              ;   in Loop: Header=BB68_217 Depth=1
	v_and_b32_e32 v11, 0x7f800000, v16
	v_and_b32_e32 v35, 0x7f800000, v15
	v_sub_u32_e32 v12, v11, v35
	v_cmp_gt_i32_e32 vcc, s63, v12
	v_cmp_neq_f32_e64 s[34:35], |v16|, s57
	s_and_b64 s[34:35], s[34:35], vcc
                                        ; implicit-def: $vgpr12
	s_and_saveexec_b64 s[36:37], s[34:35]
	s_xor_b64 s[34:35], exec, s[36:37]
	s_cbranch_execz .LBB68_257
; %bb.248:                              ;   in Loop: Header=BB68_217 Depth=1
	v_sub_u32_e32 v12, v35, v11
	v_cmp_gt_i32_e32 vcc, s63, v12
                                        ; implicit-def: $vgpr12
	s_and_saveexec_b64 s[36:37], vcc
	s_xor_b64 s[36:37], exec, s[36:37]
	s_cbranch_execz .LBB68_254
; %bb.249:                              ;   in Loop: Header=BB68_217 Depth=1
	v_cmp_lt_u32_e32 vcc, s64, v11
                                        ; implicit-def: $vgpr12
	s_and_saveexec_b64 s[38:39], vcc
	s_xor_b64 s[38:39], exec, s[38:39]
	s_cbranch_execz .LBB68_251
; %bb.250:                              ;   in Loop: Header=BB68_217 Depth=1
	v_sub_u32_e32 v11, 0x7f800000, v11
	v_mul_f32_e32 v12, v16, v11
	v_mul_f32_e32 v16, v15, v11
	v_mul_f32_e32 v16, v16, v16
	v_fmac_f32_e32 v16, v12, v12
	v_div_scale_f32 v35, s[40:41], v16, v16, v12
	v_div_scale_f32 v36, vcc, v12, v16, v12
	v_rcp_f32_e32 v37, v35
	v_fma_f32 v38, -v35, v37, 1.0
	v_fmac_f32_e32 v37, v38, v37
	v_mul_f32_e32 v38, v36, v37
	v_fma_f32 v39, -v35, v38, v36
	v_fmac_f32_e32 v38, v39, v37
	v_fma_f32 v35, -v35, v38, v36
	v_div_fmas_f32 v35, v35, v37, v38
	v_div_fixup_f32 v12, v35, v16, v12
	v_mul_f32_e32 v12, v12, v11
.LBB68_251:                             ;   in Loop: Header=BB68_217 Depth=1
	s_andn2_saveexec_b64 s[38:39], s[38:39]
	s_cbranch_execz .LBB68_253
; %bb.252:                              ;   in Loop: Header=BB68_217 Depth=1
	v_mul_f32_e32 v11, v15, v15
	v_fmac_f32_e32 v11, v16, v16
	v_div_scale_f32 v12, s[40:41], v11, v11, v16
	v_div_scale_f32 v35, vcc, v16, v11, v16
	v_rcp_f32_e32 v36, v12
	v_fma_f32 v37, -v12, v36, 1.0
	v_fmac_f32_e32 v36, v37, v36
	v_mul_f32_e32 v37, v35, v36
	v_fma_f32 v38, -v12, v37, v35
	v_fmac_f32_e32 v37, v38, v36
	v_fma_f32 v12, -v12, v37, v35
	v_div_fmas_f32 v12, v12, v36, v37
	v_div_fixup_f32 v12, v12, v11, v16
.LBB68_253:                             ;   in Loop: Header=BB68_217 Depth=1
	s_or_b64 exec, exec, s[38:39]
.LBB68_254:                             ;   in Loop: Header=BB68_217 Depth=1
	s_andn2_saveexec_b64 s[36:37], s[36:37]
	s_cbranch_execz .LBB68_256
; %bb.255:                              ;   in Loop: Header=BB68_217 Depth=1
	v_div_scale_f32 v11, s[38:39], v15, v15, v16
	v_div_scale_f32 v12, vcc, v16, v15, v16
	v_rcp_f32_e32 v35, v11
	v_fma_f32 v36, -v11, v35, 1.0
	v_fmac_f32_e32 v35, v36, v35
	v_mul_f32_e32 v36, v12, v35
	v_fma_f32 v37, -v11, v36, v12
	v_fmac_f32_e32 v36, v37, v35
	v_fma_f32 v11, -v11, v36, v12
	v_div_fmas_f32 v11, v11, v35, v36
	v_div_fixup_f32 v11, v11, v15, v16
	v_div_scale_f32 v12, s[38:39], v15, v15, v11
	v_div_scale_f32 v16, vcc, v11, v15, v11
	v_rcp_f32_e32 v35, v12
	v_fma_f32 v36, -v12, v35, 1.0
	v_fmac_f32_e32 v35, v36, v35
	v_mul_f32_e32 v36, v16, v35
	v_fma_f32 v37, -v12, v36, v16
	v_fmac_f32_e32 v36, v37, v35
	v_fma_f32 v12, -v12, v36, v16
	v_div_fmas_f32 v12, v12, v35, v36
	v_div_fixup_f32 v12, v12, v15, v11
.LBB68_256:                             ;   in Loop: Header=BB68_217 Depth=1
	s_or_b64 exec, exec, s[36:37]
.LBB68_257:                             ;   in Loop: Header=BB68_217 Depth=1
	s_andn2_saveexec_b64 s[34:35], s[34:35]
	s_cbranch_execz .LBB68_259
; %bb.258:                              ;   in Loop: Header=BB68_217 Depth=1
	v_div_scale_f32 v11, s[36:37], v16, v16, 1.0
	v_div_scale_f32 v12, vcc, 1.0, v16, 1.0
	v_rcp_f32_e32 v35, v11
	v_fma_f32 v36, -v11, v35, 1.0
	v_fmac_f32_e32 v35, v36, v35
	v_mul_f32_e32 v36, v12, v35
	v_fma_f32 v37, -v11, v36, v12
	v_fmac_f32_e32 v36, v37, v35
	v_fma_f32 v11, -v11, v36, v12
	v_div_fmas_f32 v11, v11, v35, v36
	v_div_fixup_f32 v12, v11, v16, 1.0
.LBB68_259:                             ;   in Loop: Header=BB68_217 Depth=1
	s_or_b64 exec, exec, s[34:35]
	v_mov_b32_e32 v36, s15
	v_mov_b32_e32 v35, s14
	flat_load_dword v11, v[35:36] glc
	s_waitcnt vmcnt(0) lgkmcnt(0)
	v_add_f32_e32 v11, 0x3fc90fdb, v11
	v_bfi_b32 v11, s62, v11, v15
.LBB68_260:                             ;   in Loop: Header=BB68_217 Depth=1
	s_or_b64 exec, exec, s[12:13]
                                        ; implicit-def: $vgpr16
.LBB68_261:                             ;   in Loop: Header=BB68_217 Depth=1
	s_andn2_saveexec_b64 s[12:13], s[30:31]
	s_cbranch_execz .LBB68_271
; %bb.262:                              ;   in Loop: Header=BB68_217 Depth=1
	v_cmp_neq_f32_e64 s[30:31], |v16|, s57
                                        ; implicit-def: $vgpr11
	s_and_saveexec_b64 s[34:35], s[30:31]
	s_xor_b64 s[30:31], exec, s[34:35]
	s_cbranch_execz .LBB68_268
; %bb.263:                              ;   in Loop: Header=BB68_217 Depth=1
	v_cmp_neq_f32_e64 s[34:35], |v15|, s57
                                        ; implicit-def: $vgpr11
	s_and_saveexec_b64 s[36:37], s[34:35]
	s_xor_b64 s[34:35], exec, s[36:37]
; %bb.264:                              ;   in Loop: Header=BB68_217 Depth=1
	v_add_f32_e32 v11, 0, v15
	v_add_f32_e32 v11, v16, v11
                                        ; implicit-def: $vgpr16
; %bb.265:                              ;   in Loop: Header=BB68_217 Depth=1
	s_or_saveexec_b64 s[34:35], s[34:35]
	v_mov_b32_e32 v12, v11
	s_xor_b64 exec, exec, s[34:35]
	s_cbranch_execz .LBB68_267
; %bb.266:                              ;   in Loop: Header=BB68_217 Depth=1
	v_mov_b32_e32 v11, s14
	v_mov_b32_e32 v12, s15
	flat_load_dword v11, v[11:12] glc
	s_waitcnt vmcnt(0)
	v_bfi_b32 v12, s62, 0, v16
	s_waitcnt lgkmcnt(0)
	v_add_f32_e32 v11, 0x3fc90fdb, v11
	v_bfi_b32 v11, s62, v11, v15
.LBB68_267:                             ;   in Loop: Header=BB68_217 Depth=1
	s_or_b64 exec, exec, s[34:35]
                                        ; implicit-def: $vgpr16
.LBB68_268:                             ;   in Loop: Header=BB68_217 Depth=1
	s_andn2_saveexec_b64 s[30:31], s[30:31]
; %bb.269:                              ;   in Loop: Header=BB68_217 Depth=1
	v_bfi_b32 v12, s62, 0, v16
	v_add_f32_e32 v11, v15, v15
; %bb.270:                              ;   in Loop: Header=BB68_217 Depth=1
	s_or_b64 exec, exec, s[30:31]
.LBB68_271:                             ;   in Loop: Header=BB68_217 Depth=1
	s_or_b64 exec, exec, s[12:13]
                                        ; implicit-def: $vgpr15
.LBB68_272:                             ;   in Loop: Header=BB68_217 Depth=1
	s_andn2_saveexec_b64 s[12:13], s[28:29]
	s_cbranch_execz .LBB68_274
; %bb.273:                              ;   in Loop: Header=BB68_217 Depth=1
	v_rcp_f32_e64 v11, |v15|
	v_cmp_gt_f32_e64 vcc, |v15|, 1.0
	v_mov_b32_e32 v12, 0xbc7a590c
	v_cndmask_b32_e64 v11, |v15|, v11, vcc
	v_mul_f32_e32 v35, v11, v11
	v_fmac_f32_e32 v12, 0x3b2d2a58, v35
	v_fma_f32 v12, v35, v12, v21
	v_fma_f32 v12, v35, v12, v22
	;; [unrolled: 1-line block ×6, first 2 shown]
	v_mul_f32_e32 v12, v35, v12
	v_fmac_f32_e32 v11, v11, v12
	v_sub_f32_e32 v12, 0x3fc90fdb, v11
	v_cndmask_b32_e32 v11, v11, v12, vcc
	v_bfi_b32 v11, s62, v11, v15
	v_mov_b32_e32 v12, v16
.LBB68_274:                             ;   in Loop: Header=BB68_217 Depth=1
	s_or_b64 exec, exec, s[12:13]
                                        ; implicit-def: $vgpr16
.LBB68_275:                             ;   in Loop: Header=BB68_217 Depth=1
	s_andn2_saveexec_b64 s[12:13], s[26:27]
	s_cbranch_execz .LBB68_277
; %bb.276:                              ;   in Loop: Header=BB68_217 Depth=1
	v_sub_f32_e64 v11, 1.0, |v16|
	v_rcp_f32_e32 v12, v11
	v_add_f32_e64 v35, |v16|, 1.0
	v_sub_f32_e32 v36, 1.0, v11
	v_sub_f32_e64 v36, v36, |v16|
	v_mul_f32_e32 v37, v35, v12
	v_mul_f32_e32 v38, v11, v37
	v_fma_f32 v11, v37, v11, -v38
	v_fmac_f32_e32 v11, v37, v36
	v_add_f32_e32 v39, v38, v11
	v_sub_f32_e32 v40, v35, v39
	v_add_f32_e32 v36, -1.0, v35
	v_sub_f32_e32 v38, v39, v38
	v_sub_f32_e32 v35, v35, v40
	v_sub_f32_e32 v35, v35, v39
	v_sub_f32_e32 v11, v38, v11
	v_sub_f32_e64 v36, |v16|, v36
	v_add_f32_e32 v11, v11, v35
	v_add_f32_e32 v11, v36, v11
	v_add_f32_e32 v11, v40, v11
	v_mul_f32_e32 v35, v12, v11
	v_add_f32_e32 v36, v37, v35
	v_cvt_f64_f32_e32 v[11:12], v36
	v_cmp_lt_f32_e64 s[26:27], |v16|, s65
	v_frexp_exp_i32_f64_e32 v11, v[11:12]
	v_sub_f32_e32 v12, v36, v37
	v_frexp_mant_f32_e32 v37, v36
	v_cmp_gt_f32_e32 vcc, s55, v37
	v_sub_f32_e32 v12, v35, v12
	v_subbrev_co_u32_e32 v11, vcc, 0, v11, vcc
	v_sub_u32_e32 v35, 0, v11
	v_ldexp_f32 v36, v36, v35
	v_ldexp_f32 v12, v12, v35
	v_add_f32_e32 v35, -1.0, v36
	v_add_f32_e32 v39, 1.0, v36
	v_add_f32_e32 v37, 1.0, v35
	v_add_f32_e32 v40, -1.0, v39
	v_sub_f32_e32 v37, v36, v37
	v_sub_f32_e32 v36, v36, v40
	v_add_f32_e32 v37, v12, v37
	v_add_f32_e32 v12, v12, v36
	v_add_f32_e32 v36, v39, v12
	v_rcp_f32_e32 v40, v36
	v_add_f32_e32 v38, v35, v37
	v_sub_f32_e32 v35, v38, v35
	v_sub_f32_e32 v35, v37, v35
	;; [unrolled: 1-line block ×4, first 2 shown]
	v_mul_f32_e32 v37, v38, v40
	v_mul_f32_e32 v39, v36, v37
	v_fma_f32 v41, v37, v36, -v39
	v_fmac_f32_e32 v41, v37, v12
	v_add_f32_e32 v42, v39, v41
	v_sub_f32_e32 v43, v38, v42
	v_sub_f32_e32 v38, v38, v43
	;; [unrolled: 1-line block ×4, first 2 shown]
	v_add_f32_e32 v35, v35, v38
	v_sub_f32_e32 v38, v39, v41
	v_add_f32_e32 v35, v38, v35
	v_add_f32_e32 v38, v43, v35
	v_mul_f32_e32 v39, v40, v38
	v_mul_f32_e32 v41, v36, v39
	v_fma_f32 v36, v39, v36, -v41
	v_fmac_f32_e32 v36, v39, v12
	v_sub_f32_e32 v12, v43, v38
	v_add_f32_e32 v12, v35, v12
	v_add_f32_e32 v35, v41, v36
	v_sub_f32_e32 v42, v38, v35
	v_sub_f32_e32 v38, v38, v42
	;; [unrolled: 1-line block ×4, first 2 shown]
	v_add_f32_e32 v12, v12, v35
	v_sub_f32_e32 v35, v41, v36
	v_cvt_f32_i32_e32 v11, v11
	v_add_f32_e32 v12, v35, v12
	v_add_f32_e32 v35, v37, v39
	v_add_f32_e32 v12, v42, v12
	v_sub_f32_e32 v36, v35, v37
	v_mul_f32_e32 v12, v40, v12
	v_sub_f32_e32 v36, v39, v36
	v_add_f32_e32 v12, v36, v12
	v_mul_f32_e32 v39, 0x3f317218, v11
	v_add_f32_e32 v36, v35, v12
	v_fma_f32 v40, v11, s56, -v39
	v_mul_f32_e32 v37, v36, v36
	v_mov_b32_e32 v38, 0x3ecc95a3
	v_fmac_f32_e32 v40, 0xb102e308, v11
	v_sub_f32_e32 v11, v36, v35
	v_fmac_f32_e32 v38, 0x3e9b6dac, v37
	v_sub_f32_e32 v11, v12, v11
	v_add_f32_e32 v12, v39, v40
	v_fma_f32 v38, v37, v38, v20
	v_sub_f32_e32 v35, v12, v39
	v_ldexp_f32 v39, v36, 1
	v_mul_f32_e32 v36, v36, v37
	v_mul_f32_e32 v36, v36, v38
	v_add_f32_e32 v37, v39, v36
	v_sub_f32_e32 v38, v37, v39
	v_ldexp_f32 v11, v11, 1
	v_sub_f32_e32 v36, v36, v38
	v_add_f32_e32 v11, v11, v36
	v_add_f32_e32 v36, v37, v11
	v_sub_f32_e32 v37, v36, v37
	v_sub_f32_e32 v11, v11, v37
	v_add_f32_e32 v37, v12, v36
	v_sub_f32_e32 v38, v37, v12
	v_sub_f32_e32 v39, v37, v38
	;; [unrolled: 1-line block ×5, first 2 shown]
	v_add_f32_e32 v12, v36, v12
	v_add_f32_e32 v36, v35, v11
	v_sub_f32_e32 v38, v36, v35
	v_sub_f32_e32 v39, v36, v38
	;; [unrolled: 1-line block ×4, first 2 shown]
	v_add_f32_e32 v12, v36, v12
	v_add_f32_e32 v11, v11, v35
	;; [unrolled: 1-line block ×3, first 2 shown]
	v_sub_f32_e32 v36, v35, v37
	v_sub_f32_e32 v12, v12, v36
	v_add_f32_e32 v11, v11, v12
	v_add_f32_e32 v11, v35, v11
	v_mul_f32_e32 v11, 0.5, v11
	v_cndmask_b32_e64 v11, v11, |v16|, s[26:27]
	v_cmp_neq_f32_e64 vcc, |v16|, 1.0
	v_cndmask_b32_e32 v11, v28, v11, vcc
	v_bfi_b32 v12, s62, v11, v16
	v_mov_b32_e32 v11, v15
.LBB68_277:                             ;   in Loop: Header=BB68_217 Depth=1
	s_or_b64 exec, exec, s[12:13]
	v_mov_b32_e32 v16, s15
	v_cmp_neq_f32_e32 vcc, 0, v17
	v_cmp_nle_f32_e64 s[12:13], |v18|, 1.0
	v_mov_b32_e32 v15, s14
	s_or_b64 s[12:13], vcc, s[12:13]
	flat_store_dword v[15:16], v19
	s_waitcnt vmcnt(0)
                                        ; implicit-def: $vgpr15
	s_and_saveexec_b64 s[26:27], s[12:13]
	s_xor_b64 s[26:27], exec, s[26:27]
	s_cbranch_execz .LBB68_327
; %bb.278:                              ;   in Loop: Header=BB68_217 Depth=1
	v_cmp_neq_f32_e32 vcc, 0, v18
                                        ; implicit-def: $vgpr15
	s_and_saveexec_b64 s[12:13], vcc
	s_xor_b64 s[28:29], exec, s[12:13]
	s_cbranch_execz .LBB68_324
; %bb.279:                              ;   in Loop: Header=BB68_217 Depth=1
	v_cmp_o_f32_e32 vcc, v18, v17
                                        ; implicit-def: $vgpr15
	s_and_saveexec_b64 s[12:13], vcc
	s_xor_b64 s[30:31], exec, s[12:13]
	s_cbranch_execz .LBB68_313
; %bb.280:                              ;   in Loop: Header=BB68_217 Depth=1
	v_max_f32_e64 v16, |v17|, |v17|
	v_max_f32_e64 v15, |v18|, |v18|
	v_max_f32_e32 v15, v15, v16
	v_cmp_nlt_f32_e32 vcc, s51, v15
                                        ; implicit-def: $vgpr15
	s_and_saveexec_b64 s[12:13], vcc
	s_xor_b64 s[34:35], exec, s[12:13]
	s_cbranch_execz .LBB68_298
; %bb.281:                              ;   in Loop: Header=BB68_217 Depth=1
	v_cmp_nlt_f32_e64 s[12:13], |v18|, s52
	v_cmp_nlt_f32_e64 s[36:37], |v17|, s52
	s_or_b64 s[12:13], s[12:13], s[36:37]
                                        ; implicit-def: $vgpr15
	s_and_saveexec_b64 s[36:37], s[12:13]
	s_xor_b64 s[36:37], exec, s[36:37]
	s_cbranch_execz .LBB68_295
; %bb.282:                              ;   in Loop: Header=BB68_217 Depth=1
	v_cmp_neq_f32_e64 s[40:41], |v18|, 1.0
	v_cmp_nlt_f32_e64 s[38:39], |v17|, s53
	s_or_b64 s[12:13], s[40:41], s[38:39]
                                        ; implicit-def: $vgpr15
	s_and_saveexec_b64 s[42:43], s[12:13]
	s_xor_b64 s[12:13], exec, s[42:43]
	s_cbranch_execz .LBB68_284
; %bb.283:                              ;   in Loop: Header=BB68_217 Depth=1
	v_add_f32_e64 v35, |v18|, -1.0
	v_mul_f32_e32 v35, v35, v35
	v_cmp_lt_f32_e64 vcc, |v17|, s54
	v_fma_f32 v36, v17, v17, v35
	v_mul_f32_e64 v15, |v18|, 4.0
	v_cndmask_b32_e32 v35, v36, v35, vcc
	v_div_scale_f32 v36, s[42:43], v35, v35, v15
	v_rcp_f32_e32 v37, v36
	v_fma_f32 v38, -v36, v37, 1.0
	v_fmac_f32_e32 v37, v38, v37
	v_div_scale_f32 v38, vcc, v15, v35, v15
	v_mul_f32_e32 v39, v38, v37
	v_fma_f32 v40, -v36, v39, v38
	v_fmac_f32_e32 v39, v40, v37
	v_fma_f32 v36, -v36, v39, v38
	v_div_fmas_f32 v36, v36, v37, v39
	v_div_fixup_f32 v15, v36, v35, v15
	v_add_f32_e32 v37, 1.0, v15
	v_add_f32_e32 v35, -1.0, v37
	v_sub_f32_e32 v36, v35, v37
	v_add_f32_e32 v36, 1.0, v36
	v_sub_f32_e32 v35, v15, v35
	v_add_f32_e32 v38, v35, v36
	v_frexp_mant_f32_e32 v35, v37
	v_cmp_gt_f32_e32 vcc, s55, v35
	v_cvt_f64_f32_e32 v[35:36], v37
	v_frexp_exp_i32_f64_e32 v35, v[35:36]
	v_subbrev_co_u32_e32 v35, vcc, 0, v35, vcc
	v_sub_u32_e32 v36, 0, v35
	v_ldexp_f32 v37, v37, v36
	v_ldexp_f32 v36, v38, v36
	v_add_f32_e32 v38, -1.0, v37
	v_add_f32_e32 v39, 1.0, v38
	v_sub_f32_e32 v39, v37, v39
	v_add_f32_e32 v39, v36, v39
	v_add_f32_e32 v40, v38, v39
	v_sub_f32_e32 v38, v40, v38
	v_sub_f32_e32 v38, v39, v38
	v_add_f32_e32 v39, 1.0, v37
	v_add_f32_e32 v41, -1.0, v39
	v_sub_f32_e32 v37, v37, v41
	v_add_f32_e32 v36, v36, v37
	v_add_f32_e32 v37, v39, v36
	v_sub_f32_e32 v39, v37, v39
	v_sub_f32_e32 v36, v36, v39
	v_rcp_f32_e32 v39, v37
	v_cvt_f32_i32_e32 v35, v35
	v_cmp_neq_f32_e32 vcc, s57, v15
	v_mul_f32_e32 v41, v40, v39
	v_mul_f32_e32 v42, v37, v41
	v_fma_f32 v43, v41, v37, -v42
	v_fmac_f32_e32 v43, v41, v36
	v_add_f32_e32 v44, v42, v43
	v_sub_f32_e32 v45, v40, v44
	v_sub_f32_e32 v40, v40, v45
	;; [unrolled: 1-line block ×4, first 2 shown]
	v_add_f32_e32 v38, v38, v40
	v_sub_f32_e32 v40, v42, v43
	v_add_f32_e32 v38, v40, v38
	v_add_f32_e32 v40, v45, v38
	v_mul_f32_e32 v42, v39, v40
	v_mul_f32_e32 v43, v37, v42
	v_fma_f32 v37, v42, v37, -v43
	v_fmac_f32_e32 v37, v42, v36
	v_sub_f32_e32 v36, v45, v40
	v_add_f32_e32 v36, v38, v36
	v_add_f32_e32 v38, v43, v37
	v_sub_f32_e32 v44, v40, v38
	v_sub_f32_e32 v40, v40, v44
	;; [unrolled: 1-line block ×4, first 2 shown]
	v_add_f32_e32 v36, v36, v38
	v_sub_f32_e32 v37, v43, v37
	v_add_f32_e32 v36, v37, v36
	v_add_f32_e32 v37, v41, v42
	;; [unrolled: 1-line block ×3, first 2 shown]
	v_sub_f32_e32 v38, v37, v41
	v_mul_f32_e32 v36, v39, v36
	v_sub_f32_e32 v38, v42, v38
	v_add_f32_e32 v36, v38, v36
	v_mul_f32_e32 v41, 0x3f317218, v35
	v_add_f32_e32 v38, v37, v36
	v_fma_f32 v42, v35, s56, -v41
	v_mul_f32_e32 v39, v38, v38
	v_mov_b32_e32 v40, 0x3ecc95a3
	v_fmac_f32_e32 v42, 0xb102e308, v35
	v_sub_f32_e32 v35, v38, v37
	v_fmac_f32_e32 v40, 0x3e9b6dac, v39
	v_sub_f32_e32 v35, v36, v35
	v_add_f32_e32 v36, v41, v42
	v_fma_f32 v40, v39, v40, v20
	v_sub_f32_e32 v37, v36, v41
	v_ldexp_f32 v41, v38, 1
	v_mul_f32_e32 v38, v38, v39
	v_mul_f32_e32 v38, v38, v40
	v_add_f32_e32 v39, v41, v38
	v_sub_f32_e32 v40, v39, v41
	v_ldexp_f32 v35, v35, 1
	v_sub_f32_e32 v38, v38, v40
	v_add_f32_e32 v35, v35, v38
	v_add_f32_e32 v38, v39, v35
	v_sub_f32_e32 v39, v38, v39
	v_sub_f32_e32 v35, v35, v39
	v_add_f32_e32 v39, v36, v38
	v_sub_f32_e32 v40, v39, v36
	v_sub_f32_e32 v41, v39, v40
	;; [unrolled: 1-line block ×5, first 2 shown]
	v_add_f32_e32 v36, v38, v36
	v_add_f32_e32 v38, v37, v35
	v_sub_f32_e32 v40, v38, v37
	v_sub_f32_e32 v41, v38, v40
	;; [unrolled: 1-line block ×4, first 2 shown]
	v_add_f32_e32 v36, v38, v36
	v_add_f32_e32 v35, v35, v37
	;; [unrolled: 1-line block ×3, first 2 shown]
	v_sub_f32_e32 v38, v37, v39
	v_sub_f32_e32 v36, v36, v38
	v_add_f32_e32 v35, v35, v36
	v_add_f32_e32 v35, v37, v35
	v_cndmask_b32_e32 v35, v28, v35, vcc
	v_cmp_ngt_f32_e32 vcc, -1.0, v15
	v_cndmask_b32_e32 v35, v29, v35, vcc
	v_cmp_neq_f32_e32 vcc, -1.0, v15
	v_cndmask_b32_e32 v35, v30, v35, vcc
	v_cmp_lt_f32_e64 vcc, |v15|, s58
	v_cndmask_b32_e32 v15, v35, v15, vcc
	v_mul_f32_e32 v15, 0x3e800000, v15
	s_andn2_saveexec_b64 s[42:43], s[12:13]
	s_cbranch_execz .LBB68_286
	s_branch .LBB68_285
.LBB68_284:                             ;   in Loop: Header=BB68_217 Depth=1
	s_andn2_saveexec_b64 s[42:43], s[12:13]
	s_cbranch_execz .LBB68_286
.LBB68_285:                             ;   in Loop: Header=BB68_217 Depth=1
	v_cmp_lt_f32_e64 vcc, |v17|, s59
	v_cndmask_b32_e64 v15, 0, 32, vcc
	v_ldexp_f32 v15, |v17|, v15
	v_log_f32_e32 v15, v15
	v_mul_f32_e32 v35, 0x3f317217, v15
	v_fma_f32 v35, v15, s60, -v35
	v_fmac_f32_e32 v35, 0x3377d1cf, v15
	v_fmac_f32_e32 v35, 0x3f317217, v15
	v_cmp_lt_f32_e64 s[12:13], |v15|, s57
	v_cndmask_b32_e64 v15, v15, v35, s[12:13]
	v_cndmask_b32_e32 v35, 0, v31, vcc
	v_sub_f32_e32 v15, v15, v35
	v_sub_f32_e32 v15, 0x3f317218, v15
	v_mul_f32_e32 v15, 0.5, v15
.LBB68_286:                             ;   in Loop: Header=BB68_217 Depth=1
	s_or_b64 exec, exec, s[42:43]
                                        ; implicit-def: $vgpr36
	s_and_saveexec_b64 s[12:13], s[40:41]
	s_xor_b64 s[40:41], exec, s[12:13]
	s_cbranch_execz .LBB68_292
; %bb.287:                              ;   in Loop: Header=BB68_217 Depth=1
	v_sub_f32_e64 v35, 1.0, |v18|
	v_add_f32_e64 v36, |v18|, 1.0
	v_add_f32_e64 v16, |v17|, |v17|
	v_mul_f32_e32 v35, v35, v36
                                        ; implicit-def: $vgpr36
	s_and_saveexec_b64 s[12:13], s[38:39]
	s_xor_b64 s[38:39], exec, s[12:13]
	s_cbranch_execz .LBB68_289
; %bb.288:                              ;   in Loop: Header=BB68_217 Depth=1
	v_fma_f32 v35, -v17, v17, v35
	v_max_f32_e32 v36, v16, v16
	v_min_f32_e64 v37, |v35|, v36
	v_max_f32_e64 v36, |v35|, v36
	v_frexp_mant_f32_e32 v38, v36
	v_rcp_f32_e32 v38, v38
	v_frexp_exp_i32_f32_e32 v36, v36
	v_frexp_exp_i32_f32_e32 v39, v37
	v_frexp_mant_f32_e32 v37, v37
	v_mul_f32_e32 v37, v37, v38
	v_sub_u32_e32 v36, v39, v36
	v_ldexp_f32 v36, v37, v36
	v_mul_f32_e32 v37, v36, v36
	v_mov_b32_e32 v38, 0xbc7a590c
	v_fmac_f32_e32 v38, 0x3b2d2a58, v37
	v_fma_f32 v38, v37, v38, v21
	v_fma_f32 v38, v37, v38, v22
	;; [unrolled: 1-line block ×6, first 2 shown]
	v_mul_f32_e32 v37, v37, v38
	v_fmac_f32_e32 v36, v36, v37
	v_sub_f32_e32 v37, 0x3fc90fdb, v36
	v_cmp_gt_f32_e64 vcc, v16, |v35|
	v_cndmask_b32_e32 v36, v36, v37, vcc
	v_sub_f32_e32 v37, 0x40490fdb, v36
	v_cmp_gt_f32_e32 vcc, 0, v35
	v_cmp_gt_i32_e64 s[12:13], 0, v35
	v_cndmask_b32_e32 v36, v36, v37, vcc
	v_cndmask_b32_e64 v37, 0, v32, s[12:13]
	v_cndmask_b32_e32 v38, v33, v34, vcc
	v_cmp_class_f32_e64 s[42:43], v35, s61
	v_cmp_eq_f32_e32 vcc, s57, v16
	v_cmp_eq_f32_e64 s[12:13], 0, v16
	v_cndmask_b32_e64 v16, |v36|, v37, s[12:13]
	s_and_b64 vcc, vcc, s[42:43]
	v_cndmask_b32_e32 v16, v16, v38, vcc
	v_cmp_o_f32_e32 vcc, v35, v35
	v_cndmask_b32_e32 v36, v29, v16, vcc
                                        ; implicit-def: $vgpr16
                                        ; implicit-def: $vgpr35
.LBB68_289:                             ;   in Loop: Header=BB68_217 Depth=1
	s_andn2_saveexec_b64 s[38:39], s[38:39]
	s_cbranch_execz .LBB68_291
; %bb.290:                              ;   in Loop: Header=BB68_217 Depth=1
	v_max_f32_e32 v36, v16, v16
	v_max_f32_e64 v37, |v35|, |v35|
	v_min_f32_e32 v38, v37, v36
	v_max_f32_e32 v36, v37, v36
	v_frexp_mant_f32_e32 v37, v36
	v_rcp_f32_e32 v37, v37
	v_frexp_exp_i32_f32_e32 v36, v36
	v_frexp_exp_i32_f32_e32 v39, v38
	v_frexp_mant_f32_e32 v38, v38
	v_mul_f32_e32 v37, v38, v37
	v_sub_u32_e32 v36, v39, v36
	v_ldexp_f32 v36, v37, v36
	v_mul_f32_e32 v37, v36, v36
	v_mov_b32_e32 v38, 0xbc7a590c
	v_fmac_f32_e32 v38, 0x3b2d2a58, v37
	v_fma_f32 v38, v37, v38, v21
	v_fma_f32 v38, v37, v38, v22
	;; [unrolled: 1-line block ×6, first 2 shown]
	v_mul_f32_e32 v37, v37, v38
	v_fmac_f32_e32 v36, v36, v37
	v_sub_f32_e32 v37, 0x3fc90fdb, v36
	v_cmp_gt_f32_e64 vcc, v16, |v35|
	v_cndmask_b32_e32 v36, v36, v37, vcc
	v_sub_f32_e32 v37, 0x40490fdb, v36
	v_cmp_gt_f32_e32 vcc, 0, v35
	v_cmp_gt_i32_e64 s[12:13], 0, v35
	v_cndmask_b32_e32 v36, v36, v37, vcc
	v_cndmask_b32_e64 v37, 0, v32, s[12:13]
	v_cndmask_b32_e32 v38, v33, v34, vcc
	v_cmp_class_f32_e64 s[42:43], v35, s61
	v_cmp_eq_f32_e32 vcc, s57, v16
	v_cmp_eq_f32_e64 s[12:13], 0, v16
	v_cndmask_b32_e64 v16, |v36|, v37, s[12:13]
	s_and_b64 vcc, vcc, s[42:43]
	v_cndmask_b32_e32 v16, v16, v38, vcc
	v_cmp_o_f32_e32 vcc, v35, v35
	v_cndmask_b32_e32 v36, v29, v16, vcc
.LBB68_291:                             ;   in Loop: Header=BB68_217 Depth=1
	s_or_b64 exec, exec, s[38:39]
                                        ; implicit-def: $vgpr16
	s_andn2_saveexec_b64 s[12:13], s[40:41]
	s_cbranch_execnz .LBB68_293
	s_branch .LBB68_294
.LBB68_292:                             ;   in Loop: Header=BB68_217 Depth=1
	s_andn2_saveexec_b64 s[12:13], s[40:41]
	s_cbranch_execz .LBB68_294
.LBB68_293:                             ;   in Loop: Header=BB68_217 Depth=1
	v_min_f32_e32 v35, 2.0, v16
	v_max_f32_e32 v16, 2.0, v16
	v_frexp_mant_f32_e32 v36, v16
	v_rcp_f32_e32 v36, v36
	v_frexp_exp_i32_f32_e32 v16, v16
	v_frexp_exp_i32_f32_e32 v37, v35
	v_frexp_mant_f32_e32 v35, v35
	v_mul_f32_e32 v35, v35, v36
	v_sub_u32_e32 v16, v37, v16
	v_ldexp_f32 v16, v35, v16
	v_mul_f32_e32 v35, v16, v16
	v_mov_b32_e32 v36, 0xbc7a590c
	v_fmac_f32_e32 v36, 0x3b2d2a58, v35
	v_fma_f32 v36, v35, v36, v21
	v_fma_f32 v36, v35, v36, v22
	;; [unrolled: 1-line block ×6, first 2 shown]
	v_mul_f32_e32 v35, v35, v36
	v_fmac_f32_e32 v16, v16, v35
	v_sub_f32_e32 v35, 0x3fc90fdb, v16
	v_cmp_lt_f32_e64 vcc, |v17|, 2.0
	v_cndmask_b32_e32 v16, v16, v35, vcc
	v_sub_f32_e32 v35, 0x40490fdb, v16
	v_cmp_lg_f32_e32 vcc, 0, v17
	v_cndmask_b32_e32 v16, v16, v35, vcc
	v_and_b32_e32 v36, 0x7fffffff, v16
.LBB68_294:                             ;   in Loop: Header=BB68_217 Depth=1
	s_or_b64 exec, exec, s[12:13]
	v_mul_f32_e32 v35, 0.5, v36
	v_bfi_b32 v16, s62, v15, v18
	v_bfi_b32 v15, s62, v35, v17
                                        ; implicit-def: $vgpr17
.LBB68_295:                             ;   in Loop: Header=BB68_217 Depth=1
	s_andn2_saveexec_b64 s[12:13], s[36:37]
	s_cbranch_execz .LBB68_297
; %bb.296:                              ;   in Loop: Header=BB68_217 Depth=1
	v_mov_b32_e32 v15, s20
	v_mov_b32_e32 v16, s21
	flat_store_dword v[15:16], v27
	s_waitcnt vmcnt(0)
	flat_load_dword v15, v[15:16] glc
	s_waitcnt vmcnt(0) lgkmcnt(0)
	v_add_f32_e32 v35, 1.0, v15
	v_mov_b32_e32 v15, s22
	v_mov_b32_e32 v16, s23
	flat_store_dword v[15:16], v35
	s_waitcnt vmcnt(0)
	flat_load_dword v15, v[15:16] glc
	s_waitcnt vmcnt(0) lgkmcnt(0)
	v_mov_b32_e32 v15, v17
	v_mov_b32_e32 v16, v18
.LBB68_297:                             ;   in Loop: Header=BB68_217 Depth=1
	s_or_b64 exec, exec, s[12:13]
                                        ; implicit-def: $vgpr17
.LBB68_298:                             ;   in Loop: Header=BB68_217 Depth=1
	s_andn2_saveexec_b64 s[12:13], s[34:35]
	s_cbranch_execz .LBB68_312
; %bb.299:                              ;   in Loop: Header=BB68_217 Depth=1
	v_and_b32_e32 v15, 0x7f800000, v18
	v_and_b32_e32 v35, 0x7f800000, v17
	v_sub_u32_e32 v16, v15, v35
	v_cmp_gt_i32_e32 vcc, s63, v16
	v_cmp_neq_f32_e64 s[34:35], |v18|, s57
	s_and_b64 s[34:35], s[34:35], vcc
                                        ; implicit-def: $vgpr16
	s_and_saveexec_b64 s[36:37], s[34:35]
	s_xor_b64 s[34:35], exec, s[36:37]
	s_cbranch_execz .LBB68_309
; %bb.300:                              ;   in Loop: Header=BB68_217 Depth=1
	v_sub_u32_e32 v16, v35, v15
	v_cmp_gt_i32_e32 vcc, s63, v16
                                        ; implicit-def: $vgpr16
	s_and_saveexec_b64 s[36:37], vcc
	s_xor_b64 s[36:37], exec, s[36:37]
	s_cbranch_execz .LBB68_306
; %bb.301:                              ;   in Loop: Header=BB68_217 Depth=1
	v_cmp_lt_u32_e32 vcc, s64, v15
                                        ; implicit-def: $vgpr16
	s_and_saveexec_b64 s[38:39], vcc
	s_xor_b64 s[38:39], exec, s[38:39]
	s_cbranch_execz .LBB68_303
; %bb.302:                              ;   in Loop: Header=BB68_217 Depth=1
	v_sub_u32_e32 v15, 0x7f800000, v15
	v_mul_f32_e32 v16, v18, v15
	v_mul_f32_e32 v18, v17, v15
	;; [unrolled: 1-line block ×3, first 2 shown]
	v_fmac_f32_e32 v18, v16, v16
	v_div_scale_f32 v35, s[40:41], v18, v18, v16
	v_div_scale_f32 v36, vcc, v16, v18, v16
	v_rcp_f32_e32 v37, v35
	v_fma_f32 v38, -v35, v37, 1.0
	v_fmac_f32_e32 v37, v38, v37
	v_mul_f32_e32 v38, v36, v37
	v_fma_f32 v39, -v35, v38, v36
	v_fmac_f32_e32 v38, v39, v37
	v_fma_f32 v35, -v35, v38, v36
	v_div_fmas_f32 v35, v35, v37, v38
	v_div_fixup_f32 v16, v35, v18, v16
	v_mul_f32_e32 v16, v16, v15
.LBB68_303:                             ;   in Loop: Header=BB68_217 Depth=1
	s_andn2_saveexec_b64 s[38:39], s[38:39]
	s_cbranch_execz .LBB68_305
; %bb.304:                              ;   in Loop: Header=BB68_217 Depth=1
	v_mul_f32_e32 v15, v17, v17
	v_fmac_f32_e32 v15, v18, v18
	v_div_scale_f32 v16, s[40:41], v15, v15, v18
	v_div_scale_f32 v35, vcc, v18, v15, v18
	v_rcp_f32_e32 v36, v16
	v_fma_f32 v37, -v16, v36, 1.0
	v_fmac_f32_e32 v36, v37, v36
	v_mul_f32_e32 v37, v35, v36
	v_fma_f32 v38, -v16, v37, v35
	v_fmac_f32_e32 v37, v38, v36
	v_fma_f32 v16, -v16, v37, v35
	v_div_fmas_f32 v16, v16, v36, v37
	v_div_fixup_f32 v16, v16, v15, v18
.LBB68_305:                             ;   in Loop: Header=BB68_217 Depth=1
	s_or_b64 exec, exec, s[38:39]
.LBB68_306:                             ;   in Loop: Header=BB68_217 Depth=1
	s_andn2_saveexec_b64 s[36:37], s[36:37]
	s_cbranch_execz .LBB68_308
; %bb.307:                              ;   in Loop: Header=BB68_217 Depth=1
	v_div_scale_f32 v15, s[38:39], v17, v17, v18
	v_div_scale_f32 v16, vcc, v18, v17, v18
	v_rcp_f32_e32 v35, v15
	v_fma_f32 v36, -v15, v35, 1.0
	v_fmac_f32_e32 v35, v36, v35
	v_mul_f32_e32 v36, v16, v35
	v_fma_f32 v37, -v15, v36, v16
	v_fmac_f32_e32 v36, v37, v35
	v_fma_f32 v15, -v15, v36, v16
	v_div_fmas_f32 v15, v15, v35, v36
	v_div_fixup_f32 v15, v15, v17, v18
	v_div_scale_f32 v16, s[38:39], v17, v17, v15
	v_div_scale_f32 v18, vcc, v15, v17, v15
	v_rcp_f32_e32 v35, v16
	v_fma_f32 v36, -v16, v35, 1.0
	v_fmac_f32_e32 v35, v36, v35
	v_mul_f32_e32 v36, v18, v35
	v_fma_f32 v37, -v16, v36, v18
	v_fmac_f32_e32 v36, v37, v35
	v_fma_f32 v16, -v16, v36, v18
	v_div_fmas_f32 v16, v16, v35, v36
	v_div_fixup_f32 v16, v16, v17, v15
.LBB68_308:                             ;   in Loop: Header=BB68_217 Depth=1
	s_or_b64 exec, exec, s[36:37]
.LBB68_309:                             ;   in Loop: Header=BB68_217 Depth=1
	s_andn2_saveexec_b64 s[34:35], s[34:35]
	s_cbranch_execz .LBB68_311
; %bb.310:                              ;   in Loop: Header=BB68_217 Depth=1
	v_div_scale_f32 v15, s[36:37], v18, v18, 1.0
	v_div_scale_f32 v16, vcc, 1.0, v18, 1.0
	v_rcp_f32_e32 v35, v15
	v_fma_f32 v36, -v15, v35, 1.0
	v_fmac_f32_e32 v35, v36, v35
	v_mul_f32_e32 v36, v16, v35
	v_fma_f32 v37, -v15, v36, v16
	v_fmac_f32_e32 v36, v37, v35
	v_fma_f32 v15, -v15, v36, v16
	v_div_fmas_f32 v15, v15, v35, v36
	v_div_fixup_f32 v16, v15, v18, 1.0
.LBB68_311:                             ;   in Loop: Header=BB68_217 Depth=1
	s_or_b64 exec, exec, s[34:35]
	v_mov_b32_e32 v36, s15
	v_mov_b32_e32 v35, s14
	flat_load_dword v15, v[35:36] glc
	s_waitcnt vmcnt(0) lgkmcnt(0)
	v_add_f32_e32 v15, 0x3fc90fdb, v15
	v_bfi_b32 v15, s62, v15, v17
.LBB68_312:                             ;   in Loop: Header=BB68_217 Depth=1
	s_or_b64 exec, exec, s[12:13]
                                        ; implicit-def: $vgpr18
.LBB68_313:                             ;   in Loop: Header=BB68_217 Depth=1
	s_andn2_saveexec_b64 s[12:13], s[30:31]
	s_cbranch_execz .LBB68_323
; %bb.314:                              ;   in Loop: Header=BB68_217 Depth=1
	v_cmp_neq_f32_e64 s[30:31], |v18|, s57
                                        ; implicit-def: $vgpr15
	s_and_saveexec_b64 s[34:35], s[30:31]
	s_xor_b64 s[30:31], exec, s[34:35]
	s_cbranch_execz .LBB68_320
; %bb.315:                              ;   in Loop: Header=BB68_217 Depth=1
	v_cmp_neq_f32_e64 s[34:35], |v17|, s57
                                        ; implicit-def: $vgpr15
	s_and_saveexec_b64 s[36:37], s[34:35]
	s_xor_b64 s[34:35], exec, s[36:37]
; %bb.316:                              ;   in Loop: Header=BB68_217 Depth=1
	v_add_f32_e32 v15, 0, v17
	v_add_f32_e32 v15, v18, v15
                                        ; implicit-def: $vgpr18
; %bb.317:                              ;   in Loop: Header=BB68_217 Depth=1
	s_or_saveexec_b64 s[34:35], s[34:35]
	v_mov_b32_e32 v16, v15
	s_xor_b64 exec, exec, s[34:35]
	s_cbranch_execz .LBB68_319
; %bb.318:                              ;   in Loop: Header=BB68_217 Depth=1
	v_mov_b32_e32 v16, s15
	v_mov_b32_e32 v15, s14
	flat_load_dword v15, v[15:16] glc
	s_waitcnt vmcnt(0)
	v_bfi_b32 v16, s62, 0, v18
	s_waitcnt lgkmcnt(0)
	v_add_f32_e32 v15, 0x3fc90fdb, v15
	v_bfi_b32 v15, s62, v15, v17
.LBB68_319:                             ;   in Loop: Header=BB68_217 Depth=1
	s_or_b64 exec, exec, s[34:35]
                                        ; implicit-def: $vgpr18
.LBB68_320:                             ;   in Loop: Header=BB68_217 Depth=1
	s_andn2_saveexec_b64 s[30:31], s[30:31]
; %bb.321:                              ;   in Loop: Header=BB68_217 Depth=1
	v_bfi_b32 v16, s62, 0, v18
	v_add_f32_e32 v15, v17, v17
; %bb.322:                              ;   in Loop: Header=BB68_217 Depth=1
	s_or_b64 exec, exec, s[30:31]
.LBB68_323:                             ;   in Loop: Header=BB68_217 Depth=1
	s_or_b64 exec, exec, s[12:13]
                                        ; implicit-def: $vgpr17
.LBB68_324:                             ;   in Loop: Header=BB68_217 Depth=1
	s_andn2_saveexec_b64 s[12:13], s[28:29]
	s_cbranch_execz .LBB68_326
; %bb.325:                              ;   in Loop: Header=BB68_217 Depth=1
	v_rcp_f32_e64 v15, |v17|
	v_cmp_gt_f32_e64 vcc, |v17|, 1.0
	v_mov_b32_e32 v16, 0xbc7a590c
	v_cndmask_b32_e64 v15, |v17|, v15, vcc
	v_mul_f32_e32 v35, v15, v15
	v_fmac_f32_e32 v16, 0x3b2d2a58, v35
	v_fma_f32 v16, v35, v16, v21
	v_fma_f32 v16, v35, v16, v22
	;; [unrolled: 1-line block ×6, first 2 shown]
	v_mul_f32_e32 v16, v35, v16
	v_fmac_f32_e32 v15, v15, v16
	v_sub_f32_e32 v16, 0x3fc90fdb, v15
	v_cndmask_b32_e32 v15, v15, v16, vcc
	v_bfi_b32 v15, s62, v15, v17
	v_mov_b32_e32 v16, v18
.LBB68_326:                             ;   in Loop: Header=BB68_217 Depth=1
	s_or_b64 exec, exec, s[12:13]
                                        ; implicit-def: $vgpr18
.LBB68_327:                             ;   in Loop: Header=BB68_217 Depth=1
	s_andn2_saveexec_b64 s[12:13], s[26:27]
	s_cbranch_execz .LBB68_329
; %bb.328:                              ;   in Loop: Header=BB68_217 Depth=1
	v_sub_f32_e64 v15, 1.0, |v18|
	v_rcp_f32_e32 v16, v15
	v_add_f32_e64 v35, |v18|, 1.0
	v_sub_f32_e32 v36, 1.0, v15
	v_sub_f32_e64 v36, v36, |v18|
	v_mul_f32_e32 v37, v35, v16
	v_mul_f32_e32 v38, v15, v37
	v_fma_f32 v15, v37, v15, -v38
	v_fmac_f32_e32 v15, v37, v36
	v_add_f32_e32 v39, v38, v15
	v_sub_f32_e32 v40, v35, v39
	v_add_f32_e32 v36, -1.0, v35
	v_sub_f32_e32 v38, v39, v38
	v_sub_f32_e32 v35, v35, v40
	v_sub_f32_e32 v35, v35, v39
	v_sub_f32_e32 v15, v38, v15
	v_sub_f32_e64 v36, |v18|, v36
	v_add_f32_e32 v15, v15, v35
	v_add_f32_e32 v15, v36, v15
	;; [unrolled: 1-line block ×3, first 2 shown]
	v_mul_f32_e32 v35, v16, v15
	v_add_f32_e32 v36, v37, v35
	v_cvt_f64_f32_e32 v[15:16], v36
	v_cmp_lt_f32_e64 s[26:27], |v18|, s65
	v_frexp_exp_i32_f64_e32 v15, v[15:16]
	v_sub_f32_e32 v16, v36, v37
	v_frexp_mant_f32_e32 v37, v36
	v_cmp_gt_f32_e32 vcc, s55, v37
	v_sub_f32_e32 v16, v35, v16
	v_subbrev_co_u32_e32 v15, vcc, 0, v15, vcc
	v_sub_u32_e32 v35, 0, v15
	v_ldexp_f32 v36, v36, v35
	v_ldexp_f32 v16, v16, v35
	v_add_f32_e32 v35, -1.0, v36
	v_add_f32_e32 v39, 1.0, v36
	v_add_f32_e32 v37, 1.0, v35
	v_add_f32_e32 v40, -1.0, v39
	v_sub_f32_e32 v37, v36, v37
	v_sub_f32_e32 v36, v36, v40
	v_add_f32_e32 v37, v16, v37
	v_add_f32_e32 v16, v16, v36
	;; [unrolled: 1-line block ×3, first 2 shown]
	v_rcp_f32_e32 v40, v36
	v_add_f32_e32 v38, v35, v37
	v_sub_f32_e32 v35, v38, v35
	v_sub_f32_e32 v35, v37, v35
	;; [unrolled: 1-line block ×4, first 2 shown]
	v_mul_f32_e32 v37, v38, v40
	v_mul_f32_e32 v39, v36, v37
	v_fma_f32 v41, v37, v36, -v39
	v_fmac_f32_e32 v41, v37, v16
	v_add_f32_e32 v42, v39, v41
	v_sub_f32_e32 v43, v38, v42
	v_sub_f32_e32 v38, v38, v43
	;; [unrolled: 1-line block ×4, first 2 shown]
	v_add_f32_e32 v35, v35, v38
	v_sub_f32_e32 v38, v39, v41
	v_add_f32_e32 v35, v38, v35
	v_add_f32_e32 v38, v43, v35
	v_mul_f32_e32 v39, v40, v38
	v_mul_f32_e32 v41, v36, v39
	v_fma_f32 v36, v39, v36, -v41
	v_fmac_f32_e32 v36, v39, v16
	v_sub_f32_e32 v16, v43, v38
	v_add_f32_e32 v16, v35, v16
	v_add_f32_e32 v35, v41, v36
	v_sub_f32_e32 v42, v38, v35
	v_sub_f32_e32 v38, v38, v42
	;; [unrolled: 1-line block ×4, first 2 shown]
	v_add_f32_e32 v16, v16, v35
	v_sub_f32_e32 v35, v41, v36
	v_cvt_f32_i32_e32 v15, v15
	v_add_f32_e32 v16, v35, v16
	v_add_f32_e32 v35, v37, v39
	;; [unrolled: 1-line block ×3, first 2 shown]
	v_sub_f32_e32 v36, v35, v37
	v_mul_f32_e32 v16, v40, v16
	v_sub_f32_e32 v36, v39, v36
	v_add_f32_e32 v16, v36, v16
	v_mul_f32_e32 v39, 0x3f317218, v15
	v_add_f32_e32 v36, v35, v16
	v_fma_f32 v40, v15, s56, -v39
	v_mul_f32_e32 v37, v36, v36
	v_mov_b32_e32 v38, 0x3ecc95a3
	v_fmac_f32_e32 v40, 0xb102e308, v15
	v_sub_f32_e32 v15, v36, v35
	v_fmac_f32_e32 v38, 0x3e9b6dac, v37
	v_sub_f32_e32 v15, v16, v15
	v_add_f32_e32 v16, v39, v40
	v_fma_f32 v38, v37, v38, v20
	v_sub_f32_e32 v35, v16, v39
	v_ldexp_f32 v39, v36, 1
	v_mul_f32_e32 v36, v36, v37
	v_mul_f32_e32 v36, v36, v38
	v_add_f32_e32 v37, v39, v36
	v_sub_f32_e32 v38, v37, v39
	v_ldexp_f32 v15, v15, 1
	v_sub_f32_e32 v36, v36, v38
	v_add_f32_e32 v15, v15, v36
	v_add_f32_e32 v36, v37, v15
	v_sub_f32_e32 v37, v36, v37
	v_sub_f32_e32 v15, v15, v37
	v_add_f32_e32 v37, v16, v36
	v_sub_f32_e32 v38, v37, v16
	v_sub_f32_e32 v39, v37, v38
	;; [unrolled: 1-line block ×5, first 2 shown]
	v_add_f32_e32 v16, v36, v16
	v_add_f32_e32 v36, v35, v15
	v_sub_f32_e32 v38, v36, v35
	v_sub_f32_e32 v39, v36, v38
	;; [unrolled: 1-line block ×4, first 2 shown]
	v_add_f32_e32 v16, v36, v16
	v_add_f32_e32 v15, v15, v35
	;; [unrolled: 1-line block ×3, first 2 shown]
	v_sub_f32_e32 v36, v35, v37
	v_sub_f32_e32 v16, v16, v36
	v_add_f32_e32 v15, v15, v16
	v_add_f32_e32 v15, v35, v15
	v_mul_f32_e32 v15, 0.5, v15
	v_cndmask_b32_e64 v15, v15, |v18|, s[26:27]
	v_cmp_neq_f32_e64 vcc, |v18|, 1.0
	v_cndmask_b32_e32 v15, v28, v15, vcc
	v_bfi_b32 v16, s62, v15, v18
	v_mov_b32_e32 v15, v17
.LBB68_329:                             ;   in Loop: Header=BB68_217 Depth=1
	s_or_b64 exec, exec, s[12:13]
	v_mov_b32_e32 v18, s15
	v_cmp_neq_f32_e32 vcc, 0, v13
	v_cmp_nle_f32_e64 s[12:13], |v14|, 1.0
	v_mov_b32_e32 v17, s14
	s_or_b64 s[12:13], vcc, s[12:13]
	flat_store_dword v[17:18], v19
	s_waitcnt vmcnt(0)
                                        ; implicit-def: $vgpr17
	s_and_saveexec_b64 s[26:27], s[12:13]
	s_xor_b64 s[26:27], exec, s[26:27]
	s_cbranch_execz .LBB68_379
; %bb.330:                              ;   in Loop: Header=BB68_217 Depth=1
	v_cmp_neq_f32_e32 vcc, 0, v14
                                        ; implicit-def: $vgpr17
	s_and_saveexec_b64 s[12:13], vcc
	s_xor_b64 s[28:29], exec, s[12:13]
	s_cbranch_execz .LBB68_376
; %bb.331:                              ;   in Loop: Header=BB68_217 Depth=1
	v_cmp_o_f32_e32 vcc, v14, v13
                                        ; implicit-def: $vgpr17
	s_and_saveexec_b64 s[12:13], vcc
	s_xor_b64 s[30:31], exec, s[12:13]
	s_cbranch_execz .LBB68_365
; %bb.332:                              ;   in Loop: Header=BB68_217 Depth=1
	v_max_f32_e64 v18, |v13|, |v13|
	v_max_f32_e64 v17, |v14|, |v14|
	v_max_f32_e32 v17, v17, v18
	v_cmp_nlt_f32_e32 vcc, s51, v17
                                        ; implicit-def: $vgpr17
	s_and_saveexec_b64 s[12:13], vcc
	s_xor_b64 s[34:35], exec, s[12:13]
	s_cbranch_execz .LBB68_350
; %bb.333:                              ;   in Loop: Header=BB68_217 Depth=1
	v_cmp_nlt_f32_e64 s[12:13], |v14|, s52
	v_cmp_nlt_f32_e64 s[36:37], |v13|, s52
	s_or_b64 s[12:13], s[12:13], s[36:37]
                                        ; implicit-def: $vgpr17
	s_and_saveexec_b64 s[36:37], s[12:13]
	s_xor_b64 s[36:37], exec, s[36:37]
	s_cbranch_execz .LBB68_347
; %bb.334:                              ;   in Loop: Header=BB68_217 Depth=1
	v_cmp_neq_f32_e64 s[40:41], |v14|, 1.0
	v_cmp_nlt_f32_e64 s[38:39], |v13|, s53
	s_or_b64 s[12:13], s[40:41], s[38:39]
                                        ; implicit-def: $vgpr17
	s_and_saveexec_b64 s[42:43], s[12:13]
	s_xor_b64 s[12:13], exec, s[42:43]
	s_cbranch_execz .LBB68_336
; %bb.335:                              ;   in Loop: Header=BB68_217 Depth=1
	v_add_f32_e64 v35, |v14|, -1.0
	v_mul_f32_e32 v35, v35, v35
	v_cmp_lt_f32_e64 vcc, |v13|, s54
	v_fma_f32 v36, v13, v13, v35
	v_mul_f32_e64 v17, |v14|, 4.0
	v_cndmask_b32_e32 v35, v36, v35, vcc
	v_div_scale_f32 v36, s[42:43], v35, v35, v17
	v_rcp_f32_e32 v37, v36
	v_fma_f32 v38, -v36, v37, 1.0
	v_fmac_f32_e32 v37, v38, v37
	v_div_scale_f32 v38, vcc, v17, v35, v17
	v_mul_f32_e32 v39, v38, v37
	v_fma_f32 v40, -v36, v39, v38
	v_fmac_f32_e32 v39, v40, v37
	v_fma_f32 v36, -v36, v39, v38
	v_div_fmas_f32 v36, v36, v37, v39
	v_div_fixup_f32 v17, v36, v35, v17
	v_add_f32_e32 v37, 1.0, v17
	v_add_f32_e32 v35, -1.0, v37
	v_sub_f32_e32 v36, v35, v37
	v_add_f32_e32 v36, 1.0, v36
	v_sub_f32_e32 v35, v17, v35
	v_add_f32_e32 v38, v35, v36
	v_frexp_mant_f32_e32 v35, v37
	v_cmp_gt_f32_e32 vcc, s55, v35
	v_cvt_f64_f32_e32 v[35:36], v37
	v_frexp_exp_i32_f64_e32 v35, v[35:36]
	v_subbrev_co_u32_e32 v35, vcc, 0, v35, vcc
	v_sub_u32_e32 v36, 0, v35
	v_ldexp_f32 v37, v37, v36
	v_ldexp_f32 v36, v38, v36
	v_add_f32_e32 v38, -1.0, v37
	v_add_f32_e32 v39, 1.0, v38
	v_sub_f32_e32 v39, v37, v39
	v_add_f32_e32 v39, v36, v39
	v_add_f32_e32 v40, v38, v39
	v_sub_f32_e32 v38, v40, v38
	v_sub_f32_e32 v38, v39, v38
	v_add_f32_e32 v39, 1.0, v37
	v_add_f32_e32 v41, -1.0, v39
	v_sub_f32_e32 v37, v37, v41
	v_add_f32_e32 v36, v36, v37
	v_add_f32_e32 v37, v39, v36
	v_sub_f32_e32 v39, v37, v39
	v_sub_f32_e32 v36, v36, v39
	v_rcp_f32_e32 v39, v37
	v_cvt_f32_i32_e32 v35, v35
	v_cmp_neq_f32_e32 vcc, s57, v17
	v_mul_f32_e32 v41, v40, v39
	v_mul_f32_e32 v42, v37, v41
	v_fma_f32 v43, v41, v37, -v42
	v_fmac_f32_e32 v43, v41, v36
	v_add_f32_e32 v44, v42, v43
	v_sub_f32_e32 v45, v40, v44
	v_sub_f32_e32 v40, v40, v45
	;; [unrolled: 1-line block ×4, first 2 shown]
	v_add_f32_e32 v38, v38, v40
	v_sub_f32_e32 v40, v42, v43
	v_add_f32_e32 v38, v40, v38
	v_add_f32_e32 v40, v45, v38
	v_mul_f32_e32 v42, v39, v40
	v_mul_f32_e32 v43, v37, v42
	v_fma_f32 v37, v42, v37, -v43
	v_fmac_f32_e32 v37, v42, v36
	v_sub_f32_e32 v36, v45, v40
	v_add_f32_e32 v36, v38, v36
	v_add_f32_e32 v38, v43, v37
	v_sub_f32_e32 v44, v40, v38
	v_sub_f32_e32 v40, v40, v44
	;; [unrolled: 1-line block ×4, first 2 shown]
	v_add_f32_e32 v36, v36, v38
	v_sub_f32_e32 v37, v43, v37
	v_add_f32_e32 v36, v37, v36
	v_add_f32_e32 v37, v41, v42
	;; [unrolled: 1-line block ×3, first 2 shown]
	v_sub_f32_e32 v38, v37, v41
	v_mul_f32_e32 v36, v39, v36
	v_sub_f32_e32 v38, v42, v38
	v_add_f32_e32 v36, v38, v36
	v_mul_f32_e32 v41, 0x3f317218, v35
	v_add_f32_e32 v38, v37, v36
	v_fma_f32 v42, v35, s56, -v41
	v_mul_f32_e32 v39, v38, v38
	v_mov_b32_e32 v40, 0x3ecc95a3
	v_fmac_f32_e32 v42, 0xb102e308, v35
	v_sub_f32_e32 v35, v38, v37
	v_fmac_f32_e32 v40, 0x3e9b6dac, v39
	v_sub_f32_e32 v35, v36, v35
	v_add_f32_e32 v36, v41, v42
	v_fma_f32 v40, v39, v40, v20
	v_sub_f32_e32 v37, v36, v41
	v_ldexp_f32 v41, v38, 1
	v_mul_f32_e32 v38, v38, v39
	v_mul_f32_e32 v38, v38, v40
	v_add_f32_e32 v39, v41, v38
	v_sub_f32_e32 v40, v39, v41
	v_ldexp_f32 v35, v35, 1
	v_sub_f32_e32 v38, v38, v40
	v_add_f32_e32 v35, v35, v38
	v_add_f32_e32 v38, v39, v35
	v_sub_f32_e32 v39, v38, v39
	v_sub_f32_e32 v35, v35, v39
	v_add_f32_e32 v39, v36, v38
	v_sub_f32_e32 v40, v39, v36
	v_sub_f32_e32 v41, v39, v40
	;; [unrolled: 1-line block ×5, first 2 shown]
	v_add_f32_e32 v36, v38, v36
	v_add_f32_e32 v38, v37, v35
	v_sub_f32_e32 v40, v38, v37
	v_sub_f32_e32 v41, v38, v40
	;; [unrolled: 1-line block ×4, first 2 shown]
	v_add_f32_e32 v36, v38, v36
	v_add_f32_e32 v35, v35, v37
	;; [unrolled: 1-line block ×3, first 2 shown]
	v_sub_f32_e32 v38, v37, v39
	v_sub_f32_e32 v36, v36, v38
	v_add_f32_e32 v35, v35, v36
	v_add_f32_e32 v35, v37, v35
	v_cndmask_b32_e32 v35, v28, v35, vcc
	v_cmp_ngt_f32_e32 vcc, -1.0, v17
	v_cndmask_b32_e32 v35, v29, v35, vcc
	v_cmp_neq_f32_e32 vcc, -1.0, v17
	v_cndmask_b32_e32 v35, v30, v35, vcc
	v_cmp_lt_f32_e64 vcc, |v17|, s58
	v_cndmask_b32_e32 v17, v35, v17, vcc
	v_mul_f32_e32 v17, 0x3e800000, v17
	s_andn2_saveexec_b64 s[42:43], s[12:13]
	s_cbranch_execz .LBB68_338
	s_branch .LBB68_337
.LBB68_336:                             ;   in Loop: Header=BB68_217 Depth=1
	s_andn2_saveexec_b64 s[42:43], s[12:13]
	s_cbranch_execz .LBB68_338
.LBB68_337:                             ;   in Loop: Header=BB68_217 Depth=1
	v_cmp_lt_f32_e64 vcc, |v13|, s59
	v_cndmask_b32_e64 v17, 0, 32, vcc
	v_ldexp_f32 v17, |v13|, v17
	v_log_f32_e32 v17, v17
	v_mul_f32_e32 v35, 0x3f317217, v17
	v_fma_f32 v35, v17, s60, -v35
	v_fmac_f32_e32 v35, 0x3377d1cf, v17
	v_fmac_f32_e32 v35, 0x3f317217, v17
	v_cmp_lt_f32_e64 s[12:13], |v17|, s57
	v_cndmask_b32_e64 v17, v17, v35, s[12:13]
	v_cndmask_b32_e32 v35, 0, v31, vcc
	v_sub_f32_e32 v17, v17, v35
	v_sub_f32_e32 v17, 0x3f317218, v17
	v_mul_f32_e32 v17, 0.5, v17
.LBB68_338:                             ;   in Loop: Header=BB68_217 Depth=1
	s_or_b64 exec, exec, s[42:43]
                                        ; implicit-def: $vgpr36
	s_and_saveexec_b64 s[12:13], s[40:41]
	s_xor_b64 s[40:41], exec, s[12:13]
	s_cbranch_execz .LBB68_344
; %bb.339:                              ;   in Loop: Header=BB68_217 Depth=1
	v_sub_f32_e64 v35, 1.0, |v14|
	v_add_f32_e64 v36, |v14|, 1.0
	v_add_f32_e64 v18, |v13|, |v13|
	v_mul_f32_e32 v35, v35, v36
                                        ; implicit-def: $vgpr36
	s_and_saveexec_b64 s[12:13], s[38:39]
	s_xor_b64 s[38:39], exec, s[12:13]
	s_cbranch_execz .LBB68_341
; %bb.340:                              ;   in Loop: Header=BB68_217 Depth=1
	v_fma_f32 v35, -v13, v13, v35
	v_max_f32_e32 v36, v18, v18
	v_min_f32_e64 v37, |v35|, v36
	v_max_f32_e64 v36, |v35|, v36
	v_frexp_mant_f32_e32 v38, v36
	v_rcp_f32_e32 v38, v38
	v_frexp_exp_i32_f32_e32 v36, v36
	v_frexp_exp_i32_f32_e32 v39, v37
	v_frexp_mant_f32_e32 v37, v37
	v_mul_f32_e32 v37, v37, v38
	v_sub_u32_e32 v36, v39, v36
	v_ldexp_f32 v36, v37, v36
	v_mul_f32_e32 v37, v36, v36
	v_mov_b32_e32 v38, 0xbc7a590c
	v_fmac_f32_e32 v38, 0x3b2d2a58, v37
	v_fma_f32 v38, v37, v38, v21
	v_fma_f32 v38, v37, v38, v22
	v_fma_f32 v38, v37, v38, v23
	v_fma_f32 v38, v37, v38, v24
	v_fma_f32 v38, v37, v38, v25
	v_fma_f32 v38, v37, v38, v26
	v_mul_f32_e32 v37, v37, v38
	v_fmac_f32_e32 v36, v36, v37
	v_sub_f32_e32 v37, 0x3fc90fdb, v36
	v_cmp_gt_f32_e64 vcc, v18, |v35|
	v_cndmask_b32_e32 v36, v36, v37, vcc
	v_sub_f32_e32 v37, 0x40490fdb, v36
	v_cmp_gt_f32_e32 vcc, 0, v35
	v_cmp_gt_i32_e64 s[12:13], 0, v35
	v_cndmask_b32_e32 v36, v36, v37, vcc
	v_cndmask_b32_e64 v37, 0, v32, s[12:13]
	v_cndmask_b32_e32 v38, v33, v34, vcc
	v_cmp_class_f32_e64 s[42:43], v35, s61
	v_cmp_eq_f32_e32 vcc, s57, v18
	v_cmp_eq_f32_e64 s[12:13], 0, v18
	v_cndmask_b32_e64 v18, |v36|, v37, s[12:13]
	s_and_b64 vcc, vcc, s[42:43]
	v_cndmask_b32_e32 v18, v18, v38, vcc
	v_cmp_o_f32_e32 vcc, v35, v35
	v_cndmask_b32_e32 v36, v29, v18, vcc
                                        ; implicit-def: $vgpr18
                                        ; implicit-def: $vgpr35
.LBB68_341:                             ;   in Loop: Header=BB68_217 Depth=1
	s_andn2_saveexec_b64 s[38:39], s[38:39]
	s_cbranch_execz .LBB68_343
; %bb.342:                              ;   in Loop: Header=BB68_217 Depth=1
	v_max_f32_e32 v36, v18, v18
	v_max_f32_e64 v37, |v35|, |v35|
	v_min_f32_e32 v38, v37, v36
	v_max_f32_e32 v36, v37, v36
	v_frexp_mant_f32_e32 v37, v36
	v_rcp_f32_e32 v37, v37
	v_frexp_exp_i32_f32_e32 v36, v36
	v_frexp_exp_i32_f32_e32 v39, v38
	v_frexp_mant_f32_e32 v38, v38
	v_mul_f32_e32 v37, v38, v37
	v_sub_u32_e32 v36, v39, v36
	v_ldexp_f32 v36, v37, v36
	v_mul_f32_e32 v37, v36, v36
	v_mov_b32_e32 v38, 0xbc7a590c
	v_fmac_f32_e32 v38, 0x3b2d2a58, v37
	v_fma_f32 v38, v37, v38, v21
	v_fma_f32 v38, v37, v38, v22
	v_fma_f32 v38, v37, v38, v23
	v_fma_f32 v38, v37, v38, v24
	v_fma_f32 v38, v37, v38, v25
	v_fma_f32 v38, v37, v38, v26
	v_mul_f32_e32 v37, v37, v38
	v_fmac_f32_e32 v36, v36, v37
	v_sub_f32_e32 v37, 0x3fc90fdb, v36
	v_cmp_gt_f32_e64 vcc, v18, |v35|
	v_cndmask_b32_e32 v36, v36, v37, vcc
	v_sub_f32_e32 v37, 0x40490fdb, v36
	v_cmp_gt_f32_e32 vcc, 0, v35
	v_cmp_gt_i32_e64 s[12:13], 0, v35
	v_cndmask_b32_e32 v36, v36, v37, vcc
	v_cndmask_b32_e64 v37, 0, v32, s[12:13]
	v_cndmask_b32_e32 v38, v33, v34, vcc
	v_cmp_class_f32_e64 s[42:43], v35, s61
	v_cmp_eq_f32_e32 vcc, s57, v18
	v_cmp_eq_f32_e64 s[12:13], 0, v18
	v_cndmask_b32_e64 v18, |v36|, v37, s[12:13]
	s_and_b64 vcc, vcc, s[42:43]
	v_cndmask_b32_e32 v18, v18, v38, vcc
	v_cmp_o_f32_e32 vcc, v35, v35
	v_cndmask_b32_e32 v36, v29, v18, vcc
.LBB68_343:                             ;   in Loop: Header=BB68_217 Depth=1
	s_or_b64 exec, exec, s[38:39]
                                        ; implicit-def: $vgpr18
	s_andn2_saveexec_b64 s[12:13], s[40:41]
	s_cbranch_execnz .LBB68_345
	s_branch .LBB68_346
.LBB68_344:                             ;   in Loop: Header=BB68_217 Depth=1
	s_andn2_saveexec_b64 s[12:13], s[40:41]
	s_cbranch_execz .LBB68_346
.LBB68_345:                             ;   in Loop: Header=BB68_217 Depth=1
	v_min_f32_e32 v35, 2.0, v18
	v_max_f32_e32 v18, 2.0, v18
	v_frexp_mant_f32_e32 v36, v18
	v_rcp_f32_e32 v36, v36
	v_frexp_exp_i32_f32_e32 v18, v18
	v_frexp_exp_i32_f32_e32 v37, v35
	v_frexp_mant_f32_e32 v35, v35
	v_mul_f32_e32 v35, v35, v36
	v_sub_u32_e32 v18, v37, v18
	v_ldexp_f32 v18, v35, v18
	v_mul_f32_e32 v35, v18, v18
	v_mov_b32_e32 v36, 0xbc7a590c
	v_fmac_f32_e32 v36, 0x3b2d2a58, v35
	v_fma_f32 v36, v35, v36, v21
	v_fma_f32 v36, v35, v36, v22
	v_fma_f32 v36, v35, v36, v23
	v_fma_f32 v36, v35, v36, v24
	v_fma_f32 v36, v35, v36, v25
	v_fma_f32 v36, v35, v36, v26
	v_mul_f32_e32 v35, v35, v36
	v_fmac_f32_e32 v18, v18, v35
	v_sub_f32_e32 v35, 0x3fc90fdb, v18
	v_cmp_lt_f32_e64 vcc, |v13|, 2.0
	v_cndmask_b32_e32 v18, v18, v35, vcc
	v_sub_f32_e32 v35, 0x40490fdb, v18
	v_cmp_lg_f32_e32 vcc, 0, v13
	v_cndmask_b32_e32 v18, v18, v35, vcc
	v_and_b32_e32 v36, 0x7fffffff, v18
.LBB68_346:                             ;   in Loop: Header=BB68_217 Depth=1
	s_or_b64 exec, exec, s[12:13]
	v_mul_f32_e32 v35, 0.5, v36
	v_bfi_b32 v18, s62, v17, v14
	v_bfi_b32 v17, s62, v35, v13
                                        ; implicit-def: $vgpr13
.LBB68_347:                             ;   in Loop: Header=BB68_217 Depth=1
	s_andn2_saveexec_b64 s[12:13], s[36:37]
	s_cbranch_execz .LBB68_349
; %bb.348:                              ;   in Loop: Header=BB68_217 Depth=1
	v_mov_b32_e32 v17, s20
	v_mov_b32_e32 v18, s21
	flat_store_dword v[17:18], v27
	s_waitcnt vmcnt(0)
	flat_load_dword v17, v[17:18] glc
	s_waitcnt vmcnt(0) lgkmcnt(0)
	v_add_f32_e32 v35, 1.0, v17
	v_mov_b32_e32 v17, s22
	v_mov_b32_e32 v18, s23
	flat_store_dword v[17:18], v35
	s_waitcnt vmcnt(0)
	flat_load_dword v17, v[17:18] glc
	s_waitcnt vmcnt(0) lgkmcnt(0)
	v_mov_b32_e32 v17, v13
	v_mov_b32_e32 v18, v14
.LBB68_349:                             ;   in Loop: Header=BB68_217 Depth=1
	s_or_b64 exec, exec, s[12:13]
                                        ; implicit-def: $vgpr13
.LBB68_350:                             ;   in Loop: Header=BB68_217 Depth=1
	s_andn2_saveexec_b64 s[12:13], s[34:35]
	s_cbranch_execz .LBB68_364
; %bb.351:                              ;   in Loop: Header=BB68_217 Depth=1
	v_and_b32_e32 v17, 0x7f800000, v14
	v_and_b32_e32 v35, 0x7f800000, v13
	v_sub_u32_e32 v18, v17, v35
	v_cmp_gt_i32_e32 vcc, s63, v18
	v_cmp_neq_f32_e64 s[34:35], |v14|, s57
	s_and_b64 s[34:35], s[34:35], vcc
                                        ; implicit-def: $vgpr18
	s_and_saveexec_b64 s[36:37], s[34:35]
	s_xor_b64 s[34:35], exec, s[36:37]
	s_cbranch_execz .LBB68_361
; %bb.352:                              ;   in Loop: Header=BB68_217 Depth=1
	v_sub_u32_e32 v18, v35, v17
	v_cmp_gt_i32_e32 vcc, s63, v18
                                        ; implicit-def: $vgpr18
	s_and_saveexec_b64 s[36:37], vcc
	s_xor_b64 s[36:37], exec, s[36:37]
	s_cbranch_execz .LBB68_358
; %bb.353:                              ;   in Loop: Header=BB68_217 Depth=1
	v_cmp_lt_u32_e32 vcc, s64, v17
                                        ; implicit-def: $vgpr18
	s_and_saveexec_b64 s[38:39], vcc
	s_xor_b64 s[38:39], exec, s[38:39]
	s_cbranch_execz .LBB68_355
; %bb.354:                              ;   in Loop: Header=BB68_217 Depth=1
	v_sub_u32_e32 v17, 0x7f800000, v17
	v_mul_f32_e32 v18, v13, v17
	v_mul_f32_e32 v14, v14, v17
	;; [unrolled: 1-line block ×3, first 2 shown]
	v_fmac_f32_e32 v18, v14, v14
	v_div_scale_f32 v35, s[40:41], v18, v18, v14
	v_div_scale_f32 v36, vcc, v14, v18, v14
	v_rcp_f32_e32 v37, v35
	v_fma_f32 v38, -v35, v37, 1.0
	v_fmac_f32_e32 v37, v38, v37
	v_mul_f32_e32 v38, v36, v37
	v_fma_f32 v39, -v35, v38, v36
	v_fmac_f32_e32 v38, v39, v37
	v_fma_f32 v35, -v35, v38, v36
	v_div_fmas_f32 v35, v35, v37, v38
	v_div_fixup_f32 v14, v35, v18, v14
	v_mul_f32_e32 v18, v14, v17
.LBB68_355:                             ;   in Loop: Header=BB68_217 Depth=1
	s_andn2_saveexec_b64 s[38:39], s[38:39]
	s_cbranch_execz .LBB68_357
; %bb.356:                              ;   in Loop: Header=BB68_217 Depth=1
	v_mul_f32_e32 v17, v13, v13
	v_fmac_f32_e32 v17, v14, v14
	v_div_scale_f32 v18, s[40:41], v17, v17, v14
	v_div_scale_f32 v35, vcc, v14, v17, v14
	v_rcp_f32_e32 v36, v18
	v_fma_f32 v37, -v18, v36, 1.0
	v_fmac_f32_e32 v36, v37, v36
	v_mul_f32_e32 v37, v35, v36
	v_fma_f32 v38, -v18, v37, v35
	v_fmac_f32_e32 v37, v38, v36
	v_fma_f32 v18, -v18, v37, v35
	v_div_fmas_f32 v18, v18, v36, v37
	v_div_fixup_f32 v18, v18, v17, v14
.LBB68_357:                             ;   in Loop: Header=BB68_217 Depth=1
	s_or_b64 exec, exec, s[38:39]
.LBB68_358:                             ;   in Loop: Header=BB68_217 Depth=1
	s_andn2_saveexec_b64 s[36:37], s[36:37]
	s_cbranch_execz .LBB68_360
; %bb.359:                              ;   in Loop: Header=BB68_217 Depth=1
	v_div_scale_f32 v17, s[38:39], v13, v13, v14
	v_div_scale_f32 v18, vcc, v14, v13, v14
	v_rcp_f32_e32 v35, v17
	v_fma_f32 v36, -v17, v35, 1.0
	v_fmac_f32_e32 v35, v36, v35
	v_mul_f32_e32 v36, v18, v35
	v_fma_f32 v37, -v17, v36, v18
	v_fmac_f32_e32 v36, v37, v35
	v_fma_f32 v17, -v17, v36, v18
	v_div_fmas_f32 v17, v17, v35, v36
	v_div_fixup_f32 v14, v17, v13, v14
	v_div_scale_f32 v17, s[38:39], v13, v13, v14
	v_div_scale_f32 v18, vcc, v14, v13, v14
	v_rcp_f32_e32 v35, v17
	v_fma_f32 v36, -v17, v35, 1.0
	v_fmac_f32_e32 v35, v36, v35
	v_mul_f32_e32 v36, v18, v35
	v_fma_f32 v37, -v17, v36, v18
	v_fmac_f32_e32 v36, v37, v35
	v_fma_f32 v17, -v17, v36, v18
	v_div_fmas_f32 v17, v17, v35, v36
	v_div_fixup_f32 v18, v17, v13, v14
.LBB68_360:                             ;   in Loop: Header=BB68_217 Depth=1
	s_or_b64 exec, exec, s[36:37]
.LBB68_361:                             ;   in Loop: Header=BB68_217 Depth=1
	s_andn2_saveexec_b64 s[34:35], s[34:35]
	s_cbranch_execz .LBB68_363
; %bb.362:                              ;   in Loop: Header=BB68_217 Depth=1
	v_div_scale_f32 v17, s[36:37], v14, v14, 1.0
	v_div_scale_f32 v18, vcc, 1.0, v14, 1.0
	v_rcp_f32_e32 v35, v17
	v_fma_f32 v36, -v17, v35, 1.0
	v_fmac_f32_e32 v35, v36, v35
	v_mul_f32_e32 v36, v18, v35
	v_fma_f32 v37, -v17, v36, v18
	v_fmac_f32_e32 v36, v37, v35
	v_fma_f32 v17, -v17, v36, v18
	v_div_fmas_f32 v17, v17, v35, v36
	v_div_fixup_f32 v18, v17, v14, 1.0
.LBB68_363:                             ;   in Loop: Header=BB68_217 Depth=1
	s_or_b64 exec, exec, s[34:35]
	v_mov_b32_e32 v36, s15
	v_mov_b32_e32 v35, s14
	flat_load_dword v14, v[35:36] glc
	s_waitcnt vmcnt(0) lgkmcnt(0)
	v_add_f32_e32 v14, 0x3fc90fdb, v14
	v_bfi_b32 v17, s62, v14, v13
.LBB68_364:                             ;   in Loop: Header=BB68_217 Depth=1
	s_or_b64 exec, exec, s[12:13]
                                        ; implicit-def: $vgpr14
.LBB68_365:                             ;   in Loop: Header=BB68_217 Depth=1
	s_andn2_saveexec_b64 s[12:13], s[30:31]
	s_cbranch_execz .LBB68_375
; %bb.366:                              ;   in Loop: Header=BB68_217 Depth=1
	v_cmp_neq_f32_e64 s[30:31], |v14|, s57
                                        ; implicit-def: $vgpr17
	s_and_saveexec_b64 s[34:35], s[30:31]
	s_xor_b64 s[30:31], exec, s[34:35]
	s_cbranch_execz .LBB68_372
; %bb.367:                              ;   in Loop: Header=BB68_217 Depth=1
	v_cmp_neq_f32_e64 s[34:35], |v13|, s57
                                        ; implicit-def: $vgpr17
	s_and_saveexec_b64 s[36:37], s[34:35]
	s_xor_b64 s[34:35], exec, s[36:37]
; %bb.368:                              ;   in Loop: Header=BB68_217 Depth=1
	v_add_f32_e32 v13, 0, v13
	v_add_f32_e32 v17, v14, v13
                                        ; implicit-def: $vgpr14
; %bb.369:                              ;   in Loop: Header=BB68_217 Depth=1
	s_or_saveexec_b64 s[34:35], s[34:35]
	v_mov_b32_e32 v18, v17
	s_xor_b64 exec, exec, s[34:35]
	s_cbranch_execz .LBB68_371
; %bb.370:                              ;   in Loop: Header=BB68_217 Depth=1
	v_mov_b32_e32 v18, s15
	v_mov_b32_e32 v17, s14
	flat_load_dword v17, v[17:18] glc
	s_waitcnt vmcnt(0)
	v_bfi_b32 v18, s62, 0, v14
	s_waitcnt lgkmcnt(0)
	v_add_f32_e32 v14, 0x3fc90fdb, v17
	v_bfi_b32 v17, s62, v14, v13
.LBB68_371:                             ;   in Loop: Header=BB68_217 Depth=1
	s_or_b64 exec, exec, s[34:35]
                                        ; implicit-def: $vgpr14
.LBB68_372:                             ;   in Loop: Header=BB68_217 Depth=1
	s_andn2_saveexec_b64 s[30:31], s[30:31]
; %bb.373:                              ;   in Loop: Header=BB68_217 Depth=1
	v_bfi_b32 v18, s62, 0, v14
	v_add_f32_e32 v17, v13, v13
; %bb.374:                              ;   in Loop: Header=BB68_217 Depth=1
	s_or_b64 exec, exec, s[30:31]
.LBB68_375:                             ;   in Loop: Header=BB68_217 Depth=1
	s_or_b64 exec, exec, s[12:13]
                                        ; implicit-def: $vgpr13
.LBB68_376:                             ;   in Loop: Header=BB68_217 Depth=1
	s_andn2_saveexec_b64 s[12:13], s[28:29]
	s_cbranch_execz .LBB68_378
; %bb.377:                              ;   in Loop: Header=BB68_217 Depth=1
	v_rcp_f32_e64 v17, |v13|
	v_cmp_gt_f32_e64 vcc, |v13|, 1.0
	v_mov_b32_e32 v18, 0xbc7a590c
	v_cndmask_b32_e64 v17, |v13|, v17, vcc
	v_mul_f32_e32 v35, v17, v17
	v_fmac_f32_e32 v18, 0x3b2d2a58, v35
	v_fma_f32 v18, v35, v18, v21
	v_fma_f32 v18, v35, v18, v22
	;; [unrolled: 1-line block ×6, first 2 shown]
	v_mul_f32_e32 v18, v35, v18
	v_fmac_f32_e32 v17, v17, v18
	v_sub_f32_e32 v18, 0x3fc90fdb, v17
	v_cndmask_b32_e32 v17, v17, v18, vcc
	v_bfi_b32 v17, s62, v17, v13
	v_mov_b32_e32 v18, v14
.LBB68_378:                             ;   in Loop: Header=BB68_217 Depth=1
	s_or_b64 exec, exec, s[12:13]
                                        ; implicit-def: $vgpr14
.LBB68_379:                             ;   in Loop: Header=BB68_217 Depth=1
	s_andn2_saveexec_b64 s[12:13], s[26:27]
	s_cbranch_execz .LBB68_381
; %bb.380:                              ;   in Loop: Header=BB68_217 Depth=1
	v_sub_f32_e64 v17, 1.0, |v14|
	v_rcp_f32_e32 v18, v17
	v_add_f32_e64 v35, |v14|, 1.0
	v_sub_f32_e32 v36, 1.0, v17
	v_sub_f32_e64 v36, v36, |v14|
	v_mul_f32_e32 v37, v35, v18
	v_mul_f32_e32 v38, v17, v37
	v_fma_f32 v17, v37, v17, -v38
	v_fmac_f32_e32 v17, v37, v36
	v_add_f32_e32 v39, v38, v17
	v_sub_f32_e32 v40, v35, v39
	v_add_f32_e32 v36, -1.0, v35
	v_sub_f32_e32 v38, v39, v38
	v_sub_f32_e32 v35, v35, v40
	;; [unrolled: 1-line block ×4, first 2 shown]
	v_sub_f32_e64 v36, |v14|, v36
	v_add_f32_e32 v17, v17, v35
	v_add_f32_e32 v17, v36, v17
	v_add_f32_e32 v17, v40, v17
	v_mul_f32_e32 v35, v18, v17
	v_add_f32_e32 v36, v37, v35
	v_cvt_f64_f32_e32 v[17:18], v36
	v_cmp_lt_f32_e64 s[26:27], |v14|, s65
	v_frexp_exp_i32_f64_e32 v17, v[17:18]
	v_sub_f32_e32 v18, v36, v37
	v_frexp_mant_f32_e32 v37, v36
	v_cmp_gt_f32_e32 vcc, s55, v37
	v_sub_f32_e32 v18, v35, v18
	v_subbrev_co_u32_e32 v17, vcc, 0, v17, vcc
	v_sub_u32_e32 v35, 0, v17
	v_ldexp_f32 v36, v36, v35
	v_ldexp_f32 v18, v18, v35
	v_add_f32_e32 v35, -1.0, v36
	v_add_f32_e32 v39, 1.0, v36
	v_add_f32_e32 v37, 1.0, v35
	v_add_f32_e32 v40, -1.0, v39
	v_sub_f32_e32 v37, v36, v37
	v_sub_f32_e32 v36, v36, v40
	v_add_f32_e32 v37, v18, v37
	v_add_f32_e32 v18, v18, v36
	;; [unrolled: 1-line block ×3, first 2 shown]
	v_rcp_f32_e32 v40, v36
	v_add_f32_e32 v38, v35, v37
	v_sub_f32_e32 v35, v38, v35
	v_sub_f32_e32 v35, v37, v35
	;; [unrolled: 1-line block ×4, first 2 shown]
	v_mul_f32_e32 v37, v38, v40
	v_mul_f32_e32 v39, v36, v37
	v_fma_f32 v41, v37, v36, -v39
	v_fmac_f32_e32 v41, v37, v18
	v_add_f32_e32 v42, v39, v41
	v_sub_f32_e32 v43, v38, v42
	v_sub_f32_e32 v38, v38, v43
	;; [unrolled: 1-line block ×4, first 2 shown]
	v_add_f32_e32 v35, v35, v38
	v_sub_f32_e32 v38, v39, v41
	v_add_f32_e32 v35, v38, v35
	v_add_f32_e32 v38, v43, v35
	v_mul_f32_e32 v39, v40, v38
	v_mul_f32_e32 v41, v36, v39
	v_fma_f32 v36, v39, v36, -v41
	v_fmac_f32_e32 v36, v39, v18
	v_sub_f32_e32 v18, v43, v38
	v_add_f32_e32 v18, v35, v18
	v_add_f32_e32 v35, v41, v36
	v_sub_f32_e32 v42, v38, v35
	v_sub_f32_e32 v38, v38, v42
	;; [unrolled: 1-line block ×4, first 2 shown]
	v_add_f32_e32 v18, v18, v35
	v_sub_f32_e32 v35, v41, v36
	v_cvt_f32_i32_e32 v17, v17
	v_add_f32_e32 v18, v35, v18
	v_add_f32_e32 v35, v37, v39
	;; [unrolled: 1-line block ×3, first 2 shown]
	v_sub_f32_e32 v36, v35, v37
	v_mul_f32_e32 v18, v40, v18
	v_sub_f32_e32 v36, v39, v36
	v_add_f32_e32 v18, v36, v18
	v_mul_f32_e32 v39, 0x3f317218, v17
	v_add_f32_e32 v36, v35, v18
	v_fma_f32 v40, v17, s56, -v39
	v_mul_f32_e32 v37, v36, v36
	v_mov_b32_e32 v38, 0x3ecc95a3
	v_fmac_f32_e32 v40, 0xb102e308, v17
	v_sub_f32_e32 v17, v36, v35
	v_fmac_f32_e32 v38, 0x3e9b6dac, v37
	v_sub_f32_e32 v17, v18, v17
	v_add_f32_e32 v18, v39, v40
	v_fma_f32 v38, v37, v38, v20
	v_sub_f32_e32 v35, v18, v39
	v_ldexp_f32 v39, v36, 1
	v_mul_f32_e32 v36, v36, v37
	v_mul_f32_e32 v36, v36, v38
	v_add_f32_e32 v37, v39, v36
	v_sub_f32_e32 v38, v37, v39
	v_ldexp_f32 v17, v17, 1
	v_sub_f32_e32 v36, v36, v38
	v_add_f32_e32 v17, v17, v36
	v_add_f32_e32 v36, v37, v17
	v_sub_f32_e32 v37, v36, v37
	v_sub_f32_e32 v17, v17, v37
	v_add_f32_e32 v37, v18, v36
	v_sub_f32_e32 v38, v37, v18
	v_sub_f32_e32 v39, v37, v38
	;; [unrolled: 1-line block ×5, first 2 shown]
	v_add_f32_e32 v18, v36, v18
	v_add_f32_e32 v36, v35, v17
	v_sub_f32_e32 v38, v36, v35
	v_sub_f32_e32 v39, v36, v38
	;; [unrolled: 1-line block ×4, first 2 shown]
	v_add_f32_e32 v18, v36, v18
	v_add_f32_e32 v17, v17, v35
	;; [unrolled: 1-line block ×3, first 2 shown]
	v_sub_f32_e32 v36, v35, v37
	v_sub_f32_e32 v18, v18, v36
	v_add_f32_e32 v17, v17, v18
	v_add_f32_e32 v17, v35, v17
	v_mul_f32_e32 v17, 0.5, v17
	v_cndmask_b32_e64 v17, v17, |v14|, s[26:27]
	v_cmp_neq_f32_e64 vcc, |v14|, 1.0
	v_cndmask_b32_e32 v17, v28, v17, vcc
	v_bfi_b32 v18, s62, v17, v14
	v_mov_b32_e32 v17, v13
.LBB68_381:                             ;   in Loop: Header=BB68_217 Depth=1
	s_or_b64 exec, exec, s[12:13]
	v_mov_b32_e32 v13, s14
	v_cmp_neq_f32_e32 vcc, 0, v9
	v_cmp_nle_f32_e64 s[12:13], |v10|, 1.0
	v_mov_b32_e32 v14, s15
	s_or_b64 s[12:13], vcc, s[12:13]
	flat_store_dword v[13:14], v19
	s_waitcnt vmcnt(0)
                                        ; implicit-def: $vgpr13
	s_and_saveexec_b64 s[26:27], s[12:13]
	s_xor_b64 s[26:27], exec, s[26:27]
	s_cbranch_execz .LBB68_388
; %bb.382:                              ;   in Loop: Header=BB68_217 Depth=1
	v_cmp_neq_f32_e32 vcc, 0, v10
                                        ; implicit-def: $vgpr13
	s_and_saveexec_b64 s[12:13], vcc
	s_xor_b64 s[28:29], exec, s[12:13]
	s_cbranch_execz .LBB68_433
; %bb.383:                              ;   in Loop: Header=BB68_217 Depth=1
	v_cmp_o_f32_e32 vcc, v10, v9
                                        ; implicit-def: $vgpr13
	s_and_saveexec_b64 s[12:13], vcc
	s_xor_b64 s[30:31], exec, s[12:13]
	s_cbranch_execz .LBB68_422
; %bb.384:                              ;   in Loop: Header=BB68_217 Depth=1
	v_max_f32_e64 v14, |v9|, |v9|
	v_max_f32_e64 v13, |v10|, |v10|
	v_max_f32_e32 v13, v13, v14
	v_cmp_nlt_f32_e32 vcc, s51, v13
                                        ; implicit-def: $vgpr13
	s_and_saveexec_b64 s[12:13], vcc
	s_xor_b64 s[34:35], exec, s[12:13]
	s_cbranch_execz .LBB68_407
; %bb.385:                              ;   in Loop: Header=BB68_217 Depth=1
	v_cmp_nlt_f32_e64 s[12:13], |v10|, s52
	v_cmp_nlt_f32_e64 s[36:37], |v9|, s52
	s_or_b64 s[12:13], s[12:13], s[36:37]
                                        ; implicit-def: $vgpr13
	s_and_saveexec_b64 s[36:37], s[12:13]
	s_xor_b64 s[36:37], exec, s[36:37]
	s_cbranch_execz .LBB68_404
; %bb.386:                              ;   in Loop: Header=BB68_217 Depth=1
	v_cmp_neq_f32_e64 s[40:41], |v10|, 1.0
	v_cmp_nlt_f32_e64 s[38:39], |v9|, s53
	s_or_b64 s[12:13], s[40:41], s[38:39]
                                        ; implicit-def: $vgpr13
	s_and_saveexec_b64 s[42:43], s[12:13]
	s_xor_b64 s[12:13], exec, s[42:43]
	s_cbranch_execz .LBB68_393
; %bb.387:                              ;   in Loop: Header=BB68_217 Depth=1
	v_add_f32_e64 v35, |v10|, -1.0
	v_mul_f32_e32 v35, v35, v35
	v_cmp_lt_f32_e64 vcc, |v9|, s54
	v_fma_f32 v36, v9, v9, v35
	v_mul_f32_e64 v13, |v10|, 4.0
	v_cndmask_b32_e32 v35, v36, v35, vcc
	v_div_scale_f32 v36, s[42:43], v35, v35, v13
	v_rcp_f32_e32 v37, v36
	v_fma_f32 v38, -v36, v37, 1.0
	v_fmac_f32_e32 v37, v38, v37
	v_div_scale_f32 v38, vcc, v13, v35, v13
	v_mul_f32_e32 v39, v38, v37
	v_fma_f32 v40, -v36, v39, v38
	v_fmac_f32_e32 v39, v40, v37
	v_fma_f32 v36, -v36, v39, v38
	v_div_fmas_f32 v36, v36, v37, v39
	v_div_fixup_f32 v13, v36, v35, v13
	v_add_f32_e32 v37, 1.0, v13
	v_add_f32_e32 v35, -1.0, v37
	v_sub_f32_e32 v36, v35, v37
	v_add_f32_e32 v36, 1.0, v36
	v_sub_f32_e32 v35, v13, v35
	v_add_f32_e32 v38, v35, v36
	v_frexp_mant_f32_e32 v35, v37
	v_cmp_gt_f32_e32 vcc, s55, v35
	v_cvt_f64_f32_e32 v[35:36], v37
	v_frexp_exp_i32_f64_e32 v35, v[35:36]
	v_subbrev_co_u32_e32 v35, vcc, 0, v35, vcc
	v_sub_u32_e32 v36, 0, v35
	v_ldexp_f32 v37, v37, v36
	v_ldexp_f32 v36, v38, v36
	v_add_f32_e32 v38, -1.0, v37
	v_add_f32_e32 v39, 1.0, v38
	v_sub_f32_e32 v39, v37, v39
	v_add_f32_e32 v39, v36, v39
	v_add_f32_e32 v40, v38, v39
	v_sub_f32_e32 v38, v40, v38
	v_sub_f32_e32 v38, v39, v38
	v_add_f32_e32 v39, 1.0, v37
	v_add_f32_e32 v41, -1.0, v39
	v_sub_f32_e32 v37, v37, v41
	v_add_f32_e32 v36, v36, v37
	v_add_f32_e32 v37, v39, v36
	v_sub_f32_e32 v39, v37, v39
	v_sub_f32_e32 v36, v36, v39
	v_rcp_f32_e32 v39, v37
	v_cvt_f32_i32_e32 v35, v35
	v_cmp_neq_f32_e32 vcc, s57, v13
	v_mul_f32_e32 v41, v40, v39
	v_mul_f32_e32 v42, v37, v41
	v_fma_f32 v43, v41, v37, -v42
	v_fmac_f32_e32 v43, v41, v36
	v_add_f32_e32 v44, v42, v43
	v_sub_f32_e32 v45, v40, v44
	v_sub_f32_e32 v40, v40, v45
	;; [unrolled: 1-line block ×4, first 2 shown]
	v_add_f32_e32 v38, v38, v40
	v_sub_f32_e32 v40, v42, v43
	v_add_f32_e32 v38, v40, v38
	v_add_f32_e32 v40, v45, v38
	v_mul_f32_e32 v42, v39, v40
	v_mul_f32_e32 v43, v37, v42
	v_fma_f32 v37, v42, v37, -v43
	v_fmac_f32_e32 v37, v42, v36
	v_sub_f32_e32 v36, v45, v40
	v_add_f32_e32 v36, v38, v36
	v_add_f32_e32 v38, v43, v37
	v_sub_f32_e32 v44, v40, v38
	v_sub_f32_e32 v40, v40, v44
	v_sub_f32_e32 v43, v38, v43
	v_sub_f32_e32 v38, v40, v38
	v_add_f32_e32 v36, v36, v38
	v_sub_f32_e32 v37, v43, v37
	v_add_f32_e32 v36, v37, v36
	v_add_f32_e32 v37, v41, v42
	;; [unrolled: 1-line block ×3, first 2 shown]
	v_sub_f32_e32 v38, v37, v41
	v_mul_f32_e32 v36, v39, v36
	v_sub_f32_e32 v38, v42, v38
	v_add_f32_e32 v36, v38, v36
	v_mul_f32_e32 v41, 0x3f317218, v35
	v_add_f32_e32 v38, v37, v36
	v_fma_f32 v42, v35, s56, -v41
	v_mul_f32_e32 v39, v38, v38
	v_mov_b32_e32 v40, 0x3ecc95a3
	v_fmac_f32_e32 v42, 0xb102e308, v35
	v_sub_f32_e32 v35, v38, v37
	v_fmac_f32_e32 v40, 0x3e9b6dac, v39
	v_sub_f32_e32 v35, v36, v35
	v_add_f32_e32 v36, v41, v42
	v_fma_f32 v40, v39, v40, v20
	v_sub_f32_e32 v37, v36, v41
	v_ldexp_f32 v41, v38, 1
	v_mul_f32_e32 v38, v38, v39
	v_mul_f32_e32 v38, v38, v40
	v_add_f32_e32 v39, v41, v38
	v_sub_f32_e32 v40, v39, v41
	v_ldexp_f32 v35, v35, 1
	v_sub_f32_e32 v38, v38, v40
	v_add_f32_e32 v35, v35, v38
	v_add_f32_e32 v38, v39, v35
	v_sub_f32_e32 v39, v38, v39
	v_sub_f32_e32 v35, v35, v39
	v_add_f32_e32 v39, v36, v38
	v_sub_f32_e32 v40, v39, v36
	v_sub_f32_e32 v41, v39, v40
	;; [unrolled: 1-line block ×5, first 2 shown]
	v_add_f32_e32 v36, v38, v36
	v_add_f32_e32 v38, v37, v35
	v_sub_f32_e32 v40, v38, v37
	v_sub_f32_e32 v41, v38, v40
	;; [unrolled: 1-line block ×4, first 2 shown]
	v_add_f32_e32 v36, v38, v36
	v_add_f32_e32 v35, v35, v37
	;; [unrolled: 1-line block ×3, first 2 shown]
	v_sub_f32_e32 v38, v37, v39
	v_sub_f32_e32 v36, v36, v38
	v_add_f32_e32 v35, v35, v36
	v_add_f32_e32 v35, v37, v35
	v_cndmask_b32_e32 v35, v28, v35, vcc
	v_cmp_ngt_f32_e32 vcc, -1.0, v13
	v_cndmask_b32_e32 v35, v29, v35, vcc
	v_cmp_neq_f32_e32 vcc, -1.0, v13
	v_cndmask_b32_e32 v35, v30, v35, vcc
	v_cmp_lt_f32_e64 vcc, |v13|, s58
	v_cndmask_b32_e32 v13, v35, v13, vcc
	v_mul_f32_e32 v13, 0x3e800000, v13
	s_andn2_saveexec_b64 s[42:43], s[12:13]
	s_cbranch_execz .LBB68_395
	s_branch .LBB68_394
.LBB68_388:                             ;   in Loop: Header=BB68_217 Depth=1
	s_andn2_saveexec_b64 s[12:13], s[26:27]
	s_cbranch_execz .LBB68_436
.LBB68_389:                             ;   in Loop: Header=BB68_217 Depth=1
	v_sub_f32_e64 v13, 1.0, |v10|
	v_rcp_f32_e32 v14, v13
	v_add_f32_e64 v35, |v10|, 1.0
	v_sub_f32_e32 v36, 1.0, v13
	v_sub_f32_e64 v36, v36, |v10|
	v_mul_f32_e32 v37, v35, v14
	v_mul_f32_e32 v38, v13, v37
	v_fma_f32 v13, v37, v13, -v38
	v_fmac_f32_e32 v13, v37, v36
	v_add_f32_e32 v39, v38, v13
	v_sub_f32_e32 v40, v35, v39
	v_add_f32_e32 v36, -1.0, v35
	v_sub_f32_e32 v38, v39, v38
	v_sub_f32_e32 v35, v35, v40
	;; [unrolled: 1-line block ×4, first 2 shown]
	v_sub_f32_e64 v36, |v10|, v36
	v_add_f32_e32 v13, v13, v35
	v_add_f32_e32 v13, v36, v13
	;; [unrolled: 1-line block ×3, first 2 shown]
	v_mul_f32_e32 v35, v14, v13
	v_add_f32_e32 v36, v37, v35
	v_cvt_f64_f32_e32 v[13:14], v36
	v_cmp_lt_f32_e64 s[26:27], |v10|, s65
	v_frexp_exp_i32_f64_e32 v13, v[13:14]
	v_sub_f32_e32 v14, v36, v37
	v_frexp_mant_f32_e32 v37, v36
	v_cmp_gt_f32_e32 vcc, s55, v37
	v_sub_f32_e32 v14, v35, v14
	v_subbrev_co_u32_e32 v13, vcc, 0, v13, vcc
	v_sub_u32_e32 v35, 0, v13
	v_ldexp_f32 v36, v36, v35
	v_ldexp_f32 v14, v14, v35
	v_add_f32_e32 v35, -1.0, v36
	v_add_f32_e32 v39, 1.0, v36
	v_add_f32_e32 v37, 1.0, v35
	v_add_f32_e32 v40, -1.0, v39
	v_sub_f32_e32 v37, v36, v37
	v_sub_f32_e32 v36, v36, v40
	v_add_f32_e32 v37, v14, v37
	v_add_f32_e32 v14, v14, v36
	;; [unrolled: 1-line block ×3, first 2 shown]
	v_rcp_f32_e32 v40, v36
	v_add_f32_e32 v38, v35, v37
	v_sub_f32_e32 v35, v38, v35
	v_sub_f32_e32 v35, v37, v35
	;; [unrolled: 1-line block ×4, first 2 shown]
	v_mul_f32_e32 v37, v38, v40
	v_mul_f32_e32 v39, v36, v37
	v_fma_f32 v41, v37, v36, -v39
	v_fmac_f32_e32 v41, v37, v14
	v_add_f32_e32 v42, v39, v41
	v_sub_f32_e32 v43, v38, v42
	v_sub_f32_e32 v38, v38, v43
	;; [unrolled: 1-line block ×4, first 2 shown]
	v_add_f32_e32 v35, v35, v38
	v_sub_f32_e32 v38, v39, v41
	v_add_f32_e32 v35, v38, v35
	v_add_f32_e32 v38, v43, v35
	v_mul_f32_e32 v39, v40, v38
	v_mul_f32_e32 v41, v36, v39
	v_fma_f32 v36, v39, v36, -v41
	v_fmac_f32_e32 v36, v39, v14
	v_sub_f32_e32 v14, v43, v38
	v_add_f32_e32 v14, v35, v14
	v_add_f32_e32 v35, v41, v36
	v_sub_f32_e32 v42, v38, v35
	v_sub_f32_e32 v38, v38, v42
	;; [unrolled: 1-line block ×4, first 2 shown]
	v_add_f32_e32 v14, v14, v35
	v_sub_f32_e32 v35, v41, v36
	v_cvt_f32_i32_e32 v13, v13
	v_add_f32_e32 v14, v35, v14
	v_add_f32_e32 v35, v37, v39
	;; [unrolled: 1-line block ×3, first 2 shown]
	v_sub_f32_e32 v36, v35, v37
	v_mul_f32_e32 v14, v40, v14
	v_sub_f32_e32 v36, v39, v36
	v_add_f32_e32 v14, v36, v14
	v_mul_f32_e32 v39, 0x3f317218, v13
	v_add_f32_e32 v36, v35, v14
	v_fma_f32 v40, v13, s56, -v39
	v_mul_f32_e32 v37, v36, v36
	v_mov_b32_e32 v38, 0x3ecc95a3
	v_fmac_f32_e32 v40, 0xb102e308, v13
	v_sub_f32_e32 v13, v36, v35
	v_fmac_f32_e32 v38, 0x3e9b6dac, v37
	v_sub_f32_e32 v13, v14, v13
	v_add_f32_e32 v14, v39, v40
	v_fma_f32 v38, v37, v38, v20
	v_sub_f32_e32 v35, v14, v39
	v_ldexp_f32 v39, v36, 1
	v_mul_f32_e32 v36, v36, v37
	v_mul_f32_e32 v36, v36, v38
	v_add_f32_e32 v37, v39, v36
	v_sub_f32_e32 v38, v37, v39
	v_ldexp_f32 v13, v13, 1
	v_sub_f32_e32 v36, v36, v38
	v_add_f32_e32 v13, v13, v36
	v_add_f32_e32 v36, v37, v13
	v_sub_f32_e32 v37, v36, v37
	v_sub_f32_e32 v13, v13, v37
	v_add_f32_e32 v37, v14, v36
	v_sub_f32_e32 v38, v37, v14
	v_sub_f32_e32 v39, v37, v38
	;; [unrolled: 1-line block ×5, first 2 shown]
	v_add_f32_e32 v14, v36, v14
	v_add_f32_e32 v36, v35, v13
	v_sub_f32_e32 v38, v36, v35
	v_sub_f32_e32 v39, v36, v38
	v_sub_f32_e32 v35, v35, v39
	v_sub_f32_e32 v13, v13, v38
	v_add_f32_e32 v14, v36, v14
	v_add_f32_e32 v13, v13, v35
	;; [unrolled: 1-line block ×3, first 2 shown]
	v_sub_f32_e32 v36, v35, v37
	v_sub_f32_e32 v14, v14, v36
	v_add_f32_e32 v13, v13, v14
	v_add_f32_e32 v13, v35, v13
	v_mul_f32_e32 v13, 0.5, v13
	v_cndmask_b32_e64 v13, v13, |v10|, s[26:27]
	v_cmp_neq_f32_e64 vcc, |v10|, 1.0
	v_cndmask_b32_e32 v13, v28, v13, vcc
	v_bfi_b32 v14, s62, v13, v10
	v_mov_b32_e32 v13, v9
	s_or_b64 exec, exec, s[12:13]
	s_and_saveexec_b64 s[12:13], s[4:5]
	s_xor_b64 s[4:5], exec, s[12:13]
	s_cbranch_execnz .LBB68_437
.LBB68_390:                             ;   in Loop: Header=BB68_217 Depth=1
	s_or_b64 exec, exec, s[4:5]
	s_and_saveexec_b64 s[4:5], s[6:7]
	s_cbranch_execz .LBB68_438
.LBB68_391:                             ;   in Loop: Header=BB68_217 Depth=1
	v_lshlrev_b64 v[1:2], 3, v[3:4]
	v_mov_b32_e32 v3, s46
	v_add_co_u32_e32 v1, vcc, s45, v1
	v_addc_co_u32_e32 v2, vcc, v3, v2, vcc
	global_store_dwordx2 v[1:2], v[15:16], off
	s_or_b64 exec, exec, s[4:5]
	s_and_saveexec_b64 s[4:5], s[8:9]
	s_cbranch_execnz .LBB68_439
.LBB68_392:                             ;   in Loop: Header=BB68_217 Depth=1
	s_or_b64 exec, exec, s[4:5]
	s_and_saveexec_b64 s[4:5], s[10:11]
	s_cbranch_execz .LBB68_216
	s_branch .LBB68_440
.LBB68_393:                             ;   in Loop: Header=BB68_217 Depth=1
	s_andn2_saveexec_b64 s[42:43], s[12:13]
	s_cbranch_execz .LBB68_395
.LBB68_394:                             ;   in Loop: Header=BB68_217 Depth=1
	v_cmp_lt_f32_e64 vcc, |v9|, s59
	v_cndmask_b32_e64 v13, 0, 32, vcc
	v_ldexp_f32 v13, |v9|, v13
	v_log_f32_e32 v13, v13
	v_mul_f32_e32 v35, 0x3f317217, v13
	v_fma_f32 v35, v13, s60, -v35
	v_fmac_f32_e32 v35, 0x3377d1cf, v13
	v_fmac_f32_e32 v35, 0x3f317217, v13
	v_cmp_lt_f32_e64 s[12:13], |v13|, s57
	v_cndmask_b32_e64 v13, v13, v35, s[12:13]
	v_cndmask_b32_e32 v35, 0, v31, vcc
	v_sub_f32_e32 v13, v13, v35
	v_sub_f32_e32 v13, 0x3f317218, v13
	v_mul_f32_e32 v13, 0.5, v13
.LBB68_395:                             ;   in Loop: Header=BB68_217 Depth=1
	s_or_b64 exec, exec, s[42:43]
                                        ; implicit-def: $vgpr36
	s_and_saveexec_b64 s[12:13], s[40:41]
	s_xor_b64 s[40:41], exec, s[12:13]
	s_cbranch_execz .LBB68_401
; %bb.396:                              ;   in Loop: Header=BB68_217 Depth=1
	v_sub_f32_e64 v35, 1.0, |v10|
	v_add_f32_e64 v36, |v10|, 1.0
	v_add_f32_e64 v14, |v9|, |v9|
	v_mul_f32_e32 v35, v35, v36
                                        ; implicit-def: $vgpr36
	s_and_saveexec_b64 s[12:13], s[38:39]
	s_xor_b64 s[38:39], exec, s[12:13]
	s_cbranch_execz .LBB68_398
; %bb.397:                              ;   in Loop: Header=BB68_217 Depth=1
	v_fma_f32 v35, -v9, v9, v35
	v_max_f32_e32 v36, v14, v14
	v_min_f32_e64 v37, |v35|, v36
	v_max_f32_e64 v36, |v35|, v36
	v_frexp_mant_f32_e32 v38, v36
	v_rcp_f32_e32 v38, v38
	v_frexp_exp_i32_f32_e32 v36, v36
	v_frexp_exp_i32_f32_e32 v39, v37
	v_frexp_mant_f32_e32 v37, v37
	v_mul_f32_e32 v37, v37, v38
	v_sub_u32_e32 v36, v39, v36
	v_ldexp_f32 v36, v37, v36
	v_mul_f32_e32 v37, v36, v36
	v_mov_b32_e32 v38, 0xbc7a590c
	v_fmac_f32_e32 v38, 0x3b2d2a58, v37
	v_fma_f32 v38, v37, v38, v21
	v_fma_f32 v38, v37, v38, v22
	;; [unrolled: 1-line block ×6, first 2 shown]
	v_mul_f32_e32 v37, v37, v38
	v_fmac_f32_e32 v36, v36, v37
	v_sub_f32_e32 v37, 0x3fc90fdb, v36
	v_cmp_gt_f32_e64 vcc, v14, |v35|
	v_cndmask_b32_e32 v36, v36, v37, vcc
	v_sub_f32_e32 v37, 0x40490fdb, v36
	v_cmp_gt_f32_e32 vcc, 0, v35
	v_cmp_gt_i32_e64 s[12:13], 0, v35
	v_cndmask_b32_e32 v36, v36, v37, vcc
	v_cndmask_b32_e64 v37, 0, v32, s[12:13]
	v_cndmask_b32_e32 v38, v33, v34, vcc
	v_cmp_class_f32_e64 s[42:43], v35, s61
	v_cmp_eq_f32_e32 vcc, s57, v14
	v_cmp_eq_f32_e64 s[12:13], 0, v14
	v_cndmask_b32_e64 v14, |v36|, v37, s[12:13]
	s_and_b64 vcc, vcc, s[42:43]
	v_cndmask_b32_e32 v14, v14, v38, vcc
	v_cmp_o_f32_e32 vcc, v35, v35
	v_cndmask_b32_e32 v36, v29, v14, vcc
                                        ; implicit-def: $vgpr14
                                        ; implicit-def: $vgpr35
.LBB68_398:                             ;   in Loop: Header=BB68_217 Depth=1
	s_andn2_saveexec_b64 s[38:39], s[38:39]
	s_cbranch_execz .LBB68_400
; %bb.399:                              ;   in Loop: Header=BB68_217 Depth=1
	v_max_f32_e32 v36, v14, v14
	v_max_f32_e64 v37, |v35|, |v35|
	v_min_f32_e32 v38, v37, v36
	v_max_f32_e32 v36, v37, v36
	v_frexp_mant_f32_e32 v37, v36
	v_rcp_f32_e32 v37, v37
	v_frexp_exp_i32_f32_e32 v36, v36
	v_frexp_exp_i32_f32_e32 v39, v38
	v_frexp_mant_f32_e32 v38, v38
	v_mul_f32_e32 v37, v38, v37
	v_sub_u32_e32 v36, v39, v36
	v_ldexp_f32 v36, v37, v36
	v_mul_f32_e32 v37, v36, v36
	v_mov_b32_e32 v38, 0xbc7a590c
	v_fmac_f32_e32 v38, 0x3b2d2a58, v37
	v_fma_f32 v38, v37, v38, v21
	v_fma_f32 v38, v37, v38, v22
	;; [unrolled: 1-line block ×6, first 2 shown]
	v_mul_f32_e32 v37, v37, v38
	v_fmac_f32_e32 v36, v36, v37
	v_sub_f32_e32 v37, 0x3fc90fdb, v36
	v_cmp_gt_f32_e64 vcc, v14, |v35|
	v_cndmask_b32_e32 v36, v36, v37, vcc
	v_sub_f32_e32 v37, 0x40490fdb, v36
	v_cmp_gt_f32_e32 vcc, 0, v35
	v_cmp_gt_i32_e64 s[12:13], 0, v35
	v_cndmask_b32_e32 v36, v36, v37, vcc
	v_cndmask_b32_e64 v37, 0, v32, s[12:13]
	v_cndmask_b32_e32 v38, v33, v34, vcc
	v_cmp_class_f32_e64 s[42:43], v35, s61
	v_cmp_eq_f32_e32 vcc, s57, v14
	v_cmp_eq_f32_e64 s[12:13], 0, v14
	v_cndmask_b32_e64 v14, |v36|, v37, s[12:13]
	s_and_b64 vcc, vcc, s[42:43]
	v_cndmask_b32_e32 v14, v14, v38, vcc
	v_cmp_o_f32_e32 vcc, v35, v35
	v_cndmask_b32_e32 v36, v29, v14, vcc
.LBB68_400:                             ;   in Loop: Header=BB68_217 Depth=1
	s_or_b64 exec, exec, s[38:39]
                                        ; implicit-def: $vgpr14
	s_andn2_saveexec_b64 s[12:13], s[40:41]
	s_cbranch_execnz .LBB68_402
	s_branch .LBB68_403
.LBB68_401:                             ;   in Loop: Header=BB68_217 Depth=1
	s_andn2_saveexec_b64 s[12:13], s[40:41]
	s_cbranch_execz .LBB68_403
.LBB68_402:                             ;   in Loop: Header=BB68_217 Depth=1
	v_min_f32_e32 v35, 2.0, v14
	v_max_f32_e32 v14, 2.0, v14
	v_frexp_mant_f32_e32 v36, v14
	v_rcp_f32_e32 v36, v36
	v_frexp_exp_i32_f32_e32 v14, v14
	v_frexp_exp_i32_f32_e32 v37, v35
	v_frexp_mant_f32_e32 v35, v35
	v_mul_f32_e32 v35, v35, v36
	v_sub_u32_e32 v14, v37, v14
	v_ldexp_f32 v14, v35, v14
	v_mul_f32_e32 v35, v14, v14
	v_mov_b32_e32 v36, 0xbc7a590c
	v_fmac_f32_e32 v36, 0x3b2d2a58, v35
	v_fma_f32 v36, v35, v36, v21
	v_fma_f32 v36, v35, v36, v22
	;; [unrolled: 1-line block ×6, first 2 shown]
	v_mul_f32_e32 v35, v35, v36
	v_fmac_f32_e32 v14, v14, v35
	v_sub_f32_e32 v35, 0x3fc90fdb, v14
	v_cmp_lt_f32_e64 vcc, |v9|, 2.0
	v_cndmask_b32_e32 v14, v14, v35, vcc
	v_sub_f32_e32 v35, 0x40490fdb, v14
	v_cmp_lg_f32_e32 vcc, 0, v9
	v_cndmask_b32_e32 v14, v14, v35, vcc
	v_and_b32_e32 v36, 0x7fffffff, v14
.LBB68_403:                             ;   in Loop: Header=BB68_217 Depth=1
	s_or_b64 exec, exec, s[12:13]
	v_mul_f32_e32 v35, 0.5, v36
	v_bfi_b32 v14, s62, v13, v10
	v_bfi_b32 v13, s62, v35, v9
                                        ; implicit-def: $vgpr9
.LBB68_404:                             ;   in Loop: Header=BB68_217 Depth=1
	s_andn2_saveexec_b64 s[12:13], s[36:37]
	s_cbranch_execz .LBB68_406
; %bb.405:                              ;   in Loop: Header=BB68_217 Depth=1
	v_mov_b32_e32 v13, s20
	v_mov_b32_e32 v14, s21
	flat_store_dword v[13:14], v27
	s_waitcnt vmcnt(0)
	flat_load_dword v13, v[13:14] glc
	s_waitcnt vmcnt(0) lgkmcnt(0)
	v_add_f32_e32 v35, 1.0, v13
	v_mov_b32_e32 v13, s22
	v_mov_b32_e32 v14, s23
	flat_store_dword v[13:14], v35
	s_waitcnt vmcnt(0)
	flat_load_dword v13, v[13:14] glc
	s_waitcnt vmcnt(0) lgkmcnt(0)
	v_mov_b32_e32 v13, v9
	v_mov_b32_e32 v14, v10
.LBB68_406:                             ;   in Loop: Header=BB68_217 Depth=1
	s_or_b64 exec, exec, s[12:13]
                                        ; implicit-def: $vgpr9
.LBB68_407:                             ;   in Loop: Header=BB68_217 Depth=1
	s_andn2_saveexec_b64 s[12:13], s[34:35]
	s_cbranch_execz .LBB68_421
; %bb.408:                              ;   in Loop: Header=BB68_217 Depth=1
	v_and_b32_e32 v13, 0x7f800000, v10
	v_and_b32_e32 v35, 0x7f800000, v9
	v_sub_u32_e32 v14, v13, v35
	v_cmp_gt_i32_e32 vcc, s63, v14
	v_cmp_neq_f32_e64 s[34:35], |v10|, s57
	s_and_b64 s[34:35], s[34:35], vcc
                                        ; implicit-def: $vgpr14
	s_and_saveexec_b64 s[36:37], s[34:35]
	s_xor_b64 s[34:35], exec, s[36:37]
	s_cbranch_execz .LBB68_418
; %bb.409:                              ;   in Loop: Header=BB68_217 Depth=1
	v_sub_u32_e32 v14, v35, v13
	v_cmp_gt_i32_e32 vcc, s63, v14
                                        ; implicit-def: $vgpr14
	s_and_saveexec_b64 s[36:37], vcc
	s_xor_b64 s[36:37], exec, s[36:37]
	s_cbranch_execz .LBB68_415
; %bb.410:                              ;   in Loop: Header=BB68_217 Depth=1
	v_cmp_lt_u32_e32 vcc, s64, v13
                                        ; implicit-def: $vgpr14
	s_and_saveexec_b64 s[38:39], vcc
	s_xor_b64 s[38:39], exec, s[38:39]
	s_cbranch_execz .LBB68_412
; %bb.411:                              ;   in Loop: Header=BB68_217 Depth=1
	v_sub_u32_e32 v13, 0x7f800000, v13
	v_mul_f32_e32 v14, v9, v13
	v_mul_f32_e32 v10, v10, v13
	;; [unrolled: 1-line block ×3, first 2 shown]
	v_fmac_f32_e32 v14, v10, v10
	v_div_scale_f32 v35, s[40:41], v14, v14, v10
	v_div_scale_f32 v36, vcc, v10, v14, v10
	v_rcp_f32_e32 v37, v35
	v_fma_f32 v38, -v35, v37, 1.0
	v_fmac_f32_e32 v37, v38, v37
	v_mul_f32_e32 v38, v36, v37
	v_fma_f32 v39, -v35, v38, v36
	v_fmac_f32_e32 v38, v39, v37
	v_fma_f32 v35, -v35, v38, v36
	v_div_fmas_f32 v35, v35, v37, v38
	v_div_fixup_f32 v10, v35, v14, v10
	v_mul_f32_e32 v14, v10, v13
.LBB68_412:                             ;   in Loop: Header=BB68_217 Depth=1
	s_andn2_saveexec_b64 s[38:39], s[38:39]
	s_cbranch_execz .LBB68_414
; %bb.413:                              ;   in Loop: Header=BB68_217 Depth=1
	v_mul_f32_e32 v13, v9, v9
	v_fmac_f32_e32 v13, v10, v10
	v_div_scale_f32 v14, s[40:41], v13, v13, v10
	v_div_scale_f32 v35, vcc, v10, v13, v10
	v_rcp_f32_e32 v36, v14
	v_fma_f32 v37, -v14, v36, 1.0
	v_fmac_f32_e32 v36, v37, v36
	v_mul_f32_e32 v37, v35, v36
	v_fma_f32 v38, -v14, v37, v35
	v_fmac_f32_e32 v37, v38, v36
	v_fma_f32 v14, -v14, v37, v35
	v_div_fmas_f32 v14, v14, v36, v37
	v_div_fixup_f32 v14, v14, v13, v10
.LBB68_414:                             ;   in Loop: Header=BB68_217 Depth=1
	s_or_b64 exec, exec, s[38:39]
.LBB68_415:                             ;   in Loop: Header=BB68_217 Depth=1
	s_andn2_saveexec_b64 s[36:37], s[36:37]
	s_cbranch_execz .LBB68_417
; %bb.416:                              ;   in Loop: Header=BB68_217 Depth=1
	v_div_scale_f32 v13, s[38:39], v9, v9, v10
	v_div_scale_f32 v14, vcc, v10, v9, v10
	v_rcp_f32_e32 v35, v13
	v_fma_f32 v36, -v13, v35, 1.0
	v_fmac_f32_e32 v35, v36, v35
	v_mul_f32_e32 v36, v14, v35
	v_fma_f32 v37, -v13, v36, v14
	v_fmac_f32_e32 v36, v37, v35
	v_fma_f32 v13, -v13, v36, v14
	v_div_fmas_f32 v13, v13, v35, v36
	v_div_fixup_f32 v10, v13, v9, v10
	v_div_scale_f32 v13, s[38:39], v9, v9, v10
	v_div_scale_f32 v14, vcc, v10, v9, v10
	v_rcp_f32_e32 v35, v13
	v_fma_f32 v36, -v13, v35, 1.0
	v_fmac_f32_e32 v35, v36, v35
	v_mul_f32_e32 v36, v14, v35
	v_fma_f32 v37, -v13, v36, v14
	v_fmac_f32_e32 v36, v37, v35
	v_fma_f32 v13, -v13, v36, v14
	v_div_fmas_f32 v13, v13, v35, v36
	v_div_fixup_f32 v14, v13, v9, v10
.LBB68_417:                             ;   in Loop: Header=BB68_217 Depth=1
	s_or_b64 exec, exec, s[36:37]
.LBB68_418:                             ;   in Loop: Header=BB68_217 Depth=1
	s_andn2_saveexec_b64 s[34:35], s[34:35]
	s_cbranch_execz .LBB68_420
; %bb.419:                              ;   in Loop: Header=BB68_217 Depth=1
	v_div_scale_f32 v13, s[36:37], v10, v10, 1.0
	v_div_scale_f32 v14, vcc, 1.0, v10, 1.0
	v_rcp_f32_e32 v35, v13
	v_fma_f32 v36, -v13, v35, 1.0
	v_fmac_f32_e32 v35, v36, v35
	v_mul_f32_e32 v36, v14, v35
	v_fma_f32 v37, -v13, v36, v14
	v_fmac_f32_e32 v36, v37, v35
	v_fma_f32 v13, -v13, v36, v14
	v_div_fmas_f32 v13, v13, v35, v36
	v_div_fixup_f32 v14, v13, v10, 1.0
.LBB68_420:                             ;   in Loop: Header=BB68_217 Depth=1
	s_or_b64 exec, exec, s[34:35]
	v_mov_b32_e32 v36, s15
	v_mov_b32_e32 v35, s14
	flat_load_dword v10, v[35:36] glc
	s_waitcnt vmcnt(0) lgkmcnt(0)
	v_add_f32_e32 v10, 0x3fc90fdb, v10
	v_bfi_b32 v13, s62, v10, v9
.LBB68_421:                             ;   in Loop: Header=BB68_217 Depth=1
	s_or_b64 exec, exec, s[12:13]
                                        ; implicit-def: $vgpr10
.LBB68_422:                             ;   in Loop: Header=BB68_217 Depth=1
	s_andn2_saveexec_b64 s[12:13], s[30:31]
	s_cbranch_execz .LBB68_432
; %bb.423:                              ;   in Loop: Header=BB68_217 Depth=1
	v_cmp_neq_f32_e64 s[30:31], |v10|, s57
                                        ; implicit-def: $vgpr13
	s_and_saveexec_b64 s[34:35], s[30:31]
	s_xor_b64 s[30:31], exec, s[34:35]
	s_cbranch_execz .LBB68_429
; %bb.424:                              ;   in Loop: Header=BB68_217 Depth=1
	v_cmp_neq_f32_e64 s[34:35], |v9|, s57
                                        ; implicit-def: $vgpr13
	s_and_saveexec_b64 s[36:37], s[34:35]
	s_xor_b64 s[34:35], exec, s[36:37]
; %bb.425:                              ;   in Loop: Header=BB68_217 Depth=1
	v_add_f32_e32 v9, 0, v9
	v_add_f32_e32 v13, v10, v9
                                        ; implicit-def: $vgpr10
; %bb.426:                              ;   in Loop: Header=BB68_217 Depth=1
	s_or_saveexec_b64 s[34:35], s[34:35]
	v_mov_b32_e32 v14, v13
	s_xor_b64 exec, exec, s[34:35]
	s_cbranch_execz .LBB68_428
; %bb.427:                              ;   in Loop: Header=BB68_217 Depth=1
	v_mov_b32_e32 v13, s14
	v_mov_b32_e32 v14, s15
	flat_load_dword v13, v[13:14] glc
	s_waitcnt vmcnt(0)
	v_bfi_b32 v14, s62, 0, v10
	s_waitcnt lgkmcnt(0)
	v_add_f32_e32 v10, 0x3fc90fdb, v13
	v_bfi_b32 v13, s62, v10, v9
.LBB68_428:                             ;   in Loop: Header=BB68_217 Depth=1
	s_or_b64 exec, exec, s[34:35]
                                        ; implicit-def: $vgpr10
.LBB68_429:                             ;   in Loop: Header=BB68_217 Depth=1
	s_andn2_saveexec_b64 s[30:31], s[30:31]
; %bb.430:                              ;   in Loop: Header=BB68_217 Depth=1
	v_bfi_b32 v14, s62, 0, v10
	v_add_f32_e32 v13, v9, v9
; %bb.431:                              ;   in Loop: Header=BB68_217 Depth=1
	s_or_b64 exec, exec, s[30:31]
.LBB68_432:                             ;   in Loop: Header=BB68_217 Depth=1
	s_or_b64 exec, exec, s[12:13]
                                        ; implicit-def: $vgpr9
.LBB68_433:                             ;   in Loop: Header=BB68_217 Depth=1
	s_andn2_saveexec_b64 s[12:13], s[28:29]
	s_cbranch_execz .LBB68_435
; %bb.434:                              ;   in Loop: Header=BB68_217 Depth=1
	v_rcp_f32_e64 v13, |v9|
	v_cmp_gt_f32_e64 vcc, |v9|, 1.0
	v_mov_b32_e32 v14, 0xbc7a590c
	v_cndmask_b32_e64 v13, |v9|, v13, vcc
	v_mul_f32_e32 v35, v13, v13
	v_fmac_f32_e32 v14, 0x3b2d2a58, v35
	v_fma_f32 v14, v35, v14, v21
	v_fma_f32 v14, v35, v14, v22
	;; [unrolled: 1-line block ×6, first 2 shown]
	v_mul_f32_e32 v14, v35, v14
	v_fmac_f32_e32 v13, v13, v14
	v_sub_f32_e32 v14, 0x3fc90fdb, v13
	v_cndmask_b32_e32 v13, v13, v14, vcc
	v_bfi_b32 v13, s62, v13, v9
	v_mov_b32_e32 v14, v10
.LBB68_435:                             ;   in Loop: Header=BB68_217 Depth=1
	s_or_b64 exec, exec, s[12:13]
                                        ; implicit-def: $vgpr10
	s_andn2_saveexec_b64 s[12:13], s[26:27]
	s_cbranch_execnz .LBB68_389
.LBB68_436:                             ;   in Loop: Header=BB68_217 Depth=1
	s_or_b64 exec, exec, s[12:13]
	s_and_saveexec_b64 s[12:13], s[4:5]
	s_xor_b64 s[4:5], exec, s[12:13]
	s_cbranch_execz .LBB68_390
.LBB68_437:                             ;   in Loop: Header=BB68_217 Depth=1
	v_lshlrev_b64 v[1:2], 3, v[1:2]
	v_mov_b32_e32 v9, s46
	v_add_co_u32_e32 v1, vcc, s45, v1
	v_addc_co_u32_e32 v2, vcc, v9, v2, vcc
	global_store_dwordx2 v[1:2], v[11:12], off
	s_or_b64 exec, exec, s[4:5]
	s_and_saveexec_b64 s[4:5], s[6:7]
	s_cbranch_execnz .LBB68_391
.LBB68_438:                             ;   in Loop: Header=BB68_217 Depth=1
	s_or_b64 exec, exec, s[4:5]
	s_and_saveexec_b64 s[4:5], s[8:9]
	s_cbranch_execz .LBB68_392
.LBB68_439:                             ;   in Loop: Header=BB68_217 Depth=1
	v_lshlrev_b64 v[1:2], 3, v[5:6]
	v_mov_b32_e32 v3, s46
	v_add_co_u32_e32 v1, vcc, s45, v1
	v_addc_co_u32_e32 v2, vcc, v3, v2, vcc
	global_store_dwordx2 v[1:2], v[17:18], off
	s_or_b64 exec, exec, s[4:5]
	s_and_saveexec_b64 s[4:5], s[10:11]
	s_cbranch_execz .LBB68_216
.LBB68_440:                             ;   in Loop: Header=BB68_217 Depth=1
	v_lshlrev_b64 v[1:2], 3, v[7:8]
	v_mov_b32_e32 v3, s46
	v_add_co_u32_e32 v1, vcc, s45, v1
	v_addc_co_u32_e32 v2, vcc, v3, v2, vcc
	global_store_dwordx2 v[1:2], v[13:14], off
	s_branch .LBB68_216
.LBB68_441:
	s_endpgm
	.section	.rodata,"a",@progbits
	.p2align	6, 0x0
	.amdhsa_kernel _ZN2at6native12_GLOBAL__N_125multi_tensor_apply_kernelINS1_18TensorListMetadataILi2EEENS1_14UnaryOpFunctorIN3c107complexIfEELi2ELi1ELi1EEEJNS0_4AtanIS8_EEEEEvT_T0_DpT1_
		.amdhsa_group_segment_fixed_size 0
		.amdhsa_private_segment_fixed_size 16
		.amdhsa_kernarg_size 3408
		.amdhsa_user_sgpr_count 8
		.amdhsa_user_sgpr_private_segment_buffer 1
		.amdhsa_user_sgpr_dispatch_ptr 0
		.amdhsa_user_sgpr_queue_ptr 0
		.amdhsa_user_sgpr_kernarg_segment_ptr 1
		.amdhsa_user_sgpr_dispatch_id 0
		.amdhsa_user_sgpr_flat_scratch_init 1
		.amdhsa_user_sgpr_private_segment_size 0
		.amdhsa_uses_dynamic_stack 0
		.amdhsa_system_sgpr_private_segment_wavefront_offset 1
		.amdhsa_system_sgpr_workgroup_id_x 1
		.amdhsa_system_sgpr_workgroup_id_y 0
		.amdhsa_system_sgpr_workgroup_id_z 0
		.amdhsa_system_sgpr_workgroup_info 0
		.amdhsa_system_vgpr_workitem_id 0
		.amdhsa_next_free_vgpr 47
		.amdhsa_next_free_sgpr 66
		.amdhsa_reserve_vcc 1
		.amdhsa_reserve_flat_scratch 1
		.amdhsa_float_round_mode_32 0
		.amdhsa_float_round_mode_16_64 0
		.amdhsa_float_denorm_mode_32 3
		.amdhsa_float_denorm_mode_16_64 3
		.amdhsa_dx10_clamp 1
		.amdhsa_ieee_mode 1
		.amdhsa_fp16_overflow 0
		.amdhsa_exception_fp_ieee_invalid_op 0
		.amdhsa_exception_fp_denorm_src 0
		.amdhsa_exception_fp_ieee_div_zero 0
		.amdhsa_exception_fp_ieee_overflow 0
		.amdhsa_exception_fp_ieee_underflow 0
		.amdhsa_exception_fp_ieee_inexact 0
		.amdhsa_exception_int_div_zero 0
	.end_amdhsa_kernel
	.section	.text._ZN2at6native12_GLOBAL__N_125multi_tensor_apply_kernelINS1_18TensorListMetadataILi2EEENS1_14UnaryOpFunctorIN3c107complexIfEELi2ELi1ELi1EEEJNS0_4AtanIS8_EEEEEvT_T0_DpT1_,"axG",@progbits,_ZN2at6native12_GLOBAL__N_125multi_tensor_apply_kernelINS1_18TensorListMetadataILi2EEENS1_14UnaryOpFunctorIN3c107complexIfEELi2ELi1ELi1EEEJNS0_4AtanIS8_EEEEEvT_T0_DpT1_,comdat
.Lfunc_end68:
	.size	_ZN2at6native12_GLOBAL__N_125multi_tensor_apply_kernelINS1_18TensorListMetadataILi2EEENS1_14UnaryOpFunctorIN3c107complexIfEELi2ELi1ELi1EEEJNS0_4AtanIS8_EEEEEvT_T0_DpT1_, .Lfunc_end68-_ZN2at6native12_GLOBAL__N_125multi_tensor_apply_kernelINS1_18TensorListMetadataILi2EEENS1_14UnaryOpFunctorIN3c107complexIfEELi2ELi1ELi1EEEJNS0_4AtanIS8_EEEEEvT_T0_DpT1_
                                        ; -- End function
	.set _ZN2at6native12_GLOBAL__N_125multi_tensor_apply_kernelINS1_18TensorListMetadataILi2EEENS1_14UnaryOpFunctorIN3c107complexIfEELi2ELi1ELi1EEEJNS0_4AtanIS8_EEEEEvT_T0_DpT1_.num_vgpr, 47
	.set _ZN2at6native12_GLOBAL__N_125multi_tensor_apply_kernelINS1_18TensorListMetadataILi2EEENS1_14UnaryOpFunctorIN3c107complexIfEELi2ELi1ELi1EEEJNS0_4AtanIS8_EEEEEvT_T0_DpT1_.num_agpr, 0
	.set _ZN2at6native12_GLOBAL__N_125multi_tensor_apply_kernelINS1_18TensorListMetadataILi2EEENS1_14UnaryOpFunctorIN3c107complexIfEELi2ELi1ELi1EEEJNS0_4AtanIS8_EEEEEvT_T0_DpT1_.numbered_sgpr, 66
	.set _ZN2at6native12_GLOBAL__N_125multi_tensor_apply_kernelINS1_18TensorListMetadataILi2EEENS1_14UnaryOpFunctorIN3c107complexIfEELi2ELi1ELi1EEEJNS0_4AtanIS8_EEEEEvT_T0_DpT1_.num_named_barrier, 0
	.set _ZN2at6native12_GLOBAL__N_125multi_tensor_apply_kernelINS1_18TensorListMetadataILi2EEENS1_14UnaryOpFunctorIN3c107complexIfEELi2ELi1ELi1EEEJNS0_4AtanIS8_EEEEEvT_T0_DpT1_.private_seg_size, 16
	.set _ZN2at6native12_GLOBAL__N_125multi_tensor_apply_kernelINS1_18TensorListMetadataILi2EEENS1_14UnaryOpFunctorIN3c107complexIfEELi2ELi1ELi1EEEJNS0_4AtanIS8_EEEEEvT_T0_DpT1_.uses_vcc, 1
	.set _ZN2at6native12_GLOBAL__N_125multi_tensor_apply_kernelINS1_18TensorListMetadataILi2EEENS1_14UnaryOpFunctorIN3c107complexIfEELi2ELi1ELi1EEEJNS0_4AtanIS8_EEEEEvT_T0_DpT1_.uses_flat_scratch, 1
	.set _ZN2at6native12_GLOBAL__N_125multi_tensor_apply_kernelINS1_18TensorListMetadataILi2EEENS1_14UnaryOpFunctorIN3c107complexIfEELi2ELi1ELi1EEEJNS0_4AtanIS8_EEEEEvT_T0_DpT1_.has_dyn_sized_stack, 0
	.set _ZN2at6native12_GLOBAL__N_125multi_tensor_apply_kernelINS1_18TensorListMetadataILi2EEENS1_14UnaryOpFunctorIN3c107complexIfEELi2ELi1ELi1EEEJNS0_4AtanIS8_EEEEEvT_T0_DpT1_.has_recursion, 0
	.set _ZN2at6native12_GLOBAL__N_125multi_tensor_apply_kernelINS1_18TensorListMetadataILi2EEENS1_14UnaryOpFunctorIN3c107complexIfEELi2ELi1ELi1EEEJNS0_4AtanIS8_EEEEEvT_T0_DpT1_.has_indirect_call, 0
	.section	.AMDGPU.csdata,"",@progbits
; Kernel info:
; codeLenInByte = 27296
; TotalNumSgprs: 72
; NumVgprs: 47
; ScratchSize: 16
; MemoryBound: 0
; FloatMode: 240
; IeeeMode: 1
; LDSByteSize: 0 bytes/workgroup (compile time only)
; SGPRBlocks: 8
; VGPRBlocks: 11
; NumSGPRsForWavesPerEU: 72
; NumVGPRsForWavesPerEU: 47
; Occupancy: 5
; WaveLimiterHint : 0
; COMPUTE_PGM_RSRC2:SCRATCH_EN: 1
; COMPUTE_PGM_RSRC2:USER_SGPR: 8
; COMPUTE_PGM_RSRC2:TRAP_HANDLER: 0
; COMPUTE_PGM_RSRC2:TGID_X_EN: 1
; COMPUTE_PGM_RSRC2:TGID_Y_EN: 0
; COMPUTE_PGM_RSRC2:TGID_Z_EN: 0
; COMPUTE_PGM_RSRC2:TIDIG_COMP_CNT: 0
	.section	.text._ZN2at6native12_GLOBAL__N_125multi_tensor_apply_kernelINS1_18TensorListMetadataILi2EEENS1_14UnaryOpFunctorIN3c104HalfELi2ELi1ELi1EEEJNS0_4AtanIfEEEEEvT_T0_DpT1_,"axG",@progbits,_ZN2at6native12_GLOBAL__N_125multi_tensor_apply_kernelINS1_18TensorListMetadataILi2EEENS1_14UnaryOpFunctorIN3c104HalfELi2ELi1ELi1EEEJNS0_4AtanIfEEEEEvT_T0_DpT1_,comdat
	.globl	_ZN2at6native12_GLOBAL__N_125multi_tensor_apply_kernelINS1_18TensorListMetadataILi2EEENS1_14UnaryOpFunctorIN3c104HalfELi2ELi1ELi1EEEJNS0_4AtanIfEEEEEvT_T0_DpT1_ ; -- Begin function _ZN2at6native12_GLOBAL__N_125multi_tensor_apply_kernelINS1_18TensorListMetadataILi2EEENS1_14UnaryOpFunctorIN3c104HalfELi2ELi1ELi1EEEJNS0_4AtanIfEEEEEvT_T0_DpT1_
	.p2align	8
	.type	_ZN2at6native12_GLOBAL__N_125multi_tensor_apply_kernelINS1_18TensorListMetadataILi2EEENS1_14UnaryOpFunctorIN3c104HalfELi2ELi1ELi1EEEJNS0_4AtanIfEEEEEvT_T0_DpT1_,@function
_ZN2at6native12_GLOBAL__N_125multi_tensor_apply_kernelINS1_18TensorListMetadataILi2EEENS1_14UnaryOpFunctorIN3c104HalfELi2ELi1ELi1EEEJNS0_4AtanIfEEEEEvT_T0_DpT1_: ; @_ZN2at6native12_GLOBAL__N_125multi_tensor_apply_kernelINS1_18TensorListMetadataILi2EEENS1_14UnaryOpFunctorIN3c104HalfELi2ELi1ELi1EEEJNS0_4AtanIfEEEEEvT_T0_DpT1_
; %bb.0:
	v_mov_b32_e32 v1, s6
	global_load_ubyte v1, v1, s[4:5] offset:1536
	s_add_u32 s0, s4, s6
	s_mul_hi_u32 s2, s6, 3
	s_mul_i32 s6, s6, 3
	s_addc_u32 s7, s5, 0
	s_add_u32 s6, s0, s6
	s_addc_u32 s7, s7, s2
	s_load_dword s6, s[6:7], 0x740
	s_mov_b32 s1, 0
	s_mov_b32 s3, s1
	s_waitcnt lgkmcnt(0)
	s_ashr_i32 s7, s6, 31
	s_lshl_b64 s[8:9], s[6:7], 17
	s_lshl_b64 s[6:7], s[6:7], 16
	s_waitcnt vmcnt(0)
	v_readfirstlane_b32 s0, v1
	s_lshl_b32 s0, s0, 3
	s_load_dwordx2 s[10:11], s[4:5], s0 offset:0x400
	s_load_dwordx2 s[16:17], s[4:5], s0 offset:0x0
	;; [unrolled: 1-line block ×3, first 2 shown]
	s_waitcnt lgkmcnt(0)
	s_add_u32 s0, s16, s8
	s_and_b32 s2, s14, 7
	s_and_b32 s0, s0, 7
	s_sub_u32 s12, s10, s6
	s_subb_u32 s13, s11, s7
	s_and_b32 s6, s10, 3
	s_mov_b32 s7, s1
	s_or_b64 s[2:3], s[2:3], s[6:7]
	s_or_b64 s[0:1], s[2:3], s[0:1]
	s_cmp_eq_u64 s[0:1], 0
	s_mov_b64 s[0:1], -1
	s_cbranch_scc0 .LBB69_5
; %bb.1:
	v_mov_b32_e32 v1, 0x10000
	v_mov_b32_e32 v2, 0
	v_cmp_lt_i64_e32 vcc, s[12:13], v[1:2]
	v_mov_b32_e32 v2, 0
	s_and_b64 s[0:1], vcc, exec
	s_cselect_b32 s11, s13, 0
	s_cselect_b32 s10, s12, 0x10000
	v_lshlrev_b32_e32 v1, 2, v0
	v_cmp_gt_i64_e32 vcc, s[10:11], v[1:2]
	s_and_saveexec_b64 s[18:19], vcc
	s_cbranch_execz .LBB69_4
; %bb.2:
	s_load_dword s0, s[4:5], 0xc5c
	v_mov_b32_e32 v1, v2
	v_lshlrev_b32_e32 v2, 3, v0
	v_mov_b32_e32 v4, s9
	v_add_co_u32_e32 v3, vcc, s8, v2
	s_waitcnt lgkmcnt(0)
	s_and_b32 s22, s0, 0xffff
	v_mov_b32_e32 v2, v1
	v_addc_co_u32_e32 v4, vcc, 0, v4, vcc
	s_lshl_b32 s23, s22, 3
	s_mov_b64 s[20:21], 0
	v_mov_b32_e32 v5, s17
	v_mov_b32_e32 v6, 0x3d29fb3f
	;; [unrolled: 1-line block ×7, first 2 shown]
	s_movk_i32 s24, 0x7fff
	v_mov_b32_e32 v12, s15
	v_mov_b32_e32 v1, v0
.LBB69_3:                               ; =>This Inner Loop Header: Depth=1
	v_add_co_u32_e32 v13, vcc, s16, v3
	v_addc_co_u32_e32 v14, vcc, v5, v4, vcc
	global_load_dwordx2 v[13:14], v[13:14], off
	v_add_co_u32_e32 v15, vcc, s14, v3
	v_addc_co_u32_e32 v16, vcc, v12, v4, vcc
	v_add_co_u32_e32 v1, vcc, s22, v1
	v_addc_co_u32_e32 v2, vcc, 0, v2, vcc
	v_add_co_u32_e32 v3, vcc, s23, v3
	v_lshlrev_b64 v[17:18], 2, v[1:2]
	v_addc_co_u32_e32 v4, vcc, 0, v4, vcc
	v_cmp_le_i64_e32 vcc, s[10:11], v[17:18]
	v_mov_b32_e32 v19, 0xbc7a590c
	s_or_b64 s[20:21], vcc, s[20:21]
	v_mov_b32_e32 v20, 0xbc7a590c
	v_mov_b32_e32 v21, 0xbc7a590c
	;; [unrolled: 1-line block ×3, first 2 shown]
	s_waitcnt vmcnt(0)
	v_lshrrev_b32_e32 v17, 16, v13
	v_lshrrev_b32_e32 v18, 16, v14
	v_cvt_f32_f16_e32 v23, v13
	v_cvt_f32_f16_e32 v24, v14
	;; [unrolled: 1-line block ×4, first 2 shown]
	v_rcp_f32_e64 v27, |v23|
	v_rcp_f32_e64 v28, |v24|
	;; [unrolled: 1-line block ×4, first 2 shown]
	v_cmp_gt_f32_e64 s[0:1], |v23|, 1.0
	v_cmp_gt_f32_e64 vcc, |v24|, 1.0
	v_cmp_gt_f32_e64 s[2:3], |v26|, 1.0
	v_cmp_gt_f32_e64 s[6:7], |v25|, 1.0
	v_cndmask_b32_e64 v23, |v23|, v27, s[0:1]
	v_cndmask_b32_e64 v24, |v24|, v28, vcc
	v_cndmask_b32_e64 v25, |v25|, v29, s[6:7]
	v_mul_f32_e32 v27, v23, v23
	v_cndmask_b32_e64 v26, |v26|, v30, s[2:3]
	v_mul_f32_e32 v28, v24, v24
	v_fmac_f32_e32 v19, 0x3b2d2a58, v27
	v_mul_f32_e32 v29, v25, v25
	v_mul_f32_e32 v30, v26, v26
	v_fmac_f32_e32 v21, 0x3b2d2a58, v28
	v_fma_f32 v19, v27, v19, v6
	v_fmac_f32_e32 v20, 0x3b2d2a58, v29
	v_fmac_f32_e32 v22, 0x3b2d2a58, v30
	v_fma_f32 v21, v28, v21, v6
	v_fma_f32 v19, v27, v19, v7
	;; [unrolled: 1-line block ×21, first 2 shown]
	v_mul_f32_e32 v19, v27, v19
	v_fma_f32 v20, v29, v20, v11
	v_fma_f32 v22, v30, v22, v11
	v_mul_f32_e32 v21, v28, v21
	v_fmac_f32_e32 v23, v23, v19
	v_mul_f32_e32 v19, v29, v20
	v_mul_f32_e32 v20, v30, v22
	v_fmac_f32_e32 v24, v24, v21
	v_sub_f32_e32 v21, 0x3fc90fdb, v23
	v_fmac_f32_e32 v25, v25, v19
	v_fmac_f32_e32 v26, v26, v20
	v_sub_f32_e32 v19, 0x3fc90fdb, v24
	v_cndmask_b32_e64 v20, v23, v21, s[0:1]
	v_sub_f32_e32 v21, 0x3fc90fdb, v25
	v_sub_f32_e32 v22, 0x3fc90fdb, v26
	v_cndmask_b32_e32 v19, v24, v19, vcc
	v_cndmask_b32_e64 v21, v25, v21, s[6:7]
	v_cndmask_b32_e64 v22, v26, v22, s[2:3]
	v_cvt_f16_f32_e32 v20, v20
	v_cvt_f16_f32_e32 v19, v19
	;; [unrolled: 1-line block ×4, first 2 shown]
	v_bfi_b32 v13, s24, v20, v13
	v_bfi_b32 v14, s24, v19, v14
	;; [unrolled: 1-line block ×4, first 2 shown]
	v_pack_b32_f16 v14, v14, v18
	v_pack_b32_f16 v13, v13, v17
	global_store_dwordx2 v[15:16], v[13:14], off
	s_andn2_b64 exec, exec, s[20:21]
	s_cbranch_execnz .LBB69_3
.LBB69_4:
	s_or_b64 exec, exec, s[18:19]
	s_mov_b64 s[0:1], 0
.LBB69_5:
	s_andn2_b64 vcc, exec, s[0:1]
	s_cbranch_vccnz .LBB69_25
; %bb.6:
	v_cmp_lt_i64_e64 s[0:1], s[12:13], 1
	s_and_b64 vcc, exec, s[0:1]
	s_cbranch_vccnz .LBB69_25
; %bb.7:
	v_mov_b32_e32 v1, 0x10000
	s_load_dword s2, s[4:5], 0xc5c
	v_mov_b32_e32 v2, 0
	v_cmp_lt_i64_e32 vcc, s[12:13], v[1:2]
	v_mov_b32_e32 v10, 0
	s_and_b64 s[0:1], vcc, exec
	v_cmp_lt_u64_e32 vcc, s[12:13], v[1:2]
	s_cselect_b32 s11, s13, 0
	s_cselect_b32 s10, s12, 0x10000
	s_waitcnt lgkmcnt(0)
	s_and_b32 s2, s2, 0xffff
	v_lshlrev_b32_e32 v9, 1, v0
	s_and_b64 s[0:1], vcc, exec
	v_mov_b32_e32 v2, s17
	v_add_co_u32_e32 v1, vcc, s16, v9
	v_mad_u64_u32 v[7:8], s[0:1], s2, 6, v[9:10]
	v_addc_co_u32_e32 v2, vcc, 0, v2, vcc
	v_mov_b32_e32 v4, s15
	v_add_co_u32_e32 v3, vcc, s14, v9
	v_addc_co_u32_e32 v4, vcc, 0, v4, vcc
	v_mov_b32_e32 v6, s17
	v_add_co_u32_e32 v5, vcc, s16, v7
	;; [unrolled: 3-line block ×3, first 2 shown]
	s_cselect_b32 s13, s13, 0
	s_cselect_b32 s12, s12, 0x10000
	s_lshl_b32 s18, s2, 2
	v_addc_co_u32_e32 v8, vcc, v10, v8, vcc
	v_add_co_u32_e32 v11, vcc, s18, v9
	v_addc_co_u32_e64 v12, s[0:1], 0, 0, vcc
	v_mov_b32_e32 v10, s17
	v_add_co_u32_e32 v9, vcc, s16, v11
	v_addc_co_u32_e32 v10, vcc, v10, v12, vcc
	v_mov_b32_e32 v13, s15
	v_add_co_u32_e32 v11, vcc, s14, v11
	v_addc_co_u32_e32 v12, vcc, v13, v12, vcc
	v_add_co_u32_e32 v13, vcc, s2, v0
	v_lshlrev_b32_e32 v17, 1, v13
	v_addc_co_u32_e64 v14, s[0:1], 0, 0, vcc
	v_mov_b32_e32 v16, s17
	v_add_co_u32_e32 v15, vcc, s16, v17
	v_addc_co_u32_e32 v16, vcc, 0, v16, vcc
	v_mov_b32_e32 v18, s15
	v_add_co_u32_e32 v17, vcc, s14, v17
	s_mul_i32 s4, s2, 3
	v_addc_co_u32_e32 v18, vcc, 0, v18, vcc
	s_lshl_b32 s3, s2, 1
	v_add_co_u32_e32 v19, vcc, s4, v0
	v_addc_co_u32_e64 v20, s[0:1], 0, 0, vcc
	v_add_co_u32_e32 v21, vcc, s3, v0
	s_lshl_b32 s19, s2, 3
	s_mov_b64 s[14:15], 0
	s_movk_i32 s20, 0x7fff
	v_addc_co_u32_e64 v22, s[0:1], 0, 0, vcc
	v_mov_b32_e32 v23, 0x3d29fb3f
	v_mov_b32_e32 v24, 0xbd97d4d7
	;; [unrolled: 1-line block ×6, first 2 shown]
	s_branch .LBB69_9
.LBB69_8:                               ;   in Loop: Header=BB69_9 Depth=1
	s_or_b64 exec, exec, s[0:1]
	v_add_co_u32_e32 v1, vcc, s19, v1
	v_addc_co_u32_e32 v2, vcc, 0, v2, vcc
	v_add_co_u32_e32 v3, vcc, s19, v3
	v_addc_co_u32_e32 v4, vcc, 0, v4, vcc
	;; [unrolled: 2-line block ×6, first 2 shown]
	s_add_u32 s14, s14, s18
	v_add_co_u32_e32 v15, vcc, s19, v15
	v_mov_b32_e32 v30, s11
	s_addc_u32 s15, s15, 0
	v_addc_co_u32_e32 v16, vcc, 0, v16, vcc
	v_mov_b32_e32 v29, s10
	v_cmp_ge_i64_e32 vcc, s[14:15], v[29:30]
	v_add_co_u32_e64 v17, s[0:1], s19, v17
	v_addc_co_u32_e64 v18, s[0:1], 0, v18, s[0:1]
	s_cbranch_vccnz .LBB69_25
.LBB69_9:                               ; =>This Inner Loop Header: Depth=1
	v_mov_b32_e32 v30, s15
	v_add_co_u32_e32 v29, vcc, s14, v0
	v_addc_co_u32_e32 v30, vcc, 0, v30, vcc
	v_cmp_gt_u64_e64 s[4:5], s[12:13], v[29:30]
	v_mov_b32_e32 v32, 0
	s_and_saveexec_b64 s[0:1], s[4:5]
	s_cbranch_execz .LBB69_11
; %bb.10:                               ;   in Loop: Header=BB69_9 Depth=1
	v_mov_b32_e32 v30, s9
	v_add_co_u32_e32 v29, vcc, s8, v1
	v_addc_co_u32_e32 v30, vcc, v2, v30, vcc
	global_load_ushort v29, v[29:30], off
	s_waitcnt vmcnt(0)
	v_cvt_f32_f16_e32 v32, v29
.LBB69_11:                              ;   in Loop: Header=BB69_9 Depth=1
	s_or_b64 exec, exec, s[0:1]
	v_mov_b32_e32 v30, s15
	v_add_co_u32_e32 v29, vcc, s14, v13
	v_addc_co_u32_e32 v30, vcc, v14, v30, vcc
	v_cmp_gt_u64_e64 s[2:3], s[12:13], v[29:30]
	v_mov_b32_e32 v29, 0
	v_mov_b32_e32 v31, 0
	s_and_saveexec_b64 s[0:1], s[2:3]
	s_cbranch_execz .LBB69_13
; %bb.12:                               ;   in Loop: Header=BB69_9 Depth=1
	v_mov_b32_e32 v31, s9
	v_add_co_u32_e32 v30, vcc, s8, v15
	v_addc_co_u32_e32 v31, vcc, v16, v31, vcc
	global_load_ushort v30, v[30:31], off
	s_waitcnt vmcnt(0)
	v_cvt_f32_f16_e32 v31, v30
.LBB69_13:                              ;   in Loop: Header=BB69_9 Depth=1
	s_or_b64 exec, exec, s[0:1]
	v_mov_b32_e32 v30, s15
	v_add_co_u32_e32 v33, vcc, s14, v21
	v_addc_co_u32_e32 v34, vcc, v22, v30, vcc
	v_cmp_gt_u64_e64 s[0:1], s[12:13], v[33:34]
	s_and_saveexec_b64 s[6:7], s[0:1]
	s_cbranch_execz .LBB69_15
; %bb.14:                               ;   in Loop: Header=BB69_9 Depth=1
	v_mov_b32_e32 v30, s9
	v_add_co_u32_e32 v29, vcc, s8, v9
	v_addc_co_u32_e32 v30, vcc, v10, v30, vcc
	global_load_ushort v29, v[29:30], off
	s_waitcnt vmcnt(0)
	v_cvt_f32_f16_e32 v29, v29
.LBB69_15:                              ;   in Loop: Header=BB69_9 Depth=1
	s_or_b64 exec, exec, s[6:7]
	v_mov_b32_e32 v30, s15
	v_add_co_u32_e32 v33, vcc, s14, v19
	v_addc_co_u32_e32 v34, vcc, v20, v30, vcc
	v_cmp_gt_u64_e32 vcc, s[12:13], v[33:34]
	v_mov_b32_e32 v30, 0
	s_and_saveexec_b64 s[16:17], vcc
	s_cbranch_execnz .LBB69_20
; %bb.16:                               ;   in Loop: Header=BB69_9 Depth=1
	s_or_b64 exec, exec, s[16:17]
	s_and_saveexec_b64 s[6:7], s[4:5]
	s_cbranch_execnz .LBB69_21
.LBB69_17:                              ;   in Loop: Header=BB69_9 Depth=1
	s_or_b64 exec, exec, s[6:7]
	s_and_saveexec_b64 s[4:5], s[2:3]
	s_cbranch_execnz .LBB69_22
.LBB69_18:                              ;   in Loop: Header=BB69_9 Depth=1
	s_or_b64 exec, exec, s[4:5]
	s_and_saveexec_b64 s[2:3], s[0:1]
	s_cbranch_execnz .LBB69_23
.LBB69_19:                              ;   in Loop: Header=BB69_9 Depth=1
	s_or_b64 exec, exec, s[2:3]
	s_and_saveexec_b64 s[0:1], vcc
	s_cbranch_execz .LBB69_8
	s_branch .LBB69_24
.LBB69_20:                              ;   in Loop: Header=BB69_9 Depth=1
	v_mov_b32_e32 v30, s9
	v_add_co_u32_e64 v33, s[6:7], s8, v5
	v_addc_co_u32_e64 v34, s[6:7], v6, v30, s[6:7]
	global_load_ushort v30, v[33:34], off
	s_waitcnt vmcnt(0)
	v_cvt_f32_f16_e32 v30, v30
	s_or_b64 exec, exec, s[16:17]
	s_and_saveexec_b64 s[6:7], s[4:5]
	s_cbranch_execz .LBB69_17
.LBB69_21:                              ;   in Loop: Header=BB69_9 Depth=1
	v_rcp_f32_e64 v33, |v32|
	v_cmp_gt_f32_e64 s[4:5], |v32|, 1.0
	v_lshrrev_b32_e32 v35, 16, v32
	v_mov_b32_e32 v34, 0xbc7a590c
	v_cndmask_b32_e64 v32, |v32|, v33, s[4:5]
	v_mul_f32_e32 v33, v32, v32
	v_fmac_f32_e32 v34, 0x3b2d2a58, v33
	v_fma_f32 v34, v33, v34, v23
	v_fma_f32 v34, v33, v34, v24
	;; [unrolled: 1-line block ×6, first 2 shown]
	v_mul_f32_e32 v33, v33, v34
	v_fmac_f32_e32 v32, v32, v33
	v_sub_f32_e32 v33, 0x3fc90fdb, v32
	v_cndmask_b32_e64 v32, v32, v33, s[4:5]
	v_cvt_f16_f32_e32 v33, v32
	v_mov_b32_e32 v34, s9
	v_add_co_u32_e64 v32, s[4:5], s8, v3
	v_bfi_b32 v35, s20, v33, v35
	v_addc_co_u32_e64 v33, s[4:5], v4, v34, s[4:5]
	global_store_short v[32:33], v35, off
	s_or_b64 exec, exec, s[6:7]
	s_and_saveexec_b64 s[4:5], s[2:3]
	s_cbranch_execz .LBB69_18
.LBB69_22:                              ;   in Loop: Header=BB69_9 Depth=1
	v_rcp_f32_e64 v32, |v31|
	v_cmp_gt_f32_e64 s[2:3], |v31|, 1.0
	v_mov_b32_e32 v33, 0xbc7a590c
	v_cndmask_b32_e64 v32, |v31|, v32, s[2:3]
	v_mul_f32_e32 v34, v32, v32
	v_fmac_f32_e32 v33, 0x3b2d2a58, v34
	v_fma_f32 v33, v34, v33, v23
	v_fma_f32 v33, v34, v33, v24
	;; [unrolled: 1-line block ×6, first 2 shown]
	v_mul_f32_e32 v33, v34, v33
	v_fmac_f32_e32 v32, v32, v33
	v_sub_f32_e32 v33, 0x3fc90fdb, v32
	v_cndmask_b32_e64 v32, v32, v33, s[2:3]
	v_cvt_f16_f32_e32 v32, v32
	v_lshrrev_b32_e32 v31, 16, v31
	v_mov_b32_e32 v33, s9
	v_bfi_b32 v34, s20, v32, v31
	v_add_co_u32_e64 v31, s[2:3], s8, v17
	v_addc_co_u32_e64 v32, s[2:3], v18, v33, s[2:3]
	global_store_short v[31:32], v34, off
	s_or_b64 exec, exec, s[4:5]
	s_and_saveexec_b64 s[2:3], s[0:1]
	s_cbranch_execz .LBB69_19
.LBB69_23:                              ;   in Loop: Header=BB69_9 Depth=1
	v_rcp_f32_e64 v31, |v29|
	v_cmp_gt_f32_e64 s[0:1], |v29|, 1.0
	v_mov_b32_e32 v32, 0xbc7a590c
	v_cndmask_b32_e64 v31, |v29|, v31, s[0:1]
	v_mul_f32_e32 v33, v31, v31
	v_fmac_f32_e32 v32, 0x3b2d2a58, v33
	v_fma_f32 v32, v33, v32, v23
	v_fma_f32 v32, v33, v32, v24
	;; [unrolled: 1-line block ×6, first 2 shown]
	v_mul_f32_e32 v32, v33, v32
	v_fmac_f32_e32 v31, v31, v32
	v_sub_f32_e32 v32, 0x3fc90fdb, v31
	v_cndmask_b32_e64 v31, v31, v32, s[0:1]
	v_cvt_f16_f32_e32 v31, v31
	v_lshrrev_b32_e32 v29, 16, v29
	v_mov_b32_e32 v32, s9
	v_bfi_b32 v29, s20, v31, v29
	v_add_co_u32_e64 v31, s[0:1], s8, v11
	v_addc_co_u32_e64 v32, s[0:1], v12, v32, s[0:1]
	global_store_short v[31:32], v29, off
	s_or_b64 exec, exec, s[2:3]
	s_and_saveexec_b64 s[0:1], vcc
	s_cbranch_execz .LBB69_8
.LBB69_24:                              ;   in Loop: Header=BB69_9 Depth=1
	v_rcp_f32_e64 v29, |v30|
	v_cmp_gt_f32_e64 vcc, |v30|, 1.0
	v_mov_b32_e32 v31, 0xbc7a590c
	v_cndmask_b32_e64 v29, |v30|, v29, vcc
	v_mul_f32_e32 v32, v29, v29
	v_fmac_f32_e32 v31, 0x3b2d2a58, v32
	v_fma_f32 v31, v32, v31, v23
	v_fma_f32 v31, v32, v31, v24
	;; [unrolled: 1-line block ×6, first 2 shown]
	v_mul_f32_e32 v31, v32, v31
	v_fmac_f32_e32 v29, v29, v31
	v_sub_f32_e32 v31, 0x3fc90fdb, v29
	v_cndmask_b32_e32 v29, v29, v31, vcc
	v_cvt_f16_f32_e32 v29, v29
	v_lshrrev_b32_e32 v30, 16, v30
	v_mov_b32_e32 v31, s9
	v_bfi_b32 v32, s20, v29, v30
	v_add_co_u32_e32 v29, vcc, s8, v7
	v_addc_co_u32_e32 v30, vcc, v8, v31, vcc
	global_store_short v[29:30], v32, off
	s_branch .LBB69_8
.LBB69_25:
	s_endpgm
	.section	.rodata,"a",@progbits
	.p2align	6, 0x0
	.amdhsa_kernel _ZN2at6native12_GLOBAL__N_125multi_tensor_apply_kernelINS1_18TensorListMetadataILi2EEENS1_14UnaryOpFunctorIN3c104HalfELi2ELi1ELi1EEEJNS0_4AtanIfEEEEEvT_T0_DpT1_
		.amdhsa_group_segment_fixed_size 0
		.amdhsa_private_segment_fixed_size 0
		.amdhsa_kernarg_size 3408
		.amdhsa_user_sgpr_count 6
		.amdhsa_user_sgpr_private_segment_buffer 1
		.amdhsa_user_sgpr_dispatch_ptr 0
		.amdhsa_user_sgpr_queue_ptr 0
		.amdhsa_user_sgpr_kernarg_segment_ptr 1
		.amdhsa_user_sgpr_dispatch_id 0
		.amdhsa_user_sgpr_flat_scratch_init 0
		.amdhsa_user_sgpr_private_segment_size 0
		.amdhsa_uses_dynamic_stack 0
		.amdhsa_system_sgpr_private_segment_wavefront_offset 0
		.amdhsa_system_sgpr_workgroup_id_x 1
		.amdhsa_system_sgpr_workgroup_id_y 0
		.amdhsa_system_sgpr_workgroup_id_z 0
		.amdhsa_system_sgpr_workgroup_info 0
		.amdhsa_system_vgpr_workitem_id 0
		.amdhsa_next_free_vgpr 36
		.amdhsa_next_free_sgpr 25
		.amdhsa_reserve_vcc 1
		.amdhsa_reserve_flat_scratch 0
		.amdhsa_float_round_mode_32 0
		.amdhsa_float_round_mode_16_64 0
		.amdhsa_float_denorm_mode_32 3
		.amdhsa_float_denorm_mode_16_64 3
		.amdhsa_dx10_clamp 1
		.amdhsa_ieee_mode 1
		.amdhsa_fp16_overflow 0
		.amdhsa_exception_fp_ieee_invalid_op 0
		.amdhsa_exception_fp_denorm_src 0
		.amdhsa_exception_fp_ieee_div_zero 0
		.amdhsa_exception_fp_ieee_overflow 0
		.amdhsa_exception_fp_ieee_underflow 0
		.amdhsa_exception_fp_ieee_inexact 0
		.amdhsa_exception_int_div_zero 0
	.end_amdhsa_kernel
	.section	.text._ZN2at6native12_GLOBAL__N_125multi_tensor_apply_kernelINS1_18TensorListMetadataILi2EEENS1_14UnaryOpFunctorIN3c104HalfELi2ELi1ELi1EEEJNS0_4AtanIfEEEEEvT_T0_DpT1_,"axG",@progbits,_ZN2at6native12_GLOBAL__N_125multi_tensor_apply_kernelINS1_18TensorListMetadataILi2EEENS1_14UnaryOpFunctorIN3c104HalfELi2ELi1ELi1EEEJNS0_4AtanIfEEEEEvT_T0_DpT1_,comdat
.Lfunc_end69:
	.size	_ZN2at6native12_GLOBAL__N_125multi_tensor_apply_kernelINS1_18TensorListMetadataILi2EEENS1_14UnaryOpFunctorIN3c104HalfELi2ELi1ELi1EEEJNS0_4AtanIfEEEEEvT_T0_DpT1_, .Lfunc_end69-_ZN2at6native12_GLOBAL__N_125multi_tensor_apply_kernelINS1_18TensorListMetadataILi2EEENS1_14UnaryOpFunctorIN3c104HalfELi2ELi1ELi1EEEJNS0_4AtanIfEEEEEvT_T0_DpT1_
                                        ; -- End function
	.set _ZN2at6native12_GLOBAL__N_125multi_tensor_apply_kernelINS1_18TensorListMetadataILi2EEENS1_14UnaryOpFunctorIN3c104HalfELi2ELi1ELi1EEEJNS0_4AtanIfEEEEEvT_T0_DpT1_.num_vgpr, 36
	.set _ZN2at6native12_GLOBAL__N_125multi_tensor_apply_kernelINS1_18TensorListMetadataILi2EEENS1_14UnaryOpFunctorIN3c104HalfELi2ELi1ELi1EEEJNS0_4AtanIfEEEEEvT_T0_DpT1_.num_agpr, 0
	.set _ZN2at6native12_GLOBAL__N_125multi_tensor_apply_kernelINS1_18TensorListMetadataILi2EEENS1_14UnaryOpFunctorIN3c104HalfELi2ELi1ELi1EEEJNS0_4AtanIfEEEEEvT_T0_DpT1_.numbered_sgpr, 25
	.set _ZN2at6native12_GLOBAL__N_125multi_tensor_apply_kernelINS1_18TensorListMetadataILi2EEENS1_14UnaryOpFunctorIN3c104HalfELi2ELi1ELi1EEEJNS0_4AtanIfEEEEEvT_T0_DpT1_.num_named_barrier, 0
	.set _ZN2at6native12_GLOBAL__N_125multi_tensor_apply_kernelINS1_18TensorListMetadataILi2EEENS1_14UnaryOpFunctorIN3c104HalfELi2ELi1ELi1EEEJNS0_4AtanIfEEEEEvT_T0_DpT1_.private_seg_size, 0
	.set _ZN2at6native12_GLOBAL__N_125multi_tensor_apply_kernelINS1_18TensorListMetadataILi2EEENS1_14UnaryOpFunctorIN3c104HalfELi2ELi1ELi1EEEJNS0_4AtanIfEEEEEvT_T0_DpT1_.uses_vcc, 1
	.set _ZN2at6native12_GLOBAL__N_125multi_tensor_apply_kernelINS1_18TensorListMetadataILi2EEENS1_14UnaryOpFunctorIN3c104HalfELi2ELi1ELi1EEEJNS0_4AtanIfEEEEEvT_T0_DpT1_.uses_flat_scratch, 0
	.set _ZN2at6native12_GLOBAL__N_125multi_tensor_apply_kernelINS1_18TensorListMetadataILi2EEENS1_14UnaryOpFunctorIN3c104HalfELi2ELi1ELi1EEEJNS0_4AtanIfEEEEEvT_T0_DpT1_.has_dyn_sized_stack, 0
	.set _ZN2at6native12_GLOBAL__N_125multi_tensor_apply_kernelINS1_18TensorListMetadataILi2EEENS1_14UnaryOpFunctorIN3c104HalfELi2ELi1ELi1EEEJNS0_4AtanIfEEEEEvT_T0_DpT1_.has_recursion, 0
	.set _ZN2at6native12_GLOBAL__N_125multi_tensor_apply_kernelINS1_18TensorListMetadataILi2EEENS1_14UnaryOpFunctorIN3c104HalfELi2ELi1ELi1EEEJNS0_4AtanIfEEEEEvT_T0_DpT1_.has_indirect_call, 0
	.section	.AMDGPU.csdata,"",@progbits
; Kernel info:
; codeLenInByte = 2384
; TotalNumSgprs: 29
; NumVgprs: 36
; ScratchSize: 0
; MemoryBound: 0
; FloatMode: 240
; IeeeMode: 1
; LDSByteSize: 0 bytes/workgroup (compile time only)
; SGPRBlocks: 3
; VGPRBlocks: 8
; NumSGPRsForWavesPerEU: 29
; NumVGPRsForWavesPerEU: 36
; Occupancy: 7
; WaveLimiterHint : 0
; COMPUTE_PGM_RSRC2:SCRATCH_EN: 0
; COMPUTE_PGM_RSRC2:USER_SGPR: 6
; COMPUTE_PGM_RSRC2:TRAP_HANDLER: 0
; COMPUTE_PGM_RSRC2:TGID_X_EN: 1
; COMPUTE_PGM_RSRC2:TGID_Y_EN: 0
; COMPUTE_PGM_RSRC2:TGID_Z_EN: 0
; COMPUTE_PGM_RSRC2:TIDIG_COMP_CNT: 0
	.section	.text._ZN2at6native12_GLOBAL__N_125multi_tensor_apply_kernelINS1_18TensorListMetadataILi2EEENS1_14UnaryOpFunctorIN3c108BFloat16ELi2ELi1ELi1EEEJNS0_4AtanIfEEEEEvT_T0_DpT1_,"axG",@progbits,_ZN2at6native12_GLOBAL__N_125multi_tensor_apply_kernelINS1_18TensorListMetadataILi2EEENS1_14UnaryOpFunctorIN3c108BFloat16ELi2ELi1ELi1EEEJNS0_4AtanIfEEEEEvT_T0_DpT1_,comdat
	.globl	_ZN2at6native12_GLOBAL__N_125multi_tensor_apply_kernelINS1_18TensorListMetadataILi2EEENS1_14UnaryOpFunctorIN3c108BFloat16ELi2ELi1ELi1EEEJNS0_4AtanIfEEEEEvT_T0_DpT1_ ; -- Begin function _ZN2at6native12_GLOBAL__N_125multi_tensor_apply_kernelINS1_18TensorListMetadataILi2EEENS1_14UnaryOpFunctorIN3c108BFloat16ELi2ELi1ELi1EEEJNS0_4AtanIfEEEEEvT_T0_DpT1_
	.p2align	8
	.type	_ZN2at6native12_GLOBAL__N_125multi_tensor_apply_kernelINS1_18TensorListMetadataILi2EEENS1_14UnaryOpFunctorIN3c108BFloat16ELi2ELi1ELi1EEEJNS0_4AtanIfEEEEEvT_T0_DpT1_,@function
_ZN2at6native12_GLOBAL__N_125multi_tensor_apply_kernelINS1_18TensorListMetadataILi2EEENS1_14UnaryOpFunctorIN3c108BFloat16ELi2ELi1ELi1EEEJNS0_4AtanIfEEEEEvT_T0_DpT1_: ; @_ZN2at6native12_GLOBAL__N_125multi_tensor_apply_kernelINS1_18TensorListMetadataILi2EEENS1_14UnaryOpFunctorIN3c108BFloat16ELi2ELi1ELi1EEEJNS0_4AtanIfEEEEEvT_T0_DpT1_
; %bb.0:
	v_mov_b32_e32 v1, s6
	global_load_ubyte v1, v1, s[4:5] offset:1536
	s_add_u32 s0, s4, s6
	s_mul_hi_u32 s2, s6, 3
	s_mul_i32 s6, s6, 3
	s_addc_u32 s7, s5, 0
	s_add_u32 s6, s0, s6
	s_addc_u32 s7, s7, s2
	s_load_dword s6, s[6:7], 0x740
	s_mov_b32 s1, 0
	s_mov_b32 s3, s1
	s_waitcnt lgkmcnt(0)
	s_ashr_i32 s7, s6, 31
	s_lshl_b64 s[8:9], s[6:7], 17
	s_lshl_b64 s[6:7], s[6:7], 16
	s_waitcnt vmcnt(0)
	v_readfirstlane_b32 s0, v1
	s_lshl_b32 s0, s0, 3
	s_load_dwordx2 s[10:11], s[4:5], s0 offset:0x400
	s_load_dwordx2 s[16:17], s[4:5], s0 offset:0x0
	;; [unrolled: 1-line block ×3, first 2 shown]
	s_waitcnt lgkmcnt(0)
	s_add_u32 s0, s16, s8
	s_and_b32 s2, s12, 7
	s_and_b32 s0, s0, 7
	s_sub_u32 s14, s10, s6
	s_subb_u32 s15, s11, s7
	s_and_b32 s6, s10, 3
	s_mov_b32 s7, s1
	s_or_b64 s[2:3], s[2:3], s[6:7]
	s_or_b64 s[0:1], s[2:3], s[0:1]
	s_cmp_eq_u64 s[0:1], 0
	s_mov_b64 s[0:1], -1
	s_cbranch_scc0 .LBB70_5
; %bb.1:
	v_mov_b32_e32 v1, 0x10000
	v_mov_b32_e32 v2, 0
	v_cmp_lt_i64_e32 vcc, s[14:15], v[1:2]
	v_mov_b32_e32 v2, 0
	s_and_b64 s[0:1], vcc, exec
	s_cselect_b32 s11, s15, 0
	s_cselect_b32 s10, s14, 0x10000
	v_lshlrev_b32_e32 v1, 2, v0
	v_cmp_gt_i64_e32 vcc, s[10:11], v[1:2]
	s_and_saveexec_b64 s[18:19], vcc
	s_cbranch_execz .LBB70_4
; %bb.2:
	s_load_dword s0, s[4:5], 0xc5c
	v_mov_b32_e32 v1, v2
	v_lshlrev_b32_e32 v2, 3, v0
	v_mov_b32_e32 v4, s9
	v_add_co_u32_e32 v3, vcc, s8, v2
	s_waitcnt lgkmcnt(0)
	s_and_b32 s22, s0, 0xffff
	v_mov_b32_e32 v2, v1
	v_addc_co_u32_e32 v4, vcc, 0, v4, vcc
	s_lshl_b32 s23, s22, 3
	s_mov_b64 s[20:21], 0
	v_mov_b32_e32 v5, s17
	v_mov_b32_e32 v6, 0x3d29fb3f
	;; [unrolled: 1-line block ×7, first 2 shown]
	s_brev_b32 s24, -2
	s_movk_i32 s25, 0x7fff
	v_mov_b32_e32 v12, s13
	v_mov_b32_e32 v13, 0x7fc00000
	;; [unrolled: 1-line block ×4, first 2 shown]
.LBB70_3:                               ; =>This Inner Loop Header: Depth=1
	v_add_co_u32_e32 v15, vcc, s16, v3
	v_addc_co_u32_e32 v16, vcc, v5, v4, vcc
	global_load_dwordx2 v[15:16], v[15:16], off
	v_add_co_u32_e32 v17, vcc, s12, v3
	v_addc_co_u32_e32 v18, vcc, v12, v4, vcc
	v_add_co_u32_e32 v1, vcc, s22, v1
	v_addc_co_u32_e32 v2, vcc, 0, v2, vcc
	v_add_co_u32_e32 v3, vcc, s23, v3
	v_lshlrev_b64 v[19:20], 2, v[1:2]
	v_addc_co_u32_e32 v4, vcc, 0, v4, vcc
	v_cmp_le_i64_e32 vcc, s[10:11], v[19:20]
	v_mov_b32_e32 v21, 0xbc7a590c
	s_or_b64 s[20:21], vcc, s[20:21]
	v_mov_b32_e32 v22, 0xbc7a590c
	v_mov_b32_e32 v24, 0xbc7a590c
	;; [unrolled: 1-line block ×3, first 2 shown]
	s_waitcnt vmcnt(0)
	v_and_b32_e32 v19, 0xffff0000, v15
	v_lshlrev_b32_e32 v20, 16, v15
	v_alignbit_b32 v15, v16, v15, 16
	v_and_b32_e32 v16, 0xffff0000, v16
	v_rcp_f32_e64 v25, |v20|
	v_rcp_f32_e64 v26, |v19|
	v_and_b32_e32 v15, 0xffff0000, v15
	v_rcp_f32_e64 v27, |v16|
	v_rcp_f32_e64 v28, |v15|
	v_cmp_gt_f32_e64 vcc, |v19|, 1.0
	v_cmp_gt_f32_e64 s[0:1], |v16|, 1.0
	v_cmp_gt_f32_e64 s[2:3], |v20|, 1.0
	;; [unrolled: 1-line block ×3, first 2 shown]
	v_cndmask_b32_e64 v25, |v20|, v25, s[2:3]
	v_cndmask_b32_e64 v26, |v19|, v26, vcc
	v_cndmask_b32_e64 v27, |v16|, v27, s[0:1]
	v_mul_f32_e32 v29, v25, v25
	v_mul_f32_e32 v30, v26, v26
	;; [unrolled: 1-line block ×3, first 2 shown]
	v_cndmask_b32_e64 v28, |v15|, v28, s[6:7]
	v_fmac_f32_e32 v21, 0x3b2d2a58, v29
	v_fmac_f32_e32 v22, 0x3b2d2a58, v30
	;; [unrolled: 1-line block ×3, first 2 shown]
	v_mul_f32_e32 v32, v28, v28
	v_fma_f32 v21, v29, v21, v6
	v_fma_f32 v22, v30, v22, v6
	v_fma_f32 v24, v31, v24, v6
	v_fmac_f32_e32 v23, 0x3b2d2a58, v32
	v_fma_f32 v21, v29, v21, v7
	v_fma_f32 v22, v30, v22, v7
	;; [unrolled: 1-line block ×20, first 2 shown]
	v_mul_f32_e32 v21, v29, v21
	v_mul_f32_e32 v22, v30, v22
	;; [unrolled: 1-line block ×3, first 2 shown]
	v_fma_f32 v23, v32, v23, v11
	v_fmac_f32_e32 v25, v25, v21
	v_fmac_f32_e32 v26, v26, v22
	v_mul_f32_e32 v21, v32, v23
	v_fmac_f32_e32 v27, v27, v24
	v_sub_f32_e32 v22, 0x3fc90fdb, v25
	v_sub_f32_e32 v23, 0x3fc90fdb, v26
	v_fmac_f32_e32 v28, v28, v21
	v_sub_f32_e32 v21, 0x3fc90fdb, v27
	v_cndmask_b32_e64 v22, v25, v22, s[2:3]
	v_cndmask_b32_e32 v23, v26, v23, vcc
	v_sub_f32_e32 v24, 0x3fc90fdb, v28
	v_cndmask_b32_e64 v21, v27, v21, s[0:1]
	v_bfi_b32 v20, s24, v22, v20
	v_bfi_b32 v19, s24, v23, v19
	v_cndmask_b32_e64 v22, v28, v24, s[6:7]
	v_bfi_b32 v16, s24, v21, v16
	v_bfe_u32 v21, v20, 16, 1
	v_bfe_u32 v23, v19, 16, 1
	v_bfi_b32 v15, s24, v22, v15
	v_bfe_u32 v22, v16, 16, 1
	v_add3_u32 v21, v20, v21, s25
	v_add3_u32 v23, v19, v23, s25
	v_bfe_u32 v24, v15, 16, 1
	v_add3_u32 v22, v16, v22, s25
	v_lshrrev_b32_e32 v21, 16, v21
	v_and_b32_e32 v23, 0xffff0000, v23
	v_add3_u32 v24, v15, v24, s25
	v_and_b32_e32 v22, 0xffff0000, v22
	v_cmp_o_f32_e32 vcc, v16, v16
	v_cmp_o_f32_e64 s[0:1], v19, v19
	v_cmp_o_f32_e64 s[2:3], v20, v20
	v_lshrrev_b32_e32 v16, 16, v24
	v_cndmask_b32_e32 v19, v13, v22, vcc
	v_cndmask_b32_e64 v20, v13, v23, s[0:1]
	v_cndmask_b32_e64 v21, v14, v21, s[2:3]
	v_cmp_o_f32_e32 vcc, v15, v15
	v_cndmask_b32_e32 v15, v14, v16, vcc
	v_or_b32_e32 v20, v21, v20
	v_or3_b32 v16, 0, v15, v19
	v_or3_b32 v15, v20, 0, 0
	global_store_dwordx2 v[17:18], v[15:16], off
	s_andn2_b64 exec, exec, s[20:21]
	s_cbranch_execnz .LBB70_3
.LBB70_4:
	s_or_b64 exec, exec, s[18:19]
	s_mov_b64 s[0:1], 0
.LBB70_5:
	s_andn2_b64 vcc, exec, s[0:1]
	s_cbranch_vccnz .LBB70_25
; %bb.6:
	v_cmp_lt_i64_e64 s[0:1], s[14:15], 1
	s_and_b64 vcc, exec, s[0:1]
	s_cbranch_vccnz .LBB70_25
; %bb.7:
	v_mov_b32_e32 v1, 0x10000
	s_load_dword s2, s[4:5], 0xc5c
	v_mov_b32_e32 v2, 0
	v_cmp_lt_i64_e32 vcc, s[14:15], v[1:2]
	v_mov_b32_e32 v10, 0
	s_and_b64 s[0:1], vcc, exec
	v_cmp_lt_u64_e32 vcc, s[14:15], v[1:2]
	s_cselect_b32 s11, s15, 0
	s_cselect_b32 s10, s14, 0x10000
	s_waitcnt lgkmcnt(0)
	s_and_b32 s2, s2, 0xffff
	v_lshlrev_b32_e32 v9, 1, v0
	s_and_b64 s[0:1], vcc, exec
	v_mov_b32_e32 v2, s17
	v_add_co_u32_e32 v1, vcc, s16, v9
	v_mad_u64_u32 v[7:8], s[0:1], s2, 6, v[9:10]
	v_addc_co_u32_e32 v2, vcc, 0, v2, vcc
	v_mov_b32_e32 v4, s13
	v_add_co_u32_e32 v3, vcc, s12, v9
	v_addc_co_u32_e32 v4, vcc, 0, v4, vcc
	v_mov_b32_e32 v6, s17
	v_add_co_u32_e32 v5, vcc, s16, v7
	;; [unrolled: 3-line block ×3, first 2 shown]
	s_cselect_b32 s15, s15, 0
	s_cselect_b32 s14, s14, 0x10000
	s_lshl_b32 s18, s2, 2
	v_addc_co_u32_e32 v8, vcc, v10, v8, vcc
	v_add_co_u32_e32 v11, vcc, s18, v9
	v_addc_co_u32_e64 v12, s[0:1], 0, 0, vcc
	v_mov_b32_e32 v10, s17
	v_add_co_u32_e32 v9, vcc, s16, v11
	v_addc_co_u32_e32 v10, vcc, v10, v12, vcc
	v_mov_b32_e32 v13, s13
	v_add_co_u32_e32 v11, vcc, s12, v11
	v_addc_co_u32_e32 v12, vcc, v13, v12, vcc
	v_add_co_u32_e32 v13, vcc, s2, v0
	v_lshlrev_b32_e32 v17, 1, v13
	v_addc_co_u32_e64 v14, s[0:1], 0, 0, vcc
	v_mov_b32_e32 v16, s17
	v_add_co_u32_e32 v15, vcc, s16, v17
	v_addc_co_u32_e32 v16, vcc, 0, v16, vcc
	v_mov_b32_e32 v18, s13
	v_add_co_u32_e32 v17, vcc, s12, v17
	s_mul_i32 s4, s2, 3
	v_addc_co_u32_e32 v18, vcc, 0, v18, vcc
	s_lshl_b32 s3, s2, 1
	v_add_co_u32_e32 v19, vcc, s4, v0
	v_addc_co_u32_e64 v20, s[0:1], 0, 0, vcc
	v_add_co_u32_e32 v21, vcc, s3, v0
	s_lshl_b32 s19, s2, 3
	s_mov_b64 s[12:13], 0
	s_brev_b32 s20, -2
	s_movk_i32 s21, 0x7fff
	v_addc_co_u32_e64 v22, s[0:1], 0, 0, vcc
	v_mov_b32_e32 v23, 0x3d29fb3f
	v_mov_b32_e32 v24, 0xbd97d4d7
	;; [unrolled: 1-line block ×7, first 2 shown]
	s_branch .LBB70_9
.LBB70_8:                               ;   in Loop: Header=BB70_9 Depth=1
	s_or_b64 exec, exec, s[2:3]
	v_add_co_u32_e32 v1, vcc, s19, v1
	v_addc_co_u32_e32 v2, vcc, 0, v2, vcc
	v_add_co_u32_e32 v3, vcc, s19, v3
	v_addc_co_u32_e32 v4, vcc, 0, v4, vcc
	v_add_co_u32_e32 v5, vcc, s19, v5
	v_addc_co_u32_e32 v6, vcc, 0, v6, vcc
	v_add_co_u32_e32 v7, vcc, s19, v7
	v_addc_co_u32_e32 v8, vcc, 0, v8, vcc
	v_add_co_u32_e32 v9, vcc, s19, v9
	v_addc_co_u32_e32 v10, vcc, 0, v10, vcc
	v_add_co_u32_e32 v11, vcc, s19, v11
	v_addc_co_u32_e32 v12, vcc, 0, v12, vcc
	s_add_u32 s12, s12, s18
	v_add_co_u32_e32 v15, vcc, s19, v15
	v_mov_b32_e32 v31, s11
	s_addc_u32 s13, s13, 0
	v_addc_co_u32_e32 v16, vcc, 0, v16, vcc
	v_mov_b32_e32 v30, s10
	v_cmp_ge_i64_e32 vcc, s[12:13], v[30:31]
	v_add_co_u32_e64 v17, s[0:1], s19, v17
	v_addc_co_u32_e64 v18, s[0:1], 0, v18, s[0:1]
	s_cbranch_vccnz .LBB70_25
.LBB70_9:                               ; =>This Inner Loop Header: Depth=1
	v_mov_b32_e32 v31, s13
	v_add_co_u32_e32 v30, vcc, s12, v0
	v_addc_co_u32_e32 v31, vcc, 0, v31, vcc
	v_cmp_gt_u64_e32 vcc, s[14:15], v[30:31]
	v_mov_b32_e32 v33, 0
	s_and_saveexec_b64 s[2:3], vcc
	s_cbranch_execz .LBB70_11
; %bb.10:                               ;   in Loop: Header=BB70_9 Depth=1
	v_mov_b32_e32 v31, s9
	v_add_co_u32_e64 v30, s[0:1], s8, v1
	v_addc_co_u32_e64 v31, s[0:1], v2, v31, s[0:1]
	global_load_ushort v30, v[30:31], off
	s_waitcnt vmcnt(0)
	v_lshlrev_b32_e32 v33, 16, v30
.LBB70_11:                              ;   in Loop: Header=BB70_9 Depth=1
	s_or_b64 exec, exec, s[2:3]
	v_mov_b32_e32 v31, s13
	v_add_co_u32_e64 v30, s[0:1], s12, v13
	v_addc_co_u32_e64 v31, s[0:1], v14, v31, s[0:1]
	v_cmp_gt_u64_e64 s[4:5], s[14:15], v[30:31]
	v_mov_b32_e32 v30, 0
	v_mov_b32_e32 v32, 0
	s_and_saveexec_b64 s[2:3], s[4:5]
	s_cbranch_execz .LBB70_13
; %bb.12:                               ;   in Loop: Header=BB70_9 Depth=1
	v_mov_b32_e32 v32, s9
	v_add_co_u32_e64 v31, s[0:1], s8, v15
	v_addc_co_u32_e64 v32, s[0:1], v16, v32, s[0:1]
	global_load_ushort v31, v[31:32], off
	s_waitcnt vmcnt(0)
	v_lshlrev_b32_e32 v32, 16, v31
.LBB70_13:                              ;   in Loop: Header=BB70_9 Depth=1
	s_or_b64 exec, exec, s[2:3]
	v_mov_b32_e32 v31, s13
	v_add_co_u32_e64 v34, s[0:1], s12, v21
	v_addc_co_u32_e64 v35, s[0:1], v22, v31, s[0:1]
	v_cmp_gt_u64_e64 s[2:3], s[14:15], v[34:35]
	s_and_saveexec_b64 s[6:7], s[2:3]
	s_cbranch_execz .LBB70_15
; %bb.14:                               ;   in Loop: Header=BB70_9 Depth=1
	v_mov_b32_e32 v31, s9
	v_add_co_u32_e64 v30, s[0:1], s8, v9
	v_addc_co_u32_e64 v31, s[0:1], v10, v31, s[0:1]
	global_load_ushort v30, v[30:31], off
	s_waitcnt vmcnt(0)
	v_lshlrev_b32_e32 v30, 16, v30
.LBB70_15:                              ;   in Loop: Header=BB70_9 Depth=1
	s_or_b64 exec, exec, s[6:7]
	v_mov_b32_e32 v31, s13
	v_add_co_u32_e64 v34, s[0:1], s12, v19
	v_addc_co_u32_e64 v35, s[0:1], v20, v31, s[0:1]
	v_cmp_gt_u64_e64 s[0:1], s[14:15], v[34:35]
	v_mov_b32_e32 v31, 0
	s_and_saveexec_b64 s[16:17], s[0:1]
	s_cbranch_execnz .LBB70_20
; %bb.16:                               ;   in Loop: Header=BB70_9 Depth=1
	s_or_b64 exec, exec, s[16:17]
	s_and_saveexec_b64 s[6:7], vcc
	s_cbranch_execnz .LBB70_21
.LBB70_17:                              ;   in Loop: Header=BB70_9 Depth=1
	s_or_b64 exec, exec, s[6:7]
	s_and_saveexec_b64 s[6:7], s[4:5]
	s_cbranch_execnz .LBB70_22
.LBB70_18:                              ;   in Loop: Header=BB70_9 Depth=1
	s_or_b64 exec, exec, s[6:7]
	s_and_saveexec_b64 s[4:5], s[2:3]
	s_cbranch_execnz .LBB70_23
.LBB70_19:                              ;   in Loop: Header=BB70_9 Depth=1
	s_or_b64 exec, exec, s[4:5]
	s_and_saveexec_b64 s[2:3], s[0:1]
	s_cbranch_execz .LBB70_8
	s_branch .LBB70_24
.LBB70_20:                              ;   in Loop: Header=BB70_9 Depth=1
	v_mov_b32_e32 v31, s9
	v_add_co_u32_e64 v34, s[6:7], s8, v5
	v_addc_co_u32_e64 v35, s[6:7], v6, v31, s[6:7]
	global_load_ushort v31, v[34:35], off
	s_waitcnt vmcnt(0)
	v_lshlrev_b32_e32 v31, 16, v31
	s_or_b64 exec, exec, s[16:17]
	s_and_saveexec_b64 s[6:7], vcc
	s_cbranch_execz .LBB70_17
.LBB70_21:                              ;   in Loop: Header=BB70_9 Depth=1
	v_rcp_f32_e64 v34, |v33|
	v_cmp_gt_f32_e64 vcc, |v33|, 1.0
	v_mov_b32_e32 v35, 0xbc7a590c
	v_cndmask_b32_e64 v34, |v33|, v34, vcc
	v_mul_f32_e32 v36, v34, v34
	v_fmac_f32_e32 v35, 0x3b2d2a58, v36
	v_fma_f32 v35, v36, v35, v23
	v_fma_f32 v35, v36, v35, v24
	;; [unrolled: 1-line block ×6, first 2 shown]
	v_mul_f32_e32 v35, v36, v35
	v_fmac_f32_e32 v34, v34, v35
	v_sub_f32_e32 v35, 0x3fc90fdb, v34
	v_cndmask_b32_e32 v34, v34, v35, vcc
	v_bfi_b32 v33, s20, v34, v33
	v_bfe_u32 v34, v33, 16, 1
	v_cmp_o_f32_e32 vcc, v33, v33
	v_add3_u32 v33, v33, v34, s21
	v_cndmask_b32_sdwa v35, v29, v33, vcc dst_sel:DWORD dst_unused:UNUSED_PAD src0_sel:DWORD src1_sel:WORD_1
	v_mov_b32_e32 v34, s9
	v_add_co_u32_e32 v33, vcc, s8, v3
	v_addc_co_u32_e32 v34, vcc, v4, v34, vcc
	global_store_short v[33:34], v35, off
	s_or_b64 exec, exec, s[6:7]
	s_and_saveexec_b64 s[6:7], s[4:5]
	s_cbranch_execz .LBB70_18
.LBB70_22:                              ;   in Loop: Header=BB70_9 Depth=1
	v_rcp_f32_e64 v33, |v32|
	v_cmp_gt_f32_e64 vcc, |v32|, 1.0
	v_mov_b32_e32 v34, 0xbc7a590c
	v_cndmask_b32_e64 v33, |v32|, v33, vcc
	v_mul_f32_e32 v35, v33, v33
	v_fmac_f32_e32 v34, 0x3b2d2a58, v35
	v_fma_f32 v34, v35, v34, v23
	v_fma_f32 v34, v35, v34, v24
	;; [unrolled: 1-line block ×6, first 2 shown]
	v_mul_f32_e32 v34, v35, v34
	v_fmac_f32_e32 v33, v33, v34
	v_sub_f32_e32 v34, 0x3fc90fdb, v33
	v_cndmask_b32_e32 v33, v33, v34, vcc
	v_bfi_b32 v32, s20, v33, v32
	v_bfe_u32 v33, v32, 16, 1
	v_cmp_o_f32_e32 vcc, v32, v32
	v_add3_u32 v32, v32, v33, s21
	v_cndmask_b32_sdwa v34, v29, v32, vcc dst_sel:DWORD dst_unused:UNUSED_PAD src0_sel:DWORD src1_sel:WORD_1
	v_mov_b32_e32 v33, s9
	v_add_co_u32_e32 v32, vcc, s8, v17
	v_addc_co_u32_e32 v33, vcc, v18, v33, vcc
	global_store_short v[32:33], v34, off
	s_or_b64 exec, exec, s[6:7]
	s_and_saveexec_b64 s[4:5], s[2:3]
	s_cbranch_execz .LBB70_19
.LBB70_23:                              ;   in Loop: Header=BB70_9 Depth=1
	v_rcp_f32_e64 v32, |v30|
	v_cmp_gt_f32_e64 vcc, |v30|, 1.0
	v_mov_b32_e32 v33, 0xbc7a590c
	v_cndmask_b32_e64 v32, |v30|, v32, vcc
	v_mul_f32_e32 v34, v32, v32
	v_fmac_f32_e32 v33, 0x3b2d2a58, v34
	v_fma_f32 v33, v34, v33, v23
	v_fma_f32 v33, v34, v33, v24
	;; [unrolled: 1-line block ×6, first 2 shown]
	v_mul_f32_e32 v33, v34, v33
	v_fmac_f32_e32 v32, v32, v33
	v_sub_f32_e32 v33, 0x3fc90fdb, v32
	v_cndmask_b32_e32 v32, v32, v33, vcc
	v_bfi_b32 v30, s20, v32, v30
	v_bfe_u32 v32, v30, 16, 1
	v_cmp_o_f32_e32 vcc, v30, v30
	v_add3_u32 v30, v30, v32, s21
	v_cndmask_b32_sdwa v30, v29, v30, vcc dst_sel:DWORD dst_unused:UNUSED_PAD src0_sel:DWORD src1_sel:WORD_1
	v_mov_b32_e32 v33, s9
	v_add_co_u32_e32 v32, vcc, s8, v11
	v_addc_co_u32_e32 v33, vcc, v12, v33, vcc
	global_store_short v[32:33], v30, off
	s_or_b64 exec, exec, s[4:5]
	s_and_saveexec_b64 s[2:3], s[0:1]
	s_cbranch_execz .LBB70_8
.LBB70_24:                              ;   in Loop: Header=BB70_9 Depth=1
	v_rcp_f32_e64 v30, |v31|
	v_cmp_gt_f32_e64 vcc, |v31|, 1.0
	v_mov_b32_e32 v32, 0xbc7a590c
	v_cndmask_b32_e64 v30, |v31|, v30, vcc
	v_mul_f32_e32 v33, v30, v30
	v_fmac_f32_e32 v32, 0x3b2d2a58, v33
	v_fma_f32 v32, v33, v32, v23
	v_fma_f32 v32, v33, v32, v24
	;; [unrolled: 1-line block ×6, first 2 shown]
	v_mul_f32_e32 v32, v33, v32
	v_fmac_f32_e32 v30, v30, v32
	v_sub_f32_e32 v32, 0x3fc90fdb, v30
	v_cndmask_b32_e32 v30, v30, v32, vcc
	v_bfi_b32 v30, s20, v30, v31
	v_bfe_u32 v31, v30, 16, 1
	v_cmp_o_f32_e32 vcc, v30, v30
	v_add3_u32 v30, v30, v31, s21
	v_cndmask_b32_sdwa v32, v29, v30, vcc dst_sel:DWORD dst_unused:UNUSED_PAD src0_sel:DWORD src1_sel:WORD_1
	v_mov_b32_e32 v31, s9
	v_add_co_u32_e32 v30, vcc, s8, v7
	v_addc_co_u32_e32 v31, vcc, v8, v31, vcc
	global_store_short v[30:31], v32, off
	s_branch .LBB70_8
.LBB70_25:
	s_endpgm
	.section	.rodata,"a",@progbits
	.p2align	6, 0x0
	.amdhsa_kernel _ZN2at6native12_GLOBAL__N_125multi_tensor_apply_kernelINS1_18TensorListMetadataILi2EEENS1_14UnaryOpFunctorIN3c108BFloat16ELi2ELi1ELi1EEEJNS0_4AtanIfEEEEEvT_T0_DpT1_
		.amdhsa_group_segment_fixed_size 0
		.amdhsa_private_segment_fixed_size 0
		.amdhsa_kernarg_size 3408
		.amdhsa_user_sgpr_count 6
		.amdhsa_user_sgpr_private_segment_buffer 1
		.amdhsa_user_sgpr_dispatch_ptr 0
		.amdhsa_user_sgpr_queue_ptr 0
		.amdhsa_user_sgpr_kernarg_segment_ptr 1
		.amdhsa_user_sgpr_dispatch_id 0
		.amdhsa_user_sgpr_flat_scratch_init 0
		.amdhsa_user_sgpr_private_segment_size 0
		.amdhsa_uses_dynamic_stack 0
		.amdhsa_system_sgpr_private_segment_wavefront_offset 0
		.amdhsa_system_sgpr_workgroup_id_x 1
		.amdhsa_system_sgpr_workgroup_id_y 0
		.amdhsa_system_sgpr_workgroup_id_z 0
		.amdhsa_system_sgpr_workgroup_info 0
		.amdhsa_system_vgpr_workitem_id 0
		.amdhsa_next_free_vgpr 37
		.amdhsa_next_free_sgpr 26
		.amdhsa_reserve_vcc 1
		.amdhsa_reserve_flat_scratch 0
		.amdhsa_float_round_mode_32 0
		.amdhsa_float_round_mode_16_64 0
		.amdhsa_float_denorm_mode_32 3
		.amdhsa_float_denorm_mode_16_64 3
		.amdhsa_dx10_clamp 1
		.amdhsa_ieee_mode 1
		.amdhsa_fp16_overflow 0
		.amdhsa_exception_fp_ieee_invalid_op 0
		.amdhsa_exception_fp_denorm_src 0
		.amdhsa_exception_fp_ieee_div_zero 0
		.amdhsa_exception_fp_ieee_overflow 0
		.amdhsa_exception_fp_ieee_underflow 0
		.amdhsa_exception_fp_ieee_inexact 0
		.amdhsa_exception_int_div_zero 0
	.end_amdhsa_kernel
	.section	.text._ZN2at6native12_GLOBAL__N_125multi_tensor_apply_kernelINS1_18TensorListMetadataILi2EEENS1_14UnaryOpFunctorIN3c108BFloat16ELi2ELi1ELi1EEEJNS0_4AtanIfEEEEEvT_T0_DpT1_,"axG",@progbits,_ZN2at6native12_GLOBAL__N_125multi_tensor_apply_kernelINS1_18TensorListMetadataILi2EEENS1_14UnaryOpFunctorIN3c108BFloat16ELi2ELi1ELi1EEEJNS0_4AtanIfEEEEEvT_T0_DpT1_,comdat
.Lfunc_end70:
	.size	_ZN2at6native12_GLOBAL__N_125multi_tensor_apply_kernelINS1_18TensorListMetadataILi2EEENS1_14UnaryOpFunctorIN3c108BFloat16ELi2ELi1ELi1EEEJNS0_4AtanIfEEEEEvT_T0_DpT1_, .Lfunc_end70-_ZN2at6native12_GLOBAL__N_125multi_tensor_apply_kernelINS1_18TensorListMetadataILi2EEENS1_14UnaryOpFunctorIN3c108BFloat16ELi2ELi1ELi1EEEJNS0_4AtanIfEEEEEvT_T0_DpT1_
                                        ; -- End function
	.set _ZN2at6native12_GLOBAL__N_125multi_tensor_apply_kernelINS1_18TensorListMetadataILi2EEENS1_14UnaryOpFunctorIN3c108BFloat16ELi2ELi1ELi1EEEJNS0_4AtanIfEEEEEvT_T0_DpT1_.num_vgpr, 37
	.set _ZN2at6native12_GLOBAL__N_125multi_tensor_apply_kernelINS1_18TensorListMetadataILi2EEENS1_14UnaryOpFunctorIN3c108BFloat16ELi2ELi1ELi1EEEJNS0_4AtanIfEEEEEvT_T0_DpT1_.num_agpr, 0
	.set _ZN2at6native12_GLOBAL__N_125multi_tensor_apply_kernelINS1_18TensorListMetadataILi2EEENS1_14UnaryOpFunctorIN3c108BFloat16ELi2ELi1ELi1EEEJNS0_4AtanIfEEEEEvT_T0_DpT1_.numbered_sgpr, 26
	.set _ZN2at6native12_GLOBAL__N_125multi_tensor_apply_kernelINS1_18TensorListMetadataILi2EEENS1_14UnaryOpFunctorIN3c108BFloat16ELi2ELi1ELi1EEEJNS0_4AtanIfEEEEEvT_T0_DpT1_.num_named_barrier, 0
	.set _ZN2at6native12_GLOBAL__N_125multi_tensor_apply_kernelINS1_18TensorListMetadataILi2EEENS1_14UnaryOpFunctorIN3c108BFloat16ELi2ELi1ELi1EEEJNS0_4AtanIfEEEEEvT_T0_DpT1_.private_seg_size, 0
	.set _ZN2at6native12_GLOBAL__N_125multi_tensor_apply_kernelINS1_18TensorListMetadataILi2EEENS1_14UnaryOpFunctorIN3c108BFloat16ELi2ELi1ELi1EEEJNS0_4AtanIfEEEEEvT_T0_DpT1_.uses_vcc, 1
	.set _ZN2at6native12_GLOBAL__N_125multi_tensor_apply_kernelINS1_18TensorListMetadataILi2EEENS1_14UnaryOpFunctorIN3c108BFloat16ELi2ELi1ELi1EEEJNS0_4AtanIfEEEEEvT_T0_DpT1_.uses_flat_scratch, 0
	.set _ZN2at6native12_GLOBAL__N_125multi_tensor_apply_kernelINS1_18TensorListMetadataILi2EEENS1_14UnaryOpFunctorIN3c108BFloat16ELi2ELi1ELi1EEEJNS0_4AtanIfEEEEEvT_T0_DpT1_.has_dyn_sized_stack, 0
	.set _ZN2at6native12_GLOBAL__N_125multi_tensor_apply_kernelINS1_18TensorListMetadataILi2EEENS1_14UnaryOpFunctorIN3c108BFloat16ELi2ELi1ELi1EEEJNS0_4AtanIfEEEEEvT_T0_DpT1_.has_recursion, 0
	.set _ZN2at6native12_GLOBAL__N_125multi_tensor_apply_kernelINS1_18TensorListMetadataILi2EEENS1_14UnaryOpFunctorIN3c108BFloat16ELi2ELi1ELi1EEEJNS0_4AtanIfEEEEEvT_T0_DpT1_.has_indirect_call, 0
	.section	.AMDGPU.csdata,"",@progbits
; Kernel info:
; codeLenInByte = 2644
; TotalNumSgprs: 30
; NumVgprs: 37
; ScratchSize: 0
; MemoryBound: 0
; FloatMode: 240
; IeeeMode: 1
; LDSByteSize: 0 bytes/workgroup (compile time only)
; SGPRBlocks: 3
; VGPRBlocks: 9
; NumSGPRsForWavesPerEU: 30
; NumVGPRsForWavesPerEU: 37
; Occupancy: 6
; WaveLimiterHint : 0
; COMPUTE_PGM_RSRC2:SCRATCH_EN: 0
; COMPUTE_PGM_RSRC2:USER_SGPR: 6
; COMPUTE_PGM_RSRC2:TRAP_HANDLER: 0
; COMPUTE_PGM_RSRC2:TGID_X_EN: 1
; COMPUTE_PGM_RSRC2:TGID_Y_EN: 0
; COMPUTE_PGM_RSRC2:TGID_Z_EN: 0
; COMPUTE_PGM_RSRC2:TIDIG_COMP_CNT: 0
	.section	.text._ZN2at6native12_GLOBAL__N_125multi_tensor_apply_kernelINS1_18TensorListMetadataILi1EEENS1_14UnaryOpFunctorIdLi1ELi1ELi0EEEJNS0_4AtanIdEEEEEvT_T0_DpT1_,"axG",@progbits,_ZN2at6native12_GLOBAL__N_125multi_tensor_apply_kernelINS1_18TensorListMetadataILi1EEENS1_14UnaryOpFunctorIdLi1ELi1ELi0EEEJNS0_4AtanIdEEEEEvT_T0_DpT1_,comdat
	.globl	_ZN2at6native12_GLOBAL__N_125multi_tensor_apply_kernelINS1_18TensorListMetadataILi1EEENS1_14UnaryOpFunctorIdLi1ELi1ELi0EEEJNS0_4AtanIdEEEEEvT_T0_DpT1_ ; -- Begin function _ZN2at6native12_GLOBAL__N_125multi_tensor_apply_kernelINS1_18TensorListMetadataILi1EEENS1_14UnaryOpFunctorIdLi1ELi1ELi0EEEJNS0_4AtanIdEEEEEvT_T0_DpT1_
	.p2align	8
	.type	_ZN2at6native12_GLOBAL__N_125multi_tensor_apply_kernelINS1_18TensorListMetadataILi1EEENS1_14UnaryOpFunctorIdLi1ELi1ELi0EEEJNS0_4AtanIdEEEEEvT_T0_DpT1_,@function
_ZN2at6native12_GLOBAL__N_125multi_tensor_apply_kernelINS1_18TensorListMetadataILi1EEENS1_14UnaryOpFunctorIdLi1ELi1ELi0EEEJNS0_4AtanIdEEEEEvT_T0_DpT1_: ; @_ZN2at6native12_GLOBAL__N_125multi_tensor_apply_kernelINS1_18TensorListMetadataILi1EEENS1_14UnaryOpFunctorIdLi1ELi1ELi0EEEJNS0_4AtanIdEEEEEvT_T0_DpT1_
; %bb.0:
	v_mov_b32_e32 v1, s6
	global_load_ubyte v1, v1, s[4:5] offset:1760
	s_add_u32 s0, s4, s6
	s_mul_hi_u32 s1, s6, 3
	s_mul_i32 s6, s6, 3
	s_addc_u32 s2, s5, 0
	s_add_u32 s0, s0, s6
	s_addc_u32 s1, s2, s1
	s_load_dword s0, s[0:1], 0x820
	s_mov_b32 s7, 0
	s_waitcnt vmcnt(0)
	v_readfirstlane_b32 s1, v1
	s_lshl_b32 s1, s1, 3
	s_load_dwordx2 s[2:3], s[4:5], s1 offset:0x370
	s_load_dwordx2 s[10:11], s[4:5], s1 offset:0x0
	s_waitcnt lgkmcnt(0)
	s_ashr_i32 s1, s0, 31
	s_lshl_b64 s[12:13], s[0:1], 19
	s_lshl_b64 s[0:1], s[0:1], 16
	s_and_b32 s6, s10, 31
	s_sub_u32 s14, s2, s0
	s_subb_u32 s15, s3, s1
	s_and_b32 s0, s2, 3
	s_mov_b32 s1, s7
	s_or_b64 s[0:1], s[6:7], s[0:1]
	s_cmp_eq_u64 s[0:1], 0
	s_cbranch_scc1 .LBB71_21
; %bb.1:
	v_cmp_lt_i64_e64 s[0:1], s[14:15], 1
	s_and_b64 vcc, exec, s[0:1]
	s_cbranch_vccnz .LBB71_20
; %bb.2:
	v_mov_b32_e32 v1, 0x10000
	s_load_dword s2, s[4:5], 0xd3c
	v_mov_b32_e32 v2, 0
	v_cmp_lt_i64_e32 vcc, s[14:15], v[1:2]
	s_mov_b32 s22, 0xb5e68a13
	s_and_b64 s[0:1], vcc, exec
	v_cmp_lt_u64_e32 vcc, s[14:15], v[1:2]
	s_cselect_b32 s17, s15, 0
	s_cselect_b32 s16, s14, 0x10000
	s_waitcnt lgkmcnt(0)
	s_and_b32 s2, s2, 0xffff
	s_and_b64 s[0:1], vcc, exec
	s_cselect_b32 s19, s15, 0
	s_cselect_b32 s18, s14, 0x10000
	s_lshl_b32 s3, s2, 1
	s_lshl_b32 s33, s2, 2
	s_add_u32 s6, s10, s12
	v_lshlrev_b32_e32 v1, 3, v0
	s_addc_u32 s7, s11, s13
	v_mov_b32_e32 v2, s7
	v_add_co_u32_e32 v1, vcc, s6, v1
	s_mul_i32 s0, s2, 3
	v_addc_co_u32_e32 v2, vcc, 0, v2, vcc
	v_add_co_u32_e32 v17, vcc, s0, v0
	v_addc_co_u32_e64 v18, s[0:1], 0, 0, vcc
	v_add_co_u32_e32 v19, vcc, s3, v0
	v_addc_co_u32_e64 v20, s[0:1], 0, 0, vcc
	v_add_co_u32_e32 v21, vcc, s2, v0
	v_lshlrev_b32_e32 v3, 3, v21
	v_addc_co_u32_e64 v22, s[0:1], 0, 0, vcc
	v_mov_b32_e32 v4, s7
	v_add_co_u32_e32 v3, vcc, s6, v3
	s_mov_b32 s24, 0x69efb384
	s_mov_b32 s26, 0xaf56de9b
	;; [unrolled: 1-line block ×19, first 2 shown]
	s_lshl_b32 s66, s2, 5
	s_mul_i32 s67, s2, 24
	s_lshl_b32 s68, s2, 4
	v_addc_co_u32_e32 v4, vcc, 0, v4, vcc
	s_mov_b64 s[20:21], 0
	s_brev_b32 s69, -2
	s_mov_b32 s23, 0x3eeba404
	s_mov_b32 s25, 0x3f4b2bb0
	;; [unrolled: 1-line block ×20, first 2 shown]
	v_mov_b32_e32 v5, 0xbd3237f4
	v_mov_b32_e32 v6, 0xbf23e260
	v_mov_b32_e32 v7, 0xeeb562d6
	v_mov_b32_e32 v8, 0x3ffaf154
	s_branch .LBB71_4
.LBB71_3:                               ;   in Loop: Header=BB71_4 Depth=1
	s_or_b64 exec, exec, s[2:3]
	s_add_u32 s20, s20, s33
	v_add_co_u32_e32 v1, vcc, s66, v1
	s_waitcnt vmcnt(0)
	v_mov_b32_e32 v9, s16
	s_addc_u32 s21, s21, 0
	v_addc_co_u32_e32 v2, vcc, 0, v2, vcc
	v_mov_b32_e32 v10, s17
	v_cmp_lt_i64_e32 vcc, s[20:21], v[9:10]
	v_add_co_u32_e64 v3, s[0:1], s66, v3
	v_addc_co_u32_e64 v4, s[0:1], 0, v4, s[0:1]
	s_cbranch_vccz .LBB71_20
.LBB71_4:                               ; =>This Inner Loop Header: Depth=1
	v_mov_b32_e32 v10, s21
	v_add_co_u32_e32 v9, vcc, s20, v0
	v_addc_co_u32_e32 v10, vcc, 0, v10, vcc
	v_cmp_gt_u64_e32 vcc, s[18:19], v[9:10]
	v_mov_b32_e32 v13, 0
	v_mov_b32_e32 v15, 0
	;; [unrolled: 1-line block ×4, first 2 shown]
	s_and_saveexec_b64 s[0:1], vcc
	s_cbranch_execz .LBB71_6
; %bb.5:                                ;   in Loop: Header=BB71_4 Depth=1
	global_load_dwordx2 v[15:16], v[1:2], off
.LBB71_6:                               ;   in Loop: Header=BB71_4 Depth=1
	s_or_b64 exec, exec, s[0:1]
	v_mov_b32_e32 v10, s21
	v_add_co_u32_e64 v9, s[0:1], s20, v21
	v_addc_co_u32_e64 v10, s[0:1], v22, v10, s[0:1]
	v_cmp_gt_u64_e64 s[6:7], s[18:19], v[9:10]
	s_and_saveexec_b64 s[0:1], s[6:7]
	s_cbranch_execz .LBB71_8
; %bb.7:                                ;   in Loop: Header=BB71_4 Depth=1
	global_load_dwordx2 v[13:14], v[3:4], off
.LBB71_8:                               ;   in Loop: Header=BB71_4 Depth=1
	s_or_b64 exec, exec, s[0:1]
	v_mov_b32_e32 v10, s21
	v_add_co_u32_e64 v9, s[0:1], s20, v19
	v_addc_co_u32_e64 v10, s[0:1], v20, v10, s[0:1]
	v_cmp_gt_u64_e64 s[2:3], s[18:19], v[9:10]
	v_mov_b32_e32 v9, 0
	v_mov_b32_e32 v11, 0
	;; [unrolled: 1-line block ×4, first 2 shown]
	s_and_saveexec_b64 s[8:9], s[2:3]
	s_cbranch_execz .LBB71_10
; %bb.9:                                ;   in Loop: Header=BB71_4 Depth=1
	v_add_co_u32_e64 v11, s[0:1], s68, v1
	v_addc_co_u32_e64 v12, s[0:1], 0, v2, s[0:1]
	global_load_dwordx2 v[11:12], v[11:12], off
.LBB71_10:                              ;   in Loop: Header=BB71_4 Depth=1
	s_or_b64 exec, exec, s[8:9]
	v_mov_b32_e32 v24, s21
	v_add_co_u32_e64 v23, s[0:1], s20, v17
	v_addc_co_u32_e64 v24, s[0:1], v18, v24, s[0:1]
	v_cmp_gt_u64_e64 s[0:1], s[18:19], v[23:24]
	s_and_saveexec_b64 s[64:65], s[0:1]
	s_cbranch_execnz .LBB71_15
; %bb.11:                               ;   in Loop: Header=BB71_4 Depth=1
	s_or_b64 exec, exec, s[64:65]
	s_and_saveexec_b64 s[8:9], vcc
	s_cbranch_execnz .LBB71_16
.LBB71_12:                              ;   in Loop: Header=BB71_4 Depth=1
	s_or_b64 exec, exec, s[8:9]
	s_and_saveexec_b64 s[8:9], s[6:7]
	s_cbranch_execnz .LBB71_17
.LBB71_13:                              ;   in Loop: Header=BB71_4 Depth=1
	s_or_b64 exec, exec, s[8:9]
	s_and_saveexec_b64 s[6:7], s[2:3]
	s_cbranch_execnz .LBB71_18
.LBB71_14:                              ;   in Loop: Header=BB71_4 Depth=1
	s_or_b64 exec, exec, s[6:7]
	s_and_saveexec_b64 s[2:3], s[0:1]
	s_cbranch_execz .LBB71_3
	s_branch .LBB71_19
.LBB71_15:                              ;   in Loop: Header=BB71_4 Depth=1
	v_add_co_u32_e64 v9, s[8:9], s67, v1
	v_addc_co_u32_e64 v10, s[8:9], 0, v2, s[8:9]
	global_load_dwordx2 v[9:10], v[9:10], off
	s_or_b64 exec, exec, s[64:65]
	s_and_saveexec_b64 s[8:9], vcc
	s_cbranch_execz .LBB71_12
.LBB71_16:                              ;   in Loop: Header=BB71_4 Depth=1
	s_waitcnt vmcnt(0)
	v_and_b32_e32 v24, 0x7fffffff, v16
	v_mov_b32_e32 v23, v15
	v_div_scale_f64 v[25:26], s[64:65], v[23:24], v[23:24], 1.0
	v_rcp_f64_e32 v[27:28], v[25:26]
	v_fma_f64 v[29:30], -v[25:26], v[27:28], 1.0
	v_fma_f64 v[27:28], v[27:28], v[29:30], v[27:28]
	v_div_scale_f64 v[29:30], vcc, 1.0, v[23:24], 1.0
	v_fma_f64 v[31:32], -v[25:26], v[27:28], 1.0
	v_fma_f64 v[27:28], v[27:28], v[31:32], v[27:28]
	v_mul_f64 v[31:32], v[29:30], v[27:28]
	v_fma_f64 v[25:26], -v[25:26], v[31:32], v[29:30]
	v_div_fmas_f64 v[25:26], v[25:26], v[27:28], v[31:32]
	v_cmp_gt_f64_e64 vcc, |v[15:16]|, 1.0
	v_div_fixup_f64 v[25:26], v[25:26], |v[15:16]|, 1.0
	v_cndmask_b32_e32 v24, v24, v26, vcc
	v_cndmask_b32_e32 v23, v15, v25, vcc
	v_mul_f64 v[25:26], v[23:24], v[23:24]
	v_fma_f64 v[27:28], v[25:26], s[22:23], v[5:6]
	v_fma_f64 v[27:28], v[25:26], v[27:28], s[24:25]
	;; [unrolled: 1-line block ×19, first 2 shown]
	v_mul_f64 v[25:26], v[25:26], v[27:28]
	v_fma_f64 v[23:24], v[23:24], v[25:26], v[23:24]
	v_fma_f64 v[25:26], s[62:63], v[7:8], -v[23:24]
	v_cndmask_b32_e32 v15, v23, v25, vcc
	v_cndmask_b32_e32 v23, v24, v26, vcc
	v_bfi_b32 v16, s69, v23, v16
	global_store_dwordx2 v[1:2], v[15:16], off
	s_or_b64 exec, exec, s[8:9]
	s_and_saveexec_b64 s[8:9], s[6:7]
	s_cbranch_execz .LBB71_13
.LBB71_17:                              ;   in Loop: Header=BB71_4 Depth=1
	s_waitcnt vmcnt(0)
	v_and_b32_e32 v16, 0x7fffffff, v14
	v_mov_b32_e32 v15, v13
	v_div_scale_f64 v[23:24], s[6:7], v[15:16], v[15:16], 1.0
	v_rcp_f64_e32 v[25:26], v[23:24]
	v_fma_f64 v[27:28], -v[23:24], v[25:26], 1.0
	v_fma_f64 v[25:26], v[25:26], v[27:28], v[25:26]
	v_div_scale_f64 v[27:28], vcc, 1.0, v[15:16], 1.0
	v_fma_f64 v[29:30], -v[23:24], v[25:26], 1.0
	v_fma_f64 v[25:26], v[25:26], v[29:30], v[25:26]
	v_mul_f64 v[29:30], v[27:28], v[25:26]
	v_fma_f64 v[23:24], -v[23:24], v[29:30], v[27:28]
	v_div_fmas_f64 v[23:24], v[23:24], v[25:26], v[29:30]
	v_cmp_gt_f64_e64 vcc, |v[13:14]|, 1.0
	v_div_fixup_f64 v[23:24], v[23:24], |v[13:14]|, 1.0
	v_cndmask_b32_e32 v16, v16, v24, vcc
	v_cndmask_b32_e32 v15, v13, v23, vcc
	v_mul_f64 v[23:24], v[15:16], v[15:16]
	v_fma_f64 v[25:26], v[23:24], s[22:23], v[5:6]
	v_fma_f64 v[25:26], v[23:24], v[25:26], s[24:25]
	;; [unrolled: 1-line block ×19, first 2 shown]
	v_mul_f64 v[23:24], v[23:24], v[25:26]
	v_fma_f64 v[15:16], v[15:16], v[23:24], v[15:16]
	v_fma_f64 v[23:24], s[62:63], v[7:8], -v[15:16]
	v_cndmask_b32_e32 v13, v15, v23, vcc
	v_cndmask_b32_e32 v15, v16, v24, vcc
	v_bfi_b32 v14, s69, v15, v14
	global_store_dwordx2 v[3:4], v[13:14], off
	s_or_b64 exec, exec, s[8:9]
	s_and_saveexec_b64 s[6:7], s[2:3]
	s_cbranch_execz .LBB71_14
.LBB71_18:                              ;   in Loop: Header=BB71_4 Depth=1
	s_waitcnt vmcnt(0)
	v_and_b32_e32 v14, 0x7fffffff, v12
	v_mov_b32_e32 v13, v11
	v_div_scale_f64 v[15:16], s[2:3], v[13:14], v[13:14], 1.0
	v_rcp_f64_e32 v[23:24], v[15:16]
	v_fma_f64 v[25:26], -v[15:16], v[23:24], 1.0
	v_fma_f64 v[23:24], v[23:24], v[25:26], v[23:24]
	v_div_scale_f64 v[25:26], vcc, 1.0, v[13:14], 1.0
	v_fma_f64 v[27:28], -v[15:16], v[23:24], 1.0
	v_fma_f64 v[23:24], v[23:24], v[27:28], v[23:24]
	v_mul_f64 v[27:28], v[25:26], v[23:24]
	v_fma_f64 v[15:16], -v[15:16], v[27:28], v[25:26]
	v_div_fmas_f64 v[15:16], v[15:16], v[23:24], v[27:28]
	v_cmp_gt_f64_e64 vcc, |v[11:12]|, 1.0
	v_div_fixup_f64 v[15:16], v[15:16], |v[11:12]|, 1.0
	v_cndmask_b32_e32 v14, v14, v16, vcc
	v_cndmask_b32_e32 v13, v11, v15, vcc
	v_mul_f64 v[15:16], v[13:14], v[13:14]
	v_fma_f64 v[23:24], v[15:16], s[22:23], v[5:6]
	v_fma_f64 v[23:24], v[15:16], v[23:24], s[24:25]
	v_fma_f64 v[23:24], v[15:16], v[23:24], s[26:27]
	v_fma_f64 v[23:24], v[15:16], v[23:24], s[28:29]
	v_fma_f64 v[23:24], v[15:16], v[23:24], s[30:31]
	v_fma_f64 v[23:24], v[15:16], v[23:24], s[34:35]
	v_fma_f64 v[23:24], v[15:16], v[23:24], s[36:37]
	v_fma_f64 v[23:24], v[15:16], v[23:24], s[38:39]
	v_fma_f64 v[23:24], v[15:16], v[23:24], s[40:41]
	v_fma_f64 v[23:24], v[15:16], v[23:24], s[42:43]
	v_fma_f64 v[23:24], v[15:16], v[23:24], s[44:45]
	v_fma_f64 v[23:24], v[15:16], v[23:24], s[46:47]
	v_fma_f64 v[23:24], v[15:16], v[23:24], s[48:49]
	v_fma_f64 v[23:24], v[15:16], v[23:24], s[50:51]
	v_fma_f64 v[23:24], v[15:16], v[23:24], s[52:53]
	v_fma_f64 v[23:24], v[15:16], v[23:24], s[54:55]
	v_fma_f64 v[23:24], v[15:16], v[23:24], s[56:57]
	v_fma_f64 v[23:24], v[15:16], v[23:24], s[58:59]
	v_fma_f64 v[23:24], v[15:16], v[23:24], s[60:61]
	v_mul_f64 v[15:16], v[15:16], v[23:24]
	v_fma_f64 v[13:14], v[13:14], v[15:16], v[13:14]
	v_fma_f64 v[15:16], s[62:63], v[7:8], -v[13:14]
	v_cndmask_b32_e32 v11, v13, v15, vcc
	v_cndmask_b32_e32 v13, v14, v16, vcc
	v_bfi_b32 v12, s69, v13, v12
	v_add_co_u32_e32 v13, vcc, s68, v1
	v_addc_co_u32_e32 v14, vcc, 0, v2, vcc
	global_store_dwordx2 v[13:14], v[11:12], off
	s_or_b64 exec, exec, s[6:7]
	s_and_saveexec_b64 s[2:3], s[0:1]
	s_cbranch_execz .LBB71_3
.LBB71_19:                              ;   in Loop: Header=BB71_4 Depth=1
	s_waitcnt vmcnt(0)
	v_and_b32_e32 v12, 0x7fffffff, v10
	v_mov_b32_e32 v11, v9
	v_div_scale_f64 v[13:14], s[0:1], v[11:12], v[11:12], 1.0
	v_rcp_f64_e32 v[15:16], v[13:14]
	v_fma_f64 v[23:24], -v[13:14], v[15:16], 1.0
	v_fma_f64 v[15:16], v[15:16], v[23:24], v[15:16]
	v_div_scale_f64 v[23:24], vcc, 1.0, v[11:12], 1.0
	v_fma_f64 v[25:26], -v[13:14], v[15:16], 1.0
	v_fma_f64 v[15:16], v[15:16], v[25:26], v[15:16]
	v_mul_f64 v[25:26], v[23:24], v[15:16]
	v_fma_f64 v[13:14], -v[13:14], v[25:26], v[23:24]
	v_div_fmas_f64 v[13:14], v[13:14], v[15:16], v[25:26]
	v_cmp_gt_f64_e64 vcc, |v[9:10]|, 1.0
	v_div_fixup_f64 v[13:14], v[13:14], |v[9:10]|, 1.0
	v_cndmask_b32_e32 v12, v12, v14, vcc
	v_cndmask_b32_e32 v11, v9, v13, vcc
	v_mul_f64 v[13:14], v[11:12], v[11:12]
	v_fma_f64 v[15:16], v[13:14], s[22:23], v[5:6]
	v_fma_f64 v[15:16], v[13:14], v[15:16], s[24:25]
	;; [unrolled: 1-line block ×19, first 2 shown]
	v_mul_f64 v[13:14], v[13:14], v[15:16]
	v_fma_f64 v[11:12], v[11:12], v[13:14], v[11:12]
	v_fma_f64 v[13:14], s[62:63], v[7:8], -v[11:12]
	v_cndmask_b32_e32 v9, v11, v13, vcc
	v_cndmask_b32_e32 v11, v12, v14, vcc
	v_bfi_b32 v10, s69, v11, v10
	v_add_co_u32_e32 v11, vcc, s67, v1
	v_addc_co_u32_e32 v12, vcc, 0, v2, vcc
	global_store_dwordx2 v[11:12], v[9:10], off
	s_branch .LBB71_3
.LBB71_20:
	s_cbranch_execz .LBB71_22
	s_branch .LBB71_25
.LBB71_21:
.LBB71_22:
	v_mov_b32_e32 v1, 0x10000
	v_mov_b32_e32 v2, 0
	v_cmp_lt_i64_e32 vcc, s[14:15], v[1:2]
	v_mov_b32_e32 v2, 0
	s_and_b64 s[0:1], vcc, exec
	s_cselect_b32 s9, s15, 0
	s_cselect_b32 s8, s14, 0x10000
	v_lshlrev_b32_e32 v1, 2, v0
	v_cmp_gt_i64_e32 vcc, s[8:9], v[1:2]
	s_and_saveexec_b64 s[0:1], vcc
	s_cbranch_execz .LBB71_25
; %bb.23:
	s_load_dword s0, s[4:5], 0xd3c
	v_mov_b32_e32 v1, v2
	v_lshlrev_b32_e32 v2, 5, v0
	s_mov_b32 s14, 0x69efb384
	s_mov_b32 s16, 0xaf56de9b
	s_waitcnt lgkmcnt(0)
	s_and_b32 s33, s0, 0xffff
	s_add_u32 s0, s10, s12
	s_addc_u32 s1, s11, s13
	v_mov_b32_e32 v3, s1
	v_add_co_u32_e32 v2, vcc, s0, v2
	s_mov_b32 s0, 0xbd3237f4
	s_mov_b32 s1, 0xbf23e260
	v_mov_b32_e32 v13, s1
	v_mov_b32_e32 v12, s0
	s_mov_b32 s0, 0xeeb562d6
	v_addc_co_u32_e32 v3, vcc, 0, v3, vcc
	s_mov_b32 s1, 0x3ffaf154
	v_add_co_u32_e32 v10, vcc, 16, v2
	s_mov_b32 s12, 0xb5e68a13
	s_mov_b32 s18, 0xa595c56f
	;; [unrolled: 1-line block ×18, first 2 shown]
	v_mov_b32_e32 v15, s1
	v_addc_co_u32_e32 v11, vcc, 0, v3, vcc
	s_lshl_b32 s54, s33, 5
	s_mov_b64 s[10:11], 0
	s_brev_b32 s55, -2
	s_mov_b32 s13, 0x3eeba404
	s_mov_b32 s15, 0x3f4b2bb0
	;; [unrolled: 1-line block ×20, first 2 shown]
	v_mov_b32_e32 v14, s0
.LBB71_24:                              ; =>This Inner Loop Header: Depth=1
	global_load_dwordx4 v[2:5], v[10:11], off offset:-16
	global_load_dwordx4 v[6:9], v[10:11], off
	v_add_co_u32_e64 v0, s[6:7], s33, v0
	v_addc_co_u32_e64 v1, s[6:7], 0, v1, s[6:7]
	s_waitcnt vmcnt(1)
	v_and_b32_e32 v17, 0x7fffffff, v3
	v_mov_b32_e32 v16, v2
	v_div_scale_f64 v[18:19], s[0:1], v[16:17], v[16:17], 1.0
	v_and_b32_e32 v21, 0x7fffffff, v5
	v_mov_b32_e32 v20, v4
	v_div_scale_f64 v[22:23], s[0:1], v[20:21], v[20:21], 1.0
	s_waitcnt vmcnt(0)
	v_cmp_gt_f64_e64 s[4:5], |v[8:9]|, 1.0
	v_rcp_f64_e32 v[24:25], v[18:19]
	v_rcp_f64_e32 v[26:27], v[22:23]
	v_fma_f64 v[28:29], -v[18:19], v[24:25], 1.0
	v_fma_f64 v[30:31], -v[22:23], v[26:27], 1.0
	v_fma_f64 v[24:25], v[24:25], v[28:29], v[24:25]
	v_fma_f64 v[26:27], v[26:27], v[30:31], v[26:27]
	v_div_scale_f64 v[30:31], vcc, 1.0, v[16:17], 1.0
	v_fma_f64 v[28:29], -v[18:19], v[24:25], 1.0
	v_fma_f64 v[24:25], v[24:25], v[28:29], v[24:25]
	v_fma_f64 v[28:29], -v[22:23], v[26:27], 1.0
	v_fma_f64 v[26:27], v[26:27], v[28:29], v[26:27]
	v_mul_f64 v[28:29], v[30:31], v[24:25]
	v_fma_f64 v[18:19], -v[18:19], v[28:29], v[30:31]
	v_div_scale_f64 v[30:31], s[0:1], 1.0, v[20:21], 1.0
	v_div_fmas_f64 v[18:19], v[18:19], v[24:25], v[28:29]
	v_and_b32_e32 v29, 0x7fffffff, v7
	v_mov_b32_e32 v28, v6
	s_mov_b64 vcc, s[0:1]
	v_mul_f64 v[24:25], v[30:31], v[26:27]
	v_div_fixup_f64 v[18:19], v[18:19], |v[2:3]|, 1.0
	v_fma_f64 v[22:23], -v[22:23], v[24:25], v[30:31]
	v_div_scale_f64 v[30:31], s[2:3], v[28:29], v[28:29], 1.0
	v_cmp_gt_f64_e64 s[2:3], |v[2:3]|, 1.0
	v_div_fmas_f64 v[22:23], v[22:23], v[26:27], v[24:25]
	v_cndmask_b32_e64 v17, v17, v19, s[2:3]
	v_cndmask_b32_e64 v16, v2, v18, s[2:3]
	v_mul_f64 v[18:19], v[16:17], v[16:17]
	v_rcp_f64_e32 v[24:25], v[30:31]
	v_div_fixup_f64 v[22:23], v[22:23], |v[4:5]|, 1.0
	v_fma_f64 v[26:27], -v[30:31], v[24:25], 1.0
	v_fma_f64 v[24:25], v[24:25], v[26:27], v[24:25]
	v_fma_f64 v[26:27], -v[30:31], v[24:25], 1.0
	v_fma_f64 v[24:25], v[24:25], v[26:27], v[24:25]
	v_div_scale_f64 v[26:27], vcc, 1.0, v[28:29], 1.0
	v_mul_f64 v[32:33], v[26:27], v[24:25]
	v_fma_f64 v[26:27], -v[30:31], v[32:33], v[26:27]
	s_nop 1
	v_div_fmas_f64 v[24:25], v[26:27], v[24:25], v[32:33]
	v_and_b32_e32 v27, 0x7fffffff, v9
	v_mov_b32_e32 v26, v8
	v_div_scale_f64 v[30:31], s[0:1], v[26:27], v[26:27], 1.0
	v_cmp_gt_f64_e64 s[0:1], |v[4:5]|, 1.0
	v_cndmask_b32_e64 v21, v21, v23, s[0:1]
	v_cndmask_b32_e64 v20, v4, v22, s[0:1]
	v_mul_f64 v[22:23], v[20:21], v[20:21]
	v_div_fixup_f64 v[24:25], v[24:25], |v[6:7]|, 1.0
	v_rcp_f64_e32 v[32:33], v[30:31]
	v_fma_f64 v[34:35], -v[30:31], v[32:33], 1.0
	v_fma_f64 v[32:33], v[32:33], v[34:35], v[32:33]
	v_fma_f64 v[34:35], -v[30:31], v[32:33], 1.0
	v_fma_f64 v[32:33], v[32:33], v[34:35], v[32:33]
	v_div_scale_f64 v[34:35], vcc, 1.0, v[26:27], 1.0
	v_mul_f64 v[36:37], v[34:35], v[32:33]
	v_fma_f64 v[30:31], -v[30:31], v[36:37], v[34:35]
	s_nop 1
	v_div_fmas_f64 v[30:31], v[30:31], v[32:33], v[36:37]
	v_cmp_gt_f64_e64 vcc, |v[6:7]|, 1.0
	v_cndmask_b32_e32 v25, v29, v25, vcc
	v_fma_f64 v[28:29], v[18:19], s[12:13], v[12:13]
	v_cndmask_b32_e32 v24, v6, v24, vcc
	v_div_fixup_f64 v[30:31], v[30:31], |v[8:9]|, 1.0
	v_fma_f64 v[28:29], v[18:19], v[28:29], s[14:15]
	v_cndmask_b32_e64 v27, v27, v31, s[4:5]
	v_cndmask_b32_e64 v26, v8, v30, s[4:5]
	v_fma_f64 v[30:31], v[22:23], s[12:13], v[12:13]
	v_fma_f64 v[28:29], v[18:19], v[28:29], s[16:17]
	v_fma_f64 v[30:31], v[22:23], v[30:31], s[14:15]
	v_fma_f64 v[28:29], v[18:19], v[28:29], s[18:19]
	v_fma_f64 v[30:31], v[22:23], v[30:31], s[16:17]
	v_fma_f64 v[28:29], v[18:19], v[28:29], s[20:21]
	v_fma_f64 v[30:31], v[22:23], v[30:31], s[18:19]
	v_fma_f64 v[28:29], v[18:19], v[28:29], s[22:23]
	v_fma_f64 v[30:31], v[22:23], v[30:31], s[20:21]
	v_fma_f64 v[28:29], v[18:19], v[28:29], s[24:25]
	v_fma_f64 v[30:31], v[22:23], v[30:31], s[22:23]
	v_fma_f64 v[28:29], v[18:19], v[28:29], s[26:27]
	v_fma_f64 v[30:31], v[22:23], v[30:31], s[24:25]
	v_fma_f64 v[28:29], v[18:19], v[28:29], s[28:29]
	v_fma_f64 v[30:31], v[22:23], v[30:31], s[26:27]
	v_fma_f64 v[28:29], v[18:19], v[28:29], s[30:31]
	v_fma_f64 v[30:31], v[22:23], v[30:31], s[28:29]
	v_fma_f64 v[28:29], v[18:19], v[28:29], s[34:35]
	v_fma_f64 v[30:31], v[22:23], v[30:31], s[30:31]
	v_fma_f64 v[28:29], v[18:19], v[28:29], s[36:37]
	v_fma_f64 v[30:31], v[22:23], v[30:31], s[34:35]
	v_fma_f64 v[28:29], v[18:19], v[28:29], s[38:39]
	v_fma_f64 v[30:31], v[22:23], v[30:31], s[36:37]
	v_fma_f64 v[28:29], v[18:19], v[28:29], s[40:41]
	v_fma_f64 v[30:31], v[22:23], v[30:31], s[38:39]
	v_fma_f64 v[28:29], v[18:19], v[28:29], s[42:43]
	v_fma_f64 v[30:31], v[22:23], v[30:31], s[40:41]
	v_fma_f64 v[28:29], v[18:19], v[28:29], s[44:45]
	v_fma_f64 v[30:31], v[22:23], v[30:31], s[42:43]
	v_fma_f64 v[28:29], v[18:19], v[28:29], s[46:47]
	v_fma_f64 v[30:31], v[22:23], v[30:31], s[44:45]
	v_fma_f64 v[28:29], v[18:19], v[28:29], s[48:49]
	v_fma_f64 v[30:31], v[22:23], v[30:31], s[46:47]
	v_fma_f64 v[28:29], v[18:19], v[28:29], s[50:51]
	v_fma_f64 v[30:31], v[22:23], v[30:31], s[48:49]
	v_mul_f64 v[18:19], v[18:19], v[28:29]
	v_mul_f64 v[28:29], v[24:25], v[24:25]
	v_fma_f64 v[30:31], v[22:23], v[30:31], s[50:51]
	v_fma_f64 v[16:17], v[16:17], v[18:19], v[16:17]
	v_mul_f64 v[22:23], v[22:23], v[30:31]
	v_fma_f64 v[30:31], v[28:29], s[12:13], v[12:13]
	v_fma_f64 v[20:21], v[20:21], v[22:23], v[20:21]
	;; [unrolled: 1-line block ×20, first 2 shown]
	v_mul_f64 v[28:29], v[28:29], v[30:31]
	v_mul_f64 v[30:31], v[26:27], v[26:27]
	v_fma_f64 v[22:23], v[24:25], v[28:29], v[24:25]
	v_fma_f64 v[18:19], v[30:31], s[12:13], v[12:13]
	v_fma_f64 v[24:25], s[52:53], v[14:15], -v[16:17]
	v_fma_f64 v[28:29], s[52:53], v[14:15], -v[20:21]
	v_fma_f64 v[18:19], v[30:31], v[18:19], s[14:15]
	v_cndmask_b32_e64 v4, v17, v25, s[2:3]
	v_cndmask_b32_e64 v2, v16, v24, s[2:3]
	;; [unrolled: 1-line block ×3, first 2 shown]
	v_bfi_b32 v3, s55, v4, v3
	v_cndmask_b32_e64 v4, v20, v28, s[0:1]
	v_bfi_b32 v5, s55, v6, v5
	global_store_dwordx4 v[10:11], v[2:5], off offset:-16
	v_fma_f64 v[18:19], v[30:31], v[18:19], s[16:17]
	v_fma_f64 v[18:19], v[30:31], v[18:19], s[18:19]
	;; [unrolled: 1-line block ×17, first 2 shown]
	v_mul_f64 v[18:19], v[30:31], v[18:19]
	v_fma_f64 v[18:19], v[26:27], v[18:19], v[26:27]
	v_lshlrev_b64 v[26:27], 2, v[0:1]
	v_cmp_le_i64_e64 s[6:7], s[8:9], v[26:27]
	v_fma_f64 v[26:27], s[52:53], v[14:15], -v[22:23]
	s_or_b64 s[10:11], s[6:7], s[10:11]
	v_fma_f64 v[16:17], s[52:53], v[14:15], -v[18:19]
	v_cndmask_b32_e32 v8, v23, v27, vcc
	v_bfi_b32 v7, s55, v8, v7
	v_cndmask_b32_e32 v6, v22, v26, vcc
	v_cndmask_b32_e64 v8, v18, v16, s[4:5]
	v_cndmask_b32_e64 v16, v19, v17, s[4:5]
	v_bfi_b32 v9, s55, v16, v9
	global_store_dwordx4 v[10:11], v[6:9], off
	v_add_co_u32_e32 v10, vcc, s54, v10
	v_addc_co_u32_e32 v11, vcc, 0, v11, vcc
	s_andn2_b64 exec, exec, s[10:11]
	s_cbranch_execnz .LBB71_24
.LBB71_25:
	s_endpgm
	.section	.rodata,"a",@progbits
	.p2align	6, 0x0
	.amdhsa_kernel _ZN2at6native12_GLOBAL__N_125multi_tensor_apply_kernelINS1_18TensorListMetadataILi1EEENS1_14UnaryOpFunctorIdLi1ELi1ELi0EEEJNS0_4AtanIdEEEEEvT_T0_DpT1_
		.amdhsa_group_segment_fixed_size 0
		.amdhsa_private_segment_fixed_size 0
		.amdhsa_kernarg_size 3632
		.amdhsa_user_sgpr_count 6
		.amdhsa_user_sgpr_private_segment_buffer 1
		.amdhsa_user_sgpr_dispatch_ptr 0
		.amdhsa_user_sgpr_queue_ptr 0
		.amdhsa_user_sgpr_kernarg_segment_ptr 1
		.amdhsa_user_sgpr_dispatch_id 0
		.amdhsa_user_sgpr_flat_scratch_init 0
		.amdhsa_user_sgpr_private_segment_size 0
		.amdhsa_uses_dynamic_stack 0
		.amdhsa_system_sgpr_private_segment_wavefront_offset 0
		.amdhsa_system_sgpr_workgroup_id_x 1
		.amdhsa_system_sgpr_workgroup_id_y 0
		.amdhsa_system_sgpr_workgroup_id_z 0
		.amdhsa_system_sgpr_workgroup_info 0
		.amdhsa_system_vgpr_workitem_id 0
		.amdhsa_next_free_vgpr 38
		.amdhsa_next_free_sgpr 70
		.amdhsa_reserve_vcc 1
		.amdhsa_reserve_flat_scratch 0
		.amdhsa_float_round_mode_32 0
		.amdhsa_float_round_mode_16_64 0
		.amdhsa_float_denorm_mode_32 3
		.amdhsa_float_denorm_mode_16_64 3
		.amdhsa_dx10_clamp 1
		.amdhsa_ieee_mode 1
		.amdhsa_fp16_overflow 0
		.amdhsa_exception_fp_ieee_invalid_op 0
		.amdhsa_exception_fp_denorm_src 0
		.amdhsa_exception_fp_ieee_div_zero 0
		.amdhsa_exception_fp_ieee_overflow 0
		.amdhsa_exception_fp_ieee_underflow 0
		.amdhsa_exception_fp_ieee_inexact 0
		.amdhsa_exception_int_div_zero 0
	.end_amdhsa_kernel
	.section	.text._ZN2at6native12_GLOBAL__N_125multi_tensor_apply_kernelINS1_18TensorListMetadataILi1EEENS1_14UnaryOpFunctorIdLi1ELi1ELi0EEEJNS0_4AtanIdEEEEEvT_T0_DpT1_,"axG",@progbits,_ZN2at6native12_GLOBAL__N_125multi_tensor_apply_kernelINS1_18TensorListMetadataILi1EEENS1_14UnaryOpFunctorIdLi1ELi1ELi0EEEJNS0_4AtanIdEEEEEvT_T0_DpT1_,comdat
.Lfunc_end71:
	.size	_ZN2at6native12_GLOBAL__N_125multi_tensor_apply_kernelINS1_18TensorListMetadataILi1EEENS1_14UnaryOpFunctorIdLi1ELi1ELi0EEEJNS0_4AtanIdEEEEEvT_T0_DpT1_, .Lfunc_end71-_ZN2at6native12_GLOBAL__N_125multi_tensor_apply_kernelINS1_18TensorListMetadataILi1EEENS1_14UnaryOpFunctorIdLi1ELi1ELi0EEEJNS0_4AtanIdEEEEEvT_T0_DpT1_
                                        ; -- End function
	.set _ZN2at6native12_GLOBAL__N_125multi_tensor_apply_kernelINS1_18TensorListMetadataILi1EEENS1_14UnaryOpFunctorIdLi1ELi1ELi0EEEJNS0_4AtanIdEEEEEvT_T0_DpT1_.num_vgpr, 38
	.set _ZN2at6native12_GLOBAL__N_125multi_tensor_apply_kernelINS1_18TensorListMetadataILi1EEENS1_14UnaryOpFunctorIdLi1ELi1ELi0EEEJNS0_4AtanIdEEEEEvT_T0_DpT1_.num_agpr, 0
	.set _ZN2at6native12_GLOBAL__N_125multi_tensor_apply_kernelINS1_18TensorListMetadataILi1EEENS1_14UnaryOpFunctorIdLi1ELi1ELi0EEEJNS0_4AtanIdEEEEEvT_T0_DpT1_.numbered_sgpr, 70
	.set _ZN2at6native12_GLOBAL__N_125multi_tensor_apply_kernelINS1_18TensorListMetadataILi1EEENS1_14UnaryOpFunctorIdLi1ELi1ELi0EEEJNS0_4AtanIdEEEEEvT_T0_DpT1_.num_named_barrier, 0
	.set _ZN2at6native12_GLOBAL__N_125multi_tensor_apply_kernelINS1_18TensorListMetadataILi1EEENS1_14UnaryOpFunctorIdLi1ELi1ELi0EEEJNS0_4AtanIdEEEEEvT_T0_DpT1_.private_seg_size, 0
	.set _ZN2at6native12_GLOBAL__N_125multi_tensor_apply_kernelINS1_18TensorListMetadataILi1EEENS1_14UnaryOpFunctorIdLi1ELi1ELi0EEEJNS0_4AtanIdEEEEEvT_T0_DpT1_.uses_vcc, 1
	.set _ZN2at6native12_GLOBAL__N_125multi_tensor_apply_kernelINS1_18TensorListMetadataILi1EEENS1_14UnaryOpFunctorIdLi1ELi1ELi0EEEJNS0_4AtanIdEEEEEvT_T0_DpT1_.uses_flat_scratch, 0
	.set _ZN2at6native12_GLOBAL__N_125multi_tensor_apply_kernelINS1_18TensorListMetadataILi1EEENS1_14UnaryOpFunctorIdLi1ELi1ELi0EEEJNS0_4AtanIdEEEEEvT_T0_DpT1_.has_dyn_sized_stack, 0
	.set _ZN2at6native12_GLOBAL__N_125multi_tensor_apply_kernelINS1_18TensorListMetadataILi1EEENS1_14UnaryOpFunctorIdLi1ELi1ELi0EEEJNS0_4AtanIdEEEEEvT_T0_DpT1_.has_recursion, 0
	.set _ZN2at6native12_GLOBAL__N_125multi_tensor_apply_kernelINS1_18TensorListMetadataILi1EEENS1_14UnaryOpFunctorIdLi1ELi1ELi0EEEJNS0_4AtanIdEEEEEvT_T0_DpT1_.has_indirect_call, 0
	.section	.AMDGPU.csdata,"",@progbits
; Kernel info:
; codeLenInByte = 4288
; TotalNumSgprs: 74
; NumVgprs: 38
; ScratchSize: 0
; MemoryBound: 0
; FloatMode: 240
; IeeeMode: 1
; LDSByteSize: 0 bytes/workgroup (compile time only)
; SGPRBlocks: 9
; VGPRBlocks: 9
; NumSGPRsForWavesPerEU: 74
; NumVGPRsForWavesPerEU: 38
; Occupancy: 6
; WaveLimiterHint : 0
; COMPUTE_PGM_RSRC2:SCRATCH_EN: 0
; COMPUTE_PGM_RSRC2:USER_SGPR: 6
; COMPUTE_PGM_RSRC2:TRAP_HANDLER: 0
; COMPUTE_PGM_RSRC2:TGID_X_EN: 1
; COMPUTE_PGM_RSRC2:TGID_Y_EN: 0
; COMPUTE_PGM_RSRC2:TGID_Z_EN: 0
; COMPUTE_PGM_RSRC2:TIDIG_COMP_CNT: 0
	.section	.text._ZN2at6native12_GLOBAL__N_125multi_tensor_apply_kernelINS1_18TensorListMetadataILi1EEENS1_14UnaryOpFunctorIfLi1ELi1ELi0EEEJNS0_4AtanIfEEEEEvT_T0_DpT1_,"axG",@progbits,_ZN2at6native12_GLOBAL__N_125multi_tensor_apply_kernelINS1_18TensorListMetadataILi1EEENS1_14UnaryOpFunctorIfLi1ELi1ELi0EEEJNS0_4AtanIfEEEEEvT_T0_DpT1_,comdat
	.globl	_ZN2at6native12_GLOBAL__N_125multi_tensor_apply_kernelINS1_18TensorListMetadataILi1EEENS1_14UnaryOpFunctorIfLi1ELi1ELi0EEEJNS0_4AtanIfEEEEEvT_T0_DpT1_ ; -- Begin function _ZN2at6native12_GLOBAL__N_125multi_tensor_apply_kernelINS1_18TensorListMetadataILi1EEENS1_14UnaryOpFunctorIfLi1ELi1ELi0EEEJNS0_4AtanIfEEEEEvT_T0_DpT1_
	.p2align	8
	.type	_ZN2at6native12_GLOBAL__N_125multi_tensor_apply_kernelINS1_18TensorListMetadataILi1EEENS1_14UnaryOpFunctorIfLi1ELi1ELi0EEEJNS0_4AtanIfEEEEEvT_T0_DpT1_,@function
_ZN2at6native12_GLOBAL__N_125multi_tensor_apply_kernelINS1_18TensorListMetadataILi1EEENS1_14UnaryOpFunctorIfLi1ELi1ELi0EEEJNS0_4AtanIfEEEEEvT_T0_DpT1_: ; @_ZN2at6native12_GLOBAL__N_125multi_tensor_apply_kernelINS1_18TensorListMetadataILi1EEENS1_14UnaryOpFunctorIfLi1ELi1ELi0EEEJNS0_4AtanIfEEEEEvT_T0_DpT1_
; %bb.0:
	v_mov_b32_e32 v1, s6
	global_load_ubyte v1, v1, s[4:5] offset:1760
	s_add_u32 s0, s4, s6
	s_mul_hi_u32 s1, s6, 3
	s_mul_i32 s6, s6, 3
	s_addc_u32 s2, s5, 0
	s_add_u32 s0, s0, s6
	s_addc_u32 s1, s2, s1
	s_load_dword s0, s[0:1], 0x820
	s_mov_b32 s7, 0
	s_waitcnt vmcnt(0)
	v_readfirstlane_b32 s1, v1
	s_lshl_b32 s1, s1, 3
	s_load_dwordx2 s[2:3], s[4:5], s1 offset:0x370
	s_load_dwordx2 s[10:11], s[4:5], s1 offset:0x0
	s_waitcnt lgkmcnt(0)
	s_ashr_i32 s1, s0, 31
	s_lshl_b64 s[12:13], s[0:1], 18
	s_lshl_b64 s[0:1], s[0:1], 16
	s_and_b32 s6, s10, 15
	s_sub_u32 s14, s2, s0
	s_subb_u32 s15, s3, s1
	s_and_b32 s0, s2, 3
	s_mov_b32 s1, s7
	s_or_b64 s[0:1], s[6:7], s[0:1]
	s_cmp_eq_u64 s[0:1], 0
	s_cbranch_scc1 .LBB72_21
; %bb.1:
	v_cmp_lt_i64_e64 s[0:1], s[14:15], 1
	s_and_b64 vcc, exec, s[0:1]
	s_cbranch_vccnz .LBB72_20
; %bb.2:
	v_mov_b32_e32 v1, 0x10000
	s_load_dword s2, s[4:5], 0xd3c
	v_mov_b32_e32 v2, 0
	v_cmp_lt_i64_e32 vcc, s[14:15], v[1:2]
	s_mov_b64 s[20:21], 0
	s_and_b64 s[0:1], vcc, exec
	v_cmp_lt_u64_e32 vcc, s[14:15], v[1:2]
	s_cselect_b32 s17, s15, 0
	s_cselect_b32 s16, s14, 0x10000
	s_waitcnt lgkmcnt(0)
	s_and_b32 s2, s2, 0xffff
	s_and_b64 s[0:1], vcc, exec
	s_cselect_b32 s19, s15, 0
	s_cselect_b32 s18, s14, 0x10000
	s_lshl_b32 s3, s2, 1
	s_lshl_b32 s24, s2, 2
	s_add_u32 s6, s10, s12
	v_lshlrev_b32_e32 v1, 2, v0
	s_addc_u32 s7, s11, s13
	v_mov_b32_e32 v2, s7
	v_add_co_u32_e32 v1, vcc, s6, v1
	s_mul_i32 s0, s2, 3
	v_addc_co_u32_e32 v2, vcc, 0, v2, vcc
	v_add_co_u32_e32 v5, vcc, s0, v0
	v_addc_co_u32_e64 v6, s[0:1], 0, 0, vcc
	v_add_co_u32_e32 v7, vcc, s3, v0
	v_addc_co_u32_e64 v8, s[0:1], 0, 0, vcc
	v_add_co_u32_e32 v9, vcc, s2, v0
	v_lshlrev_b32_e32 v3, 2, v9
	v_addc_co_u32_e64 v10, s[0:1], 0, 0, vcc
	v_mov_b32_e32 v4, s7
	v_add_co_u32_e32 v3, vcc, s6, v3
	s_lshl_b32 s25, s2, 4
	s_mul_i32 s26, s2, 12
	s_lshl_b32 s27, s2, 3
	v_addc_co_u32_e32 v4, vcc, 0, v4, vcc
	v_mov_b32_e32 v11, 0x3d29fb3f
	v_mov_b32_e32 v12, 0xbd97d4d7
	;; [unrolled: 1-line block ×6, first 2 shown]
	s_brev_b32 s28, -2
	s_branch .LBB72_4
.LBB72_3:                               ;   in Loop: Header=BB72_4 Depth=1
	s_or_b64 exec, exec, s[0:1]
	s_add_u32 s20, s20, s24
	v_add_co_u32_e32 v1, vcc, s25, v1
	s_waitcnt vmcnt(0)
	v_mov_b32_e32 v18, s17
	s_addc_u32 s21, s21, 0
	v_addc_co_u32_e32 v2, vcc, 0, v2, vcc
	v_mov_b32_e32 v17, s16
	v_cmp_lt_i64_e32 vcc, s[20:21], v[17:18]
	v_add_co_u32_e64 v3, s[0:1], s25, v3
	v_addc_co_u32_e64 v4, s[0:1], 0, v4, s[0:1]
	s_cbranch_vccz .LBB72_20
.LBB72_4:                               ; =>This Inner Loop Header: Depth=1
	v_mov_b32_e32 v18, s21
	v_add_co_u32_e32 v17, vcc, s20, v0
	v_addc_co_u32_e32 v18, vcc, 0, v18, vcc
	v_cmp_gt_u64_e64 s[6:7], s[18:19], v[17:18]
	v_mov_b32_e32 v20, 0
	s_and_saveexec_b64 s[0:1], s[6:7]
	s_cbranch_execz .LBB72_6
; %bb.5:                                ;   in Loop: Header=BB72_4 Depth=1
	global_load_dword v20, v[1:2], off
.LBB72_6:                               ;   in Loop: Header=BB72_4 Depth=1
	s_or_b64 exec, exec, s[0:1]
	v_mov_b32_e32 v18, s21
	v_add_co_u32_e32 v17, vcc, s20, v9
	v_addc_co_u32_e32 v18, vcc, v10, v18, vcc
	v_cmp_gt_u64_e64 s[2:3], s[18:19], v[17:18]
	v_mov_b32_e32 v17, 0
	v_mov_b32_e32 v19, 0
	s_and_saveexec_b64 s[0:1], s[2:3]
	s_cbranch_execz .LBB72_8
; %bb.7:                                ;   in Loop: Header=BB72_4 Depth=1
	global_load_dword v19, v[3:4], off
.LBB72_8:                               ;   in Loop: Header=BB72_4 Depth=1
	s_or_b64 exec, exec, s[0:1]
	v_mov_b32_e32 v18, s21
	v_add_co_u32_e32 v21, vcc, s20, v7
	v_addc_co_u32_e32 v22, vcc, v8, v18, vcc
	v_cmp_gt_u64_e64 s[0:1], s[18:19], v[21:22]
	s_and_saveexec_b64 s[8:9], s[0:1]
	s_cbranch_execz .LBB72_10
; %bb.9:                                ;   in Loop: Header=BB72_4 Depth=1
	v_add_co_u32_e32 v17, vcc, s27, v1
	v_addc_co_u32_e32 v18, vcc, 0, v2, vcc
	global_load_dword v17, v[17:18], off
.LBB72_10:                              ;   in Loop: Header=BB72_4 Depth=1
	s_or_b64 exec, exec, s[8:9]
	v_mov_b32_e32 v18, s21
	v_add_co_u32_e32 v21, vcc, s20, v5
	v_addc_co_u32_e32 v22, vcc, v6, v18, vcc
	v_cmp_gt_u64_e32 vcc, s[18:19], v[21:22]
	v_mov_b32_e32 v18, 0
	s_and_saveexec_b64 s[22:23], vcc
	s_cbranch_execnz .LBB72_15
; %bb.11:                               ;   in Loop: Header=BB72_4 Depth=1
	s_or_b64 exec, exec, s[22:23]
	s_and_saveexec_b64 s[8:9], s[6:7]
	s_cbranch_execnz .LBB72_16
.LBB72_12:                              ;   in Loop: Header=BB72_4 Depth=1
	s_or_b64 exec, exec, s[8:9]
	s_and_saveexec_b64 s[6:7], s[2:3]
	s_cbranch_execnz .LBB72_17
.LBB72_13:                              ;   in Loop: Header=BB72_4 Depth=1
	s_or_b64 exec, exec, s[6:7]
	s_and_saveexec_b64 s[2:3], s[0:1]
	s_cbranch_execnz .LBB72_18
.LBB72_14:                              ;   in Loop: Header=BB72_4 Depth=1
	s_or_b64 exec, exec, s[2:3]
	s_and_saveexec_b64 s[0:1], vcc
	s_cbranch_execz .LBB72_3
	s_branch .LBB72_19
.LBB72_15:                              ;   in Loop: Header=BB72_4 Depth=1
	v_add_co_u32_e64 v21, s[8:9], s26, v1
	v_addc_co_u32_e64 v22, s[8:9], 0, v2, s[8:9]
	global_load_dword v18, v[21:22], off
	s_or_b64 exec, exec, s[22:23]
	s_and_saveexec_b64 s[8:9], s[6:7]
	s_cbranch_execz .LBB72_12
.LBB72_16:                              ;   in Loop: Header=BB72_4 Depth=1
	s_waitcnt vmcnt(0)
	v_rcp_f32_e64 v21, |v20|
	v_cmp_gt_f32_e64 s[6:7], |v20|, 1.0
	v_mov_b32_e32 v23, 0xbc7a590c
	v_cndmask_b32_e64 v21, |v20|, v21, s[6:7]
	v_mul_f32_e32 v22, v21, v21
	v_fmac_f32_e32 v23, 0x3b2d2a58, v22
	v_fma_f32 v23, v22, v23, v11
	v_fma_f32 v23, v22, v23, v12
	;; [unrolled: 1-line block ×6, first 2 shown]
	v_mul_f32_e32 v22, v22, v23
	v_fmac_f32_e32 v21, v21, v22
	v_sub_f32_e32 v22, 0x3fc90fdb, v21
	v_cndmask_b32_e64 v21, v21, v22, s[6:7]
	v_bfi_b32 v20, s28, v21, v20
	global_store_dword v[1:2], v20, off
	s_or_b64 exec, exec, s[8:9]
	s_and_saveexec_b64 s[6:7], s[2:3]
	s_cbranch_execz .LBB72_13
.LBB72_17:                              ;   in Loop: Header=BB72_4 Depth=1
	s_waitcnt vmcnt(0)
	v_rcp_f32_e64 v20, |v19|
	v_cmp_gt_f32_e64 s[2:3], |v19|, 1.0
	v_mov_b32_e32 v22, 0xbc7a590c
	v_cndmask_b32_e64 v20, |v19|, v20, s[2:3]
	v_mul_f32_e32 v21, v20, v20
	v_fmac_f32_e32 v22, 0x3b2d2a58, v21
	v_fma_f32 v22, v21, v22, v11
	v_fma_f32 v22, v21, v22, v12
	;; [unrolled: 1-line block ×6, first 2 shown]
	v_mul_f32_e32 v21, v21, v22
	v_fmac_f32_e32 v20, v20, v21
	v_sub_f32_e32 v21, 0x3fc90fdb, v20
	v_cndmask_b32_e64 v20, v20, v21, s[2:3]
	v_bfi_b32 v19, s28, v20, v19
	global_store_dword v[3:4], v19, off
	s_or_b64 exec, exec, s[6:7]
	s_and_saveexec_b64 s[2:3], s[0:1]
	s_cbranch_execz .LBB72_14
.LBB72_18:                              ;   in Loop: Header=BB72_4 Depth=1
	s_waitcnt vmcnt(0)
	v_rcp_f32_e64 v19, |v17|
	v_cmp_gt_f32_e64 s[0:1], |v17|, 1.0
	v_mov_b32_e32 v20, 0xbc7a590c
	v_cndmask_b32_e64 v19, |v17|, v19, s[0:1]
	v_mul_f32_e32 v21, v19, v19
	v_fmac_f32_e32 v20, 0x3b2d2a58, v21
	v_fma_f32 v20, v21, v20, v11
	v_fma_f32 v20, v21, v20, v12
	;; [unrolled: 1-line block ×6, first 2 shown]
	v_mul_f32_e32 v20, v21, v20
	v_fmac_f32_e32 v19, v19, v20
	v_sub_f32_e32 v20, 0x3fc90fdb, v19
	v_cndmask_b32_e64 v19, v19, v20, s[0:1]
	v_bfi_b32 v17, s28, v19, v17
	v_add_co_u32_e64 v19, s[0:1], s27, v1
	v_addc_co_u32_e64 v20, s[0:1], 0, v2, s[0:1]
	global_store_dword v[19:20], v17, off
	s_or_b64 exec, exec, s[2:3]
	s_and_saveexec_b64 s[0:1], vcc
	s_cbranch_execz .LBB72_3
.LBB72_19:                              ;   in Loop: Header=BB72_4 Depth=1
	s_waitcnt vmcnt(0)
	v_rcp_f32_e64 v17, |v18|
	v_cmp_gt_f32_e64 vcc, |v18|, 1.0
	v_mov_b32_e32 v19, 0xbc7a590c
	v_cndmask_b32_e64 v17, |v18|, v17, vcc
	v_mul_f32_e32 v20, v17, v17
	v_fmac_f32_e32 v19, 0x3b2d2a58, v20
	v_fma_f32 v19, v20, v19, v11
	v_fma_f32 v19, v20, v19, v12
	;; [unrolled: 1-line block ×6, first 2 shown]
	v_mul_f32_e32 v19, v20, v19
	v_fmac_f32_e32 v17, v17, v19
	v_sub_f32_e32 v19, 0x3fc90fdb, v17
	v_cndmask_b32_e32 v17, v17, v19, vcc
	v_bfi_b32 v19, s28, v17, v18
	v_add_co_u32_e32 v17, vcc, s26, v1
	v_addc_co_u32_e32 v18, vcc, 0, v2, vcc
	global_store_dword v[17:18], v19, off
	s_branch .LBB72_3
.LBB72_20:
	s_cbranch_execz .LBB72_22
	s_branch .LBB72_25
.LBB72_21:
.LBB72_22:
	v_mov_b32_e32 v1, 0x10000
	v_mov_b32_e32 v2, 0
	v_cmp_lt_i64_e32 vcc, s[14:15], v[1:2]
	v_mov_b32_e32 v2, 0
	s_and_b64 s[0:1], vcc, exec
	s_cselect_b32 s7, s15, 0
	s_cselect_b32 s6, s14, 0x10000
	v_lshlrev_b32_e32 v1, 2, v0
	v_cmp_gt_i64_e32 vcc, s[6:7], v[1:2]
	s_and_saveexec_b64 s[0:1], vcc
	s_cbranch_execz .LBB72_25
; %bb.23:
	s_load_dword s0, s[4:5], 0xd3c
	v_mov_b32_e32 v1, v2
	v_lshlrev_b32_e32 v2, 4, v0
	s_mov_b64 s[8:9], 0
	v_mov_b32_e32 v4, 0x3d29fb3f
	s_waitcnt lgkmcnt(0)
	s_and_b32 s14, s0, 0xffff
	s_add_u32 s0, s10, s12
	s_addc_u32 s1, s11, s13
	v_mov_b32_e32 v3, s1
	v_add_co_u32_e32 v2, vcc, s0, v2
	v_addc_co_u32_e32 v3, vcc, 0, v3, vcc
	v_add_co_u32_e32 v2, vcc, 8, v2
	v_addc_co_u32_e32 v3, vcc, 0, v3, vcc
	s_lshl_b32 s10, s14, 4
	v_mov_b32_e32 v5, 0xbd97d4d7
	v_mov_b32_e32 v6, 0x3dd931b2
	;; [unrolled: 1-line block ×5, first 2 shown]
	s_brev_b32 s11, -2
.LBB72_24:                              ; =>This Inner Loop Header: Depth=1
	global_load_dwordx4 v[10:13], v[2:3], off offset:-8
	v_add_co_u32_e32 v0, vcc, s14, v0
	v_addc_co_u32_e32 v1, vcc, 0, v1, vcc
	v_lshlrev_b64 v[14:15], 2, v[0:1]
	v_mov_b32_e32 v16, 0xbc7a590c
	v_cmp_le_i64_e32 vcc, s[6:7], v[14:15]
	v_mov_b32_e32 v17, 0xbc7a590c
	s_or_b64 s[8:9], vcc, s[8:9]
	v_mov_b32_e32 v18, 0xbc7a590c
	v_mov_b32_e32 v14, 0xbc7a590c
	s_waitcnt vmcnt(0)
	v_rcp_f32_e64 v15, |v10|
	v_rcp_f32_e64 v19, |v11|
	v_cmp_gt_f32_e64 vcc, |v10|, 1.0
	v_cmp_gt_f32_e64 s[0:1], |v11|, 1.0
	v_cndmask_b32_e64 v15, |v10|, v15, vcc
	v_cndmask_b32_e64 v19, |v11|, v19, s[0:1]
	v_mul_f32_e32 v22, v15, v15
	v_mul_f32_e32 v23, v19, v19
	v_fmac_f32_e32 v16, 0x3b2d2a58, v22
	v_fmac_f32_e32 v17, 0x3b2d2a58, v23
	v_fma_f32 v16, v22, v16, v4
	v_fma_f32 v17, v23, v17, v4
	v_rcp_f32_e64 v20, |v12|
	v_rcp_f32_e64 v21, |v13|
	v_fma_f32 v16, v22, v16, v5
	v_fma_f32 v17, v23, v17, v5
	;; [unrolled: 1-line block ×6, first 2 shown]
	v_cmp_gt_f32_e64 s[2:3], |v12|, 1.0
	v_cmp_gt_f32_e64 s[4:5], |v13|, 1.0
	v_fma_f32 v16, v22, v16, v8
	v_fma_f32 v17, v23, v17, v8
	v_cndmask_b32_e64 v20, |v12|, v20, s[2:3]
	v_cndmask_b32_e64 v21, |v13|, v21, s[4:5]
	v_fma_f32 v16, v22, v16, v9
	v_fma_f32 v17, v23, v17, v9
	v_mul_f32_e32 v16, v22, v16
	v_mul_f32_e32 v22, v20, v20
	;; [unrolled: 1-line block ×4, first 2 shown]
	v_fmac_f32_e32 v18, 0x3b2d2a58, v22
	v_fmac_f32_e32 v14, 0x3b2d2a58, v23
	v_fma_f32 v18, v22, v18, v4
	v_fma_f32 v14, v23, v14, v4
	;; [unrolled: 1-line block ×12, first 2 shown]
	v_mul_f32_e32 v18, v22, v18
	v_mul_f32_e32 v14, v23, v14
	v_fmac_f32_e32 v15, v15, v16
	v_fmac_f32_e32 v19, v19, v17
	;; [unrolled: 1-line block ×4, first 2 shown]
	v_sub_f32_e32 v14, 0x3fc90fdb, v15
	v_sub_f32_e32 v16, 0x3fc90fdb, v19
	;; [unrolled: 1-line block ×4, first 2 shown]
	v_cndmask_b32_e32 v14, v15, v14, vcc
	v_cndmask_b32_e64 v15, v19, v16, s[0:1]
	v_cndmask_b32_e64 v16, v20, v17, s[2:3]
	;; [unrolled: 1-line block ×3, first 2 shown]
	v_bfi_b32 v10, s11, v14, v10
	v_bfi_b32 v11, s11, v15, v11
	;; [unrolled: 1-line block ×4, first 2 shown]
	global_store_dwordx4 v[2:3], v[10:13], off offset:-8
	v_add_co_u32_e32 v2, vcc, s10, v2
	v_addc_co_u32_e32 v3, vcc, 0, v3, vcc
	s_andn2_b64 exec, exec, s[8:9]
	s_cbranch_execnz .LBB72_24
.LBB72_25:
	s_endpgm
	.section	.rodata,"a",@progbits
	.p2align	6, 0x0
	.amdhsa_kernel _ZN2at6native12_GLOBAL__N_125multi_tensor_apply_kernelINS1_18TensorListMetadataILi1EEENS1_14UnaryOpFunctorIfLi1ELi1ELi0EEEJNS0_4AtanIfEEEEEvT_T0_DpT1_
		.amdhsa_group_segment_fixed_size 0
		.amdhsa_private_segment_fixed_size 0
		.amdhsa_kernarg_size 3632
		.amdhsa_user_sgpr_count 6
		.amdhsa_user_sgpr_private_segment_buffer 1
		.amdhsa_user_sgpr_dispatch_ptr 0
		.amdhsa_user_sgpr_queue_ptr 0
		.amdhsa_user_sgpr_kernarg_segment_ptr 1
		.amdhsa_user_sgpr_dispatch_id 0
		.amdhsa_user_sgpr_flat_scratch_init 0
		.amdhsa_user_sgpr_private_segment_size 0
		.amdhsa_uses_dynamic_stack 0
		.amdhsa_system_sgpr_private_segment_wavefront_offset 0
		.amdhsa_system_sgpr_workgroup_id_x 1
		.amdhsa_system_sgpr_workgroup_id_y 0
		.amdhsa_system_sgpr_workgroup_id_z 0
		.amdhsa_system_sgpr_workgroup_info 0
		.amdhsa_system_vgpr_workitem_id 0
		.amdhsa_next_free_vgpr 24
		.amdhsa_next_free_sgpr 29
		.amdhsa_reserve_vcc 1
		.amdhsa_reserve_flat_scratch 0
		.amdhsa_float_round_mode_32 0
		.amdhsa_float_round_mode_16_64 0
		.amdhsa_float_denorm_mode_32 3
		.amdhsa_float_denorm_mode_16_64 3
		.amdhsa_dx10_clamp 1
		.amdhsa_ieee_mode 1
		.amdhsa_fp16_overflow 0
		.amdhsa_exception_fp_ieee_invalid_op 0
		.amdhsa_exception_fp_denorm_src 0
		.amdhsa_exception_fp_ieee_div_zero 0
		.amdhsa_exception_fp_ieee_overflow 0
		.amdhsa_exception_fp_ieee_underflow 0
		.amdhsa_exception_fp_ieee_inexact 0
		.amdhsa_exception_int_div_zero 0
	.end_amdhsa_kernel
	.section	.text._ZN2at6native12_GLOBAL__N_125multi_tensor_apply_kernelINS1_18TensorListMetadataILi1EEENS1_14UnaryOpFunctorIfLi1ELi1ELi0EEEJNS0_4AtanIfEEEEEvT_T0_DpT1_,"axG",@progbits,_ZN2at6native12_GLOBAL__N_125multi_tensor_apply_kernelINS1_18TensorListMetadataILi1EEENS1_14UnaryOpFunctorIfLi1ELi1ELi0EEEJNS0_4AtanIfEEEEEvT_T0_DpT1_,comdat
.Lfunc_end72:
	.size	_ZN2at6native12_GLOBAL__N_125multi_tensor_apply_kernelINS1_18TensorListMetadataILi1EEENS1_14UnaryOpFunctorIfLi1ELi1ELi0EEEJNS0_4AtanIfEEEEEvT_T0_DpT1_, .Lfunc_end72-_ZN2at6native12_GLOBAL__N_125multi_tensor_apply_kernelINS1_18TensorListMetadataILi1EEENS1_14UnaryOpFunctorIfLi1ELi1ELi0EEEJNS0_4AtanIfEEEEEvT_T0_DpT1_
                                        ; -- End function
	.set _ZN2at6native12_GLOBAL__N_125multi_tensor_apply_kernelINS1_18TensorListMetadataILi1EEENS1_14UnaryOpFunctorIfLi1ELi1ELi0EEEJNS0_4AtanIfEEEEEvT_T0_DpT1_.num_vgpr, 24
	.set _ZN2at6native12_GLOBAL__N_125multi_tensor_apply_kernelINS1_18TensorListMetadataILi1EEENS1_14UnaryOpFunctorIfLi1ELi1ELi0EEEJNS0_4AtanIfEEEEEvT_T0_DpT1_.num_agpr, 0
	.set _ZN2at6native12_GLOBAL__N_125multi_tensor_apply_kernelINS1_18TensorListMetadataILi1EEENS1_14UnaryOpFunctorIfLi1ELi1ELi0EEEJNS0_4AtanIfEEEEEvT_T0_DpT1_.numbered_sgpr, 29
	.set _ZN2at6native12_GLOBAL__N_125multi_tensor_apply_kernelINS1_18TensorListMetadataILi1EEENS1_14UnaryOpFunctorIfLi1ELi1ELi0EEEJNS0_4AtanIfEEEEEvT_T0_DpT1_.num_named_barrier, 0
	.set _ZN2at6native12_GLOBAL__N_125multi_tensor_apply_kernelINS1_18TensorListMetadataILi1EEENS1_14UnaryOpFunctorIfLi1ELi1ELi0EEEJNS0_4AtanIfEEEEEvT_T0_DpT1_.private_seg_size, 0
	.set _ZN2at6native12_GLOBAL__N_125multi_tensor_apply_kernelINS1_18TensorListMetadataILi1EEENS1_14UnaryOpFunctorIfLi1ELi1ELi0EEEJNS0_4AtanIfEEEEEvT_T0_DpT1_.uses_vcc, 1
	.set _ZN2at6native12_GLOBAL__N_125multi_tensor_apply_kernelINS1_18TensorListMetadataILi1EEENS1_14UnaryOpFunctorIfLi1ELi1ELi0EEEJNS0_4AtanIfEEEEEvT_T0_DpT1_.uses_flat_scratch, 0
	.set _ZN2at6native12_GLOBAL__N_125multi_tensor_apply_kernelINS1_18TensorListMetadataILi1EEENS1_14UnaryOpFunctorIfLi1ELi1ELi0EEEJNS0_4AtanIfEEEEEvT_T0_DpT1_.has_dyn_sized_stack, 0
	.set _ZN2at6native12_GLOBAL__N_125multi_tensor_apply_kernelINS1_18TensorListMetadataILi1EEENS1_14UnaryOpFunctorIfLi1ELi1ELi0EEEJNS0_4AtanIfEEEEEvT_T0_DpT1_.has_recursion, 0
	.set _ZN2at6native12_GLOBAL__N_125multi_tensor_apply_kernelINS1_18TensorListMetadataILi1EEENS1_14UnaryOpFunctorIfLi1ELi1ELi0EEEJNS0_4AtanIfEEEEEvT_T0_DpT1_.has_indirect_call, 0
	.section	.AMDGPU.csdata,"",@progbits
; Kernel info:
; codeLenInByte = 2020
; TotalNumSgprs: 33
; NumVgprs: 24
; ScratchSize: 0
; MemoryBound: 0
; FloatMode: 240
; IeeeMode: 1
; LDSByteSize: 0 bytes/workgroup (compile time only)
; SGPRBlocks: 4
; VGPRBlocks: 5
; NumSGPRsForWavesPerEU: 33
; NumVGPRsForWavesPerEU: 24
; Occupancy: 10
; WaveLimiterHint : 0
; COMPUTE_PGM_RSRC2:SCRATCH_EN: 0
; COMPUTE_PGM_RSRC2:USER_SGPR: 6
; COMPUTE_PGM_RSRC2:TRAP_HANDLER: 0
; COMPUTE_PGM_RSRC2:TGID_X_EN: 1
; COMPUTE_PGM_RSRC2:TGID_Y_EN: 0
; COMPUTE_PGM_RSRC2:TGID_Z_EN: 0
; COMPUTE_PGM_RSRC2:TIDIG_COMP_CNT: 0
	.section	.text._ZN2at6native12_GLOBAL__N_125multi_tensor_apply_kernelINS1_18TensorListMetadataILi1EEENS1_14UnaryOpFunctorIN3c107complexIdEELi1ELi1ELi0EEEJNS0_4AtanIS8_EEEEEvT_T0_DpT1_,"axG",@progbits,_ZN2at6native12_GLOBAL__N_125multi_tensor_apply_kernelINS1_18TensorListMetadataILi1EEENS1_14UnaryOpFunctorIN3c107complexIdEELi1ELi1ELi0EEEJNS0_4AtanIS8_EEEEEvT_T0_DpT1_,comdat
	.globl	_ZN2at6native12_GLOBAL__N_125multi_tensor_apply_kernelINS1_18TensorListMetadataILi1EEENS1_14UnaryOpFunctorIN3c107complexIdEELi1ELi1ELi0EEEJNS0_4AtanIS8_EEEEEvT_T0_DpT1_ ; -- Begin function _ZN2at6native12_GLOBAL__N_125multi_tensor_apply_kernelINS1_18TensorListMetadataILi1EEENS1_14UnaryOpFunctorIN3c107complexIdEELi1ELi1ELi0EEEJNS0_4AtanIS8_EEEEEvT_T0_DpT1_
	.p2align	8
	.type	_ZN2at6native12_GLOBAL__N_125multi_tensor_apply_kernelINS1_18TensorListMetadataILi1EEENS1_14UnaryOpFunctorIN3c107complexIdEELi1ELi1ELi0EEEJNS0_4AtanIS8_EEEEEvT_T0_DpT1_,@function
_ZN2at6native12_GLOBAL__N_125multi_tensor_apply_kernelINS1_18TensorListMetadataILi1EEENS1_14UnaryOpFunctorIN3c107complexIdEELi1ELi1ELi0EEEJNS0_4AtanIS8_EEEEEvT_T0_DpT1_: ; @_ZN2at6native12_GLOBAL__N_125multi_tensor_apply_kernelINS1_18TensorListMetadataILi1EEENS1_14UnaryOpFunctorIN3c107complexIdEELi1ELi1ELi0EEEJNS0_4AtanIS8_EEEEEvT_T0_DpT1_
; %bb.0:
	v_mov_b32_e32 v1, s6
	global_load_ubyte v1, v1, s[4:5] offset:1760
	s_add_u32 s0, s4, s6
	s_mul_hi_u32 s1, s6, 3
	s_mul_i32 s6, s6, 3
	s_addc_u32 s2, s5, 0
	s_add_u32 s0, s0, s6
	s_addc_u32 s1, s2, s1
	s_load_dword s0, s[0:1], 0x820
                                        ; implicit-def: $vgpr81 : SGPR spill to VGPR lane
	s_mov_b32 s7, 0
	s_waitcnt vmcnt(0)
	v_readfirstlane_b32 s1, v1
	s_lshl_b32 s1, s1, 3
	s_load_dwordx2 s[8:9], s[4:5], s1 offset:0x0
	v_writelane_b32 v81, s4, 0
	s_load_dwordx2 s[2:3], s[4:5], s1 offset:0x370
                                        ; kill: killed $sgpr1
	s_waitcnt lgkmcnt(0)
	s_ashr_i32 s1, s0, 31
	v_writelane_b32 v81, s5, 1
	s_lshl_b64 s[4:5], s[0:1], 20
	s_add_u32 s33, s8, s4
	v_writelane_b32 v81, s8, 2
	v_writelane_b32 v81, s9, 3
	;; [unrolled: 1-line block ×3, first 2 shown]
	s_addc_u32 s94, s9, s5
	s_lshl_b64 s[0:1], s[0:1], 16
	s_and_b32 s6, s33, 63
	v_writelane_b32 v81, s5, 5
	s_sub_u32 s4, s2, s0
	s_subb_u32 s5, s3, s1
	s_and_b32 s0, s2, 3
	s_mov_b32 s1, s7
	s_or_b64 s[0:1], s[6:7], s[0:1]
	s_cmp_eq_u64 s[0:1], 0
	s_cbranch_scc1 .LBB73_21
; %bb.1:
	v_writelane_b32 v81, s4, 6
	v_cmp_lt_i64_e64 s[0:1], s[4:5], 1
	v_writelane_b32 v81, s5, 7
	s_and_b64 vcc, exec, s[0:1]
	s_cbranch_vccnz .LBB73_20
; %bb.2:
	v_readlane_b32 s0, v81, 0
	v_readlane_b32 s1, v81, 1
	v_mov_b32_e32 v1, 0x10000
	v_readlane_b32 s4, v81, 6
	s_load_dword s2, s[0:1], 0xd3c
	v_mov_b32_e32 v2, 0
	v_readlane_b32 s5, v81, 7
	v_cmp_lt_i64_e32 vcc, s[4:5], v[1:2]
	v_mov_b32_e32 v18, 0
	s_and_b64 s[0:1], vcc, exec
	v_cmp_lt_u64_e32 vcc, s[4:5], v[1:2]
	s_cselect_b32 s21, s5, 0
	s_cselect_b32 s20, s4, 0x10000
	s_waitcnt lgkmcnt(0)
	s_and_b32 s2, s2, 0xffff
	s_and_b64 s[0:1], vcc, exec
	s_cselect_b32 s22, s4, 0x10000
	s_mul_i32 s4, s2, 3
	v_add_co_u32_e32 v30, vcc, s2, v0
	v_lshlrev_b32_e32 v17, 4, v0
	v_addc_co_u32_e64 v31, s[0:1], 0, 0, vcc
	v_add_co_u32_e32 v32, vcc, s4, v0
	v_mad_u64_u32 v[18:19], s[0:1], s2, 48, v[17:18]
	v_addc_co_u32_e64 v33, s[0:1], 0, 0, vcc
	s_cselect_b32 s23, s5, 0
	s_lshl_b32 s0, s2, 5
	s_lshl_b32 s3, s2, 1
	v_add_co_u32_e32 v1, vcc, s0, v17
	v_addc_co_u32_e64 v35, s[0:1], 0, 0, vcc
	v_add_co_u32_e32 v37, vcc, s3, v0
	s_mov_b32 s24, 0x54442d18
	s_mov_b32 s26, 0xb5e68a13
	;; [unrolled: 1-line block ×30, first 2 shown]
	s_lshl_b32 s95, s2, 2
	s_lshl_b32 s14, s2, 6
	v_or_b32_e32 v18, 8, v18
	v_lshlrev_b32_e32 v34, 4, v30
	v_or_b32_e32 v36, 8, v1
	v_addc_co_u32_e64 v38, s[0:1], 0, 0, vcc
	s_mov_b32 s25, 0x3ff921fb
	s_mov_b32 s27, 0x3eeba404
	;; [unrolled: 1-line block ×29, first 2 shown]
	v_mov_b32_e32 v39, 0x54442d18
	v_mov_b32_e32 v40, 0x7f3321d2
	;; [unrolled: 1-line block ×8, first 2 shown]
	s_movk_i32 s15, 0x204
	s_brev_b32 s16, -2
	s_mov_b64 s[84:85], 0
	s_mov_b32 s87, 0x400921fb
	s_brev_b32 s89, 1
	s_mov_b32 s90, 0x55555780
	s_branch .LBB73_4
.LBB73_3:                               ;   in Loop: Header=BB73_4 Depth=1
	s_or_b64 exec, exec, s[8:9]
	s_add_u32 s84, s84, s95
	s_waitcnt vmcnt(0)
	v_mov_b32_e32 v1, s20
	s_addc_u32 s85, s85, 0
	v_mov_b32_e32 v2, s21
	v_cmp_lt_i64_e32 vcc, s[84:85], v[1:2]
	s_add_u32 s33, s33, s14
	s_addc_u32 s94, s94, 0
	s_cbranch_vccz .LBB73_20
.LBB73_4:                               ; =>This Inner Loop Header: Depth=1
	v_mov_b32_e32 v2, s85
	v_add_co_u32_e32 v1, vcc, s84, v0
	v_addc_co_u32_e32 v2, vcc, 0, v2, vcc
	v_cmp_gt_u64_e32 vcc, s[22:23], v[1:2]
	v_mov_b32_e32 v11, 0
	v_mov_b32_e32 v15, 0
	v_mov_b32_e32 v13, 0
	v_mov_b32_e32 v12, 0
	v_mov_b32_e32 v16, 0
	v_mov_b32_e32 v14, 0
	s_and_saveexec_b64 s[2:3], vcc
	s_cbranch_execz .LBB73_6
; %bb.5:                                ;   in Loop: Header=BB73_4 Depth=1
	v_mov_b32_e32 v2, s94
	v_add_co_u32_e64 v1, s[0:1], s33, v17
	v_addc_co_u32_e64 v2, s[0:1], 0, v2, s[0:1]
	global_load_dwordx4 v[13:16], v[1:2], off
.LBB73_6:                               ;   in Loop: Header=BB73_4 Depth=1
	s_or_b64 exec, exec, s[2:3]
	v_mov_b32_e32 v2, s85
	v_add_co_u32_e64 v1, s[0:1], s84, v30
	v_addc_co_u32_e64 v2, s[0:1], v31, v2, s[0:1]
	v_cmp_gt_u64_e64 s[6:7], s[22:23], v[1:2]
	v_mov_b32_e32 v9, 0
	v_mov_b32_e32 v10, 0
	s_and_saveexec_b64 s[2:3], s[6:7]
	s_cbranch_execz .LBB73_8
; %bb.7:                                ;   in Loop: Header=BB73_4 Depth=1
	v_mov_b32_e32 v2, s94
	v_add_co_u32_e64 v1, s[0:1], s33, v34
	v_addc_co_u32_e64 v2, s[0:1], 0, v2, s[0:1]
	global_load_dwordx4 v[9:12], v[1:2], off
.LBB73_8:                               ;   in Loop: Header=BB73_4 Depth=1
	s_or_b64 exec, exec, s[2:3]
	v_mov_b32_e32 v2, s85
	v_add_co_u32_e64 v1, s[0:1], s84, v37
	v_addc_co_u32_e64 v2, s[0:1], v38, v2, s[0:1]
	v_cmp_gt_u64_e64 s[2:3], s[22:23], v[1:2]
	v_mov_b32_e32 v3, 0
	v_mov_b32_e32 v7, 0
	;; [unrolled: 1-line block ×6, first 2 shown]
	s_and_saveexec_b64 s[8:9], s[2:3]
	s_cbranch_execz .LBB73_10
; %bb.9:                                ;   in Loop: Header=BB73_4 Depth=1
	v_mov_b32_e32 v2, s94
	v_add_co_u32_e64 v1, s[0:1], s33, v36
	v_addc_co_u32_e64 v2, s[0:1], v2, v35, s[0:1]
	global_load_dwordx4 v[5:8], v[1:2], off offset:-8
.LBB73_10:                              ;   in Loop: Header=BB73_4 Depth=1
	s_or_b64 exec, exec, s[8:9]
	v_mov_b32_e32 v2, s85
	v_add_co_u32_e64 v1, s[0:1], s84, v32
	v_addc_co_u32_e64 v2, s[0:1], v33, v2, s[0:1]
	v_cmp_gt_u64_e64 s[0:1], s[22:23], v[1:2]
	v_mov_b32_e32 v1, 0
	v_mov_b32_e32 v2, 0
	s_and_saveexec_b64 s[10:11], s[0:1]
	s_cbranch_execnz .LBB73_15
; %bb.11:                               ;   in Loop: Header=BB73_4 Depth=1
	s_or_b64 exec, exec, s[10:11]
	s_and_saveexec_b64 s[92:93], vcc
	s_cbranch_execnz .LBB73_16
.LBB73_12:                              ;   in Loop: Header=BB73_4 Depth=1
	s_or_b64 exec, exec, s[92:93]
	s_and_saveexec_b64 s[12:13], s[6:7]
	s_cbranch_execnz .LBB73_17
.LBB73_13:                              ;   in Loop: Header=BB73_4 Depth=1
	s_or_b64 exec, exec, s[12:13]
	s_and_saveexec_b64 s[10:11], s[2:3]
	s_cbranch_execnz .LBB73_18
.LBB73_14:                              ;   in Loop: Header=BB73_4 Depth=1
	s_or_b64 exec, exec, s[10:11]
	s_and_saveexec_b64 s[8:9], s[0:1]
	s_cbranch_execz .LBB73_3
	s_branch .LBB73_19
.LBB73_15:                              ;   in Loop: Header=BB73_4 Depth=1
	v_mov_b32_e32 v2, s94
	v_add_co_u32_e64 v1, s[8:9], s33, v18
	v_addc_co_u32_e64 v2, s[8:9], v2, v19, s[8:9]
	global_load_dwordx4 v[1:4], v[1:2], off offset:-8
	s_or_b64 exec, exec, s[10:11]
	s_and_saveexec_b64 s[92:93], vcc
	s_cbranch_execz .LBB73_12
.LBB73_16:                              ;   in Loop: Header=BB73_4 Depth=1
	s_waitcnt vmcnt(0)
	v_fma_f64 v[24:25], v[15:16], 0, v[13:14]
	v_fma_f64 v[22:23], v[13:14], 0, -v[15:16]
	s_mov_b32 s91, s67
	s_mov_b32 s86, s24
	v_mul_f64 v[15:16], v[24:25], v[24:25]
	v_add_f64 v[13:14], v[22:23], 1.0
	v_add_f64 v[26:27], -v[22:23], 1.0
	v_fma_f64 v[53:54], -v[22:23], v[22:23], 1.0
	v_add_f64 v[22:23], v[24:25], v[24:25]
	v_fma_f64 v[13:14], v[13:14], v[13:14], v[15:16]
	v_fma_f64 v[15:16], v[26:27], v[26:27], v[15:16]
	v_fma_f64 v[24:25], -v[24:25], v[24:25], v[53:54]
	v_cmp_class_f64_e64 s[18:19], v[22:23], s15
	v_frexp_mant_f64_e32 v[26:27], v[13:14]
	v_frexp_mant_f64_e32 v[28:29], v[15:16]
	v_min_f64 v[57:58], |v[24:25]|, |v[22:23]|
	v_max_f64 v[59:60], |v[24:25]|, |v[22:23]|
	v_cmp_class_f64_e64 s[4:5], v[24:25], s15
	v_cmp_gt_f64_e64 s[10:11], s[66:67], v[26:27]
	v_cmp_gt_f64_e64 s[8:9], s[66:67], v[28:29]
	v_cndmask_b32_e64 v45, 0, 1, s[10:11]
	v_ldexp_f64 v[26:27], v[26:27], v45
	v_cndmask_b32_e64 v45, 0, 1, s[8:9]
	v_ldexp_f64 v[28:29], v[28:29], v45
	v_add_f64 v[45:46], v[26:27], 1.0
	v_add_f64 v[63:64], v[26:27], -1.0
	v_add_f64 v[47:48], v[28:29], 1.0
	v_rcp_f64_e32 v[49:50], v[45:46]
	v_add_f64 v[69:70], v[45:46], -1.0
	v_rcp_f64_e32 v[51:52], v[47:48]
	v_add_f64 v[73:74], v[47:48], -1.0
	v_add_f64 v[26:27], v[26:27], -v[69:70]
	v_fma_f64 v[53:54], -v[45:46], v[49:50], 1.0
	v_fma_f64 v[55:56], -v[47:48], v[51:52], 1.0
	v_fma_f64 v[49:50], v[53:54], v[49:50], v[49:50]
	v_div_scale_f64 v[53:54], s[12:13], v[59:60], v[59:60], v[57:58]
	v_fma_f64 v[51:52], v[55:56], v[51:52], v[51:52]
	v_cmp_class_f64_e64 s[12:13], v[15:16], s15
	v_fma_f64 v[55:56], -v[45:46], v[49:50], 1.0
	v_fma_f64 v[61:62], -v[47:48], v[51:52], 1.0
	v_fma_f64 v[49:50], v[55:56], v[49:50], v[49:50]
	v_add_f64 v[55:56], v[28:29], -1.0
	v_add_f64 v[28:29], v[28:29], -v[73:74]
	v_fma_f64 v[51:52], v[61:62], v[51:52], v[51:52]
	v_rcp_f64_e32 v[61:62], v[53:54]
	v_mul_f64 v[65:66], v[63:64], v[49:50]
	v_mul_f64 v[67:68], v[55:56], v[51:52]
	;; [unrolled: 1-line block ×4, first 2 shown]
	v_fma_f64 v[77:78], -v[53:54], v[61:62], 1.0
	v_fma_f64 v[45:46], v[65:66], v[45:46], -v[71:72]
	v_fma_f64 v[47:48], v[67:68], v[47:48], -v[75:76]
	v_fma_f64 v[61:62], v[61:62], v[77:78], v[61:62]
	v_fma_f64 v[26:27], v[65:66], v[26:27], v[45:46]
	v_div_scale_f64 v[45:46], vcc, v[57:58], v[59:60], v[57:58]
	v_fma_f64 v[28:29], v[67:68], v[28:29], v[47:48]
	v_fma_f64 v[47:48], -v[53:54], v[61:62], 1.0
	v_add_f64 v[69:70], v[71:72], v[26:27]
	v_add_f64 v[73:74], v[75:76], v[28:29]
	v_fma_f64 v[47:48], v[61:62], v[47:48], v[61:62]
	v_add_f64 v[61:62], v[63:64], -v[69:70]
	v_add_f64 v[71:72], v[69:70], -v[71:72]
	;; [unrolled: 1-line block ×3, first 2 shown]
	v_mul_f64 v[79:80], v[45:46], v[47:48]
	v_add_f64 v[75:76], v[73:74], -v[75:76]
	v_add_f64 v[63:64], v[63:64], -v[61:62]
	;; [unrolled: 1-line block ×4, first 2 shown]
	v_fma_f64 v[45:46], -v[53:54], v[79:80], v[45:46]
	v_add_f64 v[28:29], v[75:76], -v[28:29]
	v_add_f64 v[53:54], v[63:64], -v[69:70]
	v_frexp_exp_i32_f64_e32 v69, v[13:14]
	v_frexp_exp_i32_f64_e32 v70, v[15:16]
	v_add_f64 v[55:56], v[55:56], -v[73:74]
	v_div_fmas_f64 v[45:46], v[45:46], v[47:48], v[79:80]
	v_add_f64 v[26:27], v[26:27], v[53:54]
	v_subbrev_co_u32_e64 v69, vcc, 0, v69, s[10:11]
	v_add_f64 v[28:29], v[28:29], v[55:56]
	v_subbrev_co_u32_e64 v70, vcc, 0, v70, s[8:9]
	v_cmp_lt_f64_e64 vcc, |v[24:25]|, |v[22:23]|
	v_cmp_eq_f64_e64 s[8:9], 0, v[22:23]
	v_add_f64 v[47:48], v[61:62], v[26:27]
	v_cmp_class_f64_e64 s[10:11], v[13:14], s15
	v_add_f64 v[28:29], v[77:78], v[28:29]
	v_div_fixup_f64 v[26:27], v[45:46], v[59:60], v[57:58]
	v_mov_b32_e32 v59, s72
	v_mov_b32_e32 v60, s73
	v_mul_f64 v[45:46], v[49:50], v[47:48]
	v_mul_f64 v[47:48], v[51:52], v[28:29]
	;; [unrolled: 1-line block ×3, first 2 shown]
	v_add_f64 v[49:50], v[65:66], v[45:46]
	v_add_f64 v[51:52], v[67:68], v[47:48]
	v_fma_f64 v[53:54], v[28:29], s[26:27], v[20:21]
	v_mul_f64 v[55:56], v[49:50], v[49:50]
	v_mul_f64 v[57:58], v[51:52], v[51:52]
	v_fma_f64 v[53:54], v[28:29], v[53:54], s[28:29]
	v_fma_f64 v[61:62], v[55:56], s[74:75], v[59:60]
	v_mul_f64 v[63:64], v[49:50], v[55:56]
	v_fma_f64 v[59:60], v[57:58], s[74:75], v[59:60]
	v_fma_f64 v[53:54], v[28:29], v[53:54], s[30:31]
	;; [unrolled: 1-line block ×15, first 2 shown]
	v_mul_f64 v[61:62], v[51:52], v[57:58]
	v_fma_f64 v[57:58], v[57:58], v[59:60], s[90:91]
	v_fma_f64 v[53:54], v[28:29], v[53:54], s[42:43]
	v_ldexp_f64 v[59:60], v[49:50], 1
	v_add_f64 v[49:50], v[49:50], -v[65:66]
	v_cvt_f64_i32_e32 v[65:66], v69
	v_mul_f64 v[55:56], v[63:64], v[55:56]
	v_ldexp_f64 v[63:64], v[51:52], 1
	v_add_f64 v[51:52], v[51:52], -v[67:68]
	v_mul_f64 v[57:58], v[61:62], v[57:58]
	v_fma_f64 v[53:54], v[28:29], v[53:54], s[44:45]
	v_cvt_f64_i32_e32 v[69:70], v70
	v_mul_f64 v[71:72], v[65:66], s[68:69]
	v_add_f64 v[45:46], v[45:46], -v[49:50]
	v_add_f64 v[61:62], v[59:60], v[55:56]
	v_add_f64 v[47:48], v[47:48], -v[51:52]
	v_add_f64 v[67:68], v[63:64], v[57:58]
	v_fma_f64 v[53:54], v[28:29], v[53:54], s[46:47]
	v_ldexp_f64 v[45:46], v[45:46], 1
	v_add_f64 v[49:50], v[61:62], -v[59:60]
	v_mul_f64 v[59:60], v[69:70], s[68:69]
	v_ldexp_f64 v[47:48], v[47:48], 1
	v_add_f64 v[51:52], v[67:68], -v[63:64]
	v_fma_f64 v[53:54], v[28:29], v[53:54], s[48:49]
	v_fma_f64 v[63:64], v[65:66], s[68:69], -v[71:72]
	v_add_f64 v[49:50], v[55:56], -v[49:50]
	v_fma_f64 v[55:56], v[69:70], s[68:69], -v[59:60]
	v_add_f64 v[51:52], v[57:58], -v[51:52]
	v_fma_f64 v[53:54], v[28:29], v[53:54], s[50:51]
	v_fma_f64 v[57:58], v[65:66], s[70:71], v[63:64]
	v_add_f64 v[45:46], v[45:46], v[49:50]
	v_fma_f64 v[49:50], v[69:70], s[70:71], v[55:56]
	v_add_f64 v[47:48], v[47:48], v[51:52]
	;; [unrolled: 2-line block ×3, first 2 shown]
	v_add_f64 v[55:56], v[61:62], v[45:46]
	v_add_f64 v[63:64], v[59:60], v[49:50]
	;; [unrolled: 1-line block ×3, first 2 shown]
	v_fma_f64 v[51:52], v[28:29], v[51:52], s[54:55]
	v_add_f64 v[71:72], v[53:54], -v[71:72]
	v_add_f64 v[69:70], v[53:54], v[55:56]
	v_add_f64 v[61:62], v[55:56], -v[61:62]
	v_add_f64 v[59:60], v[63:64], -v[59:60]
	v_add_f64 v[73:74], v[63:64], v[65:66]
	v_fma_f64 v[51:52], v[28:29], v[51:52], s[56:57]
	v_add_f64 v[67:68], v[65:66], -v[67:68]
	v_add_f64 v[57:58], v[57:58], -v[71:72]
	;; [unrolled: 1-line block ×6, first 2 shown]
	v_fma_f64 v[51:52], v[28:29], v[51:52], s[58:59]
	v_add_f64 v[47:48], v[47:48], -v[67:68]
	v_add_f64 v[79:80], v[69:70], -v[75:76]
	;; [unrolled: 1-line block ×4, first 2 shown]
	v_fma_f64 v[51:52], v[28:29], v[51:52], s[60:61]
	v_add_f64 v[59:60], v[65:66], -v[77:78]
	v_add_f64 v[53:54], v[53:54], -v[79:80]
	;; [unrolled: 1-line block ×3, first 2 shown]
	v_fma_f64 v[51:52], v[28:29], v[51:52], s[62:63]
	v_add_f64 v[63:64], v[57:58], v[45:46]
	v_add_f64 v[53:54], v[55:56], v[53:54]
	;; [unrolled: 1-line block ×4, first 2 shown]
	v_fma_f64 v[51:52], v[28:29], v[51:52], s[64:65]
	v_add_f64 v[61:62], v[63:64], -v[57:58]
	v_add_f64 v[53:54], v[63:64], v[53:54]
	v_add_f64 v[65:66], v[55:56], -v[49:50]
	v_add_f64 v[59:60], v[55:56], v[59:60]
	v_mul_f64 v[28:29], v[28:29], v[51:52]
	v_add_f64 v[51:52], v[63:64], -v[61:62]
	v_add_f64 v[63:64], v[69:70], v[53:54]
	v_add_f64 v[55:56], v[55:56], -v[65:66]
	v_add_f64 v[47:48], v[47:48], -v[65:66]
	v_add_f64 v[67:68], v[73:74], v[59:60]
	v_fma_f64 v[26:27], v[26:27], v[28:29], v[26:27]
	v_add_f64 v[28:29], v[45:46], -v[61:62]
	v_add_f64 v[45:46], v[57:58], -v[51:52]
	;; [unrolled: 1-line block ×5, first 2 shown]
	v_add_f64 v[57:58], -v[26:27], s[24:25]
	v_add_f64 v[28:29], v[28:29], v[45:46]
	v_add_f64 v[45:46], v[53:54], -v[51:52]
	v_add_f64 v[47:48], v[47:48], v[49:50]
	v_ashrrev_i32_e32 v53, 31, v25
	v_add_f64 v[49:50], v[59:60], -v[55:56]
	v_cndmask_b32_e32 v27, v27, v58, vcc
	v_cndmask_b32_e32 v26, v26, v57, vcc
	v_add_f64 v[51:52], -v[26:27], s[86:87]
	v_cmp_gt_i32_e32 vcc, 0, v25
	v_add_f64 v[28:29], v[28:29], v[45:46]
	v_cndmask_b32_e32 v54, v39, v40, vcc
	v_add_f64 v[45:46], v[47:48], v[49:50]
	v_and_b32_e32 v48, 0x54442d18, v53
	v_and_b32_e32 v49, 0x400921fb, v53
	v_cndmask_b32_e32 v26, v26, v51, vcc
	v_cndmask_b32_e32 v27, v27, v52, vcc
	v_add_f64 v[28:29], v[63:64], v[28:29]
	v_cndmask_b32_e32 v47, v41, v42, vcc
	v_cndmask_b32_e64 v26, v26, v48, s[8:9]
	v_add_f64 v[45:46], v[67:68], v[45:46]
	v_cndmask_b32_e64 v27, v27, v49, s[8:9]
	v_cmp_neq_f64_e32 vcc, 0, v[13:14]
	v_cmp_neq_f64_e64 s[8:9], 0, v[15:16]
	v_cndmask_b32_e64 v28, v28, v13, s[10:11]
	v_cndmask_b32_e64 v29, v29, v14, s[10:11]
	s_and_b64 s[10:11], s[18:19], s[4:5]
	v_cndmask_b32_e64 v45, v45, v15, s[12:13]
	v_cndmask_b32_e64 v13, v46, v16, s[12:13]
	;; [unrolled: 1-line block ×4, first 2 shown]
	v_cmp_o_f64_e64 s[10:11], v[24:25], v[22:23]
	v_cndmask_b32_e32 v14, v44, v29, vcc
	v_cndmask_b32_e64 v16, v44, v13, s[8:9]
	v_cndmask_b32_e32 v13, 0, v28, vcc
	v_cndmask_b32_e64 v15, 0, v45, s[8:9]
	v_add_f64 v[13:14], v[13:14], -v[15:16]
	v_cndmask_b32_e64 v16, v43, v27, s[10:11]
	v_cndmask_b32_e64 v15, 0, v26, s[10:11]
	v_bfi_b32 v16, s16, v16, v23
	v_mul_f64 v[22:23], v[15:16], 0.5
	v_ldexp_f64 v[13:14], v[13:14], -2
	v_fma_f64 v[15:16], v[22:23], s[88:89], -v[13:14]
	v_fma_f64 v[13:14], v[13:14], s[88:89], v[22:23]
	v_mov_b32_e32 v23, s94
	v_add_co_u32_e32 v22, vcc, s33, v17
	v_addc_co_u32_e32 v23, vcc, 0, v23, vcc
	global_store_dwordx4 v[22:23], v[13:16], off
	s_or_b64 exec, exec, s[92:93]
	s_and_saveexec_b64 s[12:13], s[6:7]
	s_cbranch_execz .LBB73_13
.LBB73_17:                              ;   in Loop: Header=BB73_4 Depth=1
	s_waitcnt vmcnt(0)
	v_fma_f64 v[15:16], v[11:12], 0, v[9:10]
	v_fma_f64 v[13:14], v[9:10], 0, -v[11:12]
	s_mov_b32 s91, s67
	s_mov_b32 s86, s24
	v_mul_f64 v[9:10], v[15:16], v[15:16]
	v_add_f64 v[11:12], v[13:14], 1.0
	v_add_f64 v[22:23], -v[13:14], 1.0
	v_fma_f64 v[47:48], -v[13:14], v[13:14], 1.0
	v_add_f64 v[13:14], v[15:16], v[15:16]
	v_fma_f64 v[11:12], v[11:12], v[11:12], v[9:10]
	v_fma_f64 v[9:10], v[22:23], v[22:23], v[9:10]
	v_fma_f64 v[15:16], -v[15:16], v[15:16], v[47:48]
	v_frexp_mant_f64_e32 v[22:23], v[11:12]
	v_frexp_mant_f64_e32 v[24:25], v[9:10]
	v_max_f64 v[51:52], |v[15:16]|, |v[13:14]|
	v_min_f64 v[53:54], |v[15:16]|, |v[13:14]|
	v_cmp_class_f64_e64 s[18:19], v[15:16], s15
	v_cmp_class_f64_e64 s[10:11], v[9:10], s15
	v_cmp_gt_f64_e64 s[8:9], s[66:67], v[22:23]
	v_cmp_gt_f64_e64 s[6:7], s[66:67], v[24:25]
	v_cndmask_b32_e64 v26, 0, 1, s[8:9]
	v_ldexp_f64 v[22:23], v[22:23], v26
	v_cndmask_b32_e64 v26, 0, 1, s[6:7]
	v_ldexp_f64 v[24:25], v[24:25], v26
	v_add_f64 v[26:27], v[22:23], 1.0
	v_add_f64 v[59:60], v[22:23], -1.0
	v_add_f64 v[28:29], v[24:25], 1.0
	v_add_f64 v[61:62], v[24:25], -1.0
	v_rcp_f64_e32 v[45:46], v[26:27]
	v_add_f64 v[65:66], v[26:27], -1.0
	v_rcp_f64_e32 v[49:50], v[28:29]
	v_add_f64 v[71:72], v[28:29], -1.0
	v_add_f64 v[22:23], v[22:23], -v[65:66]
	v_add_f64 v[24:25], v[24:25], -v[71:72]
	v_fma_f64 v[47:48], -v[26:27], v[45:46], 1.0
	v_fma_f64 v[55:56], -v[28:29], v[49:50], 1.0
	v_fma_f64 v[45:46], v[47:48], v[45:46], v[45:46]
	v_div_scale_f64 v[47:48], s[4:5], v[51:52], v[51:52], v[53:54]
	v_fma_f64 v[49:50], v[55:56], v[49:50], v[49:50]
	v_cmp_class_f64_e64 s[4:5], v[13:14], s15
	v_fma_f64 v[55:56], -v[26:27], v[45:46], 1.0
	v_fma_f64 v[57:58], -v[28:29], v[49:50], 1.0
	v_fma_f64 v[45:46], v[55:56], v[45:46], v[45:46]
	v_rcp_f64_e32 v[55:56], v[47:48]
	v_fma_f64 v[49:50], v[57:58], v[49:50], v[49:50]
	v_mul_f64 v[57:58], v[59:60], v[45:46]
	v_mul_f64 v[63:64], v[61:62], v[49:50]
	;; [unrolled: 1-line block ×3, first 2 shown]
	v_fma_f64 v[69:70], -v[47:48], v[55:56], 1.0
	v_mul_f64 v[73:74], v[28:29], v[63:64]
	v_fma_f64 v[26:27], v[57:58], v[26:27], -v[67:68]
	v_fma_f64 v[55:56], v[55:56], v[69:70], v[55:56]
	v_fma_f64 v[28:29], v[63:64], v[28:29], -v[73:74]
	v_fma_f64 v[22:23], v[57:58], v[22:23], v[26:27]
	v_div_scale_f64 v[26:27], vcc, v[53:54], v[51:52], v[53:54]
	v_fma_f64 v[65:66], -v[47:48], v[55:56], 1.0
	v_fma_f64 v[24:25], v[63:64], v[24:25], v[28:29]
	v_add_f64 v[28:29], v[67:68], v[22:23]
	v_fma_f64 v[55:56], v[55:56], v[65:66], v[55:56]
	v_add_f64 v[65:66], v[73:74], v[24:25]
	v_add_f64 v[69:70], v[59:60], -v[28:29]
	v_add_f64 v[67:68], v[28:29], -v[67:68]
	v_mul_f64 v[71:72], v[26:27], v[55:56]
	v_add_f64 v[75:76], v[61:62], -v[65:66]
	v_add_f64 v[59:60], v[59:60], -v[69:70]
	;; [unrolled: 1-line block ×3, first 2 shown]
	v_fma_f64 v[26:27], -v[47:48], v[71:72], v[26:27]
	v_add_f64 v[47:48], v[65:66], -v[73:74]
	v_add_f64 v[61:62], v[61:62], -v[75:76]
	;; [unrolled: 1-line block ×3, first 2 shown]
	v_div_fmas_f64 v[26:27], v[26:27], v[55:56], v[71:72]
	v_add_f64 v[24:25], v[47:48], -v[24:25]
	v_add_f64 v[47:48], v[61:62], -v[65:66]
	v_mov_b32_e32 v55, s72
	v_mov_b32_e32 v56, s73
	v_add_f64 v[22:23], v[22:23], v[28:29]
	v_frexp_exp_i32_f64_e32 v65, v[11:12]
	v_frexp_exp_i32_f64_e32 v66, v[9:10]
	v_add_f64 v[24:25], v[24:25], v[47:48]
	v_add_f64 v[22:23], v[69:70], v[22:23]
	v_subbrev_co_u32_e64 v65, vcc, 0, v65, s[8:9]
	v_div_fixup_f64 v[26:27], v[26:27], v[51:52], v[53:54]
	v_subbrev_co_u32_e64 v66, vcc, 0, v66, s[6:7]
	v_add_f64 v[24:25], v[75:76], v[24:25]
	v_cmp_lt_f64_e64 vcc, |v[15:16]|, |v[13:14]|
	v_mul_f64 v[22:23], v[45:46], v[22:23]
	v_cmp_eq_f64_e64 s[6:7], 0, v[13:14]
	v_cmp_class_f64_e64 s[8:9], v[11:12], s15
	v_mul_f64 v[28:29], v[26:27], v[26:27]
	v_mul_f64 v[24:25], v[49:50], v[24:25]
	v_add_f64 v[45:46], v[57:58], v[22:23]
	v_fma_f64 v[47:48], v[28:29], s[26:27], v[20:21]
	v_add_f64 v[49:50], v[63:64], v[24:25]
	v_mul_f64 v[51:52], v[45:46], v[45:46]
	v_fma_f64 v[47:48], v[28:29], v[47:48], s[28:29]
	v_mul_f64 v[53:54], v[49:50], v[49:50]
	v_fma_f64 v[59:60], v[51:52], s[74:75], v[55:56]
	v_mul_f64 v[61:62], v[45:46], v[51:52]
	v_fma_f64 v[47:48], v[28:29], v[47:48], s[30:31]
	v_fma_f64 v[55:56], v[53:54], s[74:75], v[55:56]
	v_fma_f64 v[59:60], v[51:52], v[59:60], s[76:77]
	;; [unrolled: 1-line block ×14, first 2 shown]
	v_mul_f64 v[59:60], v[49:50], v[53:54]
	v_fma_f64 v[47:48], v[28:29], v[47:48], s[42:43]
	v_fma_f64 v[53:54], v[53:54], v[55:56], s[90:91]
	v_ldexp_f64 v[55:56], v[45:46], 1
	v_mul_f64 v[51:52], v[61:62], v[51:52]
	v_ldexp_f64 v[61:62], v[49:50], 1
	v_add_f64 v[45:46], v[45:46], -v[57:58]
	v_fma_f64 v[47:48], v[28:29], v[47:48], s[44:45]
	v_add_f64 v[49:50], v[49:50], -v[63:64]
	v_mul_f64 v[53:54], v[59:60], v[53:54]
	v_cvt_f64_i32_e32 v[59:60], v65
	v_add_f64 v[57:58], v[55:56], v[51:52]
	v_cvt_f64_i32_e32 v[65:66], v66
	v_add_f64 v[22:23], v[22:23], -v[45:46]
	v_fma_f64 v[47:48], v[28:29], v[47:48], s[46:47]
	v_mul_f64 v[67:68], v[59:60], s[68:69]
	v_add_f64 v[24:25], v[24:25], -v[49:50]
	v_add_f64 v[63:64], v[61:62], v[53:54]
	v_add_f64 v[45:46], v[57:58], -v[55:56]
	v_mul_f64 v[55:56], v[65:66], s[68:69]
	v_ldexp_f64 v[22:23], v[22:23], 1
	v_fma_f64 v[47:48], v[28:29], v[47:48], s[48:49]
	v_ldexp_f64 v[24:25], v[24:25], 1
	v_add_f64 v[49:50], v[63:64], -v[61:62]
	v_fma_f64 v[61:62], v[59:60], s[68:69], -v[67:68]
	v_add_f64 v[45:46], v[51:52], -v[45:46]
	v_fma_f64 v[51:52], v[65:66], s[68:69], -v[55:56]
	v_fma_f64 v[47:48], v[28:29], v[47:48], s[50:51]
	v_add_f64 v[49:50], v[53:54], -v[49:50]
	v_fma_f64 v[53:54], v[59:60], s[70:71], v[61:62]
	v_add_f64 v[22:23], v[22:23], v[45:46]
	v_fma_f64 v[45:46], v[65:66], s[70:71], v[51:52]
	v_fma_f64 v[47:48], v[28:29], v[47:48], s[52:53]
	v_add_f64 v[24:25], v[24:25], v[49:50]
	v_add_f64 v[49:50], v[67:68], v[53:54]
	;; [unrolled: 1-line block ×4, first 2 shown]
	v_fma_f64 v[47:48], v[28:29], v[47:48], s[54:55]
	v_add_f64 v[61:62], v[63:64], v[24:25]
	v_add_f64 v[67:68], v[49:50], -v[67:68]
	v_add_f64 v[65:66], v[49:50], v[51:52]
	v_add_f64 v[57:58], v[51:52], -v[57:58]
	v_add_f64 v[55:56], v[59:60], -v[55:56]
	v_fma_f64 v[47:48], v[28:29], v[47:48], s[56:57]
	v_add_f64 v[69:70], v[59:60], v[61:62]
	v_add_f64 v[63:64], v[61:62], -v[63:64]
	v_add_f64 v[71:72], v[65:66], -v[49:50]
	;; [unrolled: 1-line block ×4, first 2 shown]
	v_fma_f64 v[47:48], v[28:29], v[47:48], s[58:59]
	v_add_f64 v[45:46], v[45:46], -v[55:56]
	v_add_f64 v[73:74], v[69:70], -v[59:60]
	;; [unrolled: 1-line block ×5, first 2 shown]
	v_fma_f64 v[47:48], v[28:29], v[47:48], s[60:61]
	v_add_f64 v[67:68], v[69:70], -v[73:74]
	v_add_f64 v[55:56], v[61:62], -v[73:74]
	;; [unrolled: 1-line block ×3, first 2 shown]
	v_fma_f64 v[47:48], v[28:29], v[47:48], s[62:63]
	v_add_f64 v[57:58], v[59:60], -v[67:68]
	v_add_f64 v[59:60], v[53:54], v[22:23]
	v_add_f64 v[49:50], v[51:52], v[49:50]
	;; [unrolled: 1-line block ×3, first 2 shown]
	v_fma_f64 v[47:48], v[28:29], v[47:48], s[64:65]
	v_add_f64 v[55:56], v[55:56], v[57:58]
	v_add_f64 v[57:58], v[59:60], -v[53:54]
	v_add_f64 v[49:50], v[59:60], v[49:50]
	v_add_f64 v[61:62], v[51:52], -v[45:46]
	v_mul_f64 v[28:29], v[28:29], v[47:48]
	v_add_f64 v[55:56], v[51:52], v[55:56]
	v_add_f64 v[47:48], v[59:60], -v[57:58]
	v_add_f64 v[59:60], v[65:66], v[49:50]
	v_add_f64 v[51:52], v[51:52], -v[61:62]
	v_add_f64 v[22:23], v[22:23], -v[57:58]
	v_fma_f64 v[26:27], v[26:27], v[28:29], v[26:27]
	v_add_f64 v[24:25], v[24:25], -v[61:62]
	v_add_f64 v[63:64], v[69:70], v[55:56]
	v_add_f64 v[28:29], v[53:54], -v[47:48]
	v_add_f64 v[47:48], v[59:60], -v[65:66]
	;; [unrolled: 1-line block ×3, first 2 shown]
	v_add_f64 v[53:54], -v[26:27], s[24:25]
	v_add_f64 v[51:52], v[63:64], -v[69:70]
	v_add_f64 v[22:23], v[22:23], v[28:29]
	v_add_f64 v[28:29], v[49:50], -v[47:48]
	v_add_f64 v[24:25], v[24:25], v[45:46]
	v_cndmask_b32_e32 v27, v27, v54, vcc
	v_cndmask_b32_e32 v26, v26, v53, vcc
	v_add_f64 v[47:48], -v[26:27], s[86:87]
	v_add_f64 v[45:46], v[55:56], -v[51:52]
	v_cmp_gt_i32_e32 vcc, 0, v16
	v_add_f64 v[22:23], v[22:23], v[28:29]
	v_ashrrev_i32_e32 v29, 31, v16
	v_cndmask_b32_e32 v28, v39, v40, vcc
	v_cndmask_b32_e32 v26, v26, v47, vcc
	v_add_f64 v[24:25], v[24:25], v[45:46]
	v_and_b32_e32 v46, 0x54442d18, v29
	v_add_f64 v[22:23], v[59:60], v[22:23]
	v_and_b32_e32 v29, 0x400921fb, v29
	v_cndmask_b32_e32 v27, v27, v48, vcc
	v_cndmask_b32_e32 v45, v41, v42, vcc
	v_cndmask_b32_e64 v26, v26, v46, s[6:7]
	v_cndmask_b32_e64 v27, v27, v29, s[6:7]
	v_add_f64 v[24:25], v[63:64], v[24:25]
	v_cmp_neq_f64_e32 vcc, 0, v[11:12]
	v_cmp_neq_f64_e64 s[6:7], 0, v[9:10]
	v_cndmask_b32_e64 v22, v22, v11, s[8:9]
	v_cndmask_b32_e64 v23, v23, v12, s[8:9]
	s_and_b64 s[8:9], s[4:5], s[18:19]
	v_cndmask_b32_e64 v11, v24, v9, s[10:11]
	v_cndmask_b32_e64 v12, v25, v10, s[10:11]
	;; [unrolled: 1-line block ×4, first 2 shown]
	v_cmp_o_f64_e64 s[8:9], v[15:16], v[13:14]
	v_cndmask_b32_e32 v10, v44, v23, vcc
	v_cndmask_b32_e64 v12, v44, v12, s[6:7]
	v_cndmask_b32_e32 v9, 0, v22, vcc
	v_cndmask_b32_e64 v11, 0, v11, s[6:7]
	v_add_f64 v[9:10], v[9:10], -v[11:12]
	v_cndmask_b32_e64 v12, v43, v24, s[8:9]
	v_cndmask_b32_e64 v11, 0, v25, s[8:9]
	v_bfi_b32 v12, s16, v12, v14
	v_mul_f64 v[11:12], v[11:12], 0.5
	v_ldexp_f64 v[13:14], v[9:10], -2
	v_fma_f64 v[9:10], v[13:14], s[88:89], v[11:12]
	v_fma_f64 v[11:12], v[11:12], s[88:89], -v[13:14]
	v_mov_b32_e32 v14, s94
	v_add_co_u32_e32 v13, vcc, s33, v34
	v_addc_co_u32_e32 v14, vcc, 0, v14, vcc
	global_store_dwordx4 v[13:14], v[9:12], off
	s_or_b64 exec, exec, s[12:13]
	s_and_saveexec_b64 s[10:11], s[2:3]
	s_cbranch_execz .LBB73_14
.LBB73_18:                              ;   in Loop: Header=BB73_4 Depth=1
	s_waitcnt vmcnt(0)
	v_fma_f64 v[11:12], v[7:8], 0, v[5:6]
	v_fma_f64 v[9:10], v[5:6], 0, -v[7:8]
	s_mov_b32 s91, s67
	s_mov_b32 s86, s24
	v_mul_f64 v[5:6], v[11:12], v[11:12]
	v_add_f64 v[7:8], v[9:10], 1.0
	v_add_f64 v[13:14], -v[9:10], 1.0
	v_fma_f64 v[28:29], -v[9:10], v[9:10], 1.0
	v_add_f64 v[9:10], v[11:12], v[11:12]
	v_fma_f64 v[7:8], v[7:8], v[7:8], v[5:6]
	v_fma_f64 v[5:6], v[13:14], v[13:14], v[5:6]
	v_fma_f64 v[11:12], -v[11:12], v[11:12], v[28:29]
	v_frexp_mant_f64_e32 v[13:14], v[7:8]
	v_frexp_mant_f64_e32 v[15:16], v[5:6]
	v_max_f64 v[47:48], |v[11:12]|, |v[9:10]|
	v_min_f64 v[49:50], |v[11:12]|, |v[9:10]|
	v_cmp_class_f64_e64 s[12:13], v[11:12], s15
	v_cmp_class_f64_e64 s[8:9], v[5:6], s15
	v_cmp_gt_f64_e64 s[6:7], s[66:67], v[13:14]
	v_cmp_gt_f64_e64 s[2:3], s[66:67], v[15:16]
	v_cndmask_b32_e64 v22, 0, 1, s[6:7]
	v_ldexp_f64 v[13:14], v[13:14], v22
	v_cndmask_b32_e64 v22, 0, 1, s[2:3]
	v_ldexp_f64 v[15:16], v[15:16], v22
	v_add_f64 v[22:23], v[13:14], 1.0
	v_add_f64 v[55:56], v[13:14], -1.0
	v_add_f64 v[24:25], v[15:16], 1.0
	v_add_f64 v[57:58], v[15:16], -1.0
	v_rcp_f64_e32 v[26:27], v[22:23]
	v_add_f64 v[61:62], v[22:23], -1.0
	v_rcp_f64_e32 v[45:46], v[24:25]
	v_add_f64 v[67:68], v[24:25], -1.0
	v_add_f64 v[13:14], v[13:14], -v[61:62]
	v_add_f64 v[15:16], v[15:16], -v[67:68]
	v_fma_f64 v[28:29], -v[22:23], v[26:27], 1.0
	v_fma_f64 v[51:52], -v[24:25], v[45:46], 1.0
	v_fma_f64 v[26:27], v[28:29], v[26:27], v[26:27]
	v_div_scale_f64 v[28:29], s[4:5], v[47:48], v[47:48], v[49:50]
	v_fma_f64 v[45:46], v[51:52], v[45:46], v[45:46]
	v_cmp_class_f64_e64 s[4:5], v[9:10], s15
	v_fma_f64 v[51:52], -v[22:23], v[26:27], 1.0
	v_fma_f64 v[53:54], -v[24:25], v[45:46], 1.0
	v_fma_f64 v[26:27], v[51:52], v[26:27], v[26:27]
	v_rcp_f64_e32 v[51:52], v[28:29]
	v_fma_f64 v[45:46], v[53:54], v[45:46], v[45:46]
	v_mul_f64 v[53:54], v[55:56], v[26:27]
	v_mul_f64 v[59:60], v[57:58], v[45:46]
	;; [unrolled: 1-line block ×3, first 2 shown]
	v_fma_f64 v[65:66], -v[28:29], v[51:52], 1.0
	v_mul_f64 v[69:70], v[24:25], v[59:60]
	v_fma_f64 v[22:23], v[53:54], v[22:23], -v[63:64]
	v_fma_f64 v[51:52], v[51:52], v[65:66], v[51:52]
	v_fma_f64 v[24:25], v[59:60], v[24:25], -v[69:70]
	v_fma_f64 v[13:14], v[53:54], v[13:14], v[22:23]
	v_div_scale_f64 v[22:23], vcc, v[49:50], v[47:48], v[49:50]
	v_fma_f64 v[61:62], -v[28:29], v[51:52], 1.0
	v_fma_f64 v[15:16], v[59:60], v[15:16], v[24:25]
	v_add_f64 v[24:25], v[63:64], v[13:14]
	v_fma_f64 v[51:52], v[51:52], v[61:62], v[51:52]
	v_add_f64 v[61:62], v[69:70], v[15:16]
	v_add_f64 v[65:66], v[55:56], -v[24:25]
	v_add_f64 v[63:64], v[24:25], -v[63:64]
	v_mul_f64 v[67:68], v[22:23], v[51:52]
	v_add_f64 v[71:72], v[57:58], -v[61:62]
	v_add_f64 v[55:56], v[55:56], -v[65:66]
	;; [unrolled: 1-line block ×3, first 2 shown]
	v_fma_f64 v[22:23], -v[28:29], v[67:68], v[22:23]
	v_add_f64 v[28:29], v[61:62], -v[69:70]
	v_add_f64 v[57:58], v[57:58], -v[71:72]
	;; [unrolled: 1-line block ×3, first 2 shown]
	v_div_fmas_f64 v[22:23], v[22:23], v[51:52], v[67:68]
	v_add_f64 v[15:16], v[28:29], -v[15:16]
	v_add_f64 v[28:29], v[57:58], -v[61:62]
	v_mov_b32_e32 v51, s72
	v_mov_b32_e32 v52, s73
	v_add_f64 v[13:14], v[13:14], v[24:25]
	v_frexp_exp_i32_f64_e32 v61, v[7:8]
	v_frexp_exp_i32_f64_e32 v62, v[5:6]
	v_add_f64 v[15:16], v[15:16], v[28:29]
	v_add_f64 v[13:14], v[65:66], v[13:14]
	v_subbrev_co_u32_e64 v61, vcc, 0, v61, s[6:7]
	v_div_fixup_f64 v[22:23], v[22:23], v[47:48], v[49:50]
	v_subbrev_co_u32_e64 v62, vcc, 0, v62, s[2:3]
	v_add_f64 v[15:16], v[71:72], v[15:16]
	v_cmp_lt_f64_e64 vcc, |v[11:12]|, |v[9:10]|
	v_mul_f64 v[13:14], v[26:27], v[13:14]
	v_cmp_eq_f64_e64 s[2:3], 0, v[9:10]
	v_cmp_class_f64_e64 s[6:7], v[7:8], s15
	v_mul_f64 v[24:25], v[22:23], v[22:23]
	v_mul_f64 v[15:16], v[45:46], v[15:16]
	v_add_f64 v[26:27], v[53:54], v[13:14]
	v_fma_f64 v[28:29], v[24:25], s[26:27], v[20:21]
	v_add_f64 v[45:46], v[59:60], v[15:16]
	v_mul_f64 v[47:48], v[26:27], v[26:27]
	v_fma_f64 v[28:29], v[24:25], v[28:29], s[28:29]
	v_mul_f64 v[49:50], v[45:46], v[45:46]
	v_fma_f64 v[55:56], v[47:48], s[74:75], v[51:52]
	v_mul_f64 v[57:58], v[26:27], v[47:48]
	v_fma_f64 v[28:29], v[24:25], v[28:29], s[30:31]
	v_fma_f64 v[51:52], v[49:50], s[74:75], v[51:52]
	v_fma_f64 v[55:56], v[47:48], v[55:56], s[76:77]
	;; [unrolled: 1-line block ×14, first 2 shown]
	v_mul_f64 v[55:56], v[45:46], v[49:50]
	v_fma_f64 v[28:29], v[24:25], v[28:29], s[42:43]
	v_fma_f64 v[49:50], v[49:50], v[51:52], s[90:91]
	v_ldexp_f64 v[51:52], v[26:27], 1
	v_mul_f64 v[47:48], v[57:58], v[47:48]
	v_ldexp_f64 v[57:58], v[45:46], 1
	v_add_f64 v[26:27], v[26:27], -v[53:54]
	v_fma_f64 v[28:29], v[24:25], v[28:29], s[44:45]
	v_add_f64 v[45:46], v[45:46], -v[59:60]
	v_mul_f64 v[49:50], v[55:56], v[49:50]
	v_cvt_f64_i32_e32 v[55:56], v61
	v_add_f64 v[53:54], v[51:52], v[47:48]
	v_cvt_f64_i32_e32 v[61:62], v62
	v_add_f64 v[13:14], v[13:14], -v[26:27]
	v_fma_f64 v[28:29], v[24:25], v[28:29], s[46:47]
	v_mul_f64 v[63:64], v[55:56], s[68:69]
	v_add_f64 v[15:16], v[15:16], -v[45:46]
	v_add_f64 v[59:60], v[57:58], v[49:50]
	v_add_f64 v[26:27], v[53:54], -v[51:52]
	v_mul_f64 v[51:52], v[61:62], s[68:69]
	v_ldexp_f64 v[13:14], v[13:14], 1
	v_fma_f64 v[28:29], v[24:25], v[28:29], s[48:49]
	v_ldexp_f64 v[15:16], v[15:16], 1
	v_add_f64 v[45:46], v[59:60], -v[57:58]
	v_fma_f64 v[57:58], v[55:56], s[68:69], -v[63:64]
	v_add_f64 v[26:27], v[47:48], -v[26:27]
	v_fma_f64 v[47:48], v[61:62], s[68:69], -v[51:52]
	v_fma_f64 v[28:29], v[24:25], v[28:29], s[50:51]
	v_add_f64 v[45:46], v[49:50], -v[45:46]
	v_fma_f64 v[49:50], v[55:56], s[70:71], v[57:58]
	v_add_f64 v[13:14], v[13:14], v[26:27]
	v_fma_f64 v[26:27], v[61:62], s[70:71], v[47:48]
	v_fma_f64 v[28:29], v[24:25], v[28:29], s[52:53]
	v_add_f64 v[15:16], v[15:16], v[45:46]
	v_add_f64 v[45:46], v[63:64], v[49:50]
	;; [unrolled: 1-line block ×4, first 2 shown]
	v_fma_f64 v[28:29], v[24:25], v[28:29], s[54:55]
	v_add_f64 v[57:58], v[59:60], v[15:16]
	v_add_f64 v[63:64], v[45:46], -v[63:64]
	v_add_f64 v[61:62], v[45:46], v[47:48]
	v_add_f64 v[53:54], v[47:48], -v[53:54]
	v_add_f64 v[51:52], v[55:56], -v[51:52]
	v_fma_f64 v[28:29], v[24:25], v[28:29], s[56:57]
	v_add_f64 v[65:66], v[55:56], v[57:58]
	v_add_f64 v[59:60], v[57:58], -v[59:60]
	v_add_f64 v[67:68], v[61:62], -v[45:46]
	;; [unrolled: 1-line block ×4, first 2 shown]
	v_fma_f64 v[28:29], v[24:25], v[28:29], s[58:59]
	v_add_f64 v[26:27], v[26:27], -v[51:52]
	v_add_f64 v[69:70], v[65:66], -v[55:56]
	;; [unrolled: 1-line block ×5, first 2 shown]
	v_fma_f64 v[28:29], v[24:25], v[28:29], s[60:61]
	v_add_f64 v[63:64], v[65:66], -v[69:70]
	v_add_f64 v[51:52], v[57:58], -v[69:70]
	;; [unrolled: 1-line block ×3, first 2 shown]
	v_fma_f64 v[28:29], v[24:25], v[28:29], s[62:63]
	v_add_f64 v[53:54], v[55:56], -v[63:64]
	v_add_f64 v[55:56], v[49:50], v[13:14]
	v_add_f64 v[45:46], v[47:48], v[45:46]
	;; [unrolled: 1-line block ×3, first 2 shown]
	v_fma_f64 v[28:29], v[24:25], v[28:29], s[64:65]
	v_add_f64 v[51:52], v[51:52], v[53:54]
	v_add_f64 v[53:54], v[55:56], -v[49:50]
	v_add_f64 v[45:46], v[55:56], v[45:46]
	v_add_f64 v[57:58], v[47:48], -v[26:27]
	v_mul_f64 v[24:25], v[24:25], v[28:29]
	v_add_f64 v[51:52], v[47:48], v[51:52]
	v_add_f64 v[28:29], v[55:56], -v[53:54]
	v_add_f64 v[55:56], v[61:62], v[45:46]
	v_add_f64 v[47:48], v[47:48], -v[57:58]
	v_add_f64 v[13:14], v[13:14], -v[53:54]
	v_fma_f64 v[22:23], v[22:23], v[24:25], v[22:23]
	v_add_f64 v[15:16], v[15:16], -v[57:58]
	v_add_f64 v[59:60], v[65:66], v[51:52]
	v_add_f64 v[24:25], v[49:50], -v[28:29]
	v_add_f64 v[28:29], v[55:56], -v[61:62]
	;; [unrolled: 1-line block ×3, first 2 shown]
	v_add_f64 v[49:50], -v[22:23], s[24:25]
	v_add_f64 v[47:48], v[59:60], -v[65:66]
	v_add_f64 v[13:14], v[13:14], v[24:25]
	v_add_f64 v[24:25], v[45:46], -v[28:29]
	v_add_f64 v[15:16], v[15:16], v[26:27]
	v_cndmask_b32_e32 v23, v23, v50, vcc
	v_cndmask_b32_e32 v22, v22, v49, vcc
	v_add_f64 v[28:29], -v[22:23], s[86:87]
	v_add_f64 v[26:27], v[51:52], -v[47:48]
	v_cmp_gt_i32_e32 vcc, 0, v12
	v_add_f64 v[13:14], v[13:14], v[24:25]
	v_ashrrev_i32_e32 v25, 31, v12
	v_cndmask_b32_e32 v24, v39, v40, vcc
	v_cndmask_b32_e32 v22, v22, v28, vcc
	v_add_f64 v[15:16], v[15:16], v[26:27]
	v_and_b32_e32 v27, 0x54442d18, v25
	v_add_f64 v[13:14], v[55:56], v[13:14]
	v_and_b32_e32 v25, 0x400921fb, v25
	v_cndmask_b32_e32 v23, v23, v29, vcc
	v_cndmask_b32_e32 v26, v41, v42, vcc
	v_cndmask_b32_e64 v22, v22, v27, s[2:3]
	v_cndmask_b32_e64 v23, v23, v25, s[2:3]
	v_add_f64 v[15:16], v[59:60], v[15:16]
	v_cmp_neq_f64_e32 vcc, 0, v[7:8]
	v_cmp_neq_f64_e64 s[2:3], 0, v[5:6]
	v_cndmask_b32_e64 v13, v13, v7, s[6:7]
	v_cndmask_b32_e64 v14, v14, v8, s[6:7]
	s_and_b64 s[6:7], s[4:5], s[12:13]
	v_cndmask_b32_e64 v7, v15, v5, s[8:9]
	v_cndmask_b32_e64 v8, v16, v6, s[8:9]
	;; [unrolled: 1-line block ×4, first 2 shown]
	v_cmp_o_f64_e64 s[6:7], v[11:12], v[9:10]
	v_cndmask_b32_e32 v6, v44, v14, vcc
	v_cndmask_b32_e64 v8, v44, v8, s[2:3]
	v_cndmask_b32_e32 v5, 0, v13, vcc
	v_cndmask_b32_e64 v7, 0, v7, s[2:3]
	v_add_f64 v[5:6], v[5:6], -v[7:8]
	v_cndmask_b32_e64 v8, v43, v15, s[6:7]
	v_cndmask_b32_e64 v7, 0, v16, s[6:7]
	v_bfi_b32 v8, s16, v8, v10
	v_mul_f64 v[7:8], v[7:8], 0.5
	v_ldexp_f64 v[9:10], v[5:6], -2
	v_fma_f64 v[5:6], v[9:10], s[88:89], v[7:8]
	v_fma_f64 v[7:8], v[7:8], s[88:89], -v[9:10]
	v_mov_b32_e32 v10, s94
	v_add_co_u32_e32 v9, vcc, s33, v36
	v_addc_co_u32_e32 v10, vcc, v10, v35, vcc
	global_store_dwordx4 v[9:10], v[5:8], off offset:-8
	s_or_b64 exec, exec, s[10:11]
	s_and_saveexec_b64 s[8:9], s[0:1]
	s_cbranch_execz .LBB73_3
.LBB73_19:                              ;   in Loop: Header=BB73_4 Depth=1
	s_waitcnt vmcnt(0)
	v_fma_f64 v[7:8], v[3:4], 0, v[1:2]
	v_fma_f64 v[5:6], v[1:2], 0, -v[3:4]
	s_mov_b32 s91, s67
	s_mov_b32 s86, s24
	v_mul_f64 v[1:2], v[7:8], v[7:8]
	v_add_f64 v[3:4], v[5:6], 1.0
	v_add_f64 v[9:10], -v[5:6], 1.0
	v_fma_f64 v[24:25], -v[5:6], v[5:6], 1.0
	v_add_f64 v[5:6], v[7:8], v[7:8]
	v_fma_f64 v[3:4], v[3:4], v[3:4], v[1:2]
	v_fma_f64 v[1:2], v[9:10], v[9:10], v[1:2]
	v_fma_f64 v[7:8], -v[7:8], v[7:8], v[24:25]
	v_frexp_mant_f64_e32 v[9:10], v[3:4]
	v_frexp_mant_f64_e32 v[11:12], v[1:2]
	v_max_f64 v[28:29], |v[7:8]|, |v[5:6]|
	v_min_f64 v[45:46], |v[7:8]|, |v[5:6]|
	v_cmp_class_f64_e64 s[10:11], v[7:8], s15
	v_cmp_class_f64_e64 s[6:7], v[1:2], s15
	v_cmp_gt_f64_e64 s[2:3], s[66:67], v[9:10]
	v_cmp_gt_f64_e64 s[0:1], s[66:67], v[11:12]
	v_cndmask_b32_e64 v13, 0, 1, s[2:3]
	v_ldexp_f64 v[9:10], v[9:10], v13
	v_cndmask_b32_e64 v13, 0, 1, s[0:1]
	v_ldexp_f64 v[11:12], v[11:12], v13
	v_add_f64 v[13:14], v[9:10], 1.0
	v_add_f64 v[51:52], v[9:10], -1.0
	v_add_f64 v[15:16], v[11:12], 1.0
	v_add_f64 v[53:54], v[11:12], -1.0
	v_rcp_f64_e32 v[22:23], v[13:14]
	v_add_f64 v[57:58], v[13:14], -1.0
	v_rcp_f64_e32 v[26:27], v[15:16]
	v_add_f64 v[63:64], v[15:16], -1.0
	v_add_f64 v[9:10], v[9:10], -v[57:58]
	v_add_f64 v[11:12], v[11:12], -v[63:64]
	v_fma_f64 v[24:25], -v[13:14], v[22:23], 1.0
	v_fma_f64 v[47:48], -v[15:16], v[26:27], 1.0
	v_fma_f64 v[22:23], v[24:25], v[22:23], v[22:23]
	v_div_scale_f64 v[24:25], s[4:5], v[28:29], v[28:29], v[45:46]
	v_fma_f64 v[26:27], v[47:48], v[26:27], v[26:27]
	v_cmp_class_f64_e64 s[4:5], v[5:6], s15
	v_fma_f64 v[47:48], -v[13:14], v[22:23], 1.0
	v_fma_f64 v[49:50], -v[15:16], v[26:27], 1.0
	v_fma_f64 v[22:23], v[47:48], v[22:23], v[22:23]
	v_rcp_f64_e32 v[47:48], v[24:25]
	v_fma_f64 v[26:27], v[49:50], v[26:27], v[26:27]
	v_mul_f64 v[49:50], v[51:52], v[22:23]
	v_mul_f64 v[55:56], v[53:54], v[26:27]
	;; [unrolled: 1-line block ×3, first 2 shown]
	v_fma_f64 v[61:62], -v[24:25], v[47:48], 1.0
	v_mul_f64 v[65:66], v[15:16], v[55:56]
	v_fma_f64 v[13:14], v[49:50], v[13:14], -v[59:60]
	v_fma_f64 v[47:48], v[47:48], v[61:62], v[47:48]
	v_fma_f64 v[15:16], v[55:56], v[15:16], -v[65:66]
	v_fma_f64 v[9:10], v[49:50], v[9:10], v[13:14]
	v_div_scale_f64 v[13:14], vcc, v[45:46], v[28:29], v[45:46]
	v_fma_f64 v[57:58], -v[24:25], v[47:48], 1.0
	v_fma_f64 v[11:12], v[55:56], v[11:12], v[15:16]
	v_add_f64 v[15:16], v[59:60], v[9:10]
	v_fma_f64 v[47:48], v[47:48], v[57:58], v[47:48]
	v_add_f64 v[57:58], v[65:66], v[11:12]
	v_add_f64 v[61:62], v[51:52], -v[15:16]
	v_add_f64 v[59:60], v[15:16], -v[59:60]
	v_mul_f64 v[63:64], v[13:14], v[47:48]
	v_add_f64 v[67:68], v[53:54], -v[57:58]
	v_add_f64 v[51:52], v[51:52], -v[61:62]
	;; [unrolled: 1-line block ×3, first 2 shown]
	v_fma_f64 v[13:14], -v[24:25], v[63:64], v[13:14]
	v_add_f64 v[24:25], v[57:58], -v[65:66]
	v_add_f64 v[53:54], v[53:54], -v[67:68]
	;; [unrolled: 1-line block ×3, first 2 shown]
	v_div_fmas_f64 v[13:14], v[13:14], v[47:48], v[63:64]
	v_add_f64 v[11:12], v[24:25], -v[11:12]
	v_add_f64 v[24:25], v[53:54], -v[57:58]
	v_mov_b32_e32 v47, s72
	v_mov_b32_e32 v48, s73
	v_add_f64 v[9:10], v[9:10], v[15:16]
	v_frexp_exp_i32_f64_e32 v57, v[3:4]
	v_frexp_exp_i32_f64_e32 v58, v[1:2]
	v_add_f64 v[11:12], v[11:12], v[24:25]
	v_add_f64 v[9:10], v[61:62], v[9:10]
	v_subbrev_co_u32_e64 v57, vcc, 0, v57, s[2:3]
	v_div_fixup_f64 v[13:14], v[13:14], v[28:29], v[45:46]
	v_subbrev_co_u32_e64 v58, vcc, 0, v58, s[0:1]
	v_add_f64 v[11:12], v[67:68], v[11:12]
	v_cmp_lt_f64_e64 vcc, |v[7:8]|, |v[5:6]|
	v_mul_f64 v[9:10], v[22:23], v[9:10]
	v_cmp_eq_f64_e64 s[0:1], 0, v[5:6]
	v_cmp_class_f64_e64 s[2:3], v[3:4], s15
	v_mul_f64 v[15:16], v[13:14], v[13:14]
	v_mul_f64 v[11:12], v[26:27], v[11:12]
	v_add_f64 v[22:23], v[49:50], v[9:10]
	v_fma_f64 v[24:25], v[15:16], s[26:27], v[20:21]
	v_add_f64 v[26:27], v[55:56], v[11:12]
	v_mul_f64 v[28:29], v[22:23], v[22:23]
	v_fma_f64 v[24:25], v[15:16], v[24:25], s[28:29]
	v_mul_f64 v[45:46], v[26:27], v[26:27]
	v_fma_f64 v[51:52], v[28:29], s[74:75], v[47:48]
	;; [unrolled: 2-line block ×3, first 2 shown]
	v_fma_f64 v[47:48], v[45:46], s[74:75], v[47:48]
	v_fma_f64 v[51:52], v[28:29], v[51:52], s[76:77]
	;; [unrolled: 1-line block ×14, first 2 shown]
	v_mul_f64 v[51:52], v[26:27], v[45:46]
	v_fma_f64 v[24:25], v[15:16], v[24:25], s[42:43]
	v_fma_f64 v[45:46], v[45:46], v[47:48], s[90:91]
	v_ldexp_f64 v[47:48], v[22:23], 1
	v_mul_f64 v[28:29], v[53:54], v[28:29]
	v_ldexp_f64 v[53:54], v[26:27], 1
	v_add_f64 v[22:23], v[22:23], -v[49:50]
	v_fma_f64 v[24:25], v[15:16], v[24:25], s[44:45]
	v_add_f64 v[26:27], v[26:27], -v[55:56]
	v_mul_f64 v[45:46], v[51:52], v[45:46]
	v_cvt_f64_i32_e32 v[51:52], v57
	v_add_f64 v[49:50], v[47:48], v[28:29]
	v_cvt_f64_i32_e32 v[57:58], v58
	v_add_f64 v[9:10], v[9:10], -v[22:23]
	v_fma_f64 v[24:25], v[15:16], v[24:25], s[46:47]
	v_mul_f64 v[59:60], v[51:52], s[68:69]
	v_add_f64 v[11:12], v[11:12], -v[26:27]
	v_add_f64 v[55:56], v[53:54], v[45:46]
	v_add_f64 v[22:23], v[49:50], -v[47:48]
	v_mul_f64 v[47:48], v[57:58], s[68:69]
	v_ldexp_f64 v[9:10], v[9:10], 1
	v_fma_f64 v[24:25], v[15:16], v[24:25], s[48:49]
	v_ldexp_f64 v[11:12], v[11:12], 1
	v_add_f64 v[26:27], v[55:56], -v[53:54]
	v_fma_f64 v[53:54], v[51:52], s[68:69], -v[59:60]
	v_add_f64 v[22:23], v[28:29], -v[22:23]
	v_fma_f64 v[28:29], v[57:58], s[68:69], -v[47:48]
	v_fma_f64 v[24:25], v[15:16], v[24:25], s[50:51]
	v_add_f64 v[26:27], v[45:46], -v[26:27]
	v_fma_f64 v[45:46], v[51:52], s[70:71], v[53:54]
	v_add_f64 v[9:10], v[9:10], v[22:23]
	v_fma_f64 v[22:23], v[57:58], s[70:71], v[28:29]
	v_fma_f64 v[24:25], v[15:16], v[24:25], s[52:53]
	v_add_f64 v[11:12], v[11:12], v[26:27]
	v_add_f64 v[26:27], v[59:60], v[45:46]
	;; [unrolled: 1-line block ×4, first 2 shown]
	v_fma_f64 v[24:25], v[15:16], v[24:25], s[54:55]
	v_add_f64 v[53:54], v[55:56], v[11:12]
	v_add_f64 v[59:60], v[26:27], -v[59:60]
	v_add_f64 v[57:58], v[26:27], v[28:29]
	v_add_f64 v[49:50], v[28:29], -v[49:50]
	v_add_f64 v[47:48], v[51:52], -v[47:48]
	v_fma_f64 v[24:25], v[15:16], v[24:25], s[56:57]
	v_add_f64 v[61:62], v[51:52], v[53:54]
	v_add_f64 v[55:56], v[53:54], -v[55:56]
	v_add_f64 v[63:64], v[57:58], -v[26:27]
	;; [unrolled: 1-line block ×4, first 2 shown]
	v_fma_f64 v[24:25], v[15:16], v[24:25], s[58:59]
	v_add_f64 v[22:23], v[22:23], -v[47:48]
	v_add_f64 v[65:66], v[61:62], -v[51:52]
	;; [unrolled: 1-line block ×5, first 2 shown]
	v_fma_f64 v[24:25], v[15:16], v[24:25], s[60:61]
	v_add_f64 v[59:60], v[61:62], -v[65:66]
	v_add_f64 v[47:48], v[53:54], -v[65:66]
	;; [unrolled: 1-line block ×3, first 2 shown]
	v_fma_f64 v[24:25], v[15:16], v[24:25], s[62:63]
	v_add_f64 v[49:50], v[51:52], -v[59:60]
	v_add_f64 v[51:52], v[45:46], v[9:10]
	v_add_f64 v[26:27], v[28:29], v[26:27]
	;; [unrolled: 1-line block ×3, first 2 shown]
	v_fma_f64 v[24:25], v[15:16], v[24:25], s[64:65]
	v_add_f64 v[47:48], v[47:48], v[49:50]
	v_add_f64 v[49:50], v[51:52], -v[45:46]
	v_add_f64 v[26:27], v[51:52], v[26:27]
	v_add_f64 v[53:54], v[28:29], -v[22:23]
	v_mul_f64 v[15:16], v[15:16], v[24:25]
	v_add_f64 v[47:48], v[28:29], v[47:48]
	v_add_f64 v[24:25], v[51:52], -v[49:50]
	v_add_f64 v[51:52], v[57:58], v[26:27]
	v_add_f64 v[28:29], v[28:29], -v[53:54]
	v_add_f64 v[9:10], v[9:10], -v[49:50]
	v_fma_f64 v[13:14], v[13:14], v[15:16], v[13:14]
	v_add_f64 v[11:12], v[11:12], -v[53:54]
	v_add_f64 v[55:56], v[61:62], v[47:48]
	v_add_f64 v[15:16], v[45:46], -v[24:25]
	v_add_f64 v[24:25], v[51:52], -v[57:58]
	;; [unrolled: 1-line block ×3, first 2 shown]
	v_add_f64 v[45:46], -v[13:14], s[24:25]
	v_add_f64 v[28:29], v[55:56], -v[61:62]
	v_add_f64 v[9:10], v[9:10], v[15:16]
	v_add_f64 v[15:16], v[26:27], -v[24:25]
	v_add_f64 v[11:12], v[11:12], v[22:23]
	v_cndmask_b32_e32 v14, v14, v46, vcc
	v_cndmask_b32_e32 v13, v13, v45, vcc
	v_add_f64 v[24:25], -v[13:14], s[86:87]
	v_add_f64 v[22:23], v[47:48], -v[28:29]
	v_cmp_gt_i32_e32 vcc, 0, v8
	v_add_f64 v[9:10], v[9:10], v[15:16]
	v_ashrrev_i32_e32 v16, 31, v8
	v_cndmask_b32_e32 v15, v39, v40, vcc
	v_cndmask_b32_e32 v13, v13, v24, vcc
	v_add_f64 v[11:12], v[11:12], v[22:23]
	v_and_b32_e32 v23, 0x54442d18, v16
	v_add_f64 v[9:10], v[51:52], v[9:10]
	v_and_b32_e32 v16, 0x400921fb, v16
	v_cndmask_b32_e32 v14, v14, v25, vcc
	v_cndmask_b32_e32 v22, v41, v42, vcc
	v_cndmask_b32_e64 v13, v13, v23, s[0:1]
	v_cndmask_b32_e64 v14, v14, v16, s[0:1]
	v_add_f64 v[11:12], v[55:56], v[11:12]
	v_cmp_neq_f64_e32 vcc, 0, v[3:4]
	v_cmp_neq_f64_e64 s[0:1], 0, v[1:2]
	v_cndmask_b32_e64 v9, v9, v3, s[2:3]
	v_cndmask_b32_e64 v10, v10, v4, s[2:3]
	s_and_b64 s[2:3], s[4:5], s[10:11]
	v_cndmask_b32_e64 v3, v11, v1, s[6:7]
	v_cndmask_b32_e64 v4, v12, v2, s[6:7]
	;; [unrolled: 1-line block ×4, first 2 shown]
	v_cmp_o_f64_e64 s[2:3], v[7:8], v[5:6]
	v_cndmask_b32_e32 v2, v44, v10, vcc
	v_cndmask_b32_e64 v4, v44, v4, s[0:1]
	v_cndmask_b32_e32 v1, 0, v9, vcc
	v_cndmask_b32_e64 v3, 0, v3, s[0:1]
	v_add_f64 v[1:2], v[1:2], -v[3:4]
	v_cndmask_b32_e64 v4, v43, v11, s[2:3]
	v_cndmask_b32_e64 v3, 0, v12, s[2:3]
	v_bfi_b32 v4, s16, v4, v6
	v_mul_f64 v[3:4], v[3:4], 0.5
	v_ldexp_f64 v[5:6], v[1:2], -2
	v_fma_f64 v[1:2], v[5:6], s[88:89], v[3:4]
	v_fma_f64 v[3:4], v[3:4], s[88:89], -v[5:6]
	v_mov_b32_e32 v6, s94
	v_add_co_u32_e32 v5, vcc, s33, v18
	v_addc_co_u32_e32 v6, vcc, v6, v19, vcc
	global_store_dwordx4 v[5:6], v[1:4], off offset:-8
	s_branch .LBB73_3
.LBB73_20:
	v_readlane_b32 s4, v81, 6
	v_readlane_b32 s5, v81, 7
	s_cbranch_execz .LBB73_22
	s_branch .LBB73_25
.LBB73_21:
.LBB73_22:
	v_mov_b32_e32 v1, 0x10000
	v_mov_b32_e32 v2, 0
	v_cmp_lt_i64_e32 vcc, s[4:5], v[1:2]
	v_mov_b32_e32 v2, 0
	s_and_b64 s[0:1], vcc, exec
	s_cselect_b32 s7, s5, 0
	s_cselect_b32 s6, s4, 0x10000
	v_lshlrev_b32_e32 v1, 2, v0
	v_cmp_gt_i64_e32 vcc, s[6:7], v[1:2]
	s_and_saveexec_b64 s[0:1], vcc
	s_cbranch_execz .LBB73_25
; %bb.23:
	v_readlane_b32 s0, v81, 0
	v_readlane_b32 s1, v81, 1
	s_load_dword s0, s[0:1], 0xd3c
	v_readlane_b32 s2, v81, 4
	v_readlane_b32 s3, v81, 5
	v_mov_b32_e32 v1, v2
	v_lshlrev_b32_e32 v2, 6, v0
	s_waitcnt lgkmcnt(0)
	s_and_b32 s33, s0, 0xffff
	v_readlane_b32 s0, v81, 2
	v_readlane_b32 s1, v81, 3
	s_add_u32 s0, s0, s2
	s_addc_u32 s1, s1, s3
	v_mov_b32_e32 v3, s1
	v_add_co_u32_e32 v18, vcc, s0, v2
	s_mov_b32 s0, 0x6b47b09a
	s_mov_b32 s1, 0x3fc38538
	v_mov_b32_e32 v21, s1
	v_mov_b32_e32 v20, s0
	s_mov_b32 s0, 0xbd3237f4
	s_mov_b32 s8, 0x55555780
	;; [unrolled: 1-line block ×12, first 2 shown]
	v_mov_b32_e32 v23, s1
	s_mov_b32 s28, 0x69efb384
	s_mov_b32 s30, 0xaf56de9b
	s_mov_b32 s34, 0xa595c56f
	s_mov_b32 s36, 0xa57d9582
	s_mov_b32 s38, 0x5f08b19f
	s_mov_b32 s40, 0xfc27006a
	s_mov_b32 s42, 0x5711927a
	s_mov_b32 s44, 0xe82d3ff0
	s_mov_b32 s46, 0x6ef28734
	s_mov_b32 s48, 0x6a214619
	s_mov_b32 s50, 0x8427b883
	s_mov_b32 s52, 0x8b207f05
	s_mov_b32 s54, 0x57b87036
	s_mov_b32 s56, 0x19378e4f
	s_mov_b32 s58, 0x17e1913c
	s_mov_b32 s60, 0x92376b7d
	s_mov_b32 s62, 0x999952cc
	s_mov_b32 s64, 0x55555523
	s_mov_b32 s66, 0x54442d18
	s_mov_b32 s70, 0
	v_addc_co_u32_e32 v19, vcc, 0, v3, vcc
	s_mov_b32 s10, 0x55555555
	s_mov_b32 s11, s9
	;; [unrolled: 1-line block ×9, first 2 shown]
	v_mov_b32_e32 v36, 0xfff00000
	s_mov_b32 s27, 0x3eeba404
	v_mov_b32_e32 v22, s0
	s_mov_b32 s29, 0x3f4b2bb0
	s_mov_b32 s31, 0xbf67952d
	;; [unrolled: 1-line block ×19, first 2 shown]
	v_mov_b32_e32 v37, 0x54442d18
	v_mov_b32_e32 v38, 0x7f3321d2
	;; [unrolled: 1-line block ×4, first 2 shown]
	s_mov_b32 s69, 0x400921fb
	s_mov_b32 s68, s66
	v_mov_b32_e32 v41, 0x7ff80000
	s_lshl_b32 s74, s33, 6
	s_movk_i32 s75, 0x204
	s_brev_b32 s76, -2
	s_brev_b32 s71, 1
	s_mov_b64 s[72:73], 0
.LBB73_24:                              ; =>This Inner Loop Header: Depth=1
	global_load_dwordx4 v[10:13], v[18:19], off offset:48
	global_load_dwordx4 v[14:17], v[18:19], off offset:32
	;; [unrolled: 1-line block ×3, first 2 shown]
	global_load_dwordx4 v[24:27], v[18:19], off
	s_waitcnt vmcnt(0)
	v_fma_f64 v[4:5], v[24:25], 0, -v[26:27]
	v_fma_f64 v[2:3], v[26:27], 0, v[24:25]
	v_add_f64 v[26:27], v[4:5], 1.0
	v_mul_f64 v[24:25], v[2:3], v[2:3]
	v_add_f64 v[28:29], -v[4:5], 1.0
	v_fma_f64 v[4:5], -v[4:5], v[4:5], 1.0
	v_fma_f64 v[26:27], v[26:27], v[26:27], v[24:25]
	v_fma_f64 v[24:25], v[28:29], v[28:29], v[24:25]
	v_fma_f64 v[4:5], -v[2:3], v[2:3], v[4:5]
	v_add_f64 v[2:3], v[2:3], v[2:3]
	v_frexp_mant_f64_e32 v[28:29], v[26:27]
	v_frexp_exp_i32_f64_e32 v30, v[26:27]
	v_cmp_class_f64_e64 s[2:3], v[4:5], s75
	v_cmp_lt_f64_e64 s[4:5], |v[4:5]|, |v[2:3]|
	v_cmp_gt_f64_e32 vcc, s[10:11], v[28:29]
	v_cndmask_b32_e64 v31, 0, 1, vcc
	v_ldexp_f64 v[28:29], v[28:29], v31
	v_subbrev_co_u32_e32 v48, vcc, 0, v30, vcc
	v_cmp_class_f64_e64 vcc, v[26:27], s75
	v_add_f64 v[32:33], v[28:29], 1.0
	v_add_f64 v[30:31], v[28:29], -1.0
	v_add_f64 v[34:35], v[32:33], -1.0
	v_add_f64 v[28:29], v[28:29], -v[34:35]
	v_rcp_f64_e32 v[34:35], v[32:33]
	v_fma_f64 v[42:43], -v[32:33], v[34:35], 1.0
	v_fma_f64 v[34:35], v[42:43], v[34:35], v[34:35]
	v_fma_f64 v[42:43], -v[32:33], v[34:35], 1.0
	v_fma_f64 v[34:35], v[42:43], v[34:35], v[34:35]
	v_mul_f64 v[42:43], v[30:31], v[34:35]
	v_mul_f64 v[44:45], v[32:33], v[42:43]
	v_fma_f64 v[32:33], v[42:43], v[32:33], -v[44:45]
	v_fma_f64 v[28:29], v[42:43], v[28:29], v[32:33]
	v_add_f64 v[32:33], v[44:45], v[28:29]
	v_add_f64 v[46:47], v[30:31], -v[32:33]
	v_add_f64 v[44:45], v[32:33], -v[44:45]
	;; [unrolled: 1-line block ×5, first 2 shown]
	v_add_f64 v[28:29], v[28:29], v[30:31]
	v_add_f64 v[28:29], v[46:47], v[28:29]
	v_mul_f64 v[28:29], v[34:35], v[28:29]
	v_add_f64 v[30:31], v[42:43], v[28:29]
	v_add_f64 v[32:33], v[30:31], -v[42:43]
	v_ldexp_f64 v[42:43], v[30:31], 1
	v_add_f64 v[28:29], v[28:29], -v[32:33]
	v_mul_f64 v[32:33], v[30:31], v[30:31]
	v_ldexp_f64 v[28:29], v[28:29], 1
	v_fma_f64 v[34:35], v[32:33], s[12:13], v[20:21]
	v_mul_f64 v[30:31], v[30:31], v[32:33]
	v_fma_f64 v[34:35], v[32:33], v[34:35], s[14:15]
	v_fma_f64 v[34:35], v[32:33], v[34:35], s[16:17]
	;; [unrolled: 1-line block ×5, first 2 shown]
	v_mul_f64 v[30:31], v[30:31], v[34:35]
	v_add_f64 v[32:33], v[42:43], v[30:31]
	v_add_f64 v[34:35], v[32:33], -v[42:43]
	v_add_f64 v[30:31], v[30:31], -v[34:35]
	v_add_f64 v[28:29], v[28:29], v[30:31]
	v_add_f64 v[30:31], v[32:33], v[28:29]
	v_add_f64 v[32:33], v[30:31], -v[32:33]
	v_add_f64 v[28:29], v[28:29], -v[32:33]
	v_cvt_f64_i32_e32 v[32:33], v48
	v_mul_f64 v[34:35], v[32:33], s[22:23]
	v_fma_f64 v[42:43], v[32:33], s[22:23], -v[34:35]
	v_fma_f64 v[32:33], v[32:33], s[24:25], v[42:43]
	v_add_f64 v[42:43], v[34:35], v[32:33]
	v_add_f64 v[34:35], v[42:43], -v[34:35]
	v_add_f64 v[32:33], v[32:33], -v[34:35]
	v_add_f64 v[34:35], v[42:43], v[30:31]
	v_add_f64 v[44:45], v[34:35], -v[42:43]
	v_add_f64 v[46:47], v[34:35], -v[44:45]
	;; [unrolled: 1-line block ×4, first 2 shown]
	v_add_f64 v[30:31], v[30:31], v[42:43]
	v_add_f64 v[42:43], v[32:33], v[28:29]
	v_add_f64 v[44:45], v[42:43], -v[32:33]
	v_add_f64 v[30:31], v[42:43], v[30:31]
	v_add_f64 v[46:47], v[42:43], -v[44:45]
	v_add_f64 v[28:29], v[28:29], -v[44:45]
	;; [unrolled: 1-line block ×3, first 2 shown]
	v_add_f64 v[28:29], v[28:29], v[32:33]
	v_add_f64 v[32:33], v[34:35], v[30:31]
	v_add_f64 v[34:35], v[32:33], -v[34:35]
	v_add_f64 v[30:31], v[30:31], -v[34:35]
	v_add_f64 v[28:29], v[28:29], v[30:31]
	v_frexp_exp_i32_f64_e32 v30, v[24:25]
	v_add_f64 v[28:29], v[32:33], v[28:29]
	v_cndmask_b32_e32 v28, v28, v26, vcc
	v_cndmask_b32_e32 v29, v29, v27, vcc
	v_cmp_neq_f64_e32 vcc, 0, v[26:27]
	v_cndmask_b32_e32 v27, v36, v29, vcc
	v_cndmask_b32_e32 v26, 0, v28, vcc
	v_frexp_mant_f64_e32 v[28:29], v[24:25]
	v_cmp_gt_f64_e32 vcc, s[10:11], v[28:29]
	v_cndmask_b32_e64 v31, 0, 1, vcc
	v_ldexp_f64 v[28:29], v[28:29], v31
	v_subbrev_co_u32_e32 v48, vcc, 0, v30, vcc
	v_cmp_class_f64_e64 vcc, v[24:25], s75
	v_add_f64 v[32:33], v[28:29], 1.0
	v_add_f64 v[30:31], v[28:29], -1.0
	v_add_f64 v[34:35], v[32:33], -1.0
	v_add_f64 v[28:29], v[28:29], -v[34:35]
	v_rcp_f64_e32 v[34:35], v[32:33]
	v_fma_f64 v[42:43], -v[32:33], v[34:35], 1.0
	v_fma_f64 v[34:35], v[42:43], v[34:35], v[34:35]
	v_fma_f64 v[42:43], -v[32:33], v[34:35], 1.0
	v_fma_f64 v[34:35], v[42:43], v[34:35], v[34:35]
	v_mul_f64 v[42:43], v[30:31], v[34:35]
	v_mul_f64 v[44:45], v[32:33], v[42:43]
	v_fma_f64 v[32:33], v[42:43], v[32:33], -v[44:45]
	v_fma_f64 v[28:29], v[42:43], v[28:29], v[32:33]
	v_add_f64 v[32:33], v[44:45], v[28:29]
	v_add_f64 v[46:47], v[30:31], -v[32:33]
	v_add_f64 v[44:45], v[32:33], -v[44:45]
	;; [unrolled: 1-line block ×5, first 2 shown]
	v_add_f64 v[28:29], v[28:29], v[30:31]
	v_add_f64 v[28:29], v[46:47], v[28:29]
	v_mul_f64 v[28:29], v[34:35], v[28:29]
	v_add_f64 v[30:31], v[42:43], v[28:29]
	v_add_f64 v[32:33], v[30:31], -v[42:43]
	v_ldexp_f64 v[42:43], v[30:31], 1
	v_add_f64 v[28:29], v[28:29], -v[32:33]
	v_mul_f64 v[32:33], v[30:31], v[30:31]
	v_ldexp_f64 v[28:29], v[28:29], 1
	v_fma_f64 v[34:35], v[32:33], s[12:13], v[20:21]
	v_mul_f64 v[30:31], v[30:31], v[32:33]
	v_fma_f64 v[34:35], v[32:33], v[34:35], s[14:15]
	v_fma_f64 v[34:35], v[32:33], v[34:35], s[16:17]
	;; [unrolled: 1-line block ×5, first 2 shown]
	v_mul_f64 v[30:31], v[30:31], v[34:35]
	v_add_f64 v[32:33], v[42:43], v[30:31]
	v_add_f64 v[34:35], v[32:33], -v[42:43]
	v_add_f64 v[30:31], v[30:31], -v[34:35]
	v_add_f64 v[28:29], v[28:29], v[30:31]
	v_add_f64 v[30:31], v[32:33], v[28:29]
	v_add_f64 v[32:33], v[30:31], -v[32:33]
	v_add_f64 v[28:29], v[28:29], -v[32:33]
	v_cvt_f64_i32_e32 v[32:33], v48
	v_mul_f64 v[34:35], v[32:33], s[22:23]
	v_fma_f64 v[42:43], v[32:33], s[22:23], -v[34:35]
	v_fma_f64 v[32:33], v[32:33], s[24:25], v[42:43]
	v_add_f64 v[42:43], v[34:35], v[32:33]
	v_add_f64 v[34:35], v[42:43], -v[34:35]
	v_add_f64 v[32:33], v[32:33], -v[34:35]
	v_add_f64 v[34:35], v[42:43], v[30:31]
	v_add_f64 v[44:45], v[34:35], -v[42:43]
	v_add_f64 v[46:47], v[34:35], -v[44:45]
	;; [unrolled: 1-line block ×4, first 2 shown]
	v_add_f64 v[30:31], v[30:31], v[42:43]
	v_add_f64 v[42:43], v[32:33], v[28:29]
	v_add_f64 v[44:45], v[42:43], -v[32:33]
	v_add_f64 v[30:31], v[42:43], v[30:31]
	v_add_f64 v[46:47], v[42:43], -v[44:45]
	v_add_f64 v[28:29], v[28:29], -v[44:45]
	;; [unrolled: 1-line block ×3, first 2 shown]
	v_add_f64 v[28:29], v[28:29], v[32:33]
	v_add_f64 v[32:33], v[34:35], v[30:31]
	v_add_f64 v[34:35], v[32:33], -v[34:35]
	v_add_f64 v[30:31], v[30:31], -v[34:35]
	v_add_f64 v[28:29], v[28:29], v[30:31]
	v_add_f64 v[28:29], v[32:33], v[28:29]
	v_cndmask_b32_e32 v28, v28, v24, vcc
	v_cndmask_b32_e32 v29, v29, v25, vcc
	v_cmp_neq_f64_e32 vcc, 0, v[24:25]
	v_cndmask_b32_e32 v25, v36, v29, vcc
	v_cndmask_b32_e32 v24, 0, v28, vcc
	v_add_f64 v[24:25], v[26:27], -v[24:25]
	v_max_f64 v[26:27], |v[4:5]|, |v[2:3]|
	v_min_f64 v[28:29], |v[4:5]|, |v[2:3]|
	v_ldexp_f64 v[24:25], v[24:25], -2
	v_div_scale_f64 v[30:31], s[0:1], v[26:27], v[26:27], v[28:29]
	v_cmp_class_f64_e64 s[0:1], v[2:3], s75
	v_rcp_f64_e32 v[32:33], v[30:31]
	v_fma_f64 v[34:35], -v[30:31], v[32:33], 1.0
	v_fma_f64 v[32:33], v[32:33], v[34:35], v[32:33]
	v_fma_f64 v[34:35], -v[30:31], v[32:33], 1.0
	v_fma_f64 v[32:33], v[32:33], v[34:35], v[32:33]
	v_div_scale_f64 v[34:35], vcc, v[28:29], v[26:27], v[28:29]
	v_mul_f64 v[42:43], v[34:35], v[32:33]
	v_fma_f64 v[30:31], -v[30:31], v[42:43], v[34:35]
	s_nop 1
	v_div_fmas_f64 v[30:31], v[30:31], v[32:33], v[42:43]
	s_and_b64 vcc, s[0:1], s[2:3]
	v_cmp_eq_f64_e64 s[2:3], 0, v[2:3]
	v_cmp_gt_i32_e64 s[0:1], 0, v5
	v_div_fixup_f64 v[26:27], v[30:31], v[26:27], v[28:29]
	v_mul_f64 v[28:29], v[26:27], v[26:27]
	v_fma_f64 v[30:31], v[28:29], s[26:27], v[22:23]
	v_fma_f64 v[30:31], v[28:29], v[30:31], s[28:29]
	;; [unrolled: 1-line block ×19, first 2 shown]
	v_mul_f64 v[28:29], v[28:29], v[30:31]
	v_cndmask_b32_e64 v30, v37, v38, s[0:1]
	v_cndmask_b32_e64 v31, v39, v40, s[0:1]
	v_fma_f64 v[26:27], v[26:27], v[28:29], v[26:27]
	v_ashrrev_i32_e32 v28, 31, v5
	v_and_b32_e32 v32, 0x400921fb, v28
	v_and_b32_e32 v33, 0x54442d18, v28
	v_add_f64 v[28:29], -v[26:27], s[66:67]
	v_cndmask_b32_e64 v27, v27, v29, s[4:5]
	v_cndmask_b32_e64 v26, v26, v28, s[4:5]
	v_add_f64 v[28:29], -v[26:27], s[68:69]
	v_cndmask_b32_e64 v27, v27, v29, s[0:1]
	v_cndmask_b32_e64 v26, v26, v28, s[0:1]
	;; [unrolled: 1-line block ×4, first 2 shown]
	v_cndmask_b32_e32 v27, v27, v31, vcc
	v_cndmask_b32_e32 v26, v26, v30, vcc
	v_cmp_o_f64_e32 vcc, v[4:5], v[2:3]
	v_cndmask_b32_e32 v4, v41, v27, vcc
	v_cndmask_b32_e32 v2, 0, v26, vcc
	v_bfi_b32 v3, s76, v4, v3
	v_mul_f64 v[4:5], v[2:3], 0.5
	v_fma_f64 v[2:3], v[24:25], s[70:71], v[4:5]
	v_fma_f64 v[4:5], v[4:5], s[70:71], -v[24:25]
	v_fma_f64 v[24:25], v[6:7], 0, -v[8:9]
	v_fma_f64 v[6:7], v[8:9], 0, v[6:7]
	v_add_f64 v[26:27], v[24:25], 1.0
	v_mul_f64 v[8:9], v[6:7], v[6:7]
	v_add_f64 v[28:29], -v[24:25], 1.0
	v_fma_f64 v[24:25], -v[24:25], v[24:25], 1.0
	v_fma_f64 v[26:27], v[26:27], v[26:27], v[8:9]
	v_fma_f64 v[8:9], v[28:29], v[28:29], v[8:9]
	v_fma_f64 v[24:25], -v[6:7], v[6:7], v[24:25]
	v_add_f64 v[6:7], v[6:7], v[6:7]
	v_frexp_mant_f64_e32 v[28:29], v[26:27]
	v_frexp_exp_i32_f64_e32 v30, v[26:27]
	v_cmp_class_f64_e64 s[2:3], v[24:25], s75
	v_cmp_lt_f64_e64 s[4:5], |v[24:25]|, |v[6:7]|
	v_cmp_gt_f64_e32 vcc, s[10:11], v[28:29]
	v_cndmask_b32_e64 v31, 0, 1, vcc
	v_ldexp_f64 v[28:29], v[28:29], v31
	v_subbrev_co_u32_e32 v48, vcc, 0, v30, vcc
	v_cmp_class_f64_e64 vcc, v[26:27], s75
	v_add_f64 v[32:33], v[28:29], 1.0
	v_add_f64 v[30:31], v[28:29], -1.0
	v_add_f64 v[34:35], v[32:33], -1.0
	v_add_f64 v[28:29], v[28:29], -v[34:35]
	v_rcp_f64_e32 v[34:35], v[32:33]
	v_fma_f64 v[42:43], -v[32:33], v[34:35], 1.0
	v_fma_f64 v[34:35], v[42:43], v[34:35], v[34:35]
	v_fma_f64 v[42:43], -v[32:33], v[34:35], 1.0
	v_fma_f64 v[34:35], v[42:43], v[34:35], v[34:35]
	v_mul_f64 v[42:43], v[30:31], v[34:35]
	v_mul_f64 v[44:45], v[32:33], v[42:43]
	v_fma_f64 v[32:33], v[42:43], v[32:33], -v[44:45]
	v_fma_f64 v[28:29], v[42:43], v[28:29], v[32:33]
	v_add_f64 v[32:33], v[44:45], v[28:29]
	v_add_f64 v[46:47], v[30:31], -v[32:33]
	v_add_f64 v[44:45], v[32:33], -v[44:45]
	;; [unrolled: 1-line block ×5, first 2 shown]
	v_add_f64 v[28:29], v[28:29], v[30:31]
	v_add_f64 v[28:29], v[46:47], v[28:29]
	v_mul_f64 v[28:29], v[34:35], v[28:29]
	v_add_f64 v[30:31], v[42:43], v[28:29]
	v_add_f64 v[32:33], v[30:31], -v[42:43]
	v_ldexp_f64 v[42:43], v[30:31], 1
	v_add_f64 v[28:29], v[28:29], -v[32:33]
	v_mul_f64 v[32:33], v[30:31], v[30:31]
	v_ldexp_f64 v[28:29], v[28:29], 1
	v_fma_f64 v[34:35], v[32:33], s[12:13], v[20:21]
	v_mul_f64 v[30:31], v[30:31], v[32:33]
	v_fma_f64 v[34:35], v[32:33], v[34:35], s[14:15]
	v_fma_f64 v[34:35], v[32:33], v[34:35], s[16:17]
	;; [unrolled: 1-line block ×5, first 2 shown]
	v_mul_f64 v[30:31], v[30:31], v[34:35]
	v_add_f64 v[32:33], v[42:43], v[30:31]
	v_add_f64 v[34:35], v[32:33], -v[42:43]
	v_add_f64 v[30:31], v[30:31], -v[34:35]
	v_add_f64 v[28:29], v[28:29], v[30:31]
	v_add_f64 v[30:31], v[32:33], v[28:29]
	v_add_f64 v[32:33], v[30:31], -v[32:33]
	v_add_f64 v[28:29], v[28:29], -v[32:33]
	v_cvt_f64_i32_e32 v[32:33], v48
	v_mul_f64 v[34:35], v[32:33], s[22:23]
	v_fma_f64 v[42:43], v[32:33], s[22:23], -v[34:35]
	v_fma_f64 v[32:33], v[32:33], s[24:25], v[42:43]
	v_add_f64 v[42:43], v[34:35], v[32:33]
	v_add_f64 v[34:35], v[42:43], -v[34:35]
	v_add_f64 v[32:33], v[32:33], -v[34:35]
	v_add_f64 v[34:35], v[42:43], v[30:31]
	v_add_f64 v[44:45], v[34:35], -v[42:43]
	v_add_f64 v[46:47], v[34:35], -v[44:45]
	;; [unrolled: 1-line block ×4, first 2 shown]
	v_add_f64 v[30:31], v[30:31], v[42:43]
	v_add_f64 v[42:43], v[32:33], v[28:29]
	v_add_f64 v[44:45], v[42:43], -v[32:33]
	v_add_f64 v[30:31], v[42:43], v[30:31]
	v_add_f64 v[46:47], v[42:43], -v[44:45]
	v_add_f64 v[28:29], v[28:29], -v[44:45]
	;; [unrolled: 1-line block ×3, first 2 shown]
	v_add_f64 v[28:29], v[28:29], v[32:33]
	v_add_f64 v[32:33], v[34:35], v[30:31]
	v_add_f64 v[34:35], v[32:33], -v[34:35]
	v_add_f64 v[30:31], v[30:31], -v[34:35]
	v_add_f64 v[28:29], v[28:29], v[30:31]
	v_frexp_exp_i32_f64_e32 v30, v[8:9]
	v_add_f64 v[28:29], v[32:33], v[28:29]
	v_cndmask_b32_e32 v28, v28, v26, vcc
	v_cndmask_b32_e32 v29, v29, v27, vcc
	v_cmp_neq_f64_e32 vcc, 0, v[26:27]
	v_cndmask_b32_e32 v27, v36, v29, vcc
	v_cndmask_b32_e32 v26, 0, v28, vcc
	v_frexp_mant_f64_e32 v[28:29], v[8:9]
	v_cmp_gt_f64_e32 vcc, s[10:11], v[28:29]
	v_cndmask_b32_e64 v31, 0, 1, vcc
	v_ldexp_f64 v[28:29], v[28:29], v31
	v_subbrev_co_u32_e32 v48, vcc, 0, v30, vcc
	v_cmp_class_f64_e64 vcc, v[8:9], s75
	v_add_f64 v[32:33], v[28:29], 1.0
	v_add_f64 v[30:31], v[28:29], -1.0
	v_add_f64 v[34:35], v[32:33], -1.0
	v_add_f64 v[28:29], v[28:29], -v[34:35]
	v_rcp_f64_e32 v[34:35], v[32:33]
	v_fma_f64 v[42:43], -v[32:33], v[34:35], 1.0
	v_fma_f64 v[34:35], v[42:43], v[34:35], v[34:35]
	v_fma_f64 v[42:43], -v[32:33], v[34:35], 1.0
	v_fma_f64 v[34:35], v[42:43], v[34:35], v[34:35]
	v_mul_f64 v[42:43], v[30:31], v[34:35]
	v_mul_f64 v[44:45], v[32:33], v[42:43]
	v_fma_f64 v[32:33], v[42:43], v[32:33], -v[44:45]
	v_fma_f64 v[28:29], v[42:43], v[28:29], v[32:33]
	v_add_f64 v[32:33], v[44:45], v[28:29]
	v_add_f64 v[46:47], v[30:31], -v[32:33]
	v_add_f64 v[44:45], v[32:33], -v[44:45]
	;; [unrolled: 1-line block ×5, first 2 shown]
	v_add_f64 v[28:29], v[28:29], v[30:31]
	v_add_f64 v[28:29], v[46:47], v[28:29]
	v_mul_f64 v[28:29], v[34:35], v[28:29]
	v_add_f64 v[30:31], v[42:43], v[28:29]
	v_add_f64 v[32:33], v[30:31], -v[42:43]
	v_ldexp_f64 v[42:43], v[30:31], 1
	v_add_f64 v[28:29], v[28:29], -v[32:33]
	v_mul_f64 v[32:33], v[30:31], v[30:31]
	v_ldexp_f64 v[28:29], v[28:29], 1
	v_fma_f64 v[34:35], v[32:33], s[12:13], v[20:21]
	v_mul_f64 v[30:31], v[30:31], v[32:33]
	v_fma_f64 v[34:35], v[32:33], v[34:35], s[14:15]
	v_fma_f64 v[34:35], v[32:33], v[34:35], s[16:17]
	;; [unrolled: 1-line block ×5, first 2 shown]
	v_mul_f64 v[30:31], v[30:31], v[34:35]
	v_add_f64 v[32:33], v[42:43], v[30:31]
	v_add_f64 v[34:35], v[32:33], -v[42:43]
	v_add_f64 v[30:31], v[30:31], -v[34:35]
	v_add_f64 v[28:29], v[28:29], v[30:31]
	v_add_f64 v[30:31], v[32:33], v[28:29]
	v_add_f64 v[32:33], v[30:31], -v[32:33]
	v_add_f64 v[28:29], v[28:29], -v[32:33]
	v_cvt_f64_i32_e32 v[32:33], v48
	v_mul_f64 v[34:35], v[32:33], s[22:23]
	v_fma_f64 v[42:43], v[32:33], s[22:23], -v[34:35]
	v_fma_f64 v[32:33], v[32:33], s[24:25], v[42:43]
	v_add_f64 v[42:43], v[34:35], v[32:33]
	v_add_f64 v[34:35], v[42:43], -v[34:35]
	v_add_f64 v[32:33], v[32:33], -v[34:35]
	v_add_f64 v[34:35], v[42:43], v[30:31]
	v_add_f64 v[44:45], v[34:35], -v[42:43]
	v_add_f64 v[46:47], v[34:35], -v[44:45]
	;; [unrolled: 1-line block ×4, first 2 shown]
	v_add_f64 v[30:31], v[30:31], v[42:43]
	v_add_f64 v[42:43], v[32:33], v[28:29]
	v_add_f64 v[44:45], v[42:43], -v[32:33]
	v_add_f64 v[30:31], v[42:43], v[30:31]
	v_add_f64 v[46:47], v[42:43], -v[44:45]
	v_add_f64 v[28:29], v[28:29], -v[44:45]
	v_add_f64 v[32:33], v[32:33], -v[46:47]
	v_add_f64 v[28:29], v[28:29], v[32:33]
	v_add_f64 v[32:33], v[34:35], v[30:31]
	v_add_f64 v[34:35], v[32:33], -v[34:35]
	v_add_f64 v[30:31], v[30:31], -v[34:35]
	v_add_f64 v[28:29], v[28:29], v[30:31]
	v_add_f64 v[28:29], v[32:33], v[28:29]
	v_cndmask_b32_e32 v28, v28, v8, vcc
	v_cndmask_b32_e32 v29, v29, v9, vcc
	v_cmp_neq_f64_e32 vcc, 0, v[8:9]
	v_cndmask_b32_e32 v9, v36, v29, vcc
	v_cndmask_b32_e32 v8, 0, v28, vcc
	v_add_f64 v[8:9], v[26:27], -v[8:9]
	v_max_f64 v[26:27], |v[24:25]|, |v[6:7]|
	v_min_f64 v[28:29], |v[24:25]|, |v[6:7]|
	v_ldexp_f64 v[8:9], v[8:9], -2
	v_div_scale_f64 v[30:31], s[0:1], v[26:27], v[26:27], v[28:29]
	v_cmp_class_f64_e64 s[0:1], v[6:7], s75
	v_rcp_f64_e32 v[32:33], v[30:31]
	v_fma_f64 v[34:35], -v[30:31], v[32:33], 1.0
	v_fma_f64 v[32:33], v[32:33], v[34:35], v[32:33]
	v_fma_f64 v[34:35], -v[30:31], v[32:33], 1.0
	v_fma_f64 v[32:33], v[32:33], v[34:35], v[32:33]
	v_div_scale_f64 v[34:35], vcc, v[28:29], v[26:27], v[28:29]
	v_mul_f64 v[42:43], v[34:35], v[32:33]
	v_fma_f64 v[30:31], -v[30:31], v[42:43], v[34:35]
	s_nop 1
	v_div_fmas_f64 v[30:31], v[30:31], v[32:33], v[42:43]
	s_and_b64 vcc, s[0:1], s[2:3]
	v_cmp_eq_f64_e64 s[2:3], 0, v[6:7]
	v_cmp_gt_i32_e64 s[0:1], 0, v25
	v_div_fixup_f64 v[26:27], v[30:31], v[26:27], v[28:29]
	v_mul_f64 v[28:29], v[26:27], v[26:27]
	v_fma_f64 v[30:31], v[28:29], s[26:27], v[22:23]
	v_fma_f64 v[30:31], v[28:29], v[30:31], s[28:29]
	;; [unrolled: 1-line block ×19, first 2 shown]
	v_mul_f64 v[28:29], v[28:29], v[30:31]
	v_cndmask_b32_e64 v30, v37, v38, s[0:1]
	v_cndmask_b32_e64 v31, v39, v40, s[0:1]
	v_fma_f64 v[26:27], v[26:27], v[28:29], v[26:27]
	v_ashrrev_i32_e32 v28, 31, v25
	v_and_b32_e32 v32, 0x400921fb, v28
	v_and_b32_e32 v33, 0x54442d18, v28
	v_add_f64 v[28:29], -v[26:27], s[66:67]
	v_cndmask_b32_e64 v27, v27, v29, s[4:5]
	v_cndmask_b32_e64 v26, v26, v28, s[4:5]
	v_add_f64 v[28:29], -v[26:27], s[68:69]
	v_cndmask_b32_e64 v27, v27, v29, s[0:1]
	v_cndmask_b32_e64 v26, v26, v28, s[0:1]
	;; [unrolled: 1-line block ×4, first 2 shown]
	v_cndmask_b32_e32 v27, v27, v31, vcc
	v_cndmask_b32_e32 v26, v26, v30, vcc
	v_cmp_o_f64_e32 vcc, v[24:25], v[6:7]
	v_cndmask_b32_e32 v24, v41, v27, vcc
	v_cndmask_b32_e32 v6, 0, v26, vcc
	v_bfi_b32 v7, s76, v24, v7
	v_mul_f64 v[24:25], v[6:7], 0.5
	v_fma_f64 v[6:7], v[8:9], s[70:71], v[24:25]
	v_fma_f64 v[8:9], v[24:25], s[70:71], -v[8:9]
	v_fma_f64 v[24:25], v[14:15], 0, -v[16:17]
	v_fma_f64 v[14:15], v[16:17], 0, v[14:15]
	v_add_f64 v[26:27], v[24:25], 1.0
	v_mul_f64 v[16:17], v[14:15], v[14:15]
	v_add_f64 v[28:29], -v[24:25], 1.0
	v_fma_f64 v[24:25], -v[24:25], v[24:25], 1.0
	v_fma_f64 v[26:27], v[26:27], v[26:27], v[16:17]
	v_fma_f64 v[16:17], v[28:29], v[28:29], v[16:17]
	v_fma_f64 v[24:25], -v[14:15], v[14:15], v[24:25]
	v_add_f64 v[14:15], v[14:15], v[14:15]
	v_frexp_mant_f64_e32 v[28:29], v[26:27]
	v_frexp_exp_i32_f64_e32 v30, v[26:27]
	v_cmp_class_f64_e64 s[2:3], v[24:25], s75
	v_cmp_lt_f64_e64 s[4:5], |v[24:25]|, |v[14:15]|
	v_cmp_gt_f64_e32 vcc, s[10:11], v[28:29]
	v_cndmask_b32_e64 v31, 0, 1, vcc
	v_ldexp_f64 v[28:29], v[28:29], v31
	v_subbrev_co_u32_e32 v48, vcc, 0, v30, vcc
	v_cmp_class_f64_e64 vcc, v[26:27], s75
	v_add_f64 v[32:33], v[28:29], 1.0
	v_add_f64 v[30:31], v[28:29], -1.0
	v_add_f64 v[34:35], v[32:33], -1.0
	v_add_f64 v[28:29], v[28:29], -v[34:35]
	v_rcp_f64_e32 v[34:35], v[32:33]
	v_fma_f64 v[42:43], -v[32:33], v[34:35], 1.0
	v_fma_f64 v[34:35], v[42:43], v[34:35], v[34:35]
	v_fma_f64 v[42:43], -v[32:33], v[34:35], 1.0
	v_fma_f64 v[34:35], v[42:43], v[34:35], v[34:35]
	v_mul_f64 v[42:43], v[30:31], v[34:35]
	v_mul_f64 v[44:45], v[32:33], v[42:43]
	v_fma_f64 v[32:33], v[42:43], v[32:33], -v[44:45]
	v_fma_f64 v[28:29], v[42:43], v[28:29], v[32:33]
	v_add_f64 v[32:33], v[44:45], v[28:29]
	v_add_f64 v[46:47], v[30:31], -v[32:33]
	v_add_f64 v[44:45], v[32:33], -v[44:45]
	;; [unrolled: 1-line block ×5, first 2 shown]
	v_add_f64 v[28:29], v[28:29], v[30:31]
	v_add_f64 v[28:29], v[46:47], v[28:29]
	v_mul_f64 v[28:29], v[34:35], v[28:29]
	v_add_f64 v[30:31], v[42:43], v[28:29]
	v_add_f64 v[32:33], v[30:31], -v[42:43]
	v_ldexp_f64 v[42:43], v[30:31], 1
	v_add_f64 v[28:29], v[28:29], -v[32:33]
	v_mul_f64 v[32:33], v[30:31], v[30:31]
	v_ldexp_f64 v[28:29], v[28:29], 1
	v_fma_f64 v[34:35], v[32:33], s[12:13], v[20:21]
	v_mul_f64 v[30:31], v[30:31], v[32:33]
	v_fma_f64 v[34:35], v[32:33], v[34:35], s[14:15]
	v_fma_f64 v[34:35], v[32:33], v[34:35], s[16:17]
	;; [unrolled: 1-line block ×5, first 2 shown]
	v_mul_f64 v[30:31], v[30:31], v[34:35]
	v_add_f64 v[32:33], v[42:43], v[30:31]
	v_add_f64 v[34:35], v[32:33], -v[42:43]
	v_add_f64 v[30:31], v[30:31], -v[34:35]
	v_add_f64 v[28:29], v[28:29], v[30:31]
	v_add_f64 v[30:31], v[32:33], v[28:29]
	v_add_f64 v[32:33], v[30:31], -v[32:33]
	v_add_f64 v[28:29], v[28:29], -v[32:33]
	v_cvt_f64_i32_e32 v[32:33], v48
	v_mul_f64 v[34:35], v[32:33], s[22:23]
	v_fma_f64 v[42:43], v[32:33], s[22:23], -v[34:35]
	v_fma_f64 v[32:33], v[32:33], s[24:25], v[42:43]
	v_add_f64 v[42:43], v[34:35], v[32:33]
	v_add_f64 v[34:35], v[42:43], -v[34:35]
	v_add_f64 v[32:33], v[32:33], -v[34:35]
	v_add_f64 v[34:35], v[42:43], v[30:31]
	v_add_f64 v[44:45], v[34:35], -v[42:43]
	v_add_f64 v[46:47], v[34:35], -v[44:45]
	;; [unrolled: 1-line block ×4, first 2 shown]
	v_add_f64 v[30:31], v[30:31], v[42:43]
	v_add_f64 v[42:43], v[32:33], v[28:29]
	v_add_f64 v[44:45], v[42:43], -v[32:33]
	v_add_f64 v[30:31], v[42:43], v[30:31]
	v_add_f64 v[46:47], v[42:43], -v[44:45]
	v_add_f64 v[28:29], v[28:29], -v[44:45]
	;; [unrolled: 1-line block ×3, first 2 shown]
	v_add_f64 v[28:29], v[28:29], v[32:33]
	v_add_f64 v[32:33], v[34:35], v[30:31]
	v_add_f64 v[34:35], v[32:33], -v[34:35]
	v_add_f64 v[30:31], v[30:31], -v[34:35]
	v_add_f64 v[28:29], v[28:29], v[30:31]
	v_add_f64 v[28:29], v[32:33], v[28:29]
	v_frexp_exp_i32_f64_e32 v32, v[16:17]
	v_cndmask_b32_e32 v28, v28, v26, vcc
	v_cndmask_b32_e32 v29, v29, v27, vcc
	v_cmp_neq_f64_e32 vcc, 0, v[26:27]
	v_cndmask_b32_e32 v27, v36, v29, vcc
	v_cndmask_b32_e32 v26, 0, v28, vcc
	v_frexp_mant_f64_e32 v[28:29], v[16:17]
	v_cmp_gt_f64_e32 vcc, s[10:11], v[28:29]
	v_cndmask_b32_e64 v30, 0, 1, vcc
	v_ldexp_f64 v[30:31], v[28:29], v30
	v_subbrev_co_u32_e32 v42, vcc, 0, v32, vcc
	v_cmp_class_f64_e64 vcc, v[16:17], s75
	v_add_f64 v[32:33], v[30:31], 1.0
	v_add_f64 v[28:29], v[30:31], -1.0
	v_add_f64 v[34:35], v[32:33], -1.0
	v_add_f64 v[30:31], v[30:31], -v[34:35]
	v_rcp_f64_e32 v[34:35], v[32:33]
	v_fma_f64 v[43:44], -v[32:33], v[34:35], 1.0
	v_fma_f64 v[34:35], v[43:44], v[34:35], v[34:35]
	v_fma_f64 v[43:44], -v[32:33], v[34:35], 1.0
	v_fma_f64 v[34:35], v[43:44], v[34:35], v[34:35]
	v_mul_f64 v[43:44], v[28:29], v[34:35]
	v_mul_f64 v[45:46], v[32:33], v[43:44]
	v_fma_f64 v[32:33], v[43:44], v[32:33], -v[45:46]
	v_fma_f64 v[30:31], v[43:44], v[30:31], v[32:33]
	v_add_f64 v[32:33], v[45:46], v[30:31]
	v_add_f64 v[47:48], v[28:29], -v[32:33]
	v_add_f64 v[45:46], v[32:33], -v[45:46]
	;; [unrolled: 1-line block ×5, first 2 shown]
	v_add_f64 v[28:29], v[30:31], v[28:29]
	v_add_f64 v[28:29], v[47:48], v[28:29]
	v_mul_f64 v[28:29], v[34:35], v[28:29]
	v_add_f64 v[30:31], v[43:44], v[28:29]
	v_add_f64 v[32:33], v[30:31], -v[43:44]
	v_ldexp_f64 v[43:44], v[30:31], 1
	v_add_f64 v[28:29], v[28:29], -v[32:33]
	v_mul_f64 v[32:33], v[30:31], v[30:31]
	v_ldexp_f64 v[28:29], v[28:29], 1
	v_fma_f64 v[34:35], v[32:33], s[12:13], v[20:21]
	v_mul_f64 v[30:31], v[30:31], v[32:33]
	v_fma_f64 v[34:35], v[32:33], v[34:35], s[14:15]
	v_fma_f64 v[34:35], v[32:33], v[34:35], s[16:17]
	v_fma_f64 v[34:35], v[32:33], v[34:35], s[18:19]
	v_fma_f64 v[34:35], v[32:33], v[34:35], s[20:21]
	v_fma_f64 v[34:35], v[32:33], v[34:35], s[8:9]
	v_mul_f64 v[30:31], v[30:31], v[34:35]
	v_add_f64 v[32:33], v[43:44], v[30:31]
	v_add_f64 v[34:35], v[32:33], -v[43:44]
	v_add_f64 v[30:31], v[30:31], -v[34:35]
	v_add_f64 v[28:29], v[28:29], v[30:31]
	v_add_f64 v[30:31], v[32:33], v[28:29]
	v_add_f64 v[32:33], v[30:31], -v[32:33]
	v_add_f64 v[28:29], v[28:29], -v[32:33]
	v_cvt_f64_i32_e32 v[32:33], v42
	v_mul_f64 v[34:35], v[32:33], s[22:23]
	v_fma_f64 v[42:43], v[32:33], s[22:23], -v[34:35]
	v_fma_f64 v[32:33], v[32:33], s[24:25], v[42:43]
	v_add_f64 v[42:43], v[34:35], v[32:33]
	v_add_f64 v[34:35], v[42:43], -v[34:35]
	v_add_f64 v[32:33], v[32:33], -v[34:35]
	v_add_f64 v[34:35], v[42:43], v[30:31]
	v_add_f64 v[44:45], v[34:35], -v[42:43]
	v_add_f64 v[46:47], v[34:35], -v[44:45]
	;; [unrolled: 1-line block ×4, first 2 shown]
	v_add_f64 v[30:31], v[30:31], v[42:43]
	v_add_f64 v[42:43], v[32:33], v[28:29]
	v_add_f64 v[44:45], v[42:43], -v[32:33]
	v_add_f64 v[30:31], v[42:43], v[30:31]
	v_add_f64 v[46:47], v[42:43], -v[44:45]
	v_add_f64 v[28:29], v[28:29], -v[44:45]
	;; [unrolled: 1-line block ×3, first 2 shown]
	v_add_f64 v[28:29], v[28:29], v[32:33]
	v_add_f64 v[32:33], v[34:35], v[30:31]
	v_add_f64 v[34:35], v[32:33], -v[34:35]
	v_add_f64 v[30:31], v[30:31], -v[34:35]
	v_add_f64 v[28:29], v[28:29], v[30:31]
	v_add_f64 v[28:29], v[32:33], v[28:29]
	v_cndmask_b32_e32 v28, v28, v16, vcc
	v_cndmask_b32_e32 v29, v29, v17, vcc
	v_cmp_neq_f64_e32 vcc, 0, v[16:17]
	v_cndmask_b32_e32 v17, v36, v29, vcc
	v_cndmask_b32_e32 v16, 0, v28, vcc
	v_add_f64 v[16:17], v[26:27], -v[16:17]
	v_max_f64 v[26:27], |v[24:25]|, |v[14:15]|
	v_min_f64 v[28:29], |v[24:25]|, |v[14:15]|
	v_ldexp_f64 v[16:17], v[16:17], -2
	v_div_scale_f64 v[30:31], s[0:1], v[26:27], v[26:27], v[28:29]
	v_cmp_class_f64_e64 s[0:1], v[14:15], s75
	v_rcp_f64_e32 v[32:33], v[30:31]
	v_fma_f64 v[34:35], -v[30:31], v[32:33], 1.0
	v_fma_f64 v[32:33], v[32:33], v[34:35], v[32:33]
	v_fma_f64 v[34:35], -v[30:31], v[32:33], 1.0
	v_fma_f64 v[32:33], v[32:33], v[34:35], v[32:33]
	v_div_scale_f64 v[34:35], vcc, v[28:29], v[26:27], v[28:29]
	v_mul_f64 v[42:43], v[34:35], v[32:33]
	v_fma_f64 v[30:31], -v[30:31], v[42:43], v[34:35]
	s_nop 1
	v_div_fmas_f64 v[30:31], v[30:31], v[32:33], v[42:43]
	s_and_b64 vcc, s[0:1], s[2:3]
	v_cmp_eq_f64_e64 s[2:3], 0, v[14:15]
	v_cmp_gt_i32_e64 s[0:1], 0, v25
	v_div_fixup_f64 v[26:27], v[30:31], v[26:27], v[28:29]
	v_mul_f64 v[28:29], v[26:27], v[26:27]
	v_fma_f64 v[30:31], v[28:29], s[26:27], v[22:23]
	v_fma_f64 v[30:31], v[28:29], v[30:31], s[28:29]
	;; [unrolled: 1-line block ×19, first 2 shown]
	v_mul_f64 v[28:29], v[28:29], v[30:31]
	v_cndmask_b32_e64 v30, v37, v38, s[0:1]
	v_cndmask_b32_e64 v31, v39, v40, s[0:1]
	v_fma_f64 v[26:27], v[26:27], v[28:29], v[26:27]
	v_ashrrev_i32_e32 v28, 31, v25
	v_and_b32_e32 v32, 0x400921fb, v28
	v_and_b32_e32 v33, 0x54442d18, v28
	v_add_f64 v[28:29], -v[26:27], s[66:67]
	v_cndmask_b32_e64 v27, v27, v29, s[4:5]
	v_cndmask_b32_e64 v26, v26, v28, s[4:5]
	v_add_f64 v[28:29], -v[26:27], s[68:69]
	v_cndmask_b32_e64 v27, v27, v29, s[0:1]
	v_cndmask_b32_e64 v26, v26, v28, s[0:1]
	;; [unrolled: 1-line block ×4, first 2 shown]
	v_cndmask_b32_e32 v27, v27, v31, vcc
	v_cndmask_b32_e32 v26, v26, v30, vcc
	v_cmp_o_f64_e32 vcc, v[24:25], v[14:15]
	v_cndmask_b32_e32 v24, v41, v27, vcc
	v_cndmask_b32_e32 v14, 0, v26, vcc
	v_bfi_b32 v15, s76, v24, v15
	v_mul_f64 v[24:25], v[14:15], 0.5
	v_fma_f64 v[14:15], v[16:17], s[70:71], v[24:25]
	v_fma_f64 v[16:17], v[24:25], s[70:71], -v[16:17]
	v_fma_f64 v[24:25], v[10:11], 0, -v[12:13]
	v_fma_f64 v[12:13], v[12:13], 0, v[10:11]
	v_add_f64 v[26:27], v[24:25], 1.0
	v_mul_f64 v[10:11], v[12:13], v[12:13]
	v_add_f64 v[28:29], -v[24:25], 1.0
	v_fma_f64 v[24:25], -v[24:25], v[24:25], 1.0
	v_fma_f64 v[26:27], v[26:27], v[26:27], v[10:11]
	v_fma_f64 v[10:11], v[28:29], v[28:29], v[10:11]
	v_fma_f64 v[24:25], -v[12:13], v[12:13], v[24:25]
	v_add_f64 v[12:13], v[12:13], v[12:13]
	v_frexp_mant_f64_e32 v[28:29], v[26:27]
	v_frexp_exp_i32_f64_e32 v30, v[26:27]
	v_cmp_class_f64_e64 s[2:3], v[24:25], s75
	v_cmp_lt_f64_e64 s[4:5], |v[24:25]|, |v[12:13]|
	v_cmp_gt_f64_e32 vcc, s[10:11], v[28:29]
	v_cndmask_b32_e64 v31, 0, 1, vcc
	v_ldexp_f64 v[28:29], v[28:29], v31
	v_subbrev_co_u32_e32 v48, vcc, 0, v30, vcc
	v_cmp_class_f64_e64 vcc, v[26:27], s75
	v_add_f64 v[32:33], v[28:29], 1.0
	v_add_f64 v[30:31], v[28:29], -1.0
	v_add_f64 v[34:35], v[32:33], -1.0
	v_add_f64 v[28:29], v[28:29], -v[34:35]
	v_rcp_f64_e32 v[34:35], v[32:33]
	v_fma_f64 v[42:43], -v[32:33], v[34:35], 1.0
	v_fma_f64 v[34:35], v[42:43], v[34:35], v[34:35]
	v_fma_f64 v[42:43], -v[32:33], v[34:35], 1.0
	v_fma_f64 v[34:35], v[42:43], v[34:35], v[34:35]
	v_mul_f64 v[42:43], v[30:31], v[34:35]
	v_mul_f64 v[44:45], v[32:33], v[42:43]
	v_fma_f64 v[32:33], v[42:43], v[32:33], -v[44:45]
	v_fma_f64 v[28:29], v[42:43], v[28:29], v[32:33]
	v_add_f64 v[32:33], v[44:45], v[28:29]
	v_add_f64 v[46:47], v[30:31], -v[32:33]
	v_add_f64 v[44:45], v[32:33], -v[44:45]
	;; [unrolled: 1-line block ×5, first 2 shown]
	v_add_f64 v[28:29], v[28:29], v[30:31]
	v_add_f64 v[28:29], v[46:47], v[28:29]
	v_mul_f64 v[28:29], v[34:35], v[28:29]
	v_add_f64 v[30:31], v[42:43], v[28:29]
	v_add_f64 v[32:33], v[30:31], -v[42:43]
	v_ldexp_f64 v[42:43], v[30:31], 1
	v_add_f64 v[28:29], v[28:29], -v[32:33]
	v_mul_f64 v[32:33], v[30:31], v[30:31]
	v_ldexp_f64 v[28:29], v[28:29], 1
	v_fma_f64 v[34:35], v[32:33], s[12:13], v[20:21]
	v_mul_f64 v[30:31], v[30:31], v[32:33]
	v_fma_f64 v[34:35], v[32:33], v[34:35], s[14:15]
	v_fma_f64 v[34:35], v[32:33], v[34:35], s[16:17]
	;; [unrolled: 1-line block ×5, first 2 shown]
	v_mul_f64 v[30:31], v[30:31], v[34:35]
	v_add_f64 v[32:33], v[42:43], v[30:31]
	v_add_f64 v[34:35], v[32:33], -v[42:43]
	v_add_f64 v[30:31], v[30:31], -v[34:35]
	v_add_f64 v[28:29], v[28:29], v[30:31]
	v_add_f64 v[30:31], v[32:33], v[28:29]
	v_add_f64 v[32:33], v[30:31], -v[32:33]
	v_add_f64 v[28:29], v[28:29], -v[32:33]
	v_cvt_f64_i32_e32 v[32:33], v48
	v_mul_f64 v[34:35], v[32:33], s[22:23]
	v_fma_f64 v[42:43], v[32:33], s[22:23], -v[34:35]
	v_fma_f64 v[32:33], v[32:33], s[24:25], v[42:43]
	v_add_f64 v[42:43], v[34:35], v[32:33]
	v_add_f64 v[34:35], v[42:43], -v[34:35]
	v_add_f64 v[32:33], v[32:33], -v[34:35]
	v_add_f64 v[34:35], v[42:43], v[30:31]
	v_add_f64 v[44:45], v[34:35], -v[42:43]
	v_add_f64 v[46:47], v[34:35], -v[44:45]
	;; [unrolled: 1-line block ×4, first 2 shown]
	v_add_f64 v[30:31], v[30:31], v[42:43]
	v_add_f64 v[42:43], v[32:33], v[28:29]
	v_add_f64 v[44:45], v[42:43], -v[32:33]
	v_add_f64 v[30:31], v[42:43], v[30:31]
	v_add_f64 v[46:47], v[42:43], -v[44:45]
	v_add_f64 v[28:29], v[28:29], -v[44:45]
	v_add_f64 v[32:33], v[32:33], -v[46:47]
	v_add_f64 v[28:29], v[28:29], v[32:33]
	v_add_f64 v[32:33], v[34:35], v[30:31]
	v_add_f64 v[34:35], v[32:33], -v[34:35]
	v_add_f64 v[30:31], v[30:31], -v[34:35]
	v_add_f64 v[28:29], v[28:29], v[30:31]
	v_frexp_exp_i32_f64_e32 v30, v[10:11]
	v_add_f64 v[28:29], v[32:33], v[28:29]
	v_cndmask_b32_e32 v28, v28, v26, vcc
	v_cndmask_b32_e32 v29, v29, v27, vcc
	v_cmp_neq_f64_e32 vcc, 0, v[26:27]
	v_cndmask_b32_e32 v27, v36, v29, vcc
	v_cndmask_b32_e32 v26, 0, v28, vcc
	v_frexp_mant_f64_e32 v[28:29], v[10:11]
	v_cmp_gt_f64_e32 vcc, s[10:11], v[28:29]
	v_cndmask_b32_e64 v31, 0, 1, vcc
	v_ldexp_f64 v[28:29], v[28:29], v31
	v_subbrev_co_u32_e32 v48, vcc, 0, v30, vcc
	v_cmp_class_f64_e64 vcc, v[10:11], s75
	v_add_f64 v[32:33], v[28:29], 1.0
	v_add_f64 v[30:31], v[28:29], -1.0
	v_add_f64 v[34:35], v[32:33], -1.0
	v_add_f64 v[28:29], v[28:29], -v[34:35]
	v_rcp_f64_e32 v[34:35], v[32:33]
	v_fma_f64 v[42:43], -v[32:33], v[34:35], 1.0
	v_fma_f64 v[34:35], v[42:43], v[34:35], v[34:35]
	v_fma_f64 v[42:43], -v[32:33], v[34:35], 1.0
	v_fma_f64 v[34:35], v[42:43], v[34:35], v[34:35]
	v_mul_f64 v[42:43], v[30:31], v[34:35]
	v_mul_f64 v[44:45], v[32:33], v[42:43]
	v_fma_f64 v[32:33], v[42:43], v[32:33], -v[44:45]
	v_fma_f64 v[28:29], v[42:43], v[28:29], v[32:33]
	v_add_f64 v[32:33], v[44:45], v[28:29]
	v_add_f64 v[46:47], v[30:31], -v[32:33]
	v_add_f64 v[44:45], v[32:33], -v[44:45]
	;; [unrolled: 1-line block ×5, first 2 shown]
	v_add_f64 v[28:29], v[28:29], v[30:31]
	v_add_f64 v[28:29], v[46:47], v[28:29]
	v_mul_f64 v[28:29], v[34:35], v[28:29]
	v_add_f64 v[30:31], v[42:43], v[28:29]
	v_add_f64 v[32:33], v[30:31], -v[42:43]
	v_ldexp_f64 v[42:43], v[30:31], 1
	v_add_f64 v[28:29], v[28:29], -v[32:33]
	v_mul_f64 v[32:33], v[30:31], v[30:31]
	v_ldexp_f64 v[28:29], v[28:29], 1
	v_fma_f64 v[34:35], v[32:33], s[12:13], v[20:21]
	v_mul_f64 v[30:31], v[30:31], v[32:33]
	v_fma_f64 v[34:35], v[32:33], v[34:35], s[14:15]
	v_fma_f64 v[34:35], v[32:33], v[34:35], s[16:17]
	;; [unrolled: 1-line block ×5, first 2 shown]
	v_mul_f64 v[30:31], v[30:31], v[34:35]
	v_add_f64 v[32:33], v[42:43], v[30:31]
	v_add_f64 v[34:35], v[32:33], -v[42:43]
	v_add_f64 v[30:31], v[30:31], -v[34:35]
	v_add_f64 v[28:29], v[28:29], v[30:31]
	v_add_f64 v[30:31], v[32:33], v[28:29]
	v_add_f64 v[32:33], v[30:31], -v[32:33]
	v_add_f64 v[28:29], v[28:29], -v[32:33]
	v_cvt_f64_i32_e32 v[32:33], v48
	v_mul_f64 v[34:35], v[32:33], s[22:23]
	v_fma_f64 v[42:43], v[32:33], s[22:23], -v[34:35]
	v_fma_f64 v[32:33], v[32:33], s[24:25], v[42:43]
	v_add_f64 v[42:43], v[34:35], v[32:33]
	v_add_f64 v[34:35], v[42:43], -v[34:35]
	v_add_f64 v[32:33], v[32:33], -v[34:35]
	v_add_f64 v[34:35], v[42:43], v[30:31]
	v_add_f64 v[44:45], v[34:35], -v[42:43]
	v_add_f64 v[46:47], v[34:35], -v[44:45]
	;; [unrolled: 1-line block ×4, first 2 shown]
	v_add_f64 v[30:31], v[30:31], v[42:43]
	v_add_f64 v[42:43], v[32:33], v[28:29]
	v_add_f64 v[44:45], v[42:43], -v[32:33]
	v_add_f64 v[30:31], v[42:43], v[30:31]
	v_add_f64 v[46:47], v[42:43], -v[44:45]
	v_add_f64 v[28:29], v[28:29], -v[44:45]
	;; [unrolled: 1-line block ×3, first 2 shown]
	v_add_f64 v[28:29], v[28:29], v[32:33]
	v_add_f64 v[32:33], v[34:35], v[30:31]
	v_add_f64 v[34:35], v[32:33], -v[34:35]
	v_add_f64 v[30:31], v[30:31], -v[34:35]
	v_add_f64 v[28:29], v[28:29], v[30:31]
	v_add_f64 v[28:29], v[32:33], v[28:29]
	v_cndmask_b32_e32 v28, v28, v10, vcc
	v_cndmask_b32_e32 v29, v29, v11, vcc
	v_cmp_neq_f64_e32 vcc, 0, v[10:11]
	v_cndmask_b32_e32 v11, v36, v29, vcc
	v_cndmask_b32_e32 v10, 0, v28, vcc
	v_add_f64 v[10:11], v[26:27], -v[10:11]
	v_max_f64 v[26:27], |v[24:25]|, |v[12:13]|
	v_min_f64 v[28:29], |v[24:25]|, |v[12:13]|
	v_ldexp_f64 v[10:11], v[10:11], -2
	v_div_scale_f64 v[30:31], s[0:1], v[26:27], v[26:27], v[28:29]
	v_cmp_class_f64_e64 s[0:1], v[12:13], s75
	v_rcp_f64_e32 v[32:33], v[30:31]
	v_fma_f64 v[34:35], -v[30:31], v[32:33], 1.0
	v_fma_f64 v[32:33], v[32:33], v[34:35], v[32:33]
	v_fma_f64 v[34:35], -v[30:31], v[32:33], 1.0
	v_fma_f64 v[32:33], v[32:33], v[34:35], v[32:33]
	v_div_scale_f64 v[34:35], vcc, v[28:29], v[26:27], v[28:29]
	v_mul_f64 v[42:43], v[34:35], v[32:33]
	v_fma_f64 v[30:31], -v[30:31], v[42:43], v[34:35]
	s_nop 1
	v_div_fmas_f64 v[30:31], v[30:31], v[32:33], v[42:43]
	s_and_b64 vcc, s[0:1], s[2:3]
	v_cmp_eq_f64_e64 s[0:1], 0, v[12:13]
	v_cmp_gt_i32_e64 s[2:3], 0, v25
	v_div_fixup_f64 v[26:27], v[30:31], v[26:27], v[28:29]
	v_mul_f64 v[28:29], v[26:27], v[26:27]
	v_fma_f64 v[30:31], v[28:29], s[26:27], v[22:23]
	v_fma_f64 v[30:31], v[28:29], v[30:31], s[28:29]
	;; [unrolled: 1-line block ×19, first 2 shown]
	v_mul_f64 v[28:29], v[28:29], v[30:31]
	v_fma_f64 v[30:31], v[26:27], v[28:29], v[26:27]
	v_ashrrev_i32_e32 v29, 31, v25
	v_and_b32_e32 v28, 0x400921fb, v29
	v_and_b32_e32 v29, 0x54442d18, v29
	v_cndmask_b32_e64 v26, v37, v38, s[2:3]
	v_cndmask_b32_e64 v27, v39, v40, s[2:3]
	v_add_f64 v[32:33], -v[30:31], s[66:67]
	v_cndmask_b32_e64 v33, v31, v33, s[4:5]
	v_cndmask_b32_e64 v32, v30, v32, s[4:5]
	v_add_f64 v[34:35], -v[32:33], s[68:69]
	v_cndmask_b32_e64 v30, v33, v35, s[2:3]
	v_cndmask_b32_e64 v31, v32, v34, s[2:3]
	;; [unrolled: 1-line block ×4, first 2 shown]
	v_cndmask_b32_e32 v27, v28, v27, vcc
	v_cndmask_b32_e32 v26, v29, v26, vcc
	v_cmp_o_f64_e32 vcc, v[24:25], v[12:13]
	v_cndmask_b32_e32 v24, v41, v27, vcc
	v_cndmask_b32_e32 v12, 0, v26, vcc
	v_bfi_b32 v13, s76, v24, v13
	v_mul_f64 v[12:13], v[12:13], 0.5
	v_add_co_u32_e32 v0, vcc, s33, v0
	v_addc_co_u32_e32 v1, vcc, 0, v1, vcc
	v_fma_f64 v[24:25], v[10:11], s[70:71], v[12:13]
	v_fma_f64 v[26:27], v[12:13], s[70:71], -v[10:11]
	global_store_dwordx4 v[18:19], v[2:5], off
	global_store_dwordx4 v[18:19], v[6:9], off offset:16
	global_store_dwordx4 v[18:19], v[14:17], off offset:32
	global_store_dwordx4 v[18:19], v[24:27], off offset:48
	v_lshlrev_b64 v[2:3], 2, v[0:1]
	v_add_co_u32_e32 v18, vcc, s74, v18
	v_addc_co_u32_e32 v19, vcc, 0, v19, vcc
	v_cmp_le_i64_e32 vcc, s[6:7], v[2:3]
	s_or_b64 s[72:73], vcc, s[72:73]
	s_andn2_b64 exec, exec, s[72:73]
	s_cbranch_execnz .LBB73_24
.LBB73_25:
	s_endpgm
	.section	.rodata,"a",@progbits
	.p2align	6, 0x0
	.amdhsa_kernel _ZN2at6native12_GLOBAL__N_125multi_tensor_apply_kernelINS1_18TensorListMetadataILi1EEENS1_14UnaryOpFunctorIN3c107complexIdEELi1ELi1ELi0EEEJNS0_4AtanIS8_EEEEEvT_T0_DpT1_
		.amdhsa_group_segment_fixed_size 0
		.amdhsa_private_segment_fixed_size 0
		.amdhsa_kernarg_size 3632
		.amdhsa_user_sgpr_count 6
		.amdhsa_user_sgpr_private_segment_buffer 1
		.amdhsa_user_sgpr_dispatch_ptr 0
		.amdhsa_user_sgpr_queue_ptr 0
		.amdhsa_user_sgpr_kernarg_segment_ptr 1
		.amdhsa_user_sgpr_dispatch_id 0
		.amdhsa_user_sgpr_flat_scratch_init 0
		.amdhsa_user_sgpr_private_segment_size 0
		.amdhsa_uses_dynamic_stack 0
		.amdhsa_system_sgpr_private_segment_wavefront_offset 0
		.amdhsa_system_sgpr_workgroup_id_x 1
		.amdhsa_system_sgpr_workgroup_id_y 0
		.amdhsa_system_sgpr_workgroup_id_z 0
		.amdhsa_system_sgpr_workgroup_info 0
		.amdhsa_system_vgpr_workitem_id 0
		.amdhsa_next_free_vgpr 82
		.amdhsa_next_free_sgpr 96
		.amdhsa_reserve_vcc 1
		.amdhsa_reserve_flat_scratch 0
		.amdhsa_float_round_mode_32 0
		.amdhsa_float_round_mode_16_64 0
		.amdhsa_float_denorm_mode_32 3
		.amdhsa_float_denorm_mode_16_64 3
		.amdhsa_dx10_clamp 1
		.amdhsa_ieee_mode 1
		.amdhsa_fp16_overflow 0
		.amdhsa_exception_fp_ieee_invalid_op 0
		.amdhsa_exception_fp_denorm_src 0
		.amdhsa_exception_fp_ieee_div_zero 0
		.amdhsa_exception_fp_ieee_overflow 0
		.amdhsa_exception_fp_ieee_underflow 0
		.amdhsa_exception_fp_ieee_inexact 0
		.amdhsa_exception_int_div_zero 0
	.end_amdhsa_kernel
	.section	.text._ZN2at6native12_GLOBAL__N_125multi_tensor_apply_kernelINS1_18TensorListMetadataILi1EEENS1_14UnaryOpFunctorIN3c107complexIdEELi1ELi1ELi0EEEJNS0_4AtanIS8_EEEEEvT_T0_DpT1_,"axG",@progbits,_ZN2at6native12_GLOBAL__N_125multi_tensor_apply_kernelINS1_18TensorListMetadataILi1EEENS1_14UnaryOpFunctorIN3c107complexIdEELi1ELi1ELi0EEEJNS0_4AtanIS8_EEEEEvT_T0_DpT1_,comdat
.Lfunc_end73:
	.size	_ZN2at6native12_GLOBAL__N_125multi_tensor_apply_kernelINS1_18TensorListMetadataILi1EEENS1_14UnaryOpFunctorIN3c107complexIdEELi1ELi1ELi0EEEJNS0_4AtanIS8_EEEEEvT_T0_DpT1_, .Lfunc_end73-_ZN2at6native12_GLOBAL__N_125multi_tensor_apply_kernelINS1_18TensorListMetadataILi1EEENS1_14UnaryOpFunctorIN3c107complexIdEELi1ELi1ELi0EEEJNS0_4AtanIS8_EEEEEvT_T0_DpT1_
                                        ; -- End function
	.set _ZN2at6native12_GLOBAL__N_125multi_tensor_apply_kernelINS1_18TensorListMetadataILi1EEENS1_14UnaryOpFunctorIN3c107complexIdEELi1ELi1ELi0EEEJNS0_4AtanIS8_EEEEEvT_T0_DpT1_.num_vgpr, 82
	.set _ZN2at6native12_GLOBAL__N_125multi_tensor_apply_kernelINS1_18TensorListMetadataILi1EEENS1_14UnaryOpFunctorIN3c107complexIdEELi1ELi1ELi0EEEJNS0_4AtanIS8_EEEEEvT_T0_DpT1_.num_agpr, 0
	.set _ZN2at6native12_GLOBAL__N_125multi_tensor_apply_kernelINS1_18TensorListMetadataILi1EEENS1_14UnaryOpFunctorIN3c107complexIdEELi1ELi1ELi0EEEJNS0_4AtanIS8_EEEEEvT_T0_DpT1_.numbered_sgpr, 96
	.set _ZN2at6native12_GLOBAL__N_125multi_tensor_apply_kernelINS1_18TensorListMetadataILi1EEENS1_14UnaryOpFunctorIN3c107complexIdEELi1ELi1ELi0EEEJNS0_4AtanIS8_EEEEEvT_T0_DpT1_.num_named_barrier, 0
	.set _ZN2at6native12_GLOBAL__N_125multi_tensor_apply_kernelINS1_18TensorListMetadataILi1EEENS1_14UnaryOpFunctorIN3c107complexIdEELi1ELi1ELi0EEEJNS0_4AtanIS8_EEEEEvT_T0_DpT1_.private_seg_size, 0
	.set _ZN2at6native12_GLOBAL__N_125multi_tensor_apply_kernelINS1_18TensorListMetadataILi1EEENS1_14UnaryOpFunctorIN3c107complexIdEELi1ELi1ELi0EEEJNS0_4AtanIS8_EEEEEvT_T0_DpT1_.uses_vcc, 1
	.set _ZN2at6native12_GLOBAL__N_125multi_tensor_apply_kernelINS1_18TensorListMetadataILi1EEENS1_14UnaryOpFunctorIN3c107complexIdEELi1ELi1ELi0EEEJNS0_4AtanIS8_EEEEEvT_T0_DpT1_.uses_flat_scratch, 0
	.set _ZN2at6native12_GLOBAL__N_125multi_tensor_apply_kernelINS1_18TensorListMetadataILi1EEENS1_14UnaryOpFunctorIN3c107complexIdEELi1ELi1ELi0EEEJNS0_4AtanIS8_EEEEEvT_T0_DpT1_.has_dyn_sized_stack, 0
	.set _ZN2at6native12_GLOBAL__N_125multi_tensor_apply_kernelINS1_18TensorListMetadataILi1EEENS1_14UnaryOpFunctorIN3c107complexIdEELi1ELi1ELi0EEEJNS0_4AtanIS8_EEEEEvT_T0_DpT1_.has_recursion, 0
	.set _ZN2at6native12_GLOBAL__N_125multi_tensor_apply_kernelINS1_18TensorListMetadataILi1EEENS1_14UnaryOpFunctorIN3c107complexIdEELi1ELi1ELi0EEEJNS0_4AtanIS8_EEEEEvT_T0_DpT1_.has_indirect_call, 0
	.section	.AMDGPU.csdata,"",@progbits
; Kernel info:
; codeLenInByte = 16720
; TotalNumSgprs: 100
; NumVgprs: 82
; ScratchSize: 0
; MemoryBound: 1
; FloatMode: 240
; IeeeMode: 1
; LDSByteSize: 0 bytes/workgroup (compile time only)
; SGPRBlocks: 12
; VGPRBlocks: 20
; NumSGPRsForWavesPerEU: 100
; NumVGPRsForWavesPerEU: 82
; Occupancy: 3
; WaveLimiterHint : 0
; COMPUTE_PGM_RSRC2:SCRATCH_EN: 0
; COMPUTE_PGM_RSRC2:USER_SGPR: 6
; COMPUTE_PGM_RSRC2:TRAP_HANDLER: 0
; COMPUTE_PGM_RSRC2:TGID_X_EN: 1
; COMPUTE_PGM_RSRC2:TGID_Y_EN: 0
; COMPUTE_PGM_RSRC2:TGID_Z_EN: 0
; COMPUTE_PGM_RSRC2:TIDIG_COMP_CNT: 0
	.section	.text._ZN2at6native12_GLOBAL__N_125multi_tensor_apply_kernelINS1_18TensorListMetadataILi1EEENS1_14UnaryOpFunctorIN3c107complexIfEELi1ELi1ELi0EEEJNS0_4AtanIS8_EEEEEvT_T0_DpT1_,"axG",@progbits,_ZN2at6native12_GLOBAL__N_125multi_tensor_apply_kernelINS1_18TensorListMetadataILi1EEENS1_14UnaryOpFunctorIN3c107complexIfEELi1ELi1ELi0EEEJNS0_4AtanIS8_EEEEEvT_T0_DpT1_,comdat
	.globl	_ZN2at6native12_GLOBAL__N_125multi_tensor_apply_kernelINS1_18TensorListMetadataILi1EEENS1_14UnaryOpFunctorIN3c107complexIfEELi1ELi1ELi0EEEJNS0_4AtanIS8_EEEEEvT_T0_DpT1_ ; -- Begin function _ZN2at6native12_GLOBAL__N_125multi_tensor_apply_kernelINS1_18TensorListMetadataILi1EEENS1_14UnaryOpFunctorIN3c107complexIfEELi1ELi1ELi0EEEJNS0_4AtanIS8_EEEEEvT_T0_DpT1_
	.p2align	8
	.type	_ZN2at6native12_GLOBAL__N_125multi_tensor_apply_kernelINS1_18TensorListMetadataILi1EEENS1_14UnaryOpFunctorIN3c107complexIfEELi1ELi1ELi0EEEJNS0_4AtanIS8_EEEEEvT_T0_DpT1_,@function
_ZN2at6native12_GLOBAL__N_125multi_tensor_apply_kernelINS1_18TensorListMetadataILi1EEENS1_14UnaryOpFunctorIN3c107complexIfEELi1ELi1ELi0EEEJNS0_4AtanIS8_EEEEEvT_T0_DpT1_: ; @_ZN2at6native12_GLOBAL__N_125multi_tensor_apply_kernelINS1_18TensorListMetadataILi1EEENS1_14UnaryOpFunctorIN3c107complexIfEELi1ELi1ELi0EEEJNS0_4AtanIS8_EEEEEvT_T0_DpT1_
; %bb.0:
	v_mov_b32_e32 v1, s8
	global_load_ubyte v1, v1, s[4:5] offset:1760
	s_add_u32 flat_scratch_lo, s6, s9
	s_addc_u32 flat_scratch_hi, s7, 0
	s_add_u32 s0, s0, s9
	s_addc_u32 s1, s1, 0
	s_add_u32 s6, s4, s8
	s_mul_hi_u32 s7, s8, 3
	s_mul_i32 s8, s8, 3
	s_addc_u32 s9, s5, 0
	s_add_u32 s6, s6, s8
	s_addc_u32 s7, s9, s7
	s_load_dword s6, s[6:7], 0x820
	s_mov_b32 s13, 0
	s_waitcnt vmcnt(0)
	v_readfirstlane_b32 s7, v1
	s_lshl_b32 s7, s7, 3
	s_load_dwordx2 s[8:9], s[4:5], s7 offset:0x0
	s_load_dwordx2 s[10:11], s[4:5], s7 offset:0x370
	s_waitcnt lgkmcnt(0)
	s_ashr_i32 s7, s6, 31
	s_lshl_b64 s[14:15], s[6:7], 19
	s_add_u32 s16, s8, s14
	s_addc_u32 s17, s9, s15
	s_lshl_b64 s[6:7], s[6:7], 16
	s_and_b32 s12, s16, 31
	s_sub_u32 s18, s10, s6
	s_subb_u32 s19, s11, s7
	s_and_b32 s6, s10, 3
	s_mov_b32 s7, s13
	s_or_b64 s[6:7], s[12:13], s[6:7]
	s_cmp_eq_u64 s[6:7], 0
	s_cbranch_scc1 .LBB74_229
; %bb.1:
	v_cmp_lt_i64_e64 s[6:7], s[18:19], 1
	s_and_b64 vcc, exec, s[6:7]
	s_cbranch_vccnz .LBB74_228
; %bb.2:
	v_mov_b32_e32 v3, 0x10000
	s_load_dword s8, s[4:5], 0xd3c
	v_mov_b32_e32 v4, 0
	v_cmp_lt_i64_e32 vcc, s[18:19], v[3:4]
	v_mov_b32_e32 v2, 0
	s_and_b64 s[6:7], vcc, exec
	v_cmp_lt_u64_e32 vcc, s[18:19], v[3:4]
	s_cselect_b32 s23, s19, 0
	s_cselect_b32 s22, s18, 0x10000
	s_waitcnt lgkmcnt(0)
	s_and_b32 s8, s8, 0xffff
	s_and_b64 s[6:7], vcc, exec
	s_mul_i32 s10, s8, 3
	v_add_co_u32_e32 v14, vcc, s8, v0
	v_lshlrev_b32_e32 v1, 3, v0
	v_addc_co_u32_e64 v15, s[6:7], 0, 0, vcc
	v_add_co_u32_e32 v16, vcc, s10, v0
	v_mad_u64_u32 v[2:3], s[6:7], s8, 24, v[1:2]
	v_addc_co_u32_e64 v17, s[6:7], 0, 0, vcc
	s_cselect_b32 s25, s19, 0
	s_cselect_b32 s24, s18, 0x10000
	s_lshl_b32 s6, s8, 4
	s_lshl_b32 s9, s8, 1
	v_add_co_u32_e32 v4, vcc, s6, v1
	s_mov_b64 s[20:21], src_private_base
	v_addc_co_u32_e64 v19, s[6:7], 0, 0, vcc
	v_add_co_u32_e32 v21, vcc, s9, v0
	s_lshl_b32 s33, s8, 2
	s_mov_b32 s20, 8
	s_mov_b32 s26, 0
	;; [unrolled: 1-line block ×5, first 2 shown]
	s_lshl_b32 s52, s8, 5
	v_or_b32_e32 v2, 4, v2
	v_lshlrev_b32_e32 v18, 3, v14
	v_or_b32_e32 v20, 4, v4
	v_addc_co_u32_e64 v22, s[6:7], 0, 0, vcc
	s_mov_b64 s[30:31], 0
	v_mov_b32_e32 v23, 0x248d3132
	s_mov_b32 s53, 0x4b000000
	s_mov_b32 s54, 0x399cc471
	s_brev_b32 s55, 44
	s_brev_b32 s56, 4
	s_mov_b32 s57, 0x3f2aaaab
	v_mov_b32_e32 v24, 0x3f2aaada
	s_mov_b32 s58, 0x3f317218
	s_mov_b32 s59, 0x7f800000
	;; [unrolled: 1-line block ×5, first 2 shown]
	v_mov_b32_e32 v25, 0x3d29fb3f
	v_mov_b32_e32 v26, 0xbd97d4d7
	;; [unrolled: 1-line block ×3, first 2 shown]
	s_movk_i32 s63, 0x204
	s_brev_b32 s64, -2
	s_mov_b32 s65, 0x6800000
	s_mov_b32 s66, 0x59000000
	;; [unrolled: 1-line block ×3, first 2 shown]
	s_mov_b64 s[34:35], s[16:17]
	v_mov_b32_e32 v28, 0xbe1160e6
	v_mov_b32_e32 v29, 0x3e4cb8bf
	;; [unrolled: 1-line block ×11, first 2 shown]
	s_branch .LBB74_4
.LBB74_3:                               ;   in Loop: Header=BB74_4 Depth=1
	s_or_b64 exec, exec, s[6:7]
	s_add_u32 s30, s30, s33
	v_mov_b32_e32 v4, s22
	s_addc_u32 s31, s31, 0
	v_mov_b32_e32 v5, s23
	v_cmp_ge_i64_e32 vcc, s[30:31], v[4:5]
	s_add_u32 s34, s34, s52
	s_addc_u32 s35, s35, 0
	s_cbranch_vccnz .LBB74_228
.LBB74_4:                               ; =>This Inner Loop Header: Depth=1
	v_mov_b32_e32 v5, s31
	v_add_co_u32_e32 v4, vcc, s30, v0
	v_addc_co_u32_e32 v5, vcc, 0, v5, vcc
	v_cmp_gt_u64_e64 s[6:7], s[24:25], v[4:5]
	v_mov_b32_e32 v11, 0
	v_mov_b32_e32 v10, 0
	s_and_saveexec_b64 s[8:9], s[6:7]
	s_cbranch_execz .LBB74_6
; %bb.5:                                ;   in Loop: Header=BB74_4 Depth=1
	v_mov_b32_e32 v5, s35
	v_add_co_u32_e32 v4, vcc, s34, v1
	v_addc_co_u32_e32 v5, vcc, 0, v5, vcc
	global_load_dwordx2 v[10:11], v[4:5], off
.LBB74_6:                               ;   in Loop: Header=BB74_4 Depth=1
	s_or_b64 exec, exec, s[8:9]
	v_mov_b32_e32 v5, s31
	v_add_co_u32_e32 v4, vcc, s30, v14
	v_addc_co_u32_e32 v5, vcc, v15, v5, vcc
	v_cmp_gt_u64_e64 s[8:9], s[24:25], v[4:5]
	v_mov_b32_e32 v9, 0
	v_mov_b32_e32 v13, 0
	;; [unrolled: 1-line block ×3, first 2 shown]
	s_and_saveexec_b64 s[10:11], s[8:9]
	s_cbranch_execz .LBB74_8
; %bb.7:                                ;   in Loop: Header=BB74_4 Depth=1
	v_mov_b32_e32 v5, s35
	v_add_co_u32_e32 v4, vcc, s34, v18
	v_addc_co_u32_e32 v5, vcc, 0, v5, vcc
	global_load_dwordx2 v[12:13], v[4:5], off
.LBB74_8:                               ;   in Loop: Header=BB74_4 Depth=1
	s_or_b64 exec, exec, s[10:11]
	v_mov_b32_e32 v5, s31
	v_add_co_u32_e32 v4, vcc, s30, v21
	v_addc_co_u32_e32 v5, vcc, v22, v5, vcc
	v_cmp_gt_u64_e64 s[10:11], s[24:25], v[4:5]
	v_mov_b32_e32 v8, 0
	s_and_saveexec_b64 s[12:13], s[10:11]
	s_cbranch_execz .LBB74_10
; %bb.9:                                ;   in Loop: Header=BB74_4 Depth=1
	v_mov_b32_e32 v5, s35
	v_add_co_u32_e32 v4, vcc, s34, v20
	v_addc_co_u32_e32 v5, vcc, v5, v19, vcc
	global_load_dwordx2 v[8:9], v[4:5], off offset:-4
.LBB74_10:                              ;   in Loop: Header=BB74_4 Depth=1
	s_or_b64 exec, exec, s[12:13]
	v_mov_b32_e32 v5, s31
	v_add_co_u32_e32 v4, vcc, s30, v16
	v_addc_co_u32_e32 v5, vcc, v17, v5, vcc
	v_cmp_gt_u64_e64 s[12:13], s[24:25], v[4:5]
	v_mov_b32_e32 v5, 0
	v_mov_b32_e32 v4, 0
	s_and_saveexec_b64 s[14:15], s[12:13]
	s_cbranch_execz .LBB74_12
; %bb.11:                               ;   in Loop: Header=BB74_4 Depth=1
	v_mov_b32_e32 v5, s35
	v_add_co_u32_e32 v4, vcc, s34, v2
	v_addc_co_u32_e32 v5, vcc, v5, v3, vcc
	global_load_dwordx2 v[4:5], v[4:5], off offset:-4
.LBB74_12:                              ;   in Loop: Header=BB74_4 Depth=1
	s_or_b64 exec, exec, s[14:15]
	v_mov_b32_e32 v6, s20
	s_waitcnt vmcnt(0)
	v_cmp_neq_f32_e32 vcc, 0, v10
	v_cmp_nle_f32_e64 s[14:15], |v11|, 1.0
	v_mov_b32_e32 v7, s21
	s_or_b64 s[14:15], vcc, s[14:15]
	flat_store_dword v[6:7], v23
	s_waitcnt vmcnt(0)
                                        ; implicit-def: $vgpr6
	s_and_saveexec_b64 s[36:37], s[14:15]
	s_xor_b64 s[36:37], exec, s[36:37]
	s_cbranch_execz .LBB74_62
; %bb.13:                               ;   in Loop: Header=BB74_4 Depth=1
	v_cmp_neq_f32_e32 vcc, 0, v11
                                        ; implicit-def: $vgpr6
	s_and_saveexec_b64 s[14:15], vcc
	s_xor_b64 s[38:39], exec, s[14:15]
	s_cbranch_execz .LBB74_59
; %bb.14:                               ;   in Loop: Header=BB74_4 Depth=1
	v_cmp_o_f32_e32 vcc, v11, v10
                                        ; implicit-def: $vgpr6
	s_and_saveexec_b64 s[14:15], vcc
	s_xor_b64 s[40:41], exec, s[14:15]
	s_cbranch_execz .LBB74_48
; %bb.15:                               ;   in Loop: Header=BB74_4 Depth=1
	v_max_f32_e64 v7, |v10|, |v10|
	v_max_f32_e64 v6, |v11|, |v11|
	v_max_f32_e32 v6, v6, v7
	v_cmp_nlt_f32_e32 vcc, s53, v6
                                        ; implicit-def: $vgpr6
	s_and_saveexec_b64 s[14:15], vcc
	s_xor_b64 s[42:43], exec, s[14:15]
	s_cbranch_execz .LBB74_33
; %bb.16:                               ;   in Loop: Header=BB74_4 Depth=1
	v_cmp_nlt_f32_e64 s[14:15], |v11|, s54
	v_cmp_nlt_f32_e64 s[44:45], |v10|, s54
	s_or_b64 s[14:15], s[14:15], s[44:45]
                                        ; implicit-def: $vgpr6
	s_and_saveexec_b64 s[44:45], s[14:15]
	s_xor_b64 s[44:45], exec, s[44:45]
	s_cbranch_execz .LBB74_30
; %bb.17:                               ;   in Loop: Header=BB74_4 Depth=1
	v_cmp_neq_f32_e64 s[48:49], |v11|, 1.0
	v_cmp_nlt_f32_e64 s[46:47], |v10|, s55
	s_or_b64 s[14:15], s[48:49], s[46:47]
                                        ; implicit-def: $vgpr6
	s_and_saveexec_b64 s[50:51], s[14:15]
	s_xor_b64 s[14:15], exec, s[50:51]
	s_cbranch_execz .LBB74_19
; %bb.18:                               ;   in Loop: Header=BB74_4 Depth=1
	v_add_f32_e64 v39, |v11|, -1.0
	v_mul_f32_e32 v39, v39, v39
	v_fma_f32 v40, v10, v10, v39
	v_cmp_lt_f32_e64 vcc, |v10|, s56
	v_mul_f32_e64 v6, |v11|, 4.0
	v_cndmask_b32_e32 v39, v40, v39, vcc
	v_div_scale_f32 v40, s[50:51], v39, v39, v6
	v_div_scale_f32 v41, vcc, v6, v39, v6
	v_rcp_f32_e32 v42, v40
	v_fma_f32 v43, -v40, v42, 1.0
	v_fmac_f32_e32 v42, v43, v42
	v_mul_f32_e32 v43, v41, v42
	v_fma_f32 v44, -v40, v43, v41
	v_fmac_f32_e32 v43, v44, v42
	v_fma_f32 v40, -v40, v43, v41
	v_div_fmas_f32 v40, v40, v42, v43
	v_mov_b32_e32 v42, 0x3ecc95a3
	v_div_fixup_f32 v6, v40, v39, v6
	v_add_f32_e32 v41, 1.0, v6
	v_cvt_f64_f32_e32 v[39:40], v41
	v_add_f32_e32 v43, -1.0, v41
	v_sub_f32_e32 v44, v43, v41
	v_sub_f32_e32 v43, v6, v43
	v_frexp_exp_i32_f64_e32 v39, v[39:40]
	v_frexp_mant_f32_e32 v40, v41
	v_cmp_gt_f32_e32 vcc, s57, v40
	v_add_f32_e32 v44, 1.0, v44
	v_add_f32_e32 v43, v43, v44
	v_subbrev_co_u32_e32 v39, vcc, 0, v39, vcc
	v_sub_u32_e32 v40, 0, v39
	v_cvt_f32_i32_e32 v39, v39
	v_ldexp_f32 v41, v41, v40
	v_ldexp_f32 v40, v43, v40
	v_add_f32_e32 v43, -1.0, v41
	v_add_f32_e32 v44, 1.0, v41
	v_add_f32_e32 v45, 1.0, v43
	v_add_f32_e32 v46, -1.0, v44
	v_sub_f32_e32 v45, v41, v45
	v_sub_f32_e32 v41, v41, v46
	v_mul_f32_e32 v46, 0x3f317218, v39
	v_add_f32_e32 v45, v40, v45
	v_add_f32_e32 v40, v40, v41
	v_fma_f32 v41, v39, s58, -v46
	v_add_f32_e32 v47, v43, v45
	v_add_f32_e32 v48, v44, v40
	v_fmac_f32_e32 v41, 0xb102e308, v39
	v_sub_f32_e32 v39, v47, v43
	v_sub_f32_e32 v43, v48, v44
	v_rcp_f32_e32 v44, v48
	v_add_f32_e32 v49, v46, v41
	v_sub_f32_e32 v40, v40, v43
	v_sub_f32_e32 v43, v49, v46
	;; [unrolled: 1-line block ×3, first 2 shown]
	v_mul_f32_e32 v43, v47, v44
	v_sub_f32_e32 v39, v45, v39
	v_mul_f32_e32 v45, v48, v43
	v_fma_f32 v46, v43, v48, -v45
	v_fmac_f32_e32 v46, v43, v40
	v_add_f32_e32 v50, v45, v46
	v_sub_f32_e32 v51, v47, v50
	v_sub_f32_e32 v45, v50, v45
	;; [unrolled: 1-line block ×5, first 2 shown]
	v_add_f32_e32 v39, v39, v46
	v_add_f32_e32 v39, v45, v39
	;; [unrolled: 1-line block ×3, first 2 shown]
	v_mul_f32_e32 v46, v44, v45
	v_sub_f32_e32 v47, v51, v45
	v_mul_f32_e32 v50, v48, v46
	v_add_f32_e32 v39, v39, v47
	v_add_f32_e32 v47, v43, v46
	v_fma_f32 v48, v46, v48, -v50
	v_sub_f32_e32 v43, v47, v43
	v_fmac_f32_e32 v48, v46, v40
	v_sub_f32_e32 v40, v46, v43
	v_add_f32_e32 v43, v50, v48
	v_sub_f32_e32 v46, v43, v50
	v_sub_f32_e32 v50, v45, v43
	v_sub_f32_e32 v45, v45, v50
	v_sub_f32_e32 v43, v45, v43
	v_sub_f32_e32 v46, v46, v48
	v_add_f32_e32 v39, v39, v43
	v_add_f32_e32 v39, v46, v39
	;; [unrolled: 1-line block ×3, first 2 shown]
	v_mul_f32_e32 v39, v44, v39
	v_add_f32_e32 v39, v40, v39
	v_add_f32_e32 v40, v47, v39
	v_mul_f32_e32 v43, v40, v40
	v_fmac_f32_e32 v42, 0x3e9b6dac, v43
	v_sub_f32_e32 v44, v40, v47
	v_ldexp_f32 v45, v40, 1
	v_mul_f32_e32 v40, v40, v43
	v_fma_f32 v42, v43, v42, v24
	v_mul_f32_e32 v40, v40, v42
	v_add_f32_e32 v42, v45, v40
	v_sub_f32_e32 v39, v39, v44
	v_sub_f32_e32 v43, v42, v45
	v_ldexp_f32 v39, v39, 1
	v_sub_f32_e32 v40, v40, v43
	v_add_f32_e32 v39, v39, v40
	v_add_f32_e32 v40, v42, v39
	v_sub_f32_e32 v42, v40, v42
	v_sub_f32_e32 v39, v39, v42
	v_add_f32_e32 v42, v49, v40
	v_sub_f32_e32 v43, v42, v49
	v_sub_f32_e32 v44, v42, v43
	;; [unrolled: 1-line block ×4, first 2 shown]
	v_add_f32_e32 v43, v41, v39
	v_add_f32_e32 v40, v40, v44
	v_sub_f32_e32 v44, v43, v41
	v_sub_f32_e32 v45, v43, v44
	;; [unrolled: 1-line block ×4, first 2 shown]
	v_add_f32_e32 v40, v43, v40
	v_add_f32_e32 v39, v39, v41
	;; [unrolled: 1-line block ×3, first 2 shown]
	v_sub_f32_e32 v42, v41, v42
	v_sub_f32_e32 v40, v40, v42
	v_add_f32_e32 v39, v39, v40
	v_add_f32_e32 v39, v41, v39
	v_cmp_neq_f32_e32 vcc, s59, v6
	v_cndmask_b32_e32 v39, v32, v39, vcc
	v_cmp_ngt_f32_e32 vcc, -1.0, v6
	v_cndmask_b32_e32 v39, v33, v39, vcc
	v_cmp_neq_f32_e32 vcc, -1.0, v6
	v_cndmask_b32_e32 v39, v34, v39, vcc
	v_cmp_lt_f32_e64 vcc, |v6|, s60
	v_cndmask_b32_e32 v6, v39, v6, vcc
	v_mul_f32_e32 v6, 0x3e800000, v6
	s_andn2_saveexec_b64 s[50:51], s[14:15]
	s_cbranch_execz .LBB74_21
	s_branch .LBB74_20
.LBB74_19:                              ;   in Loop: Header=BB74_4 Depth=1
	s_andn2_saveexec_b64 s[50:51], s[14:15]
	s_cbranch_execz .LBB74_21
.LBB74_20:                              ;   in Loop: Header=BB74_4 Depth=1
	v_cmp_lt_f32_e64 vcc, |v10|, s61
	v_cndmask_b32_e64 v6, 0, 32, vcc
	v_ldexp_f32 v6, |v10|, v6
	v_log_f32_e32 v6, v6
	v_mul_f32_e32 v39, 0x3f317217, v6
	v_fma_f32 v39, v6, s62, -v39
	v_fmac_f32_e32 v39, 0x3377d1cf, v6
	v_fmac_f32_e32 v39, 0x3f317217, v6
	v_cmp_lt_f32_e64 s[14:15], |v6|, s59
	v_cndmask_b32_e64 v6, v6, v39, s[14:15]
	v_cndmask_b32_e32 v39, 0, v35, vcc
	v_sub_f32_e32 v6, v6, v39
	v_sub_f32_e32 v6, 0x3f317218, v6
	v_mul_f32_e32 v6, 0.5, v6
.LBB74_21:                              ;   in Loop: Header=BB74_4 Depth=1
	s_or_b64 exec, exec, s[50:51]
                                        ; implicit-def: $vgpr40
	s_and_saveexec_b64 s[14:15], s[48:49]
	s_xor_b64 s[48:49], exec, s[14:15]
	s_cbranch_execz .LBB74_27
; %bb.22:                               ;   in Loop: Header=BB74_4 Depth=1
	v_add_f32_e64 v7, |v10|, |v10|
	v_sub_f32_e64 v39, 1.0, |v11|
	v_add_f32_e64 v40, |v11|, 1.0
	v_mul_f32_e32 v39, v39, v40
	v_max_f32_e32 v41, v7, v7
                                        ; implicit-def: $vgpr40
	s_and_saveexec_b64 s[14:15], s[46:47]
	s_xor_b64 s[46:47], exec, s[14:15]
	s_cbranch_execz .LBB74_24
; %bb.23:                               ;   in Loop: Header=BB74_4 Depth=1
	v_fma_f32 v39, -v10, v10, v39
	v_min_f32_e64 v40, |v39|, v41
	v_max_f32_e64 v41, |v39|, v41
	v_frexp_mant_f32_e32 v42, v41
	v_rcp_f32_e32 v42, v42
	v_frexp_exp_i32_f32_e32 v41, v41
	v_frexp_exp_i32_f32_e32 v43, v40
	v_frexp_mant_f32_e32 v40, v40
	v_mul_f32_e32 v40, v40, v42
	v_sub_u32_e32 v41, v43, v41
	v_ldexp_f32 v40, v40, v41
	v_mul_f32_e32 v41, v40, v40
	v_mov_b32_e32 v42, 0xbc7a590c
	v_fmac_f32_e32 v42, 0x3b2d2a58, v41
	v_fma_f32 v42, v41, v42, v25
	v_fma_f32 v42, v41, v42, v26
	;; [unrolled: 1-line block ×6, first 2 shown]
	v_mul_f32_e32 v41, v41, v42
	v_fmac_f32_e32 v40, v40, v41
	v_sub_f32_e32 v41, 0x3fc90fdb, v40
	v_cmp_gt_f32_e64 vcc, v7, |v39|
	v_cndmask_b32_e32 v40, v40, v41, vcc
	v_sub_f32_e32 v41, 0x40490fdb, v40
	v_cmp_gt_f32_e32 vcc, 0, v39
	v_cmp_gt_i32_e64 s[14:15], 0, v39
	v_cndmask_b32_e32 v40, v40, v41, vcc
	v_cndmask_b32_e64 v41, 0, v36, s[14:15]
	v_cndmask_b32_e32 v42, v37, v38, vcc
	v_cmp_class_f32_e64 s[50:51], v39, s63
	v_cmp_eq_f32_e32 vcc, s59, v7
	v_cmp_eq_f32_e64 s[14:15], 0, v7
	v_cndmask_b32_e64 v7, |v40|, v41, s[14:15]
	s_and_b64 vcc, vcc, s[50:51]
	v_cndmask_b32_e32 v7, v7, v42, vcc
	v_cmp_o_f32_e32 vcc, v39, v39
	v_cndmask_b32_e32 v40, v33, v7, vcc
                                        ; implicit-def: $vgpr39
                                        ; implicit-def: $vgpr41
                                        ; implicit-def: $vgpr7
.LBB74_24:                              ;   in Loop: Header=BB74_4 Depth=1
	s_andn2_saveexec_b64 s[46:47], s[46:47]
	s_cbranch_execz .LBB74_26
; %bb.25:                               ;   in Loop: Header=BB74_4 Depth=1
	v_max_f32_e64 v40, |v39|, |v39|
	v_min_f32_e32 v42, v40, v41
	v_max_f32_e32 v40, v40, v41
	v_frexp_mant_f32_e32 v41, v40
	v_rcp_f32_e32 v41, v41
	v_frexp_exp_i32_f32_e32 v40, v40
	v_frexp_exp_i32_f32_e32 v43, v42
	v_frexp_mant_f32_e32 v42, v42
	v_mul_f32_e32 v41, v42, v41
	v_sub_u32_e32 v40, v43, v40
	v_ldexp_f32 v40, v41, v40
	v_mul_f32_e32 v41, v40, v40
	v_mov_b32_e32 v42, 0xbc7a590c
	v_fmac_f32_e32 v42, 0x3b2d2a58, v41
	v_fma_f32 v42, v41, v42, v25
	v_fma_f32 v42, v41, v42, v26
	;; [unrolled: 1-line block ×6, first 2 shown]
	v_mul_f32_e32 v41, v41, v42
	v_fmac_f32_e32 v40, v40, v41
	v_sub_f32_e32 v41, 0x3fc90fdb, v40
	v_cmp_gt_f32_e64 vcc, v7, |v39|
	v_cndmask_b32_e32 v40, v40, v41, vcc
	v_sub_f32_e32 v41, 0x40490fdb, v40
	v_cmp_gt_f32_e32 vcc, 0, v39
	v_cmp_gt_i32_e64 s[14:15], 0, v39
	v_cndmask_b32_e32 v40, v40, v41, vcc
	v_cndmask_b32_e64 v41, 0, v36, s[14:15]
	v_cndmask_b32_e32 v42, v37, v38, vcc
	v_cmp_class_f32_e64 s[50:51], v39, s63
	v_cmp_eq_f32_e32 vcc, s59, v7
	v_cmp_eq_f32_e64 s[14:15], 0, v7
	v_cndmask_b32_e64 v7, |v40|, v41, s[14:15]
	s_and_b64 vcc, vcc, s[50:51]
	v_cndmask_b32_e32 v7, v7, v42, vcc
	v_cmp_o_f32_e32 vcc, v39, v39
	v_cndmask_b32_e32 v40, v33, v7, vcc
.LBB74_26:                              ;   in Loop: Header=BB74_4 Depth=1
	s_or_b64 exec, exec, s[46:47]
                                        ; implicit-def: $vgpr7
	s_andn2_saveexec_b64 s[14:15], s[48:49]
	s_cbranch_execnz .LBB74_28
	s_branch .LBB74_29
.LBB74_27:                              ;   in Loop: Header=BB74_4 Depth=1
	s_andn2_saveexec_b64 s[14:15], s[48:49]
	s_cbranch_execz .LBB74_29
.LBB74_28:                              ;   in Loop: Header=BB74_4 Depth=1
	v_min_f32_e32 v39, 2.0, v7
	v_max_f32_e32 v7, 2.0, v7
	v_frexp_mant_f32_e32 v40, v7
	v_rcp_f32_e32 v40, v40
	v_frexp_exp_i32_f32_e32 v7, v7
	v_frexp_exp_i32_f32_e32 v41, v39
	v_frexp_mant_f32_e32 v39, v39
	v_mul_f32_e32 v39, v39, v40
	v_sub_u32_e32 v7, v41, v7
	v_ldexp_f32 v7, v39, v7
	v_mul_f32_e32 v39, v7, v7
	v_mov_b32_e32 v40, 0xbc7a590c
	v_fmac_f32_e32 v40, 0x3b2d2a58, v39
	v_fma_f32 v40, v39, v40, v25
	v_fma_f32 v40, v39, v40, v26
	;; [unrolled: 1-line block ×6, first 2 shown]
	v_mul_f32_e32 v39, v39, v40
	v_fmac_f32_e32 v7, v7, v39
	v_sub_f32_e32 v39, 0x3fc90fdb, v7
	v_cmp_lt_f32_e64 vcc, |v10|, 2.0
	v_cndmask_b32_e32 v7, v7, v39, vcc
	v_sub_f32_e32 v39, 0x40490fdb, v7
	v_cmp_lg_f32_e32 vcc, 0, v10
	v_cndmask_b32_e32 v7, v7, v39, vcc
	v_and_b32_e32 v40, 0x7fffffff, v7
.LBB74_29:                              ;   in Loop: Header=BB74_4 Depth=1
	s_or_b64 exec, exec, s[14:15]
	v_mul_f32_e32 v39, 0.5, v40
	v_bfi_b32 v7, s64, v6, v11
	v_bfi_b32 v6, s64, v39, v10
                                        ; implicit-def: $vgpr10
.LBB74_30:                              ;   in Loop: Header=BB74_4 Depth=1
	s_andn2_saveexec_b64 s[14:15], s[44:45]
	s_cbranch_execz .LBB74_32
; %bb.31:                               ;   in Loop: Header=BB74_4 Depth=1
	v_mov_b32_e32 v6, s26
	v_mov_b32_e32 v7, s27
	flat_store_dword v[6:7], v31
	s_waitcnt vmcnt(0)
	flat_load_dword v6, v[6:7] glc
	s_waitcnt vmcnt(0) lgkmcnt(0)
	v_add_f32_e32 v39, 1.0, v6
	v_mov_b32_e32 v6, s28
	v_mov_b32_e32 v7, s29
	flat_store_dword v[6:7], v39
	s_waitcnt vmcnt(0)
	flat_load_dword v6, v[6:7] glc
	s_waitcnt vmcnt(0) lgkmcnt(0)
	v_mov_b32_e32 v6, v10
	v_mov_b32_e32 v7, v11
.LBB74_32:                              ;   in Loop: Header=BB74_4 Depth=1
	s_or_b64 exec, exec, s[14:15]
                                        ; implicit-def: $vgpr10
.LBB74_33:                              ;   in Loop: Header=BB74_4 Depth=1
	s_andn2_saveexec_b64 s[14:15], s[42:43]
	s_cbranch_execz .LBB74_47
; %bb.34:                               ;   in Loop: Header=BB74_4 Depth=1
	v_and_b32_e32 v6, 0x7f800000, v11
	v_and_b32_e32 v39, 0x7f800000, v10
	v_sub_u32_e32 v7, v6, v39
	v_cmp_gt_i32_e32 vcc, s65, v7
	v_cmp_neq_f32_e64 s[42:43], |v11|, s59
	s_and_b64 s[42:43], s[42:43], vcc
                                        ; implicit-def: $vgpr7
	s_and_saveexec_b64 s[44:45], s[42:43]
	s_xor_b64 s[42:43], exec, s[44:45]
	s_cbranch_execz .LBB74_44
; %bb.35:                               ;   in Loop: Header=BB74_4 Depth=1
	v_sub_u32_e32 v7, v39, v6
	v_cmp_gt_i32_e32 vcc, s65, v7
                                        ; implicit-def: $vgpr7
	s_and_saveexec_b64 s[44:45], vcc
	s_xor_b64 s[44:45], exec, s[44:45]
	s_cbranch_execz .LBB74_41
; %bb.36:                               ;   in Loop: Header=BB74_4 Depth=1
	v_cmp_lt_u32_e32 vcc, s66, v6
                                        ; implicit-def: $vgpr7
	s_and_saveexec_b64 s[46:47], vcc
	s_xor_b64 s[46:47], exec, s[46:47]
	s_cbranch_execz .LBB74_38
; %bb.37:                               ;   in Loop: Header=BB74_4 Depth=1
	v_sub_u32_e32 v6, 0x7f800000, v6
	v_mul_f32_e32 v7, v11, v6
	v_mul_f32_e32 v11, v10, v6
	;; [unrolled: 1-line block ×3, first 2 shown]
	v_fmac_f32_e32 v11, v7, v7
	v_div_scale_f32 v39, s[48:49], v11, v11, v7
	v_div_scale_f32 v40, vcc, v7, v11, v7
	v_rcp_f32_e32 v41, v39
	v_fma_f32 v42, -v39, v41, 1.0
	v_fmac_f32_e32 v41, v42, v41
	v_mul_f32_e32 v42, v40, v41
	v_fma_f32 v43, -v39, v42, v40
	v_fmac_f32_e32 v42, v43, v41
	v_fma_f32 v39, -v39, v42, v40
	v_div_fmas_f32 v39, v39, v41, v42
	v_div_fixup_f32 v7, v39, v11, v7
	v_mul_f32_e32 v7, v7, v6
.LBB74_38:                              ;   in Loop: Header=BB74_4 Depth=1
	s_andn2_saveexec_b64 s[46:47], s[46:47]
	s_cbranch_execz .LBB74_40
; %bb.39:                               ;   in Loop: Header=BB74_4 Depth=1
	v_mul_f32_e32 v6, v10, v10
	v_fmac_f32_e32 v6, v11, v11
	v_div_scale_f32 v7, s[48:49], v6, v6, v11
	v_div_scale_f32 v39, vcc, v11, v6, v11
	v_rcp_f32_e32 v40, v7
	v_fma_f32 v41, -v7, v40, 1.0
	v_fmac_f32_e32 v40, v41, v40
	v_mul_f32_e32 v41, v39, v40
	v_fma_f32 v42, -v7, v41, v39
	v_fmac_f32_e32 v41, v42, v40
	v_fma_f32 v7, -v7, v41, v39
	v_div_fmas_f32 v7, v7, v40, v41
	v_div_fixup_f32 v7, v7, v6, v11
.LBB74_40:                              ;   in Loop: Header=BB74_4 Depth=1
	s_or_b64 exec, exec, s[46:47]
.LBB74_41:                              ;   in Loop: Header=BB74_4 Depth=1
	s_andn2_saveexec_b64 s[44:45], s[44:45]
	s_cbranch_execz .LBB74_43
; %bb.42:                               ;   in Loop: Header=BB74_4 Depth=1
	v_div_scale_f32 v6, s[46:47], v10, v10, v11
	v_div_scale_f32 v7, vcc, v11, v10, v11
	v_rcp_f32_e32 v39, v6
	v_fma_f32 v40, -v6, v39, 1.0
	v_fmac_f32_e32 v39, v40, v39
	v_mul_f32_e32 v40, v7, v39
	v_fma_f32 v41, -v6, v40, v7
	v_fmac_f32_e32 v40, v41, v39
	v_fma_f32 v6, -v6, v40, v7
	v_div_fmas_f32 v6, v6, v39, v40
	v_div_fixup_f32 v6, v6, v10, v11
	v_div_scale_f32 v7, s[46:47], v10, v10, v6
	v_div_scale_f32 v11, vcc, v6, v10, v6
	v_rcp_f32_e32 v39, v7
	v_fma_f32 v40, -v7, v39, 1.0
	v_fmac_f32_e32 v39, v40, v39
	v_mul_f32_e32 v40, v11, v39
	v_fma_f32 v41, -v7, v40, v11
	v_fmac_f32_e32 v40, v41, v39
	v_fma_f32 v7, -v7, v40, v11
	v_div_fmas_f32 v7, v7, v39, v40
	v_div_fixup_f32 v7, v7, v10, v6
.LBB74_43:                              ;   in Loop: Header=BB74_4 Depth=1
	s_or_b64 exec, exec, s[44:45]
.LBB74_44:                              ;   in Loop: Header=BB74_4 Depth=1
	s_andn2_saveexec_b64 s[42:43], s[42:43]
	s_cbranch_execz .LBB74_46
; %bb.45:                               ;   in Loop: Header=BB74_4 Depth=1
	v_div_scale_f32 v6, s[44:45], v11, v11, 1.0
	v_div_scale_f32 v7, vcc, 1.0, v11, 1.0
	v_rcp_f32_e32 v39, v6
	v_fma_f32 v40, -v6, v39, 1.0
	v_fmac_f32_e32 v39, v40, v39
	v_mul_f32_e32 v40, v7, v39
	v_fma_f32 v41, -v6, v40, v7
	v_fmac_f32_e32 v40, v41, v39
	v_fma_f32 v6, -v6, v40, v7
	v_div_fmas_f32 v6, v6, v39, v40
	v_div_fixup_f32 v7, v6, v11, 1.0
.LBB74_46:                              ;   in Loop: Header=BB74_4 Depth=1
	s_or_b64 exec, exec, s[42:43]
	v_mov_b32_e32 v40, s21
	v_mov_b32_e32 v39, s20
	flat_load_dword v6, v[39:40] glc
	s_waitcnt vmcnt(0) lgkmcnt(0)
	v_add_f32_e32 v6, 0x3fc90fdb, v6
	v_bfi_b32 v6, s64, v6, v10
.LBB74_47:                              ;   in Loop: Header=BB74_4 Depth=1
	s_or_b64 exec, exec, s[14:15]
                                        ; implicit-def: $vgpr11
.LBB74_48:                              ;   in Loop: Header=BB74_4 Depth=1
	s_andn2_saveexec_b64 s[14:15], s[40:41]
	s_cbranch_execz .LBB74_58
; %bb.49:                               ;   in Loop: Header=BB74_4 Depth=1
	v_cmp_neq_f32_e64 s[40:41], |v11|, s59
                                        ; implicit-def: $vgpr6
	s_and_saveexec_b64 s[42:43], s[40:41]
	s_xor_b64 s[40:41], exec, s[42:43]
	s_cbranch_execz .LBB74_55
; %bb.50:                               ;   in Loop: Header=BB74_4 Depth=1
	v_cmp_neq_f32_e64 s[42:43], |v10|, s59
                                        ; implicit-def: $vgpr6
	s_and_saveexec_b64 s[44:45], s[42:43]
	s_xor_b64 s[42:43], exec, s[44:45]
; %bb.51:                               ;   in Loop: Header=BB74_4 Depth=1
	v_add_f32_e32 v6, 0, v10
	v_add_f32_e32 v6, v11, v6
                                        ; implicit-def: $vgpr11
; %bb.52:                               ;   in Loop: Header=BB74_4 Depth=1
	s_or_saveexec_b64 s[42:43], s[42:43]
	v_mov_b32_e32 v7, v6
	s_xor_b64 exec, exec, s[42:43]
	s_cbranch_execz .LBB74_54
; %bb.53:                               ;   in Loop: Header=BB74_4 Depth=1
	v_mov_b32_e32 v6, s20
	v_mov_b32_e32 v7, s21
	flat_load_dword v6, v[6:7] glc
	s_waitcnt vmcnt(0)
	v_bfi_b32 v7, s64, 0, v11
	s_waitcnt lgkmcnt(0)
	v_add_f32_e32 v6, 0x3fc90fdb, v6
	v_bfi_b32 v6, s64, v6, v10
.LBB74_54:                              ;   in Loop: Header=BB74_4 Depth=1
	s_or_b64 exec, exec, s[42:43]
                                        ; implicit-def: $vgpr11
.LBB74_55:                              ;   in Loop: Header=BB74_4 Depth=1
	s_andn2_saveexec_b64 s[40:41], s[40:41]
; %bb.56:                               ;   in Loop: Header=BB74_4 Depth=1
	v_bfi_b32 v7, s64, 0, v11
	v_add_f32_e32 v6, v10, v10
; %bb.57:                               ;   in Loop: Header=BB74_4 Depth=1
	s_or_b64 exec, exec, s[40:41]
.LBB74_58:                              ;   in Loop: Header=BB74_4 Depth=1
	s_or_b64 exec, exec, s[14:15]
                                        ; implicit-def: $vgpr10
.LBB74_59:                              ;   in Loop: Header=BB74_4 Depth=1
	s_andn2_saveexec_b64 s[14:15], s[38:39]
	s_cbranch_execz .LBB74_61
; %bb.60:                               ;   in Loop: Header=BB74_4 Depth=1
	v_rcp_f32_e64 v6, |v10|
	v_cmp_gt_f32_e64 vcc, |v10|, 1.0
	v_mov_b32_e32 v7, 0xbc7a590c
	v_cndmask_b32_e64 v6, |v10|, v6, vcc
	v_mul_f32_e32 v39, v6, v6
	v_fmac_f32_e32 v7, 0x3b2d2a58, v39
	v_fma_f32 v7, v39, v7, v25
	v_fma_f32 v7, v39, v7, v26
	;; [unrolled: 1-line block ×6, first 2 shown]
	v_mul_f32_e32 v7, v39, v7
	v_fmac_f32_e32 v6, v6, v7
	v_sub_f32_e32 v7, 0x3fc90fdb, v6
	v_cndmask_b32_e32 v6, v6, v7, vcc
	v_bfi_b32 v6, s64, v6, v10
	v_mov_b32_e32 v7, v11
.LBB74_61:                              ;   in Loop: Header=BB74_4 Depth=1
	s_or_b64 exec, exec, s[14:15]
                                        ; implicit-def: $vgpr11
.LBB74_62:                              ;   in Loop: Header=BB74_4 Depth=1
	s_andn2_saveexec_b64 s[14:15], s[36:37]
	s_cbranch_execz .LBB74_64
; %bb.63:                               ;   in Loop: Header=BB74_4 Depth=1
	v_sub_f32_e64 v6, 1.0, |v11|
	v_rcp_f32_e32 v7, v6
	v_add_f32_e64 v39, |v11|, 1.0
	v_sub_f32_e32 v40, 1.0, v6
	v_sub_f32_e64 v40, v40, |v11|
	v_mul_f32_e32 v41, v39, v7
	v_mul_f32_e32 v42, v6, v41
	v_fma_f32 v6, v41, v6, -v42
	v_fmac_f32_e32 v6, v41, v40
	v_add_f32_e32 v43, v42, v6
	v_sub_f32_e32 v44, v39, v43
	v_add_f32_e32 v40, -1.0, v39
	v_sub_f32_e32 v42, v43, v42
	v_sub_f32_e32 v39, v39, v44
	;; [unrolled: 1-line block ×4, first 2 shown]
	v_sub_f32_e64 v40, |v11|, v40
	v_add_f32_e32 v6, v6, v39
	v_add_f32_e32 v6, v40, v6
	;; [unrolled: 1-line block ×3, first 2 shown]
	v_mul_f32_e32 v39, v7, v6
	v_add_f32_e32 v40, v41, v39
	v_cvt_f64_f32_e32 v[6:7], v40
	v_cmp_lt_f32_e64 s[36:37], |v11|, s67
	v_frexp_exp_i32_f64_e32 v6, v[6:7]
	v_sub_f32_e32 v7, v40, v41
	v_frexp_mant_f32_e32 v41, v40
	v_cmp_gt_f32_e32 vcc, s57, v41
	v_sub_f32_e32 v7, v39, v7
	v_subbrev_co_u32_e32 v6, vcc, 0, v6, vcc
	v_sub_u32_e32 v39, 0, v6
	v_ldexp_f32 v40, v40, v39
	v_ldexp_f32 v7, v7, v39
	v_add_f32_e32 v39, -1.0, v40
	v_add_f32_e32 v43, 1.0, v40
	v_add_f32_e32 v41, 1.0, v39
	v_add_f32_e32 v44, -1.0, v43
	v_sub_f32_e32 v41, v40, v41
	v_sub_f32_e32 v40, v40, v44
	v_add_f32_e32 v41, v7, v41
	v_add_f32_e32 v7, v7, v40
	;; [unrolled: 1-line block ×3, first 2 shown]
	v_rcp_f32_e32 v44, v40
	v_add_f32_e32 v42, v39, v41
	v_sub_f32_e32 v39, v42, v39
	v_sub_f32_e32 v39, v41, v39
	;; [unrolled: 1-line block ×4, first 2 shown]
	v_mul_f32_e32 v41, v42, v44
	v_mul_f32_e32 v43, v40, v41
	v_fma_f32 v45, v41, v40, -v43
	v_fmac_f32_e32 v45, v41, v7
	v_add_f32_e32 v46, v43, v45
	v_sub_f32_e32 v47, v42, v46
	v_sub_f32_e32 v42, v42, v47
	;; [unrolled: 1-line block ×4, first 2 shown]
	v_add_f32_e32 v39, v39, v42
	v_sub_f32_e32 v42, v43, v45
	v_add_f32_e32 v39, v42, v39
	v_add_f32_e32 v42, v47, v39
	v_mul_f32_e32 v43, v44, v42
	v_mul_f32_e32 v45, v40, v43
	v_fma_f32 v40, v43, v40, -v45
	v_fmac_f32_e32 v40, v43, v7
	v_sub_f32_e32 v7, v47, v42
	v_add_f32_e32 v7, v39, v7
	v_add_f32_e32 v39, v45, v40
	v_sub_f32_e32 v46, v42, v39
	v_sub_f32_e32 v42, v42, v46
	;; [unrolled: 1-line block ×4, first 2 shown]
	v_add_f32_e32 v7, v7, v39
	v_sub_f32_e32 v39, v45, v40
	v_cvt_f32_i32_e32 v6, v6
	v_add_f32_e32 v7, v39, v7
	v_add_f32_e32 v39, v41, v43
	;; [unrolled: 1-line block ×3, first 2 shown]
	v_sub_f32_e32 v40, v39, v41
	v_mul_f32_e32 v7, v44, v7
	v_sub_f32_e32 v40, v43, v40
	v_add_f32_e32 v7, v40, v7
	v_mul_f32_e32 v43, 0x3f317218, v6
	v_add_f32_e32 v40, v39, v7
	v_fma_f32 v44, v6, s58, -v43
	v_mul_f32_e32 v41, v40, v40
	v_mov_b32_e32 v42, 0x3ecc95a3
	v_fmac_f32_e32 v44, 0xb102e308, v6
	v_sub_f32_e32 v6, v40, v39
	v_fmac_f32_e32 v42, 0x3e9b6dac, v41
	v_sub_f32_e32 v6, v7, v6
	v_add_f32_e32 v7, v43, v44
	v_fma_f32 v42, v41, v42, v24
	v_sub_f32_e32 v39, v7, v43
	v_ldexp_f32 v43, v40, 1
	v_mul_f32_e32 v40, v40, v41
	v_mul_f32_e32 v40, v40, v42
	v_add_f32_e32 v41, v43, v40
	v_sub_f32_e32 v42, v41, v43
	v_ldexp_f32 v6, v6, 1
	v_sub_f32_e32 v40, v40, v42
	v_add_f32_e32 v6, v6, v40
	v_add_f32_e32 v40, v41, v6
	v_sub_f32_e32 v41, v40, v41
	v_sub_f32_e32 v6, v6, v41
	v_add_f32_e32 v41, v7, v40
	v_sub_f32_e32 v42, v41, v7
	v_sub_f32_e32 v43, v41, v42
	v_sub_f32_e32 v39, v44, v39
	v_sub_f32_e32 v7, v7, v43
	v_sub_f32_e32 v40, v40, v42
	v_add_f32_e32 v7, v40, v7
	v_add_f32_e32 v40, v39, v6
	v_sub_f32_e32 v42, v40, v39
	v_sub_f32_e32 v43, v40, v42
	;; [unrolled: 1-line block ×4, first 2 shown]
	v_add_f32_e32 v7, v40, v7
	v_add_f32_e32 v6, v6, v39
	;; [unrolled: 1-line block ×3, first 2 shown]
	v_sub_f32_e32 v40, v39, v41
	v_sub_f32_e32 v7, v7, v40
	v_add_f32_e32 v6, v6, v7
	v_add_f32_e32 v6, v39, v6
	v_mul_f32_e32 v6, 0.5, v6
	v_cndmask_b32_e64 v6, v6, |v11|, s[36:37]
	v_cmp_neq_f32_e64 vcc, |v11|, 1.0
	v_cndmask_b32_e32 v6, v32, v6, vcc
	v_bfi_b32 v7, s64, v6, v11
	v_mov_b32_e32 v6, v10
.LBB74_64:                              ;   in Loop: Header=BB74_4 Depth=1
	s_or_b64 exec, exec, s[14:15]
	v_mov_b32_e32 v10, s20
	v_cmp_neq_f32_e32 vcc, 0, v12
	v_cmp_nle_f32_e64 s[14:15], |v13|, 1.0
	v_mov_b32_e32 v11, s21
	s_or_b64 s[14:15], vcc, s[14:15]
	flat_store_dword v[10:11], v23
	s_waitcnt vmcnt(0)
                                        ; implicit-def: $vgpr10
	s_and_saveexec_b64 s[36:37], s[14:15]
	s_xor_b64 s[36:37], exec, s[36:37]
	s_cbranch_execz .LBB74_114
; %bb.65:                               ;   in Loop: Header=BB74_4 Depth=1
	v_cmp_neq_f32_e32 vcc, 0, v13
                                        ; implicit-def: $vgpr10
	s_and_saveexec_b64 s[14:15], vcc
	s_xor_b64 s[38:39], exec, s[14:15]
	s_cbranch_execz .LBB74_111
; %bb.66:                               ;   in Loop: Header=BB74_4 Depth=1
	v_cmp_o_f32_e32 vcc, v13, v12
                                        ; implicit-def: $vgpr10
	s_and_saveexec_b64 s[14:15], vcc
	s_xor_b64 s[40:41], exec, s[14:15]
	s_cbranch_execz .LBB74_100
; %bb.67:                               ;   in Loop: Header=BB74_4 Depth=1
	v_max_f32_e64 v11, |v12|, |v12|
	v_max_f32_e64 v10, |v13|, |v13|
	v_max_f32_e32 v10, v10, v11
	v_cmp_nlt_f32_e32 vcc, s53, v10
                                        ; implicit-def: $vgpr10
	s_and_saveexec_b64 s[14:15], vcc
	s_xor_b64 s[42:43], exec, s[14:15]
	s_cbranch_execz .LBB74_85
; %bb.68:                               ;   in Loop: Header=BB74_4 Depth=1
	v_cmp_nlt_f32_e64 s[14:15], |v13|, s54
	v_cmp_nlt_f32_e64 s[44:45], |v12|, s54
	s_or_b64 s[14:15], s[14:15], s[44:45]
                                        ; implicit-def: $vgpr10
	s_and_saveexec_b64 s[44:45], s[14:15]
	s_xor_b64 s[44:45], exec, s[44:45]
	s_cbranch_execz .LBB74_82
; %bb.69:                               ;   in Loop: Header=BB74_4 Depth=1
	v_cmp_neq_f32_e64 s[48:49], |v13|, 1.0
	v_cmp_nlt_f32_e64 s[46:47], |v12|, s55
	s_or_b64 s[14:15], s[48:49], s[46:47]
                                        ; implicit-def: $vgpr10
	s_and_saveexec_b64 s[50:51], s[14:15]
	s_xor_b64 s[14:15], exec, s[50:51]
	s_cbranch_execz .LBB74_71
; %bb.70:                               ;   in Loop: Header=BB74_4 Depth=1
	v_add_f32_e64 v39, |v13|, -1.0
	v_mul_f32_e32 v39, v39, v39
	v_fma_f32 v40, v12, v12, v39
	v_cmp_lt_f32_e64 vcc, |v12|, s56
	v_mul_f32_e64 v10, |v13|, 4.0
	v_cndmask_b32_e32 v39, v40, v39, vcc
	v_div_scale_f32 v40, s[50:51], v39, v39, v10
	v_div_scale_f32 v41, vcc, v10, v39, v10
	v_rcp_f32_e32 v42, v40
	v_fma_f32 v43, -v40, v42, 1.0
	v_fmac_f32_e32 v42, v43, v42
	v_mul_f32_e32 v43, v41, v42
	v_fma_f32 v44, -v40, v43, v41
	v_fmac_f32_e32 v43, v44, v42
	v_fma_f32 v40, -v40, v43, v41
	v_div_fmas_f32 v40, v40, v42, v43
	v_mov_b32_e32 v42, 0x3ecc95a3
	v_div_fixup_f32 v10, v40, v39, v10
	v_add_f32_e32 v41, 1.0, v10
	v_cvt_f64_f32_e32 v[39:40], v41
	v_add_f32_e32 v43, -1.0, v41
	v_sub_f32_e32 v44, v43, v41
	v_sub_f32_e32 v43, v10, v43
	v_frexp_exp_i32_f64_e32 v39, v[39:40]
	v_frexp_mant_f32_e32 v40, v41
	v_cmp_gt_f32_e32 vcc, s57, v40
	v_add_f32_e32 v44, 1.0, v44
	v_add_f32_e32 v43, v43, v44
	v_subbrev_co_u32_e32 v39, vcc, 0, v39, vcc
	v_sub_u32_e32 v40, 0, v39
	v_cvt_f32_i32_e32 v39, v39
	v_ldexp_f32 v41, v41, v40
	v_ldexp_f32 v40, v43, v40
	v_add_f32_e32 v43, -1.0, v41
	v_add_f32_e32 v44, 1.0, v41
	v_add_f32_e32 v45, 1.0, v43
	v_add_f32_e32 v46, -1.0, v44
	v_sub_f32_e32 v45, v41, v45
	v_sub_f32_e32 v41, v41, v46
	v_mul_f32_e32 v46, 0x3f317218, v39
	v_add_f32_e32 v45, v40, v45
	v_add_f32_e32 v40, v40, v41
	v_fma_f32 v41, v39, s58, -v46
	v_add_f32_e32 v47, v43, v45
	v_add_f32_e32 v48, v44, v40
	v_fmac_f32_e32 v41, 0xb102e308, v39
	v_sub_f32_e32 v39, v47, v43
	v_sub_f32_e32 v43, v48, v44
	v_rcp_f32_e32 v44, v48
	v_add_f32_e32 v49, v46, v41
	v_sub_f32_e32 v40, v40, v43
	v_sub_f32_e32 v43, v49, v46
	;; [unrolled: 1-line block ×3, first 2 shown]
	v_mul_f32_e32 v43, v47, v44
	v_sub_f32_e32 v39, v45, v39
	v_mul_f32_e32 v45, v48, v43
	v_fma_f32 v46, v43, v48, -v45
	v_fmac_f32_e32 v46, v43, v40
	v_add_f32_e32 v50, v45, v46
	v_sub_f32_e32 v51, v47, v50
	v_sub_f32_e32 v45, v50, v45
	;; [unrolled: 1-line block ×5, first 2 shown]
	v_add_f32_e32 v39, v39, v46
	v_add_f32_e32 v39, v45, v39
	;; [unrolled: 1-line block ×3, first 2 shown]
	v_mul_f32_e32 v46, v44, v45
	v_sub_f32_e32 v47, v51, v45
	v_mul_f32_e32 v50, v48, v46
	v_add_f32_e32 v39, v39, v47
	v_add_f32_e32 v47, v43, v46
	v_fma_f32 v48, v46, v48, -v50
	v_sub_f32_e32 v43, v47, v43
	v_fmac_f32_e32 v48, v46, v40
	v_sub_f32_e32 v40, v46, v43
	v_add_f32_e32 v43, v50, v48
	v_sub_f32_e32 v46, v43, v50
	v_sub_f32_e32 v50, v45, v43
	;; [unrolled: 1-line block ×5, first 2 shown]
	v_add_f32_e32 v39, v39, v43
	v_add_f32_e32 v39, v46, v39
	;; [unrolled: 1-line block ×3, first 2 shown]
	v_mul_f32_e32 v39, v44, v39
	v_add_f32_e32 v39, v40, v39
	v_add_f32_e32 v40, v47, v39
	v_mul_f32_e32 v43, v40, v40
	v_fmac_f32_e32 v42, 0x3e9b6dac, v43
	v_sub_f32_e32 v44, v40, v47
	v_ldexp_f32 v45, v40, 1
	v_mul_f32_e32 v40, v40, v43
	v_fma_f32 v42, v43, v42, v24
	v_mul_f32_e32 v40, v40, v42
	v_add_f32_e32 v42, v45, v40
	v_sub_f32_e32 v39, v39, v44
	v_sub_f32_e32 v43, v42, v45
	v_ldexp_f32 v39, v39, 1
	v_sub_f32_e32 v40, v40, v43
	v_add_f32_e32 v39, v39, v40
	v_add_f32_e32 v40, v42, v39
	v_sub_f32_e32 v42, v40, v42
	v_sub_f32_e32 v39, v39, v42
	v_add_f32_e32 v42, v49, v40
	v_sub_f32_e32 v43, v42, v49
	v_sub_f32_e32 v44, v42, v43
	;; [unrolled: 1-line block ×4, first 2 shown]
	v_add_f32_e32 v43, v41, v39
	v_add_f32_e32 v40, v40, v44
	v_sub_f32_e32 v44, v43, v41
	v_sub_f32_e32 v45, v43, v44
	;; [unrolled: 1-line block ×4, first 2 shown]
	v_add_f32_e32 v40, v43, v40
	v_add_f32_e32 v39, v39, v41
	;; [unrolled: 1-line block ×3, first 2 shown]
	v_sub_f32_e32 v42, v41, v42
	v_sub_f32_e32 v40, v40, v42
	v_add_f32_e32 v39, v39, v40
	v_add_f32_e32 v39, v41, v39
	v_cmp_neq_f32_e32 vcc, s59, v10
	v_cndmask_b32_e32 v39, v32, v39, vcc
	v_cmp_ngt_f32_e32 vcc, -1.0, v10
	v_cndmask_b32_e32 v39, v33, v39, vcc
	v_cmp_neq_f32_e32 vcc, -1.0, v10
	v_cndmask_b32_e32 v39, v34, v39, vcc
	v_cmp_lt_f32_e64 vcc, |v10|, s60
	v_cndmask_b32_e32 v10, v39, v10, vcc
	v_mul_f32_e32 v10, 0x3e800000, v10
	s_andn2_saveexec_b64 s[50:51], s[14:15]
	s_cbranch_execz .LBB74_73
	s_branch .LBB74_72
.LBB74_71:                              ;   in Loop: Header=BB74_4 Depth=1
	s_andn2_saveexec_b64 s[50:51], s[14:15]
	s_cbranch_execz .LBB74_73
.LBB74_72:                              ;   in Loop: Header=BB74_4 Depth=1
	v_cmp_lt_f32_e64 vcc, |v12|, s61
	v_cndmask_b32_e64 v10, 0, 32, vcc
	v_ldexp_f32 v10, |v12|, v10
	v_log_f32_e32 v10, v10
	v_mul_f32_e32 v39, 0x3f317217, v10
	v_fma_f32 v39, v10, s62, -v39
	v_fmac_f32_e32 v39, 0x3377d1cf, v10
	v_fmac_f32_e32 v39, 0x3f317217, v10
	v_cmp_lt_f32_e64 s[14:15], |v10|, s59
	v_cndmask_b32_e64 v10, v10, v39, s[14:15]
	v_cndmask_b32_e32 v39, 0, v35, vcc
	v_sub_f32_e32 v10, v10, v39
	v_sub_f32_e32 v10, 0x3f317218, v10
	v_mul_f32_e32 v10, 0.5, v10
.LBB74_73:                              ;   in Loop: Header=BB74_4 Depth=1
	s_or_b64 exec, exec, s[50:51]
                                        ; implicit-def: $vgpr40
	s_and_saveexec_b64 s[14:15], s[48:49]
	s_xor_b64 s[48:49], exec, s[14:15]
	s_cbranch_execz .LBB74_79
; %bb.74:                               ;   in Loop: Header=BB74_4 Depth=1
	v_add_f32_e64 v11, |v12|, |v12|
	v_sub_f32_e64 v39, 1.0, |v13|
	v_add_f32_e64 v40, |v13|, 1.0
	v_mul_f32_e32 v39, v39, v40
	v_max_f32_e32 v41, v11, v11
                                        ; implicit-def: $vgpr40
	s_and_saveexec_b64 s[14:15], s[46:47]
	s_xor_b64 s[46:47], exec, s[14:15]
	s_cbranch_execz .LBB74_76
; %bb.75:                               ;   in Loop: Header=BB74_4 Depth=1
	v_fma_f32 v39, -v12, v12, v39
	v_min_f32_e64 v40, |v39|, v41
	v_max_f32_e64 v41, |v39|, v41
	v_frexp_mant_f32_e32 v42, v41
	v_rcp_f32_e32 v42, v42
	v_frexp_exp_i32_f32_e32 v41, v41
	v_frexp_exp_i32_f32_e32 v43, v40
	v_frexp_mant_f32_e32 v40, v40
	v_mul_f32_e32 v40, v40, v42
	v_sub_u32_e32 v41, v43, v41
	v_ldexp_f32 v40, v40, v41
	v_mul_f32_e32 v41, v40, v40
	v_mov_b32_e32 v42, 0xbc7a590c
	v_fmac_f32_e32 v42, 0x3b2d2a58, v41
	v_fma_f32 v42, v41, v42, v25
	v_fma_f32 v42, v41, v42, v26
	v_fma_f32 v42, v41, v42, v27
	v_fma_f32 v42, v41, v42, v28
	v_fma_f32 v42, v41, v42, v29
	v_fma_f32 v42, v41, v42, v30
	v_mul_f32_e32 v41, v41, v42
	v_fmac_f32_e32 v40, v40, v41
	v_sub_f32_e32 v41, 0x3fc90fdb, v40
	v_cmp_gt_f32_e64 vcc, v11, |v39|
	v_cndmask_b32_e32 v40, v40, v41, vcc
	v_sub_f32_e32 v41, 0x40490fdb, v40
	v_cmp_gt_f32_e32 vcc, 0, v39
	v_cmp_gt_i32_e64 s[14:15], 0, v39
	v_cndmask_b32_e32 v40, v40, v41, vcc
	v_cndmask_b32_e64 v41, 0, v36, s[14:15]
	v_cndmask_b32_e32 v42, v37, v38, vcc
	v_cmp_class_f32_e64 s[50:51], v39, s63
	v_cmp_eq_f32_e32 vcc, s59, v11
	v_cmp_eq_f32_e64 s[14:15], 0, v11
	v_cndmask_b32_e64 v11, |v40|, v41, s[14:15]
	s_and_b64 vcc, vcc, s[50:51]
	v_cndmask_b32_e32 v11, v11, v42, vcc
	v_cmp_o_f32_e32 vcc, v39, v39
	v_cndmask_b32_e32 v40, v33, v11, vcc
                                        ; implicit-def: $vgpr39
                                        ; implicit-def: $vgpr41
                                        ; implicit-def: $vgpr11
.LBB74_76:                              ;   in Loop: Header=BB74_4 Depth=1
	s_andn2_saveexec_b64 s[46:47], s[46:47]
	s_cbranch_execz .LBB74_78
; %bb.77:                               ;   in Loop: Header=BB74_4 Depth=1
	v_max_f32_e64 v40, |v39|, |v39|
	v_min_f32_e32 v42, v40, v41
	v_max_f32_e32 v40, v40, v41
	v_frexp_mant_f32_e32 v41, v40
	v_rcp_f32_e32 v41, v41
	v_frexp_exp_i32_f32_e32 v40, v40
	v_frexp_exp_i32_f32_e32 v43, v42
	v_frexp_mant_f32_e32 v42, v42
	v_mul_f32_e32 v41, v42, v41
	v_sub_u32_e32 v40, v43, v40
	v_ldexp_f32 v40, v41, v40
	v_mul_f32_e32 v41, v40, v40
	v_mov_b32_e32 v42, 0xbc7a590c
	v_fmac_f32_e32 v42, 0x3b2d2a58, v41
	v_fma_f32 v42, v41, v42, v25
	v_fma_f32 v42, v41, v42, v26
	;; [unrolled: 1-line block ×6, first 2 shown]
	v_mul_f32_e32 v41, v41, v42
	v_fmac_f32_e32 v40, v40, v41
	v_sub_f32_e32 v41, 0x3fc90fdb, v40
	v_cmp_gt_f32_e64 vcc, v11, |v39|
	v_cndmask_b32_e32 v40, v40, v41, vcc
	v_sub_f32_e32 v41, 0x40490fdb, v40
	v_cmp_gt_f32_e32 vcc, 0, v39
	v_cmp_gt_i32_e64 s[14:15], 0, v39
	v_cndmask_b32_e32 v40, v40, v41, vcc
	v_cndmask_b32_e64 v41, 0, v36, s[14:15]
	v_cndmask_b32_e32 v42, v37, v38, vcc
	v_cmp_class_f32_e64 s[50:51], v39, s63
	v_cmp_eq_f32_e32 vcc, s59, v11
	v_cmp_eq_f32_e64 s[14:15], 0, v11
	v_cndmask_b32_e64 v11, |v40|, v41, s[14:15]
	s_and_b64 vcc, vcc, s[50:51]
	v_cndmask_b32_e32 v11, v11, v42, vcc
	v_cmp_o_f32_e32 vcc, v39, v39
	v_cndmask_b32_e32 v40, v33, v11, vcc
.LBB74_78:                              ;   in Loop: Header=BB74_4 Depth=1
	s_or_b64 exec, exec, s[46:47]
                                        ; implicit-def: $vgpr11
	s_andn2_saveexec_b64 s[14:15], s[48:49]
	s_cbranch_execnz .LBB74_80
	s_branch .LBB74_81
.LBB74_79:                              ;   in Loop: Header=BB74_4 Depth=1
	s_andn2_saveexec_b64 s[14:15], s[48:49]
	s_cbranch_execz .LBB74_81
.LBB74_80:                              ;   in Loop: Header=BB74_4 Depth=1
	v_min_f32_e32 v39, 2.0, v11
	v_max_f32_e32 v11, 2.0, v11
	v_frexp_mant_f32_e32 v40, v11
	v_rcp_f32_e32 v40, v40
	v_frexp_exp_i32_f32_e32 v11, v11
	v_frexp_exp_i32_f32_e32 v41, v39
	v_frexp_mant_f32_e32 v39, v39
	v_mul_f32_e32 v39, v39, v40
	v_sub_u32_e32 v11, v41, v11
	v_ldexp_f32 v11, v39, v11
	v_mul_f32_e32 v39, v11, v11
	v_mov_b32_e32 v40, 0xbc7a590c
	v_fmac_f32_e32 v40, 0x3b2d2a58, v39
	v_fma_f32 v40, v39, v40, v25
	v_fma_f32 v40, v39, v40, v26
	;; [unrolled: 1-line block ×6, first 2 shown]
	v_mul_f32_e32 v39, v39, v40
	v_fmac_f32_e32 v11, v11, v39
	v_sub_f32_e32 v39, 0x3fc90fdb, v11
	v_cmp_lt_f32_e64 vcc, |v12|, 2.0
	v_cndmask_b32_e32 v11, v11, v39, vcc
	v_sub_f32_e32 v39, 0x40490fdb, v11
	v_cmp_lg_f32_e32 vcc, 0, v12
	v_cndmask_b32_e32 v11, v11, v39, vcc
	v_and_b32_e32 v40, 0x7fffffff, v11
.LBB74_81:                              ;   in Loop: Header=BB74_4 Depth=1
	s_or_b64 exec, exec, s[14:15]
	v_mul_f32_e32 v39, 0.5, v40
	v_bfi_b32 v11, s64, v10, v13
	v_bfi_b32 v10, s64, v39, v12
                                        ; implicit-def: $vgpr12
.LBB74_82:                              ;   in Loop: Header=BB74_4 Depth=1
	s_andn2_saveexec_b64 s[14:15], s[44:45]
	s_cbranch_execz .LBB74_84
; %bb.83:                               ;   in Loop: Header=BB74_4 Depth=1
	v_mov_b32_e32 v10, s26
	v_mov_b32_e32 v11, s27
	flat_store_dword v[10:11], v31
	s_waitcnt vmcnt(0)
	flat_load_dword v10, v[10:11] glc
	s_waitcnt vmcnt(0) lgkmcnt(0)
	v_add_f32_e32 v39, 1.0, v10
	v_mov_b32_e32 v10, s28
	v_mov_b32_e32 v11, s29
	flat_store_dword v[10:11], v39
	s_waitcnt vmcnt(0)
	flat_load_dword v10, v[10:11] glc
	s_waitcnt vmcnt(0) lgkmcnt(0)
	v_mov_b32_e32 v10, v12
	v_mov_b32_e32 v11, v13
.LBB74_84:                              ;   in Loop: Header=BB74_4 Depth=1
	s_or_b64 exec, exec, s[14:15]
                                        ; implicit-def: $vgpr12
.LBB74_85:                              ;   in Loop: Header=BB74_4 Depth=1
	s_andn2_saveexec_b64 s[14:15], s[42:43]
	s_cbranch_execz .LBB74_99
; %bb.86:                               ;   in Loop: Header=BB74_4 Depth=1
	v_and_b32_e32 v10, 0x7f800000, v13
	v_and_b32_e32 v39, 0x7f800000, v12
	v_sub_u32_e32 v11, v10, v39
	v_cmp_gt_i32_e32 vcc, s65, v11
	v_cmp_neq_f32_e64 s[42:43], |v13|, s59
	s_and_b64 s[42:43], s[42:43], vcc
                                        ; implicit-def: $vgpr11
	s_and_saveexec_b64 s[44:45], s[42:43]
	s_xor_b64 s[42:43], exec, s[44:45]
	s_cbranch_execz .LBB74_96
; %bb.87:                               ;   in Loop: Header=BB74_4 Depth=1
	v_sub_u32_e32 v11, v39, v10
	v_cmp_gt_i32_e32 vcc, s65, v11
                                        ; implicit-def: $vgpr11
	s_and_saveexec_b64 s[44:45], vcc
	s_xor_b64 s[44:45], exec, s[44:45]
	s_cbranch_execz .LBB74_93
; %bb.88:                               ;   in Loop: Header=BB74_4 Depth=1
	v_cmp_lt_u32_e32 vcc, s66, v10
                                        ; implicit-def: $vgpr11
	s_and_saveexec_b64 s[46:47], vcc
	s_xor_b64 s[46:47], exec, s[46:47]
	s_cbranch_execz .LBB74_90
; %bb.89:                               ;   in Loop: Header=BB74_4 Depth=1
	v_sub_u32_e32 v10, 0x7f800000, v10
	v_mul_f32_e32 v11, v13, v10
	v_mul_f32_e32 v13, v12, v10
	;; [unrolled: 1-line block ×3, first 2 shown]
	v_fmac_f32_e32 v13, v11, v11
	v_div_scale_f32 v39, s[48:49], v13, v13, v11
	v_div_scale_f32 v40, vcc, v11, v13, v11
	v_rcp_f32_e32 v41, v39
	v_fma_f32 v42, -v39, v41, 1.0
	v_fmac_f32_e32 v41, v42, v41
	v_mul_f32_e32 v42, v40, v41
	v_fma_f32 v43, -v39, v42, v40
	v_fmac_f32_e32 v42, v43, v41
	v_fma_f32 v39, -v39, v42, v40
	v_div_fmas_f32 v39, v39, v41, v42
	v_div_fixup_f32 v11, v39, v13, v11
	v_mul_f32_e32 v11, v11, v10
.LBB74_90:                              ;   in Loop: Header=BB74_4 Depth=1
	s_andn2_saveexec_b64 s[46:47], s[46:47]
	s_cbranch_execz .LBB74_92
; %bb.91:                               ;   in Loop: Header=BB74_4 Depth=1
	v_mul_f32_e32 v10, v12, v12
	v_fmac_f32_e32 v10, v13, v13
	v_div_scale_f32 v11, s[48:49], v10, v10, v13
	v_div_scale_f32 v39, vcc, v13, v10, v13
	v_rcp_f32_e32 v40, v11
	v_fma_f32 v41, -v11, v40, 1.0
	v_fmac_f32_e32 v40, v41, v40
	v_mul_f32_e32 v41, v39, v40
	v_fma_f32 v42, -v11, v41, v39
	v_fmac_f32_e32 v41, v42, v40
	v_fma_f32 v11, -v11, v41, v39
	v_div_fmas_f32 v11, v11, v40, v41
	v_div_fixup_f32 v11, v11, v10, v13
.LBB74_92:                              ;   in Loop: Header=BB74_4 Depth=1
	s_or_b64 exec, exec, s[46:47]
.LBB74_93:                              ;   in Loop: Header=BB74_4 Depth=1
	s_andn2_saveexec_b64 s[44:45], s[44:45]
	s_cbranch_execz .LBB74_95
; %bb.94:                               ;   in Loop: Header=BB74_4 Depth=1
	v_div_scale_f32 v10, s[46:47], v12, v12, v13
	v_div_scale_f32 v11, vcc, v13, v12, v13
	v_rcp_f32_e32 v39, v10
	v_fma_f32 v40, -v10, v39, 1.0
	v_fmac_f32_e32 v39, v40, v39
	v_mul_f32_e32 v40, v11, v39
	v_fma_f32 v41, -v10, v40, v11
	v_fmac_f32_e32 v40, v41, v39
	v_fma_f32 v10, -v10, v40, v11
	v_div_fmas_f32 v10, v10, v39, v40
	v_div_fixup_f32 v10, v10, v12, v13
	v_div_scale_f32 v11, s[46:47], v12, v12, v10
	v_div_scale_f32 v13, vcc, v10, v12, v10
	v_rcp_f32_e32 v39, v11
	v_fma_f32 v40, -v11, v39, 1.0
	v_fmac_f32_e32 v39, v40, v39
	v_mul_f32_e32 v40, v13, v39
	v_fma_f32 v41, -v11, v40, v13
	v_fmac_f32_e32 v40, v41, v39
	v_fma_f32 v11, -v11, v40, v13
	v_div_fmas_f32 v11, v11, v39, v40
	v_div_fixup_f32 v11, v11, v12, v10
.LBB74_95:                              ;   in Loop: Header=BB74_4 Depth=1
	s_or_b64 exec, exec, s[44:45]
.LBB74_96:                              ;   in Loop: Header=BB74_4 Depth=1
	s_andn2_saveexec_b64 s[42:43], s[42:43]
	s_cbranch_execz .LBB74_98
; %bb.97:                               ;   in Loop: Header=BB74_4 Depth=1
	v_div_scale_f32 v10, s[44:45], v13, v13, 1.0
	v_div_scale_f32 v11, vcc, 1.0, v13, 1.0
	v_rcp_f32_e32 v39, v10
	v_fma_f32 v40, -v10, v39, 1.0
	v_fmac_f32_e32 v39, v40, v39
	v_mul_f32_e32 v40, v11, v39
	v_fma_f32 v41, -v10, v40, v11
	v_fmac_f32_e32 v40, v41, v39
	v_fma_f32 v10, -v10, v40, v11
	v_div_fmas_f32 v10, v10, v39, v40
	v_div_fixup_f32 v11, v10, v13, 1.0
.LBB74_98:                              ;   in Loop: Header=BB74_4 Depth=1
	s_or_b64 exec, exec, s[42:43]
	v_mov_b32_e32 v40, s21
	v_mov_b32_e32 v39, s20
	flat_load_dword v10, v[39:40] glc
	s_waitcnt vmcnt(0) lgkmcnt(0)
	v_add_f32_e32 v10, 0x3fc90fdb, v10
	v_bfi_b32 v10, s64, v10, v12
.LBB74_99:                              ;   in Loop: Header=BB74_4 Depth=1
	s_or_b64 exec, exec, s[14:15]
                                        ; implicit-def: $vgpr13
.LBB74_100:                             ;   in Loop: Header=BB74_4 Depth=1
	s_andn2_saveexec_b64 s[14:15], s[40:41]
	s_cbranch_execz .LBB74_110
; %bb.101:                              ;   in Loop: Header=BB74_4 Depth=1
	v_cmp_neq_f32_e64 s[40:41], |v13|, s59
                                        ; implicit-def: $vgpr10
	s_and_saveexec_b64 s[42:43], s[40:41]
	s_xor_b64 s[40:41], exec, s[42:43]
	s_cbranch_execz .LBB74_107
; %bb.102:                              ;   in Loop: Header=BB74_4 Depth=1
	v_cmp_neq_f32_e64 s[42:43], |v12|, s59
                                        ; implicit-def: $vgpr10
	s_and_saveexec_b64 s[44:45], s[42:43]
	s_xor_b64 s[42:43], exec, s[44:45]
; %bb.103:                              ;   in Loop: Header=BB74_4 Depth=1
	v_add_f32_e32 v10, 0, v12
	v_add_f32_e32 v10, v13, v10
                                        ; implicit-def: $vgpr13
; %bb.104:                              ;   in Loop: Header=BB74_4 Depth=1
	s_or_saveexec_b64 s[42:43], s[42:43]
	v_mov_b32_e32 v11, v10
	s_xor_b64 exec, exec, s[42:43]
	s_cbranch_execz .LBB74_106
; %bb.105:                              ;   in Loop: Header=BB74_4 Depth=1
	v_mov_b32_e32 v10, s20
	v_mov_b32_e32 v11, s21
	flat_load_dword v10, v[10:11] glc
	s_waitcnt vmcnt(0)
	v_bfi_b32 v11, s64, 0, v13
	s_waitcnt lgkmcnt(0)
	v_add_f32_e32 v10, 0x3fc90fdb, v10
	v_bfi_b32 v10, s64, v10, v12
.LBB74_106:                             ;   in Loop: Header=BB74_4 Depth=1
	s_or_b64 exec, exec, s[42:43]
                                        ; implicit-def: $vgpr13
.LBB74_107:                             ;   in Loop: Header=BB74_4 Depth=1
	s_andn2_saveexec_b64 s[40:41], s[40:41]
; %bb.108:                              ;   in Loop: Header=BB74_4 Depth=1
	v_bfi_b32 v11, s64, 0, v13
	v_add_f32_e32 v10, v12, v12
; %bb.109:                              ;   in Loop: Header=BB74_4 Depth=1
	s_or_b64 exec, exec, s[40:41]
.LBB74_110:                             ;   in Loop: Header=BB74_4 Depth=1
	s_or_b64 exec, exec, s[14:15]
                                        ; implicit-def: $vgpr12
.LBB74_111:                             ;   in Loop: Header=BB74_4 Depth=1
	s_andn2_saveexec_b64 s[14:15], s[38:39]
	s_cbranch_execz .LBB74_113
; %bb.112:                              ;   in Loop: Header=BB74_4 Depth=1
	v_rcp_f32_e64 v10, |v12|
	v_cmp_gt_f32_e64 vcc, |v12|, 1.0
	v_mov_b32_e32 v11, 0xbc7a590c
	v_cndmask_b32_e64 v10, |v12|, v10, vcc
	v_mul_f32_e32 v39, v10, v10
	v_fmac_f32_e32 v11, 0x3b2d2a58, v39
	v_fma_f32 v11, v39, v11, v25
	v_fma_f32 v11, v39, v11, v26
	;; [unrolled: 1-line block ×6, first 2 shown]
	v_mul_f32_e32 v11, v39, v11
	v_fmac_f32_e32 v10, v10, v11
	v_sub_f32_e32 v11, 0x3fc90fdb, v10
	v_cndmask_b32_e32 v10, v10, v11, vcc
	v_bfi_b32 v10, s64, v10, v12
	v_mov_b32_e32 v11, v13
.LBB74_113:                             ;   in Loop: Header=BB74_4 Depth=1
	s_or_b64 exec, exec, s[14:15]
                                        ; implicit-def: $vgpr13
.LBB74_114:                             ;   in Loop: Header=BB74_4 Depth=1
	s_andn2_saveexec_b64 s[14:15], s[36:37]
	s_cbranch_execz .LBB74_116
; %bb.115:                              ;   in Loop: Header=BB74_4 Depth=1
	v_sub_f32_e64 v10, 1.0, |v13|
	v_rcp_f32_e32 v11, v10
	v_add_f32_e64 v39, |v13|, 1.0
	v_sub_f32_e32 v40, 1.0, v10
	v_sub_f32_e64 v40, v40, |v13|
	v_mul_f32_e32 v41, v39, v11
	v_mul_f32_e32 v42, v10, v41
	v_fma_f32 v10, v41, v10, -v42
	v_fmac_f32_e32 v10, v41, v40
	v_add_f32_e32 v43, v42, v10
	v_sub_f32_e32 v44, v39, v43
	v_add_f32_e32 v40, -1.0, v39
	v_sub_f32_e32 v42, v43, v42
	v_sub_f32_e32 v39, v39, v44
	;; [unrolled: 1-line block ×4, first 2 shown]
	v_sub_f32_e64 v40, |v13|, v40
	v_add_f32_e32 v10, v10, v39
	v_add_f32_e32 v10, v40, v10
	v_add_f32_e32 v10, v44, v10
	v_mul_f32_e32 v39, v11, v10
	v_add_f32_e32 v40, v41, v39
	v_cvt_f64_f32_e32 v[10:11], v40
	v_cmp_lt_f32_e64 s[36:37], |v13|, s67
	v_frexp_exp_i32_f64_e32 v10, v[10:11]
	v_sub_f32_e32 v11, v40, v41
	v_frexp_mant_f32_e32 v41, v40
	v_cmp_gt_f32_e32 vcc, s57, v41
	v_sub_f32_e32 v11, v39, v11
	v_subbrev_co_u32_e32 v10, vcc, 0, v10, vcc
	v_sub_u32_e32 v39, 0, v10
	v_ldexp_f32 v40, v40, v39
	v_ldexp_f32 v11, v11, v39
	v_add_f32_e32 v39, -1.0, v40
	v_add_f32_e32 v43, 1.0, v40
	v_add_f32_e32 v41, 1.0, v39
	v_add_f32_e32 v44, -1.0, v43
	v_sub_f32_e32 v41, v40, v41
	v_sub_f32_e32 v40, v40, v44
	v_add_f32_e32 v41, v11, v41
	v_add_f32_e32 v11, v11, v40
	;; [unrolled: 1-line block ×3, first 2 shown]
	v_rcp_f32_e32 v44, v40
	v_add_f32_e32 v42, v39, v41
	v_sub_f32_e32 v39, v42, v39
	v_sub_f32_e32 v39, v41, v39
	;; [unrolled: 1-line block ×4, first 2 shown]
	v_mul_f32_e32 v41, v42, v44
	v_mul_f32_e32 v43, v40, v41
	v_fma_f32 v45, v41, v40, -v43
	v_fmac_f32_e32 v45, v41, v11
	v_add_f32_e32 v46, v43, v45
	v_sub_f32_e32 v47, v42, v46
	v_sub_f32_e32 v42, v42, v47
	;; [unrolled: 1-line block ×4, first 2 shown]
	v_add_f32_e32 v39, v39, v42
	v_sub_f32_e32 v42, v43, v45
	v_add_f32_e32 v39, v42, v39
	v_add_f32_e32 v42, v47, v39
	v_mul_f32_e32 v43, v44, v42
	v_mul_f32_e32 v45, v40, v43
	v_fma_f32 v40, v43, v40, -v45
	v_fmac_f32_e32 v40, v43, v11
	v_sub_f32_e32 v11, v47, v42
	v_add_f32_e32 v11, v39, v11
	v_add_f32_e32 v39, v45, v40
	v_sub_f32_e32 v46, v42, v39
	v_sub_f32_e32 v42, v42, v46
	;; [unrolled: 1-line block ×4, first 2 shown]
	v_add_f32_e32 v11, v11, v39
	v_sub_f32_e32 v39, v45, v40
	v_cvt_f32_i32_e32 v10, v10
	v_add_f32_e32 v11, v39, v11
	v_add_f32_e32 v39, v41, v43
	;; [unrolled: 1-line block ×3, first 2 shown]
	v_sub_f32_e32 v40, v39, v41
	v_mul_f32_e32 v11, v44, v11
	v_sub_f32_e32 v40, v43, v40
	v_add_f32_e32 v11, v40, v11
	v_mul_f32_e32 v43, 0x3f317218, v10
	v_add_f32_e32 v40, v39, v11
	v_fma_f32 v44, v10, s58, -v43
	v_mul_f32_e32 v41, v40, v40
	v_mov_b32_e32 v42, 0x3ecc95a3
	v_fmac_f32_e32 v44, 0xb102e308, v10
	v_sub_f32_e32 v10, v40, v39
	v_fmac_f32_e32 v42, 0x3e9b6dac, v41
	v_sub_f32_e32 v10, v11, v10
	v_add_f32_e32 v11, v43, v44
	v_fma_f32 v42, v41, v42, v24
	v_sub_f32_e32 v39, v11, v43
	v_ldexp_f32 v43, v40, 1
	v_mul_f32_e32 v40, v40, v41
	v_mul_f32_e32 v40, v40, v42
	v_add_f32_e32 v41, v43, v40
	v_sub_f32_e32 v42, v41, v43
	v_ldexp_f32 v10, v10, 1
	v_sub_f32_e32 v40, v40, v42
	v_add_f32_e32 v10, v10, v40
	v_add_f32_e32 v40, v41, v10
	v_sub_f32_e32 v41, v40, v41
	v_sub_f32_e32 v10, v10, v41
	v_add_f32_e32 v41, v11, v40
	v_sub_f32_e32 v42, v41, v11
	v_sub_f32_e32 v43, v41, v42
	;; [unrolled: 1-line block ×5, first 2 shown]
	v_add_f32_e32 v11, v40, v11
	v_add_f32_e32 v40, v39, v10
	v_sub_f32_e32 v42, v40, v39
	v_sub_f32_e32 v43, v40, v42
	;; [unrolled: 1-line block ×4, first 2 shown]
	v_add_f32_e32 v11, v40, v11
	v_add_f32_e32 v10, v10, v39
	;; [unrolled: 1-line block ×3, first 2 shown]
	v_sub_f32_e32 v40, v39, v41
	v_sub_f32_e32 v11, v11, v40
	v_add_f32_e32 v10, v10, v11
	v_add_f32_e32 v10, v39, v10
	v_mul_f32_e32 v10, 0.5, v10
	v_cndmask_b32_e64 v10, v10, |v13|, s[36:37]
	v_cmp_neq_f32_e64 vcc, |v13|, 1.0
	v_cndmask_b32_e32 v10, v32, v10, vcc
	v_bfi_b32 v11, s64, v10, v13
	v_mov_b32_e32 v10, v12
.LBB74_116:                             ;   in Loop: Header=BB74_4 Depth=1
	s_or_b64 exec, exec, s[14:15]
	v_mov_b32_e32 v12, s20
	v_cmp_neq_f32_e32 vcc, 0, v8
	v_cmp_nle_f32_e64 s[14:15], |v9|, 1.0
	v_mov_b32_e32 v13, s21
	s_or_b64 s[14:15], vcc, s[14:15]
	flat_store_dword v[12:13], v23
	s_waitcnt vmcnt(0)
                                        ; implicit-def: $vgpr12
	s_and_saveexec_b64 s[36:37], s[14:15]
	s_xor_b64 s[36:37], exec, s[36:37]
	s_cbranch_execz .LBB74_166
; %bb.117:                              ;   in Loop: Header=BB74_4 Depth=1
	v_cmp_neq_f32_e32 vcc, 0, v9
                                        ; implicit-def: $vgpr12
	s_and_saveexec_b64 s[14:15], vcc
	s_xor_b64 s[38:39], exec, s[14:15]
	s_cbranch_execz .LBB74_163
; %bb.118:                              ;   in Loop: Header=BB74_4 Depth=1
	v_cmp_o_f32_e32 vcc, v9, v8
                                        ; implicit-def: $vgpr12
	s_and_saveexec_b64 s[14:15], vcc
	s_xor_b64 s[40:41], exec, s[14:15]
	s_cbranch_execz .LBB74_152
; %bb.119:                              ;   in Loop: Header=BB74_4 Depth=1
	v_max_f32_e64 v13, |v8|, |v8|
	v_max_f32_e64 v12, |v9|, |v9|
	v_max_f32_e32 v12, v12, v13
	v_cmp_nlt_f32_e32 vcc, s53, v12
                                        ; implicit-def: $vgpr12
	s_and_saveexec_b64 s[14:15], vcc
	s_xor_b64 s[42:43], exec, s[14:15]
	s_cbranch_execz .LBB74_137
; %bb.120:                              ;   in Loop: Header=BB74_4 Depth=1
	v_cmp_nlt_f32_e64 s[14:15], |v9|, s54
	v_cmp_nlt_f32_e64 s[44:45], |v8|, s54
	s_or_b64 s[14:15], s[14:15], s[44:45]
                                        ; implicit-def: $vgpr12
	s_and_saveexec_b64 s[44:45], s[14:15]
	s_xor_b64 s[44:45], exec, s[44:45]
	s_cbranch_execz .LBB74_134
; %bb.121:                              ;   in Loop: Header=BB74_4 Depth=1
	v_cmp_neq_f32_e64 s[48:49], |v9|, 1.0
	v_cmp_nlt_f32_e64 s[46:47], |v8|, s55
	s_or_b64 s[14:15], s[48:49], s[46:47]
                                        ; implicit-def: $vgpr12
	s_and_saveexec_b64 s[50:51], s[14:15]
	s_xor_b64 s[14:15], exec, s[50:51]
	s_cbranch_execz .LBB74_123
; %bb.122:                              ;   in Loop: Header=BB74_4 Depth=1
	v_add_f32_e64 v39, |v9|, -1.0
	v_mul_f32_e32 v39, v39, v39
	v_fma_f32 v40, v8, v8, v39
	v_cmp_lt_f32_e64 vcc, |v8|, s56
	v_mul_f32_e64 v12, |v9|, 4.0
	v_cndmask_b32_e32 v39, v40, v39, vcc
	v_div_scale_f32 v40, s[50:51], v39, v39, v12
	v_div_scale_f32 v41, vcc, v12, v39, v12
	v_rcp_f32_e32 v42, v40
	v_fma_f32 v43, -v40, v42, 1.0
	v_fmac_f32_e32 v42, v43, v42
	v_mul_f32_e32 v43, v41, v42
	v_fma_f32 v44, -v40, v43, v41
	v_fmac_f32_e32 v43, v44, v42
	v_fma_f32 v40, -v40, v43, v41
	v_div_fmas_f32 v40, v40, v42, v43
	v_mov_b32_e32 v42, 0x3ecc95a3
	v_div_fixup_f32 v12, v40, v39, v12
	v_add_f32_e32 v41, 1.0, v12
	v_cvt_f64_f32_e32 v[39:40], v41
	v_add_f32_e32 v43, -1.0, v41
	v_sub_f32_e32 v44, v43, v41
	v_sub_f32_e32 v43, v12, v43
	v_frexp_exp_i32_f64_e32 v39, v[39:40]
	v_frexp_mant_f32_e32 v40, v41
	v_cmp_gt_f32_e32 vcc, s57, v40
	v_add_f32_e32 v44, 1.0, v44
	v_add_f32_e32 v43, v43, v44
	v_subbrev_co_u32_e32 v39, vcc, 0, v39, vcc
	v_sub_u32_e32 v40, 0, v39
	v_cvt_f32_i32_e32 v39, v39
	v_ldexp_f32 v41, v41, v40
	v_ldexp_f32 v40, v43, v40
	v_add_f32_e32 v43, -1.0, v41
	v_add_f32_e32 v44, 1.0, v41
	v_add_f32_e32 v45, 1.0, v43
	v_add_f32_e32 v46, -1.0, v44
	v_sub_f32_e32 v45, v41, v45
	v_sub_f32_e32 v41, v41, v46
	v_mul_f32_e32 v46, 0x3f317218, v39
	v_add_f32_e32 v45, v40, v45
	v_add_f32_e32 v40, v40, v41
	v_fma_f32 v41, v39, s58, -v46
	v_add_f32_e32 v47, v43, v45
	v_add_f32_e32 v48, v44, v40
	v_fmac_f32_e32 v41, 0xb102e308, v39
	v_sub_f32_e32 v39, v47, v43
	v_sub_f32_e32 v43, v48, v44
	v_rcp_f32_e32 v44, v48
	v_add_f32_e32 v49, v46, v41
	v_sub_f32_e32 v40, v40, v43
	v_sub_f32_e32 v43, v49, v46
	;; [unrolled: 1-line block ×3, first 2 shown]
	v_mul_f32_e32 v43, v47, v44
	v_sub_f32_e32 v39, v45, v39
	v_mul_f32_e32 v45, v48, v43
	v_fma_f32 v46, v43, v48, -v45
	v_fmac_f32_e32 v46, v43, v40
	v_add_f32_e32 v50, v45, v46
	v_sub_f32_e32 v51, v47, v50
	v_sub_f32_e32 v45, v50, v45
	;; [unrolled: 1-line block ×5, first 2 shown]
	v_add_f32_e32 v39, v39, v46
	v_add_f32_e32 v39, v45, v39
	;; [unrolled: 1-line block ×3, first 2 shown]
	v_mul_f32_e32 v46, v44, v45
	v_sub_f32_e32 v47, v51, v45
	v_mul_f32_e32 v50, v48, v46
	v_add_f32_e32 v39, v39, v47
	v_add_f32_e32 v47, v43, v46
	v_fma_f32 v48, v46, v48, -v50
	v_sub_f32_e32 v43, v47, v43
	v_fmac_f32_e32 v48, v46, v40
	v_sub_f32_e32 v40, v46, v43
	v_add_f32_e32 v43, v50, v48
	v_sub_f32_e32 v46, v43, v50
	v_sub_f32_e32 v50, v45, v43
	;; [unrolled: 1-line block ×5, first 2 shown]
	v_add_f32_e32 v39, v39, v43
	v_add_f32_e32 v39, v46, v39
	;; [unrolled: 1-line block ×3, first 2 shown]
	v_mul_f32_e32 v39, v44, v39
	v_add_f32_e32 v39, v40, v39
	v_add_f32_e32 v40, v47, v39
	v_mul_f32_e32 v43, v40, v40
	v_fmac_f32_e32 v42, 0x3e9b6dac, v43
	v_sub_f32_e32 v44, v40, v47
	v_ldexp_f32 v45, v40, 1
	v_mul_f32_e32 v40, v40, v43
	v_fma_f32 v42, v43, v42, v24
	v_mul_f32_e32 v40, v40, v42
	v_add_f32_e32 v42, v45, v40
	v_sub_f32_e32 v39, v39, v44
	v_sub_f32_e32 v43, v42, v45
	v_ldexp_f32 v39, v39, 1
	v_sub_f32_e32 v40, v40, v43
	v_add_f32_e32 v39, v39, v40
	v_add_f32_e32 v40, v42, v39
	v_sub_f32_e32 v42, v40, v42
	v_sub_f32_e32 v39, v39, v42
	v_add_f32_e32 v42, v49, v40
	v_sub_f32_e32 v43, v42, v49
	v_sub_f32_e32 v44, v42, v43
	;; [unrolled: 1-line block ×4, first 2 shown]
	v_add_f32_e32 v43, v41, v39
	v_add_f32_e32 v40, v40, v44
	v_sub_f32_e32 v44, v43, v41
	v_sub_f32_e32 v45, v43, v44
	;; [unrolled: 1-line block ×4, first 2 shown]
	v_add_f32_e32 v40, v43, v40
	v_add_f32_e32 v39, v39, v41
	;; [unrolled: 1-line block ×3, first 2 shown]
	v_sub_f32_e32 v42, v41, v42
	v_sub_f32_e32 v40, v40, v42
	v_add_f32_e32 v39, v39, v40
	v_add_f32_e32 v39, v41, v39
	v_cmp_neq_f32_e32 vcc, s59, v12
	v_cndmask_b32_e32 v39, v32, v39, vcc
	v_cmp_ngt_f32_e32 vcc, -1.0, v12
	v_cndmask_b32_e32 v39, v33, v39, vcc
	v_cmp_neq_f32_e32 vcc, -1.0, v12
	v_cndmask_b32_e32 v39, v34, v39, vcc
	v_cmp_lt_f32_e64 vcc, |v12|, s60
	v_cndmask_b32_e32 v12, v39, v12, vcc
	v_mul_f32_e32 v12, 0x3e800000, v12
	s_andn2_saveexec_b64 s[50:51], s[14:15]
	s_cbranch_execz .LBB74_125
	s_branch .LBB74_124
.LBB74_123:                             ;   in Loop: Header=BB74_4 Depth=1
	s_andn2_saveexec_b64 s[50:51], s[14:15]
	s_cbranch_execz .LBB74_125
.LBB74_124:                             ;   in Loop: Header=BB74_4 Depth=1
	v_cmp_lt_f32_e64 vcc, |v8|, s61
	v_cndmask_b32_e64 v12, 0, 32, vcc
	v_ldexp_f32 v12, |v8|, v12
	v_log_f32_e32 v12, v12
	v_mul_f32_e32 v39, 0x3f317217, v12
	v_fma_f32 v39, v12, s62, -v39
	v_fmac_f32_e32 v39, 0x3377d1cf, v12
	v_fmac_f32_e32 v39, 0x3f317217, v12
	v_cmp_lt_f32_e64 s[14:15], |v12|, s59
	v_cndmask_b32_e64 v12, v12, v39, s[14:15]
	v_cndmask_b32_e32 v39, 0, v35, vcc
	v_sub_f32_e32 v12, v12, v39
	v_sub_f32_e32 v12, 0x3f317218, v12
	v_mul_f32_e32 v12, 0.5, v12
.LBB74_125:                             ;   in Loop: Header=BB74_4 Depth=1
	s_or_b64 exec, exec, s[50:51]
                                        ; implicit-def: $vgpr40
	s_and_saveexec_b64 s[14:15], s[48:49]
	s_xor_b64 s[48:49], exec, s[14:15]
	s_cbranch_execz .LBB74_131
; %bb.126:                              ;   in Loop: Header=BB74_4 Depth=1
	v_add_f32_e64 v13, |v8|, |v8|
	v_sub_f32_e64 v39, 1.0, |v9|
	v_add_f32_e64 v40, |v9|, 1.0
	v_mul_f32_e32 v39, v39, v40
	v_max_f32_e32 v41, v13, v13
                                        ; implicit-def: $vgpr40
	s_and_saveexec_b64 s[14:15], s[46:47]
	s_xor_b64 s[46:47], exec, s[14:15]
	s_cbranch_execz .LBB74_128
; %bb.127:                              ;   in Loop: Header=BB74_4 Depth=1
	v_fma_f32 v39, -v8, v8, v39
	v_min_f32_e64 v40, |v39|, v41
	v_max_f32_e64 v41, |v39|, v41
	v_frexp_mant_f32_e32 v42, v41
	v_rcp_f32_e32 v42, v42
	v_frexp_exp_i32_f32_e32 v41, v41
	v_frexp_exp_i32_f32_e32 v43, v40
	v_frexp_mant_f32_e32 v40, v40
	v_mul_f32_e32 v40, v40, v42
	v_sub_u32_e32 v41, v43, v41
	v_ldexp_f32 v40, v40, v41
	v_mul_f32_e32 v41, v40, v40
	v_mov_b32_e32 v42, 0xbc7a590c
	v_fmac_f32_e32 v42, 0x3b2d2a58, v41
	v_fma_f32 v42, v41, v42, v25
	v_fma_f32 v42, v41, v42, v26
	;; [unrolled: 1-line block ×6, first 2 shown]
	v_mul_f32_e32 v41, v41, v42
	v_fmac_f32_e32 v40, v40, v41
	v_sub_f32_e32 v41, 0x3fc90fdb, v40
	v_cmp_gt_f32_e64 vcc, v13, |v39|
	v_cndmask_b32_e32 v40, v40, v41, vcc
	v_sub_f32_e32 v41, 0x40490fdb, v40
	v_cmp_gt_f32_e32 vcc, 0, v39
	v_cmp_gt_i32_e64 s[14:15], 0, v39
	v_cndmask_b32_e32 v40, v40, v41, vcc
	v_cndmask_b32_e64 v41, 0, v36, s[14:15]
	v_cndmask_b32_e32 v42, v37, v38, vcc
	v_cmp_class_f32_e64 s[50:51], v39, s63
	v_cmp_eq_f32_e32 vcc, s59, v13
	v_cmp_eq_f32_e64 s[14:15], 0, v13
	v_cndmask_b32_e64 v13, |v40|, v41, s[14:15]
	s_and_b64 vcc, vcc, s[50:51]
	v_cndmask_b32_e32 v13, v13, v42, vcc
	v_cmp_o_f32_e32 vcc, v39, v39
	v_cndmask_b32_e32 v40, v33, v13, vcc
                                        ; implicit-def: $vgpr39
                                        ; implicit-def: $vgpr41
                                        ; implicit-def: $vgpr13
.LBB74_128:                             ;   in Loop: Header=BB74_4 Depth=1
	s_andn2_saveexec_b64 s[46:47], s[46:47]
	s_cbranch_execz .LBB74_130
; %bb.129:                              ;   in Loop: Header=BB74_4 Depth=1
	v_max_f32_e64 v40, |v39|, |v39|
	v_min_f32_e32 v42, v40, v41
	v_max_f32_e32 v40, v40, v41
	v_frexp_mant_f32_e32 v41, v40
	v_rcp_f32_e32 v41, v41
	v_frexp_exp_i32_f32_e32 v40, v40
	v_frexp_exp_i32_f32_e32 v43, v42
	v_frexp_mant_f32_e32 v42, v42
	v_mul_f32_e32 v41, v42, v41
	v_sub_u32_e32 v40, v43, v40
	v_ldexp_f32 v40, v41, v40
	v_mul_f32_e32 v41, v40, v40
	v_mov_b32_e32 v42, 0xbc7a590c
	v_fmac_f32_e32 v42, 0x3b2d2a58, v41
	v_fma_f32 v42, v41, v42, v25
	v_fma_f32 v42, v41, v42, v26
	;; [unrolled: 1-line block ×6, first 2 shown]
	v_mul_f32_e32 v41, v41, v42
	v_fmac_f32_e32 v40, v40, v41
	v_sub_f32_e32 v41, 0x3fc90fdb, v40
	v_cmp_gt_f32_e64 vcc, v13, |v39|
	v_cndmask_b32_e32 v40, v40, v41, vcc
	v_sub_f32_e32 v41, 0x40490fdb, v40
	v_cmp_gt_f32_e32 vcc, 0, v39
	v_cmp_gt_i32_e64 s[14:15], 0, v39
	v_cndmask_b32_e32 v40, v40, v41, vcc
	v_cndmask_b32_e64 v41, 0, v36, s[14:15]
	v_cndmask_b32_e32 v42, v37, v38, vcc
	v_cmp_class_f32_e64 s[50:51], v39, s63
	v_cmp_eq_f32_e32 vcc, s59, v13
	v_cmp_eq_f32_e64 s[14:15], 0, v13
	v_cndmask_b32_e64 v13, |v40|, v41, s[14:15]
	s_and_b64 vcc, vcc, s[50:51]
	v_cndmask_b32_e32 v13, v13, v42, vcc
	v_cmp_o_f32_e32 vcc, v39, v39
	v_cndmask_b32_e32 v40, v33, v13, vcc
.LBB74_130:                             ;   in Loop: Header=BB74_4 Depth=1
	s_or_b64 exec, exec, s[46:47]
                                        ; implicit-def: $vgpr13
	s_andn2_saveexec_b64 s[14:15], s[48:49]
	s_cbranch_execnz .LBB74_132
	s_branch .LBB74_133
.LBB74_131:                             ;   in Loop: Header=BB74_4 Depth=1
	s_andn2_saveexec_b64 s[14:15], s[48:49]
	s_cbranch_execz .LBB74_133
.LBB74_132:                             ;   in Loop: Header=BB74_4 Depth=1
	v_min_f32_e32 v39, 2.0, v13
	v_max_f32_e32 v13, 2.0, v13
	v_frexp_mant_f32_e32 v40, v13
	v_rcp_f32_e32 v40, v40
	v_frexp_exp_i32_f32_e32 v13, v13
	v_frexp_exp_i32_f32_e32 v41, v39
	v_frexp_mant_f32_e32 v39, v39
	v_mul_f32_e32 v39, v39, v40
	v_sub_u32_e32 v13, v41, v13
	v_ldexp_f32 v13, v39, v13
	v_mul_f32_e32 v39, v13, v13
	v_mov_b32_e32 v40, 0xbc7a590c
	v_fmac_f32_e32 v40, 0x3b2d2a58, v39
	v_fma_f32 v40, v39, v40, v25
	v_fma_f32 v40, v39, v40, v26
	;; [unrolled: 1-line block ×6, first 2 shown]
	v_mul_f32_e32 v39, v39, v40
	v_fmac_f32_e32 v13, v13, v39
	v_sub_f32_e32 v39, 0x3fc90fdb, v13
	v_cmp_lt_f32_e64 vcc, |v8|, 2.0
	v_cndmask_b32_e32 v13, v13, v39, vcc
	v_sub_f32_e32 v39, 0x40490fdb, v13
	v_cmp_lg_f32_e32 vcc, 0, v8
	v_cndmask_b32_e32 v13, v13, v39, vcc
	v_and_b32_e32 v40, 0x7fffffff, v13
.LBB74_133:                             ;   in Loop: Header=BB74_4 Depth=1
	s_or_b64 exec, exec, s[14:15]
	v_mul_f32_e32 v39, 0.5, v40
	v_bfi_b32 v13, s64, v12, v9
	v_bfi_b32 v12, s64, v39, v8
                                        ; implicit-def: $vgpr8
.LBB74_134:                             ;   in Loop: Header=BB74_4 Depth=1
	s_andn2_saveexec_b64 s[14:15], s[44:45]
	s_cbranch_execz .LBB74_136
; %bb.135:                              ;   in Loop: Header=BB74_4 Depth=1
	v_mov_b32_e32 v12, s26
	v_mov_b32_e32 v13, s27
	flat_store_dword v[12:13], v31
	s_waitcnt vmcnt(0)
	flat_load_dword v12, v[12:13] glc
	s_waitcnt vmcnt(0) lgkmcnt(0)
	v_add_f32_e32 v39, 1.0, v12
	v_mov_b32_e32 v12, s28
	v_mov_b32_e32 v13, s29
	flat_store_dword v[12:13], v39
	s_waitcnt vmcnt(0)
	flat_load_dword v12, v[12:13] glc
	s_waitcnt vmcnt(0) lgkmcnt(0)
	v_mov_b32_e32 v12, v8
	v_mov_b32_e32 v13, v9
.LBB74_136:                             ;   in Loop: Header=BB74_4 Depth=1
	s_or_b64 exec, exec, s[14:15]
                                        ; implicit-def: $vgpr8
.LBB74_137:                             ;   in Loop: Header=BB74_4 Depth=1
	s_andn2_saveexec_b64 s[14:15], s[42:43]
	s_cbranch_execz .LBB74_151
; %bb.138:                              ;   in Loop: Header=BB74_4 Depth=1
	v_and_b32_e32 v12, 0x7f800000, v9
	v_and_b32_e32 v39, 0x7f800000, v8
	v_sub_u32_e32 v13, v12, v39
	v_cmp_gt_i32_e32 vcc, s65, v13
	v_cmp_neq_f32_e64 s[42:43], |v9|, s59
	s_and_b64 s[42:43], s[42:43], vcc
                                        ; implicit-def: $vgpr13
	s_and_saveexec_b64 s[44:45], s[42:43]
	s_xor_b64 s[42:43], exec, s[44:45]
	s_cbranch_execz .LBB74_148
; %bb.139:                              ;   in Loop: Header=BB74_4 Depth=1
	v_sub_u32_e32 v13, v39, v12
	v_cmp_gt_i32_e32 vcc, s65, v13
                                        ; implicit-def: $vgpr13
	s_and_saveexec_b64 s[44:45], vcc
	s_xor_b64 s[44:45], exec, s[44:45]
	s_cbranch_execz .LBB74_145
; %bb.140:                              ;   in Loop: Header=BB74_4 Depth=1
	v_cmp_lt_u32_e32 vcc, s66, v12
                                        ; implicit-def: $vgpr13
	s_and_saveexec_b64 s[46:47], vcc
	s_xor_b64 s[46:47], exec, s[46:47]
	s_cbranch_execz .LBB74_142
; %bb.141:                              ;   in Loop: Header=BB74_4 Depth=1
	v_sub_u32_e32 v12, 0x7f800000, v12
	v_mul_f32_e32 v13, v8, v12
	v_mul_f32_e32 v9, v9, v12
	;; [unrolled: 1-line block ×3, first 2 shown]
	v_fmac_f32_e32 v13, v9, v9
	v_div_scale_f32 v39, s[48:49], v13, v13, v9
	v_div_scale_f32 v40, vcc, v9, v13, v9
	v_rcp_f32_e32 v41, v39
	v_fma_f32 v42, -v39, v41, 1.0
	v_fmac_f32_e32 v41, v42, v41
	v_mul_f32_e32 v42, v40, v41
	v_fma_f32 v43, -v39, v42, v40
	v_fmac_f32_e32 v42, v43, v41
	v_fma_f32 v39, -v39, v42, v40
	v_div_fmas_f32 v39, v39, v41, v42
	v_div_fixup_f32 v9, v39, v13, v9
	v_mul_f32_e32 v13, v9, v12
.LBB74_142:                             ;   in Loop: Header=BB74_4 Depth=1
	s_andn2_saveexec_b64 s[46:47], s[46:47]
	s_cbranch_execz .LBB74_144
; %bb.143:                              ;   in Loop: Header=BB74_4 Depth=1
	v_mul_f32_e32 v12, v8, v8
	v_fmac_f32_e32 v12, v9, v9
	v_div_scale_f32 v13, s[48:49], v12, v12, v9
	v_div_scale_f32 v39, vcc, v9, v12, v9
	v_rcp_f32_e32 v40, v13
	v_fma_f32 v41, -v13, v40, 1.0
	v_fmac_f32_e32 v40, v41, v40
	v_mul_f32_e32 v41, v39, v40
	v_fma_f32 v42, -v13, v41, v39
	v_fmac_f32_e32 v41, v42, v40
	v_fma_f32 v13, -v13, v41, v39
	v_div_fmas_f32 v13, v13, v40, v41
	v_div_fixup_f32 v13, v13, v12, v9
.LBB74_144:                             ;   in Loop: Header=BB74_4 Depth=1
	s_or_b64 exec, exec, s[46:47]
.LBB74_145:                             ;   in Loop: Header=BB74_4 Depth=1
	s_andn2_saveexec_b64 s[44:45], s[44:45]
	s_cbranch_execz .LBB74_147
; %bb.146:                              ;   in Loop: Header=BB74_4 Depth=1
	v_div_scale_f32 v12, s[46:47], v8, v8, v9
	v_div_scale_f32 v13, vcc, v9, v8, v9
	v_rcp_f32_e32 v39, v12
	v_fma_f32 v40, -v12, v39, 1.0
	v_fmac_f32_e32 v39, v40, v39
	v_mul_f32_e32 v40, v13, v39
	v_fma_f32 v41, -v12, v40, v13
	v_fmac_f32_e32 v40, v41, v39
	v_fma_f32 v12, -v12, v40, v13
	v_div_fmas_f32 v12, v12, v39, v40
	v_div_fixup_f32 v9, v12, v8, v9
	v_div_scale_f32 v12, s[46:47], v8, v8, v9
	v_div_scale_f32 v13, vcc, v9, v8, v9
	v_rcp_f32_e32 v39, v12
	v_fma_f32 v40, -v12, v39, 1.0
	v_fmac_f32_e32 v39, v40, v39
	v_mul_f32_e32 v40, v13, v39
	v_fma_f32 v41, -v12, v40, v13
	v_fmac_f32_e32 v40, v41, v39
	v_fma_f32 v12, -v12, v40, v13
	v_div_fmas_f32 v12, v12, v39, v40
	v_div_fixup_f32 v13, v12, v8, v9
.LBB74_147:                             ;   in Loop: Header=BB74_4 Depth=1
	s_or_b64 exec, exec, s[44:45]
.LBB74_148:                             ;   in Loop: Header=BB74_4 Depth=1
	s_andn2_saveexec_b64 s[42:43], s[42:43]
	s_cbranch_execz .LBB74_150
; %bb.149:                              ;   in Loop: Header=BB74_4 Depth=1
	v_div_scale_f32 v12, s[44:45], v9, v9, 1.0
	v_div_scale_f32 v13, vcc, 1.0, v9, 1.0
	v_rcp_f32_e32 v39, v12
	v_fma_f32 v40, -v12, v39, 1.0
	v_fmac_f32_e32 v39, v40, v39
	v_mul_f32_e32 v40, v13, v39
	v_fma_f32 v41, -v12, v40, v13
	v_fmac_f32_e32 v40, v41, v39
	v_fma_f32 v12, -v12, v40, v13
	v_div_fmas_f32 v12, v12, v39, v40
	v_div_fixup_f32 v13, v12, v9, 1.0
.LBB74_150:                             ;   in Loop: Header=BB74_4 Depth=1
	s_or_b64 exec, exec, s[42:43]
	v_mov_b32_e32 v40, s21
	v_mov_b32_e32 v39, s20
	flat_load_dword v9, v[39:40] glc
	s_waitcnt vmcnt(0) lgkmcnt(0)
	v_add_f32_e32 v9, 0x3fc90fdb, v9
	v_bfi_b32 v12, s64, v9, v8
.LBB74_151:                             ;   in Loop: Header=BB74_4 Depth=1
	s_or_b64 exec, exec, s[14:15]
                                        ; implicit-def: $vgpr9
.LBB74_152:                             ;   in Loop: Header=BB74_4 Depth=1
	s_andn2_saveexec_b64 s[14:15], s[40:41]
	s_cbranch_execz .LBB74_162
; %bb.153:                              ;   in Loop: Header=BB74_4 Depth=1
	v_cmp_neq_f32_e64 s[40:41], |v9|, s59
                                        ; implicit-def: $vgpr12
	s_and_saveexec_b64 s[42:43], s[40:41]
	s_xor_b64 s[40:41], exec, s[42:43]
	s_cbranch_execz .LBB74_159
; %bb.154:                              ;   in Loop: Header=BB74_4 Depth=1
	v_cmp_neq_f32_e64 s[42:43], |v8|, s59
                                        ; implicit-def: $vgpr12
	s_and_saveexec_b64 s[44:45], s[42:43]
	s_xor_b64 s[42:43], exec, s[44:45]
; %bb.155:                              ;   in Loop: Header=BB74_4 Depth=1
	v_add_f32_e32 v8, 0, v8
	v_add_f32_e32 v12, v9, v8
                                        ; implicit-def: $vgpr9
; %bb.156:                              ;   in Loop: Header=BB74_4 Depth=1
	s_or_saveexec_b64 s[42:43], s[42:43]
	v_mov_b32_e32 v13, v12
	s_xor_b64 exec, exec, s[42:43]
	s_cbranch_execz .LBB74_158
; %bb.157:                              ;   in Loop: Header=BB74_4 Depth=1
	v_mov_b32_e32 v12, s20
	v_mov_b32_e32 v13, s21
	flat_load_dword v12, v[12:13] glc
	s_waitcnt vmcnt(0)
	v_bfi_b32 v13, s64, 0, v9
	s_waitcnt lgkmcnt(0)
	v_add_f32_e32 v9, 0x3fc90fdb, v12
	v_bfi_b32 v12, s64, v9, v8
.LBB74_158:                             ;   in Loop: Header=BB74_4 Depth=1
	s_or_b64 exec, exec, s[42:43]
                                        ; implicit-def: $vgpr9
.LBB74_159:                             ;   in Loop: Header=BB74_4 Depth=1
	s_andn2_saveexec_b64 s[40:41], s[40:41]
; %bb.160:                              ;   in Loop: Header=BB74_4 Depth=1
	v_bfi_b32 v13, s64, 0, v9
	v_add_f32_e32 v12, v8, v8
; %bb.161:                              ;   in Loop: Header=BB74_4 Depth=1
	s_or_b64 exec, exec, s[40:41]
.LBB74_162:                             ;   in Loop: Header=BB74_4 Depth=1
	s_or_b64 exec, exec, s[14:15]
                                        ; implicit-def: $vgpr8
.LBB74_163:                             ;   in Loop: Header=BB74_4 Depth=1
	s_andn2_saveexec_b64 s[14:15], s[38:39]
	s_cbranch_execz .LBB74_165
; %bb.164:                              ;   in Loop: Header=BB74_4 Depth=1
	v_rcp_f32_e64 v12, |v8|
	v_cmp_gt_f32_e64 vcc, |v8|, 1.0
	v_mov_b32_e32 v13, 0xbc7a590c
	v_cndmask_b32_e64 v12, |v8|, v12, vcc
	v_mul_f32_e32 v39, v12, v12
	v_fmac_f32_e32 v13, 0x3b2d2a58, v39
	v_fma_f32 v13, v39, v13, v25
	v_fma_f32 v13, v39, v13, v26
	;; [unrolled: 1-line block ×6, first 2 shown]
	v_mul_f32_e32 v13, v39, v13
	v_fmac_f32_e32 v12, v12, v13
	v_sub_f32_e32 v13, 0x3fc90fdb, v12
	v_cndmask_b32_e32 v12, v12, v13, vcc
	v_bfi_b32 v12, s64, v12, v8
	v_mov_b32_e32 v13, v9
.LBB74_165:                             ;   in Loop: Header=BB74_4 Depth=1
	s_or_b64 exec, exec, s[14:15]
                                        ; implicit-def: $vgpr9
.LBB74_166:                             ;   in Loop: Header=BB74_4 Depth=1
	s_andn2_saveexec_b64 s[14:15], s[36:37]
	s_cbranch_execz .LBB74_168
; %bb.167:                              ;   in Loop: Header=BB74_4 Depth=1
	v_sub_f32_e64 v12, 1.0, |v9|
	v_rcp_f32_e32 v13, v12
	v_add_f32_e64 v39, |v9|, 1.0
	v_sub_f32_e32 v40, 1.0, v12
	v_sub_f32_e64 v40, v40, |v9|
	v_mul_f32_e32 v41, v39, v13
	v_mul_f32_e32 v42, v12, v41
	v_fma_f32 v12, v41, v12, -v42
	v_fmac_f32_e32 v12, v41, v40
	v_add_f32_e32 v43, v42, v12
	v_sub_f32_e32 v44, v39, v43
	v_add_f32_e32 v40, -1.0, v39
	v_sub_f32_e32 v42, v43, v42
	v_sub_f32_e32 v39, v39, v44
	;; [unrolled: 1-line block ×4, first 2 shown]
	v_sub_f32_e64 v40, |v9|, v40
	v_add_f32_e32 v12, v12, v39
	v_add_f32_e32 v12, v40, v12
	;; [unrolled: 1-line block ×3, first 2 shown]
	v_mul_f32_e32 v39, v13, v12
	v_add_f32_e32 v40, v41, v39
	v_cvt_f64_f32_e32 v[12:13], v40
	v_cmp_lt_f32_e64 s[36:37], |v9|, s67
	v_frexp_exp_i32_f64_e32 v12, v[12:13]
	v_sub_f32_e32 v13, v40, v41
	v_frexp_mant_f32_e32 v41, v40
	v_cmp_gt_f32_e32 vcc, s57, v41
	v_sub_f32_e32 v13, v39, v13
	v_subbrev_co_u32_e32 v12, vcc, 0, v12, vcc
	v_sub_u32_e32 v39, 0, v12
	v_ldexp_f32 v40, v40, v39
	v_ldexp_f32 v13, v13, v39
	v_add_f32_e32 v39, -1.0, v40
	v_add_f32_e32 v43, 1.0, v40
	v_add_f32_e32 v41, 1.0, v39
	v_add_f32_e32 v44, -1.0, v43
	v_sub_f32_e32 v41, v40, v41
	v_sub_f32_e32 v40, v40, v44
	v_add_f32_e32 v41, v13, v41
	v_add_f32_e32 v13, v13, v40
	v_add_f32_e32 v40, v43, v13
	v_rcp_f32_e32 v44, v40
	v_add_f32_e32 v42, v39, v41
	v_sub_f32_e32 v39, v42, v39
	v_sub_f32_e32 v39, v41, v39
	;; [unrolled: 1-line block ×4, first 2 shown]
	v_mul_f32_e32 v41, v42, v44
	v_mul_f32_e32 v43, v40, v41
	v_fma_f32 v45, v41, v40, -v43
	v_fmac_f32_e32 v45, v41, v13
	v_add_f32_e32 v46, v43, v45
	v_sub_f32_e32 v47, v42, v46
	v_sub_f32_e32 v42, v42, v47
	;; [unrolled: 1-line block ×4, first 2 shown]
	v_add_f32_e32 v39, v39, v42
	v_sub_f32_e32 v42, v43, v45
	v_add_f32_e32 v39, v42, v39
	v_add_f32_e32 v42, v47, v39
	v_mul_f32_e32 v43, v44, v42
	v_mul_f32_e32 v45, v40, v43
	v_fma_f32 v40, v43, v40, -v45
	v_fmac_f32_e32 v40, v43, v13
	v_sub_f32_e32 v13, v47, v42
	v_add_f32_e32 v13, v39, v13
	v_add_f32_e32 v39, v45, v40
	v_sub_f32_e32 v46, v42, v39
	v_sub_f32_e32 v42, v42, v46
	v_sub_f32_e32 v45, v39, v45
	v_sub_f32_e32 v39, v42, v39
	v_add_f32_e32 v13, v13, v39
	v_sub_f32_e32 v39, v45, v40
	v_cvt_f32_i32_e32 v12, v12
	v_add_f32_e32 v13, v39, v13
	v_add_f32_e32 v39, v41, v43
	;; [unrolled: 1-line block ×3, first 2 shown]
	v_sub_f32_e32 v40, v39, v41
	v_mul_f32_e32 v13, v44, v13
	v_sub_f32_e32 v40, v43, v40
	v_add_f32_e32 v13, v40, v13
	v_mul_f32_e32 v43, 0x3f317218, v12
	v_add_f32_e32 v40, v39, v13
	v_fma_f32 v44, v12, s58, -v43
	v_mul_f32_e32 v41, v40, v40
	v_mov_b32_e32 v42, 0x3ecc95a3
	v_fmac_f32_e32 v44, 0xb102e308, v12
	v_sub_f32_e32 v12, v40, v39
	v_fmac_f32_e32 v42, 0x3e9b6dac, v41
	v_sub_f32_e32 v12, v13, v12
	v_add_f32_e32 v13, v43, v44
	v_fma_f32 v42, v41, v42, v24
	v_sub_f32_e32 v39, v13, v43
	v_ldexp_f32 v43, v40, 1
	v_mul_f32_e32 v40, v40, v41
	v_mul_f32_e32 v40, v40, v42
	v_add_f32_e32 v41, v43, v40
	v_sub_f32_e32 v42, v41, v43
	v_ldexp_f32 v12, v12, 1
	v_sub_f32_e32 v40, v40, v42
	v_add_f32_e32 v12, v12, v40
	v_add_f32_e32 v40, v41, v12
	v_sub_f32_e32 v41, v40, v41
	v_sub_f32_e32 v12, v12, v41
	v_add_f32_e32 v41, v13, v40
	v_sub_f32_e32 v42, v41, v13
	v_sub_f32_e32 v43, v41, v42
	;; [unrolled: 1-line block ×5, first 2 shown]
	v_add_f32_e32 v13, v40, v13
	v_add_f32_e32 v40, v39, v12
	v_sub_f32_e32 v42, v40, v39
	v_sub_f32_e32 v43, v40, v42
	;; [unrolled: 1-line block ×4, first 2 shown]
	v_add_f32_e32 v13, v40, v13
	v_add_f32_e32 v12, v12, v39
	;; [unrolled: 1-line block ×3, first 2 shown]
	v_sub_f32_e32 v40, v39, v41
	v_sub_f32_e32 v13, v13, v40
	v_add_f32_e32 v12, v12, v13
	v_add_f32_e32 v12, v39, v12
	v_mul_f32_e32 v12, 0.5, v12
	v_cndmask_b32_e64 v12, v12, |v9|, s[36:37]
	v_cmp_neq_f32_e64 vcc, |v9|, 1.0
	v_cndmask_b32_e32 v12, v32, v12, vcc
	v_bfi_b32 v13, s64, v12, v9
	v_mov_b32_e32 v12, v8
.LBB74_168:                             ;   in Loop: Header=BB74_4 Depth=1
	s_or_b64 exec, exec, s[14:15]
	v_mov_b32_e32 v8, s20
	v_cmp_neq_f32_e32 vcc, 0, v4
	v_cmp_nle_f32_e64 s[14:15], |v5|, 1.0
	v_mov_b32_e32 v9, s21
	s_or_b64 s[14:15], vcc, s[14:15]
	flat_store_dword v[8:9], v23
	s_waitcnt vmcnt(0)
                                        ; implicit-def: $vgpr8
	s_and_saveexec_b64 s[36:37], s[14:15]
	s_xor_b64 s[36:37], exec, s[36:37]
	s_cbranch_execz .LBB74_175
; %bb.169:                              ;   in Loop: Header=BB74_4 Depth=1
	v_cmp_neq_f32_e32 vcc, 0, v5
                                        ; implicit-def: $vgpr8
	s_and_saveexec_b64 s[14:15], vcc
	s_xor_b64 s[38:39], exec, s[14:15]
	s_cbranch_execz .LBB74_220
; %bb.170:                              ;   in Loop: Header=BB74_4 Depth=1
	v_cmp_o_f32_e32 vcc, v5, v4
                                        ; implicit-def: $vgpr8
	s_and_saveexec_b64 s[14:15], vcc
	s_xor_b64 s[40:41], exec, s[14:15]
	s_cbranch_execz .LBB74_209
; %bb.171:                              ;   in Loop: Header=BB74_4 Depth=1
	v_max_f32_e64 v9, |v4|, |v4|
	v_max_f32_e64 v8, |v5|, |v5|
	v_max_f32_e32 v8, v8, v9
	v_cmp_nlt_f32_e32 vcc, s53, v8
                                        ; implicit-def: $vgpr8
	s_and_saveexec_b64 s[14:15], vcc
	s_xor_b64 s[42:43], exec, s[14:15]
	s_cbranch_execz .LBB74_194
; %bb.172:                              ;   in Loop: Header=BB74_4 Depth=1
	v_cmp_nlt_f32_e64 s[14:15], |v5|, s54
	v_cmp_nlt_f32_e64 s[44:45], |v4|, s54
	s_or_b64 s[14:15], s[14:15], s[44:45]
                                        ; implicit-def: $vgpr8
	s_and_saveexec_b64 s[44:45], s[14:15]
	s_xor_b64 s[44:45], exec, s[44:45]
	s_cbranch_execz .LBB74_191
; %bb.173:                              ;   in Loop: Header=BB74_4 Depth=1
	v_cmp_neq_f32_e64 s[48:49], |v5|, 1.0
	v_cmp_nlt_f32_e64 s[46:47], |v4|, s55
	s_or_b64 s[14:15], s[48:49], s[46:47]
                                        ; implicit-def: $vgpr8
	s_and_saveexec_b64 s[50:51], s[14:15]
	s_xor_b64 s[14:15], exec, s[50:51]
	s_cbranch_execz .LBB74_180
; %bb.174:                              ;   in Loop: Header=BB74_4 Depth=1
	v_add_f32_e64 v39, |v5|, -1.0
	v_mul_f32_e32 v39, v39, v39
	v_fma_f32 v40, v4, v4, v39
	v_cmp_lt_f32_e64 vcc, |v4|, s56
	v_mul_f32_e64 v8, |v5|, 4.0
	v_cndmask_b32_e32 v39, v40, v39, vcc
	v_div_scale_f32 v40, s[50:51], v39, v39, v8
	v_div_scale_f32 v41, vcc, v8, v39, v8
	v_rcp_f32_e32 v42, v40
	v_fma_f32 v43, -v40, v42, 1.0
	v_fmac_f32_e32 v42, v43, v42
	v_mul_f32_e32 v43, v41, v42
	v_fma_f32 v44, -v40, v43, v41
	v_fmac_f32_e32 v43, v44, v42
	v_fma_f32 v40, -v40, v43, v41
	v_div_fmas_f32 v40, v40, v42, v43
	v_mov_b32_e32 v42, 0x3ecc95a3
	v_div_fixup_f32 v8, v40, v39, v8
	v_add_f32_e32 v41, 1.0, v8
	v_cvt_f64_f32_e32 v[39:40], v41
	v_add_f32_e32 v43, -1.0, v41
	v_sub_f32_e32 v44, v43, v41
	v_sub_f32_e32 v43, v8, v43
	v_frexp_exp_i32_f64_e32 v39, v[39:40]
	v_frexp_mant_f32_e32 v40, v41
	v_cmp_gt_f32_e32 vcc, s57, v40
	v_add_f32_e32 v44, 1.0, v44
	v_add_f32_e32 v43, v43, v44
	v_subbrev_co_u32_e32 v39, vcc, 0, v39, vcc
	v_sub_u32_e32 v40, 0, v39
	v_cvt_f32_i32_e32 v39, v39
	v_ldexp_f32 v41, v41, v40
	v_ldexp_f32 v40, v43, v40
	v_add_f32_e32 v43, -1.0, v41
	v_add_f32_e32 v44, 1.0, v41
	v_add_f32_e32 v45, 1.0, v43
	v_add_f32_e32 v46, -1.0, v44
	v_sub_f32_e32 v45, v41, v45
	v_sub_f32_e32 v41, v41, v46
	v_mul_f32_e32 v46, 0x3f317218, v39
	v_add_f32_e32 v45, v40, v45
	v_add_f32_e32 v40, v40, v41
	v_fma_f32 v41, v39, s58, -v46
	v_add_f32_e32 v47, v43, v45
	v_add_f32_e32 v48, v44, v40
	v_fmac_f32_e32 v41, 0xb102e308, v39
	v_sub_f32_e32 v39, v47, v43
	v_sub_f32_e32 v43, v48, v44
	v_rcp_f32_e32 v44, v48
	v_add_f32_e32 v49, v46, v41
	v_sub_f32_e32 v40, v40, v43
	v_sub_f32_e32 v43, v49, v46
	;; [unrolled: 1-line block ×3, first 2 shown]
	v_mul_f32_e32 v43, v47, v44
	v_sub_f32_e32 v39, v45, v39
	v_mul_f32_e32 v45, v48, v43
	v_fma_f32 v46, v43, v48, -v45
	v_fmac_f32_e32 v46, v43, v40
	v_add_f32_e32 v50, v45, v46
	v_sub_f32_e32 v51, v47, v50
	v_sub_f32_e32 v45, v50, v45
	;; [unrolled: 1-line block ×5, first 2 shown]
	v_add_f32_e32 v39, v39, v46
	v_add_f32_e32 v39, v45, v39
	;; [unrolled: 1-line block ×3, first 2 shown]
	v_mul_f32_e32 v46, v44, v45
	v_sub_f32_e32 v47, v51, v45
	v_mul_f32_e32 v50, v48, v46
	v_add_f32_e32 v39, v39, v47
	v_add_f32_e32 v47, v43, v46
	v_fma_f32 v48, v46, v48, -v50
	v_sub_f32_e32 v43, v47, v43
	v_fmac_f32_e32 v48, v46, v40
	v_sub_f32_e32 v40, v46, v43
	v_add_f32_e32 v43, v50, v48
	v_sub_f32_e32 v46, v43, v50
	v_sub_f32_e32 v50, v45, v43
	;; [unrolled: 1-line block ×5, first 2 shown]
	v_add_f32_e32 v39, v39, v43
	v_add_f32_e32 v39, v46, v39
	;; [unrolled: 1-line block ×3, first 2 shown]
	v_mul_f32_e32 v39, v44, v39
	v_add_f32_e32 v39, v40, v39
	v_add_f32_e32 v40, v47, v39
	v_mul_f32_e32 v43, v40, v40
	v_fmac_f32_e32 v42, 0x3e9b6dac, v43
	v_sub_f32_e32 v44, v40, v47
	v_ldexp_f32 v45, v40, 1
	v_mul_f32_e32 v40, v40, v43
	v_fma_f32 v42, v43, v42, v24
	v_mul_f32_e32 v40, v40, v42
	v_add_f32_e32 v42, v45, v40
	v_sub_f32_e32 v39, v39, v44
	v_sub_f32_e32 v43, v42, v45
	v_ldexp_f32 v39, v39, 1
	v_sub_f32_e32 v40, v40, v43
	v_add_f32_e32 v39, v39, v40
	v_add_f32_e32 v40, v42, v39
	v_sub_f32_e32 v42, v40, v42
	v_sub_f32_e32 v39, v39, v42
	v_add_f32_e32 v42, v49, v40
	v_sub_f32_e32 v43, v42, v49
	v_sub_f32_e32 v44, v42, v43
	;; [unrolled: 1-line block ×4, first 2 shown]
	v_add_f32_e32 v43, v41, v39
	v_add_f32_e32 v40, v40, v44
	v_sub_f32_e32 v44, v43, v41
	v_sub_f32_e32 v45, v43, v44
	;; [unrolled: 1-line block ×4, first 2 shown]
	v_add_f32_e32 v40, v43, v40
	v_add_f32_e32 v39, v39, v41
	;; [unrolled: 1-line block ×3, first 2 shown]
	v_sub_f32_e32 v42, v41, v42
	v_sub_f32_e32 v40, v40, v42
	v_add_f32_e32 v39, v39, v40
	v_add_f32_e32 v39, v41, v39
	v_cmp_neq_f32_e32 vcc, s59, v8
	v_cndmask_b32_e32 v39, v32, v39, vcc
	v_cmp_ngt_f32_e32 vcc, -1.0, v8
	v_cndmask_b32_e32 v39, v33, v39, vcc
	v_cmp_neq_f32_e32 vcc, -1.0, v8
	v_cndmask_b32_e32 v39, v34, v39, vcc
	v_cmp_lt_f32_e64 vcc, |v8|, s60
	v_cndmask_b32_e32 v8, v39, v8, vcc
	v_mul_f32_e32 v8, 0x3e800000, v8
	s_andn2_saveexec_b64 s[50:51], s[14:15]
	s_cbranch_execz .LBB74_182
	s_branch .LBB74_181
.LBB74_175:                             ;   in Loop: Header=BB74_4 Depth=1
	s_andn2_saveexec_b64 s[14:15], s[36:37]
	s_cbranch_execz .LBB74_223
.LBB74_176:                             ;   in Loop: Header=BB74_4 Depth=1
	v_sub_f32_e64 v8, 1.0, |v5|
	v_rcp_f32_e32 v9, v8
	v_add_f32_e64 v39, |v5|, 1.0
	v_sub_f32_e32 v40, 1.0, v8
	v_sub_f32_e64 v40, v40, |v5|
	v_mul_f32_e32 v41, v39, v9
	v_mul_f32_e32 v42, v8, v41
	v_fma_f32 v8, v41, v8, -v42
	v_fmac_f32_e32 v8, v41, v40
	v_add_f32_e32 v43, v42, v8
	v_sub_f32_e32 v44, v39, v43
	v_add_f32_e32 v40, -1.0, v39
	v_sub_f32_e32 v42, v43, v42
	v_sub_f32_e32 v39, v39, v44
	;; [unrolled: 1-line block ×4, first 2 shown]
	v_sub_f32_e64 v40, |v5|, v40
	v_add_f32_e32 v8, v8, v39
	v_add_f32_e32 v8, v40, v8
	;; [unrolled: 1-line block ×3, first 2 shown]
	v_mul_f32_e32 v39, v9, v8
	v_add_f32_e32 v40, v41, v39
	v_cvt_f64_f32_e32 v[8:9], v40
	v_cmp_lt_f32_e64 s[36:37], |v5|, s67
	v_frexp_exp_i32_f64_e32 v8, v[8:9]
	v_sub_f32_e32 v9, v40, v41
	v_frexp_mant_f32_e32 v41, v40
	v_cmp_gt_f32_e32 vcc, s57, v41
	v_sub_f32_e32 v9, v39, v9
	v_subbrev_co_u32_e32 v8, vcc, 0, v8, vcc
	v_sub_u32_e32 v39, 0, v8
	v_ldexp_f32 v40, v40, v39
	v_ldexp_f32 v9, v9, v39
	v_add_f32_e32 v39, -1.0, v40
	v_add_f32_e32 v43, 1.0, v40
	v_add_f32_e32 v41, 1.0, v39
	v_add_f32_e32 v44, -1.0, v43
	v_sub_f32_e32 v41, v40, v41
	v_sub_f32_e32 v40, v40, v44
	v_add_f32_e32 v41, v9, v41
	v_add_f32_e32 v9, v9, v40
	;; [unrolled: 1-line block ×3, first 2 shown]
	v_rcp_f32_e32 v44, v40
	v_add_f32_e32 v42, v39, v41
	v_sub_f32_e32 v39, v42, v39
	v_sub_f32_e32 v39, v41, v39
	v_sub_f32_e32 v41, v40, v43
	v_sub_f32_e32 v9, v9, v41
	v_mul_f32_e32 v41, v42, v44
	v_mul_f32_e32 v43, v40, v41
	v_fma_f32 v45, v41, v40, -v43
	v_fmac_f32_e32 v45, v41, v9
	v_add_f32_e32 v46, v43, v45
	v_sub_f32_e32 v47, v42, v46
	v_sub_f32_e32 v42, v42, v47
	v_sub_f32_e32 v43, v46, v43
	v_sub_f32_e32 v42, v42, v46
	v_add_f32_e32 v39, v39, v42
	v_sub_f32_e32 v42, v43, v45
	v_add_f32_e32 v39, v42, v39
	v_add_f32_e32 v42, v47, v39
	v_mul_f32_e32 v43, v44, v42
	v_mul_f32_e32 v45, v40, v43
	v_fma_f32 v40, v43, v40, -v45
	v_fmac_f32_e32 v40, v43, v9
	v_sub_f32_e32 v9, v47, v42
	v_add_f32_e32 v9, v39, v9
	v_add_f32_e32 v39, v45, v40
	v_sub_f32_e32 v46, v42, v39
	v_sub_f32_e32 v42, v42, v46
	;; [unrolled: 1-line block ×4, first 2 shown]
	v_add_f32_e32 v9, v9, v39
	v_sub_f32_e32 v39, v45, v40
	v_cvt_f32_i32_e32 v8, v8
	v_add_f32_e32 v9, v39, v9
	v_add_f32_e32 v39, v41, v43
	;; [unrolled: 1-line block ×3, first 2 shown]
	v_sub_f32_e32 v40, v39, v41
	v_mul_f32_e32 v9, v44, v9
	v_sub_f32_e32 v40, v43, v40
	v_add_f32_e32 v9, v40, v9
	v_mul_f32_e32 v43, 0x3f317218, v8
	v_add_f32_e32 v40, v39, v9
	v_fma_f32 v44, v8, s58, -v43
	v_mul_f32_e32 v41, v40, v40
	v_mov_b32_e32 v42, 0x3ecc95a3
	v_fmac_f32_e32 v44, 0xb102e308, v8
	v_sub_f32_e32 v8, v40, v39
	v_fmac_f32_e32 v42, 0x3e9b6dac, v41
	v_sub_f32_e32 v8, v9, v8
	v_add_f32_e32 v9, v43, v44
	v_fma_f32 v42, v41, v42, v24
	v_sub_f32_e32 v39, v9, v43
	v_ldexp_f32 v43, v40, 1
	v_mul_f32_e32 v40, v40, v41
	v_mul_f32_e32 v40, v40, v42
	v_add_f32_e32 v41, v43, v40
	v_sub_f32_e32 v42, v41, v43
	v_ldexp_f32 v8, v8, 1
	v_sub_f32_e32 v40, v40, v42
	v_add_f32_e32 v8, v8, v40
	v_add_f32_e32 v40, v41, v8
	v_sub_f32_e32 v41, v40, v41
	v_sub_f32_e32 v8, v8, v41
	v_add_f32_e32 v41, v9, v40
	v_sub_f32_e32 v42, v41, v9
	v_sub_f32_e32 v43, v41, v42
	;; [unrolled: 1-line block ×5, first 2 shown]
	v_add_f32_e32 v9, v40, v9
	v_add_f32_e32 v40, v39, v8
	v_sub_f32_e32 v42, v40, v39
	v_sub_f32_e32 v43, v40, v42
	v_sub_f32_e32 v39, v39, v43
	v_sub_f32_e32 v8, v8, v42
	v_add_f32_e32 v9, v40, v9
	v_add_f32_e32 v8, v8, v39
	;; [unrolled: 1-line block ×3, first 2 shown]
	v_sub_f32_e32 v40, v39, v41
	v_sub_f32_e32 v9, v9, v40
	v_add_f32_e32 v8, v8, v9
	v_add_f32_e32 v8, v39, v8
	v_mul_f32_e32 v8, 0.5, v8
	v_cndmask_b32_e64 v8, v8, |v5|, s[36:37]
	v_cmp_neq_f32_e64 vcc, |v5|, 1.0
	v_cndmask_b32_e32 v8, v32, v8, vcc
	v_bfi_b32 v9, s64, v8, v5
	v_mov_b32_e32 v8, v4
	s_or_b64 exec, exec, s[14:15]
	s_and_saveexec_b64 s[14:15], s[6:7]
	s_xor_b64 s[6:7], exec, s[14:15]
	s_cbranch_execnz .LBB74_224
.LBB74_177:                             ;   in Loop: Header=BB74_4 Depth=1
	s_or_b64 exec, exec, s[6:7]
	s_and_saveexec_b64 s[6:7], s[8:9]
	s_cbranch_execz .LBB74_225
.LBB74_178:                             ;   in Loop: Header=BB74_4 Depth=1
	v_mov_b32_e32 v5, s35
	v_add_co_u32_e32 v4, vcc, s34, v18
	v_addc_co_u32_e32 v5, vcc, 0, v5, vcc
	global_store_dwordx2 v[4:5], v[10:11], off
	s_or_b64 exec, exec, s[6:7]
	s_and_saveexec_b64 s[6:7], s[10:11]
	s_cbranch_execnz .LBB74_226
.LBB74_179:                             ;   in Loop: Header=BB74_4 Depth=1
	s_or_b64 exec, exec, s[6:7]
	s_and_saveexec_b64 s[6:7], s[12:13]
	s_cbranch_execz .LBB74_3
	s_branch .LBB74_227
.LBB74_180:                             ;   in Loop: Header=BB74_4 Depth=1
	s_andn2_saveexec_b64 s[50:51], s[14:15]
	s_cbranch_execz .LBB74_182
.LBB74_181:                             ;   in Loop: Header=BB74_4 Depth=1
	v_cmp_lt_f32_e64 vcc, |v4|, s61
	v_cndmask_b32_e64 v8, 0, 32, vcc
	v_ldexp_f32 v8, |v4|, v8
	v_log_f32_e32 v8, v8
	v_mul_f32_e32 v39, 0x3f317217, v8
	v_fma_f32 v39, v8, s62, -v39
	v_fmac_f32_e32 v39, 0x3377d1cf, v8
	v_fmac_f32_e32 v39, 0x3f317217, v8
	v_cmp_lt_f32_e64 s[14:15], |v8|, s59
	v_cndmask_b32_e64 v8, v8, v39, s[14:15]
	v_cndmask_b32_e32 v39, 0, v35, vcc
	v_sub_f32_e32 v8, v8, v39
	v_sub_f32_e32 v8, 0x3f317218, v8
	v_mul_f32_e32 v8, 0.5, v8
.LBB74_182:                             ;   in Loop: Header=BB74_4 Depth=1
	s_or_b64 exec, exec, s[50:51]
                                        ; implicit-def: $vgpr40
	s_and_saveexec_b64 s[14:15], s[48:49]
	s_xor_b64 s[48:49], exec, s[14:15]
	s_cbranch_execz .LBB74_188
; %bb.183:                              ;   in Loop: Header=BB74_4 Depth=1
	v_add_f32_e64 v9, |v4|, |v4|
	v_sub_f32_e64 v39, 1.0, |v5|
	v_add_f32_e64 v40, |v5|, 1.0
	v_mul_f32_e32 v39, v39, v40
	v_max_f32_e32 v41, v9, v9
                                        ; implicit-def: $vgpr40
	s_and_saveexec_b64 s[14:15], s[46:47]
	s_xor_b64 s[46:47], exec, s[14:15]
	s_cbranch_execz .LBB74_185
; %bb.184:                              ;   in Loop: Header=BB74_4 Depth=1
	v_fma_f32 v39, -v4, v4, v39
	v_min_f32_e64 v40, |v39|, v41
	v_max_f32_e64 v41, |v39|, v41
	v_frexp_mant_f32_e32 v42, v41
	v_rcp_f32_e32 v42, v42
	v_frexp_exp_i32_f32_e32 v41, v41
	v_frexp_exp_i32_f32_e32 v43, v40
	v_frexp_mant_f32_e32 v40, v40
	v_mul_f32_e32 v40, v40, v42
	v_sub_u32_e32 v41, v43, v41
	v_ldexp_f32 v40, v40, v41
	v_mul_f32_e32 v41, v40, v40
	v_mov_b32_e32 v42, 0xbc7a590c
	v_fmac_f32_e32 v42, 0x3b2d2a58, v41
	v_fma_f32 v42, v41, v42, v25
	v_fma_f32 v42, v41, v42, v26
	;; [unrolled: 1-line block ×6, first 2 shown]
	v_mul_f32_e32 v41, v41, v42
	v_fmac_f32_e32 v40, v40, v41
	v_sub_f32_e32 v41, 0x3fc90fdb, v40
	v_cmp_gt_f32_e64 vcc, v9, |v39|
	v_cndmask_b32_e32 v40, v40, v41, vcc
	v_sub_f32_e32 v41, 0x40490fdb, v40
	v_cmp_gt_f32_e32 vcc, 0, v39
	v_cmp_gt_i32_e64 s[14:15], 0, v39
	v_cndmask_b32_e32 v40, v40, v41, vcc
	v_cndmask_b32_e64 v41, 0, v36, s[14:15]
	v_cndmask_b32_e32 v42, v37, v38, vcc
	v_cmp_class_f32_e64 s[50:51], v39, s63
	v_cmp_eq_f32_e32 vcc, s59, v9
	v_cmp_eq_f32_e64 s[14:15], 0, v9
	v_cndmask_b32_e64 v9, |v40|, v41, s[14:15]
	s_and_b64 vcc, vcc, s[50:51]
	v_cndmask_b32_e32 v9, v9, v42, vcc
	v_cmp_o_f32_e32 vcc, v39, v39
	v_cndmask_b32_e32 v40, v33, v9, vcc
                                        ; implicit-def: $vgpr39
                                        ; implicit-def: $vgpr41
                                        ; implicit-def: $vgpr9
.LBB74_185:                             ;   in Loop: Header=BB74_4 Depth=1
	s_andn2_saveexec_b64 s[46:47], s[46:47]
	s_cbranch_execz .LBB74_187
; %bb.186:                              ;   in Loop: Header=BB74_4 Depth=1
	v_max_f32_e64 v40, |v39|, |v39|
	v_min_f32_e32 v42, v40, v41
	v_max_f32_e32 v40, v40, v41
	v_frexp_mant_f32_e32 v41, v40
	v_rcp_f32_e32 v41, v41
	v_frexp_exp_i32_f32_e32 v40, v40
	v_frexp_exp_i32_f32_e32 v43, v42
	v_frexp_mant_f32_e32 v42, v42
	v_mul_f32_e32 v41, v42, v41
	v_sub_u32_e32 v40, v43, v40
	v_ldexp_f32 v40, v41, v40
	v_mul_f32_e32 v41, v40, v40
	v_mov_b32_e32 v42, 0xbc7a590c
	v_fmac_f32_e32 v42, 0x3b2d2a58, v41
	v_fma_f32 v42, v41, v42, v25
	v_fma_f32 v42, v41, v42, v26
	;; [unrolled: 1-line block ×6, first 2 shown]
	v_mul_f32_e32 v41, v41, v42
	v_fmac_f32_e32 v40, v40, v41
	v_sub_f32_e32 v41, 0x3fc90fdb, v40
	v_cmp_gt_f32_e64 vcc, v9, |v39|
	v_cndmask_b32_e32 v40, v40, v41, vcc
	v_sub_f32_e32 v41, 0x40490fdb, v40
	v_cmp_gt_f32_e32 vcc, 0, v39
	v_cmp_gt_i32_e64 s[14:15], 0, v39
	v_cndmask_b32_e32 v40, v40, v41, vcc
	v_cndmask_b32_e64 v41, 0, v36, s[14:15]
	v_cndmask_b32_e32 v42, v37, v38, vcc
	v_cmp_class_f32_e64 s[50:51], v39, s63
	v_cmp_eq_f32_e32 vcc, s59, v9
	v_cmp_eq_f32_e64 s[14:15], 0, v9
	v_cndmask_b32_e64 v9, |v40|, v41, s[14:15]
	s_and_b64 vcc, vcc, s[50:51]
	v_cndmask_b32_e32 v9, v9, v42, vcc
	v_cmp_o_f32_e32 vcc, v39, v39
	v_cndmask_b32_e32 v40, v33, v9, vcc
.LBB74_187:                             ;   in Loop: Header=BB74_4 Depth=1
	s_or_b64 exec, exec, s[46:47]
                                        ; implicit-def: $vgpr9
	s_andn2_saveexec_b64 s[14:15], s[48:49]
	s_cbranch_execnz .LBB74_189
	s_branch .LBB74_190
.LBB74_188:                             ;   in Loop: Header=BB74_4 Depth=1
	s_andn2_saveexec_b64 s[14:15], s[48:49]
	s_cbranch_execz .LBB74_190
.LBB74_189:                             ;   in Loop: Header=BB74_4 Depth=1
	v_min_f32_e32 v39, 2.0, v9
	v_max_f32_e32 v9, 2.0, v9
	v_frexp_mant_f32_e32 v40, v9
	v_rcp_f32_e32 v40, v40
	v_frexp_exp_i32_f32_e32 v9, v9
	v_frexp_exp_i32_f32_e32 v41, v39
	v_frexp_mant_f32_e32 v39, v39
	v_mul_f32_e32 v39, v39, v40
	v_sub_u32_e32 v9, v41, v9
	v_ldexp_f32 v9, v39, v9
	v_mul_f32_e32 v39, v9, v9
	v_mov_b32_e32 v40, 0xbc7a590c
	v_fmac_f32_e32 v40, 0x3b2d2a58, v39
	v_fma_f32 v40, v39, v40, v25
	v_fma_f32 v40, v39, v40, v26
	;; [unrolled: 1-line block ×6, first 2 shown]
	v_mul_f32_e32 v39, v39, v40
	v_fmac_f32_e32 v9, v9, v39
	v_sub_f32_e32 v39, 0x3fc90fdb, v9
	v_cmp_lt_f32_e64 vcc, |v4|, 2.0
	v_cndmask_b32_e32 v9, v9, v39, vcc
	v_sub_f32_e32 v39, 0x40490fdb, v9
	v_cmp_lg_f32_e32 vcc, 0, v4
	v_cndmask_b32_e32 v9, v9, v39, vcc
	v_and_b32_e32 v40, 0x7fffffff, v9
.LBB74_190:                             ;   in Loop: Header=BB74_4 Depth=1
	s_or_b64 exec, exec, s[14:15]
	v_mul_f32_e32 v39, 0.5, v40
	v_bfi_b32 v9, s64, v8, v5
	v_bfi_b32 v8, s64, v39, v4
                                        ; implicit-def: $vgpr4
.LBB74_191:                             ;   in Loop: Header=BB74_4 Depth=1
	s_andn2_saveexec_b64 s[14:15], s[44:45]
	s_cbranch_execz .LBB74_193
; %bb.192:                              ;   in Loop: Header=BB74_4 Depth=1
	v_mov_b32_e32 v8, s26
	v_mov_b32_e32 v9, s27
	flat_store_dword v[8:9], v31
	s_waitcnt vmcnt(0)
	flat_load_dword v8, v[8:9] glc
	s_waitcnt vmcnt(0) lgkmcnt(0)
	v_add_f32_e32 v39, 1.0, v8
	v_mov_b32_e32 v8, s28
	v_mov_b32_e32 v9, s29
	flat_store_dword v[8:9], v39
	s_waitcnt vmcnt(0)
	flat_load_dword v8, v[8:9] glc
	s_waitcnt vmcnt(0) lgkmcnt(0)
	v_mov_b32_e32 v8, v4
	v_mov_b32_e32 v9, v5
.LBB74_193:                             ;   in Loop: Header=BB74_4 Depth=1
	s_or_b64 exec, exec, s[14:15]
                                        ; implicit-def: $vgpr4
.LBB74_194:                             ;   in Loop: Header=BB74_4 Depth=1
	s_andn2_saveexec_b64 s[14:15], s[42:43]
	s_cbranch_execz .LBB74_208
; %bb.195:                              ;   in Loop: Header=BB74_4 Depth=1
	v_and_b32_e32 v8, 0x7f800000, v5
	v_and_b32_e32 v39, 0x7f800000, v4
	v_sub_u32_e32 v9, v8, v39
	v_cmp_gt_i32_e32 vcc, s65, v9
	v_cmp_neq_f32_e64 s[42:43], |v5|, s59
	s_and_b64 s[42:43], s[42:43], vcc
                                        ; implicit-def: $vgpr9
	s_and_saveexec_b64 s[44:45], s[42:43]
	s_xor_b64 s[42:43], exec, s[44:45]
	s_cbranch_execz .LBB74_205
; %bb.196:                              ;   in Loop: Header=BB74_4 Depth=1
	v_sub_u32_e32 v9, v39, v8
	v_cmp_gt_i32_e32 vcc, s65, v9
                                        ; implicit-def: $vgpr9
	s_and_saveexec_b64 s[44:45], vcc
	s_xor_b64 s[44:45], exec, s[44:45]
	s_cbranch_execz .LBB74_202
; %bb.197:                              ;   in Loop: Header=BB74_4 Depth=1
	v_cmp_lt_u32_e32 vcc, s66, v8
                                        ; implicit-def: $vgpr9
	s_and_saveexec_b64 s[46:47], vcc
	s_xor_b64 s[46:47], exec, s[46:47]
	s_cbranch_execz .LBB74_199
; %bb.198:                              ;   in Loop: Header=BB74_4 Depth=1
	v_sub_u32_e32 v8, 0x7f800000, v8
	v_mul_f32_e32 v9, v4, v8
	v_mul_f32_e32 v5, v5, v8
	;; [unrolled: 1-line block ×3, first 2 shown]
	v_fmac_f32_e32 v9, v5, v5
	v_div_scale_f32 v39, s[48:49], v9, v9, v5
	v_div_scale_f32 v40, vcc, v5, v9, v5
	v_rcp_f32_e32 v41, v39
	v_fma_f32 v42, -v39, v41, 1.0
	v_fmac_f32_e32 v41, v42, v41
	v_mul_f32_e32 v42, v40, v41
	v_fma_f32 v43, -v39, v42, v40
	v_fmac_f32_e32 v42, v43, v41
	v_fma_f32 v39, -v39, v42, v40
	v_div_fmas_f32 v39, v39, v41, v42
	v_div_fixup_f32 v5, v39, v9, v5
	v_mul_f32_e32 v9, v5, v8
.LBB74_199:                             ;   in Loop: Header=BB74_4 Depth=1
	s_andn2_saveexec_b64 s[46:47], s[46:47]
	s_cbranch_execz .LBB74_201
; %bb.200:                              ;   in Loop: Header=BB74_4 Depth=1
	v_mul_f32_e32 v8, v4, v4
	v_fmac_f32_e32 v8, v5, v5
	v_div_scale_f32 v9, s[48:49], v8, v8, v5
	v_div_scale_f32 v39, vcc, v5, v8, v5
	v_rcp_f32_e32 v40, v9
	v_fma_f32 v41, -v9, v40, 1.0
	v_fmac_f32_e32 v40, v41, v40
	v_mul_f32_e32 v41, v39, v40
	v_fma_f32 v42, -v9, v41, v39
	v_fmac_f32_e32 v41, v42, v40
	v_fma_f32 v9, -v9, v41, v39
	v_div_fmas_f32 v9, v9, v40, v41
	v_div_fixup_f32 v9, v9, v8, v5
.LBB74_201:                             ;   in Loop: Header=BB74_4 Depth=1
	s_or_b64 exec, exec, s[46:47]
.LBB74_202:                             ;   in Loop: Header=BB74_4 Depth=1
	s_andn2_saveexec_b64 s[44:45], s[44:45]
	s_cbranch_execz .LBB74_204
; %bb.203:                              ;   in Loop: Header=BB74_4 Depth=1
	v_div_scale_f32 v8, s[46:47], v4, v4, v5
	v_div_scale_f32 v9, vcc, v5, v4, v5
	v_rcp_f32_e32 v39, v8
	v_fma_f32 v40, -v8, v39, 1.0
	v_fmac_f32_e32 v39, v40, v39
	v_mul_f32_e32 v40, v9, v39
	v_fma_f32 v41, -v8, v40, v9
	v_fmac_f32_e32 v40, v41, v39
	v_fma_f32 v8, -v8, v40, v9
	v_div_fmas_f32 v8, v8, v39, v40
	v_div_fixup_f32 v5, v8, v4, v5
	v_div_scale_f32 v8, s[46:47], v4, v4, v5
	v_div_scale_f32 v9, vcc, v5, v4, v5
	v_rcp_f32_e32 v39, v8
	v_fma_f32 v40, -v8, v39, 1.0
	v_fmac_f32_e32 v39, v40, v39
	v_mul_f32_e32 v40, v9, v39
	v_fma_f32 v41, -v8, v40, v9
	v_fmac_f32_e32 v40, v41, v39
	v_fma_f32 v8, -v8, v40, v9
	v_div_fmas_f32 v8, v8, v39, v40
	v_div_fixup_f32 v9, v8, v4, v5
.LBB74_204:                             ;   in Loop: Header=BB74_4 Depth=1
	s_or_b64 exec, exec, s[44:45]
.LBB74_205:                             ;   in Loop: Header=BB74_4 Depth=1
	s_andn2_saveexec_b64 s[42:43], s[42:43]
	s_cbranch_execz .LBB74_207
; %bb.206:                              ;   in Loop: Header=BB74_4 Depth=1
	v_div_scale_f32 v8, s[44:45], v5, v5, 1.0
	v_div_scale_f32 v9, vcc, 1.0, v5, 1.0
	v_rcp_f32_e32 v39, v8
	v_fma_f32 v40, -v8, v39, 1.0
	v_fmac_f32_e32 v39, v40, v39
	v_mul_f32_e32 v40, v9, v39
	v_fma_f32 v41, -v8, v40, v9
	v_fmac_f32_e32 v40, v41, v39
	v_fma_f32 v8, -v8, v40, v9
	v_div_fmas_f32 v8, v8, v39, v40
	v_div_fixup_f32 v9, v8, v5, 1.0
.LBB74_207:                             ;   in Loop: Header=BB74_4 Depth=1
	s_or_b64 exec, exec, s[42:43]
	v_mov_b32_e32 v40, s21
	v_mov_b32_e32 v39, s20
	flat_load_dword v5, v[39:40] glc
	s_waitcnt vmcnt(0) lgkmcnt(0)
	v_add_f32_e32 v5, 0x3fc90fdb, v5
	v_bfi_b32 v8, s64, v5, v4
.LBB74_208:                             ;   in Loop: Header=BB74_4 Depth=1
	s_or_b64 exec, exec, s[14:15]
                                        ; implicit-def: $vgpr5
.LBB74_209:                             ;   in Loop: Header=BB74_4 Depth=1
	s_andn2_saveexec_b64 s[14:15], s[40:41]
	s_cbranch_execz .LBB74_219
; %bb.210:                              ;   in Loop: Header=BB74_4 Depth=1
	v_cmp_neq_f32_e64 s[40:41], |v5|, s59
                                        ; implicit-def: $vgpr8
	s_and_saveexec_b64 s[42:43], s[40:41]
	s_xor_b64 s[40:41], exec, s[42:43]
	s_cbranch_execz .LBB74_216
; %bb.211:                              ;   in Loop: Header=BB74_4 Depth=1
	v_cmp_neq_f32_e64 s[42:43], |v4|, s59
                                        ; implicit-def: $vgpr8
	s_and_saveexec_b64 s[44:45], s[42:43]
	s_xor_b64 s[42:43], exec, s[44:45]
; %bb.212:                              ;   in Loop: Header=BB74_4 Depth=1
	v_add_f32_e32 v4, 0, v4
	v_add_f32_e32 v8, v5, v4
                                        ; implicit-def: $vgpr5
; %bb.213:                              ;   in Loop: Header=BB74_4 Depth=1
	s_or_saveexec_b64 s[42:43], s[42:43]
	v_mov_b32_e32 v9, v8
	s_xor_b64 exec, exec, s[42:43]
	s_cbranch_execz .LBB74_215
; %bb.214:                              ;   in Loop: Header=BB74_4 Depth=1
	v_mov_b32_e32 v8, s20
	v_mov_b32_e32 v9, s21
	flat_load_dword v8, v[8:9] glc
	s_waitcnt vmcnt(0)
	v_bfi_b32 v9, s64, 0, v5
	s_waitcnt lgkmcnt(0)
	v_add_f32_e32 v5, 0x3fc90fdb, v8
	v_bfi_b32 v8, s64, v5, v4
.LBB74_215:                             ;   in Loop: Header=BB74_4 Depth=1
	s_or_b64 exec, exec, s[42:43]
                                        ; implicit-def: $vgpr5
.LBB74_216:                             ;   in Loop: Header=BB74_4 Depth=1
	s_andn2_saveexec_b64 s[40:41], s[40:41]
; %bb.217:                              ;   in Loop: Header=BB74_4 Depth=1
	v_bfi_b32 v9, s64, 0, v5
	v_add_f32_e32 v8, v4, v4
; %bb.218:                              ;   in Loop: Header=BB74_4 Depth=1
	s_or_b64 exec, exec, s[40:41]
.LBB74_219:                             ;   in Loop: Header=BB74_4 Depth=1
	s_or_b64 exec, exec, s[14:15]
                                        ; implicit-def: $vgpr4
.LBB74_220:                             ;   in Loop: Header=BB74_4 Depth=1
	s_andn2_saveexec_b64 s[14:15], s[38:39]
	s_cbranch_execz .LBB74_222
; %bb.221:                              ;   in Loop: Header=BB74_4 Depth=1
	v_rcp_f32_e64 v8, |v4|
	v_cmp_gt_f32_e64 vcc, |v4|, 1.0
	v_mov_b32_e32 v9, 0xbc7a590c
	v_cndmask_b32_e64 v8, |v4|, v8, vcc
	v_mul_f32_e32 v39, v8, v8
	v_fmac_f32_e32 v9, 0x3b2d2a58, v39
	v_fma_f32 v9, v39, v9, v25
	v_fma_f32 v9, v39, v9, v26
	;; [unrolled: 1-line block ×6, first 2 shown]
	v_mul_f32_e32 v9, v39, v9
	v_fmac_f32_e32 v8, v8, v9
	v_sub_f32_e32 v9, 0x3fc90fdb, v8
	v_cndmask_b32_e32 v8, v8, v9, vcc
	v_bfi_b32 v8, s64, v8, v4
	v_mov_b32_e32 v9, v5
.LBB74_222:                             ;   in Loop: Header=BB74_4 Depth=1
	s_or_b64 exec, exec, s[14:15]
                                        ; implicit-def: $vgpr5
	s_andn2_saveexec_b64 s[14:15], s[36:37]
	s_cbranch_execnz .LBB74_176
.LBB74_223:                             ;   in Loop: Header=BB74_4 Depth=1
	s_or_b64 exec, exec, s[14:15]
	s_and_saveexec_b64 s[14:15], s[6:7]
	s_xor_b64 s[6:7], exec, s[14:15]
	s_cbranch_execz .LBB74_177
.LBB74_224:                             ;   in Loop: Header=BB74_4 Depth=1
	v_mov_b32_e32 v5, s35
	v_add_co_u32_e32 v4, vcc, s34, v1
	v_addc_co_u32_e32 v5, vcc, 0, v5, vcc
	global_store_dwordx2 v[4:5], v[6:7], off
	s_or_b64 exec, exec, s[6:7]
	s_and_saveexec_b64 s[6:7], s[8:9]
	s_cbranch_execnz .LBB74_178
.LBB74_225:                             ;   in Loop: Header=BB74_4 Depth=1
	s_or_b64 exec, exec, s[6:7]
	s_and_saveexec_b64 s[6:7], s[10:11]
	s_cbranch_execz .LBB74_179
.LBB74_226:                             ;   in Loop: Header=BB74_4 Depth=1
	v_mov_b32_e32 v5, s35
	v_add_co_u32_e32 v4, vcc, s34, v20
	v_addc_co_u32_e32 v5, vcc, v5, v19, vcc
	global_store_dwordx2 v[4:5], v[12:13], off offset:-4
	s_or_b64 exec, exec, s[6:7]
	s_and_saveexec_b64 s[6:7], s[12:13]
	s_cbranch_execz .LBB74_3
.LBB74_227:                             ;   in Loop: Header=BB74_4 Depth=1
	v_mov_b32_e32 v5, s35
	v_add_co_u32_e32 v4, vcc, s34, v2
	v_addc_co_u32_e32 v5, vcc, v5, v3, vcc
	global_store_dwordx2 v[4:5], v[8:9], off offset:-4
	s_branch .LBB74_3
.LBB74_228:
	s_cbranch_execz .LBB74_230
	s_branch .LBB74_441
.LBB74_229:
.LBB74_230:
	v_mov_b32_e32 v1, 0x10000
	v_mov_b32_e32 v2, 0
	v_cmp_lt_i64_e32 vcc, s[18:19], v[1:2]
	v_mov_b32_e32 v2, 0
	s_and_b64 s[6:7], vcc, exec
	s_cselect_b32 s7, s19, 0
	s_cselect_b32 s6, s18, 0x10000
	v_lshlrev_b32_e32 v1, 2, v0
	v_cmp_gt_i64_e32 vcc, s[6:7], v[1:2]
	s_and_saveexec_b64 s[8:9], vcc
	s_cbranch_execz .LBB74_441
; %bb.231:
	s_mov_b64 s[8:9], src_private_base
	s_add_u32 s10, s4, 0xd30
	s_mov_b32 s8, 8
	v_mov_b32_e32 v15, s9
	v_mov_b32_e32 v1, v2
	s_addc_u32 s11, s5, 0
	s_mov_b32 s12, 0
	s_mov_b32 s13, s9
	;; [unrolled: 1-line block ×4, first 2 shown]
	s_mov_b64 s[18:19], 0
	v_mov_b32_e32 v18, s17
	v_mov_b32_e32 v19, 0x248d3132
	;; [unrolled: 1-line block ×3, first 2 shown]
	s_mov_b32 s17, 0x4b000000
	s_mov_b32 s33, 0x399cc471
	s_brev_b32 s38, 44
	s_brev_b32 s39, 4
	s_mov_b32 s40, 0x3f2aaaab
	v_mov_b32_e32 v20, 0x3f2aaada
	s_mov_b32 s41, 0x3f317218
	s_mov_b32 s42, 0x7f800000
	;; [unrolled: 1-line block ×5, first 2 shown]
	v_mov_b32_e32 v21, 0x3d29fb3f
	v_mov_b32_e32 v22, 0xbd97d4d7
	;; [unrolled: 1-line block ×6, first 2 shown]
	s_movk_i32 s46, 0x204
	s_brev_b32 s47, -2
	v_mov_b32_e32 v27, 0xd800000
	s_mov_b32 s48, 0x6800000
	s_mov_b32 s49, 0x59000000
	;; [unrolled: 1-line block ×3, first 2 shown]
	v_mov_b32_e32 v28, 0x7f800000
	v_mov_b32_e32 v29, 0x7fc00000
	;; [unrolled: 1-line block ×7, first 2 shown]
	s_branch .LBB74_233
.LBB74_232:                             ;   in Loop: Header=BB74_233 Depth=1
	s_or_b64 exec, exec, s[4:5]
	global_store_dwordx4 v[16:17], v[6:9], off
	global_store_dwordx4 v[16:17], v[10:13], off offset:16
	s_load_dword s4, s[10:11], 0xc
	s_waitcnt lgkmcnt(0)
	s_and_b32 s4, s4, 0xffff
	v_add_co_u32_e32 v0, vcc, s4, v0
	v_addc_co_u32_e32 v1, vcc, 0, v1, vcc
	v_lshlrev_b64 v[2:3], 2, v[0:1]
	v_cmp_le_i64_e32 vcc, s[6:7], v[2:3]
	s_or_b64 s[18:19], vcc, s[18:19]
	s_andn2_b64 exec, exec, s[18:19]
	s_cbranch_execz .LBB74_441
.LBB74_233:                             ; =>This Inner Loop Header: Depth=1
	v_lshlrev_b64 v[2:3], 5, v[0:1]
                                        ; implicit-def: $vgpr6
	v_add_co_u32_e32 v16, vcc, s16, v2
	v_addc_co_u32_e32 v17, vcc, v18, v3, vcc
	global_load_dwordx4 v[10:13], v[16:17], off
	global_load_dwordx4 v[2:5], v[16:17], off offset:16
	s_waitcnt vmcnt(0)
	v_cmp_neq_f32_e32 vcc, 0, v10
	v_cmp_nle_f32_e64 s[4:5], |v11|, 1.0
	s_or_b64 s[4:5], vcc, s[4:5]
	flat_store_dword v[14:15], v19
	s_waitcnt vmcnt(0)
	s_and_saveexec_b64 s[20:21], s[4:5]
	s_xor_b64 s[20:21], exec, s[20:21]
	s_cbranch_execz .LBB74_283
; %bb.234:                              ;   in Loop: Header=BB74_233 Depth=1
	v_cmp_neq_f32_e32 vcc, 0, v11
                                        ; implicit-def: $vgpr6
	s_and_saveexec_b64 s[4:5], vcc
	s_xor_b64 s[22:23], exec, s[4:5]
	s_cbranch_execz .LBB74_280
; %bb.235:                              ;   in Loop: Header=BB74_233 Depth=1
	v_cmp_o_f32_e32 vcc, v11, v10
                                        ; implicit-def: $vgpr6
	s_and_saveexec_b64 s[4:5], vcc
	s_xor_b64 s[24:25], exec, s[4:5]
	s_cbranch_execz .LBB74_269
; %bb.236:                              ;   in Loop: Header=BB74_233 Depth=1
	v_max_f32_e64 v6, |v11|, |v11|
	v_max_f32_e64 v7, |v10|, |v10|
	v_max_f32_e32 v6, v7, v6
	v_cmp_nlt_f32_e32 vcc, s17, v6
                                        ; implicit-def: $vgpr6
	s_and_saveexec_b64 s[4:5], vcc
	s_xor_b64 s[26:27], exec, s[4:5]
	s_cbranch_execz .LBB74_254
; %bb.237:                              ;   in Loop: Header=BB74_233 Depth=1
	v_cmp_nlt_f32_e64 s[4:5], |v11|, s33
	v_cmp_nlt_f32_e64 s[28:29], |v10|, s33
	s_or_b64 s[4:5], s[28:29], s[4:5]
                                        ; implicit-def: $vgpr6
	s_and_saveexec_b64 s[28:29], s[4:5]
	s_xor_b64 s[28:29], exec, s[28:29]
	s_cbranch_execz .LBB74_251
; %bb.238:                              ;   in Loop: Header=BB74_233 Depth=1
	v_cmp_neq_f32_e64 s[34:35], |v11|, 1.0
	v_cmp_nlt_f32_e64 s[30:31], |v10|, s38
	s_or_b64 s[4:5], s[30:31], s[34:35]
                                        ; implicit-def: $vgpr6
	s_and_saveexec_b64 s[36:37], s[4:5]
	s_xor_b64 s[4:5], exec, s[36:37]
	s_cbranch_execz .LBB74_240
; %bb.239:                              ;   in Loop: Header=BB74_233 Depth=1
	v_add_f32_e64 v8, |v11|, -1.0
	v_mul_f32_e32 v8, v8, v8
	v_fma_f32 v9, v10, v10, v8
	v_cmp_lt_f32_e64 vcc, |v10|, s39
	v_mul_f32_e64 v6, |v11|, 4.0
	v_cndmask_b32_e32 v8, v9, v8, vcc
	v_div_scale_f32 v9, s[36:37], v8, v8, v6
	v_div_scale_f32 v35, vcc, v6, v8, v6
	v_rcp_f32_e32 v36, v9
	v_fma_f32 v37, -v9, v36, 1.0
	v_fmac_f32_e32 v36, v37, v36
	v_mul_f32_e32 v37, v35, v36
	v_fma_f32 v38, -v9, v37, v35
	v_fmac_f32_e32 v37, v38, v36
	v_fma_f32 v9, -v9, v37, v35
	v_div_fmas_f32 v9, v9, v36, v37
	v_mov_b32_e32 v36, 0x3ecc95a3
	v_div_fixup_f32 v6, v9, v8, v6
	v_add_f32_e32 v35, 1.0, v6
	v_cvt_f64_f32_e32 v[8:9], v35
	v_add_f32_e32 v37, -1.0, v35
	v_sub_f32_e32 v38, v37, v35
	v_sub_f32_e32 v37, v6, v37
	v_frexp_exp_i32_f64_e32 v8, v[8:9]
	v_frexp_mant_f32_e32 v9, v35
	v_cmp_gt_f32_e32 vcc, s40, v9
	v_add_f32_e32 v38, 1.0, v38
	v_add_f32_e32 v37, v37, v38
	v_subbrev_co_u32_e32 v8, vcc, 0, v8, vcc
	v_sub_u32_e32 v9, 0, v8
	v_cvt_f32_i32_e32 v8, v8
	v_ldexp_f32 v35, v35, v9
	v_ldexp_f32 v9, v37, v9
	v_add_f32_e32 v37, -1.0, v35
	v_add_f32_e32 v38, 1.0, v35
	v_add_f32_e32 v39, 1.0, v37
	v_add_f32_e32 v40, -1.0, v38
	v_sub_f32_e32 v39, v35, v39
	v_sub_f32_e32 v35, v35, v40
	v_mul_f32_e32 v40, 0x3f317218, v8
	v_add_f32_e32 v39, v9, v39
	v_add_f32_e32 v9, v9, v35
	v_fma_f32 v35, v8, s41, -v40
	v_add_f32_e32 v41, v37, v39
	v_add_f32_e32 v42, v38, v9
	v_fmac_f32_e32 v35, 0xb102e308, v8
	v_sub_f32_e32 v8, v41, v37
	v_sub_f32_e32 v37, v42, v38
	v_rcp_f32_e32 v38, v42
	v_add_f32_e32 v43, v40, v35
	v_sub_f32_e32 v9, v9, v37
	v_sub_f32_e32 v37, v43, v40
	v_sub_f32_e32 v35, v35, v37
	v_mul_f32_e32 v37, v41, v38
	v_sub_f32_e32 v8, v39, v8
	v_mul_f32_e32 v39, v42, v37
	v_fma_f32 v40, v37, v42, -v39
	v_fmac_f32_e32 v40, v37, v9
	v_add_f32_e32 v44, v39, v40
	v_sub_f32_e32 v45, v41, v44
	v_sub_f32_e32 v39, v44, v39
	;; [unrolled: 1-line block ×5, first 2 shown]
	v_add_f32_e32 v8, v8, v40
	v_add_f32_e32 v8, v39, v8
	;; [unrolled: 1-line block ×3, first 2 shown]
	v_mul_f32_e32 v40, v38, v39
	v_sub_f32_e32 v41, v45, v39
	v_mul_f32_e32 v44, v42, v40
	v_add_f32_e32 v8, v8, v41
	v_add_f32_e32 v41, v37, v40
	v_fma_f32 v42, v40, v42, -v44
	v_sub_f32_e32 v37, v41, v37
	v_fmac_f32_e32 v42, v40, v9
	v_sub_f32_e32 v9, v40, v37
	v_add_f32_e32 v37, v44, v42
	v_sub_f32_e32 v40, v37, v44
	v_sub_f32_e32 v44, v39, v37
	;; [unrolled: 1-line block ×5, first 2 shown]
	v_add_f32_e32 v8, v8, v37
	v_add_f32_e32 v8, v40, v8
	;; [unrolled: 1-line block ×3, first 2 shown]
	v_mul_f32_e32 v8, v38, v8
	v_add_f32_e32 v8, v9, v8
	v_add_f32_e32 v9, v41, v8
	v_mul_f32_e32 v37, v9, v9
	v_fmac_f32_e32 v36, 0x3e9b6dac, v37
	v_sub_f32_e32 v38, v9, v41
	v_ldexp_f32 v39, v9, 1
	v_mul_f32_e32 v9, v9, v37
	v_fma_f32 v36, v37, v36, v20
	v_mul_f32_e32 v9, v9, v36
	v_add_f32_e32 v36, v39, v9
	v_sub_f32_e32 v8, v8, v38
	v_sub_f32_e32 v37, v36, v39
	v_ldexp_f32 v8, v8, 1
	v_sub_f32_e32 v9, v9, v37
	v_add_f32_e32 v8, v8, v9
	v_add_f32_e32 v9, v36, v8
	v_sub_f32_e32 v36, v9, v36
	v_sub_f32_e32 v8, v8, v36
	v_add_f32_e32 v36, v43, v9
	v_sub_f32_e32 v37, v36, v43
	v_sub_f32_e32 v38, v36, v37
	;; [unrolled: 1-line block ×4, first 2 shown]
	v_add_f32_e32 v37, v35, v8
	v_add_f32_e32 v9, v9, v38
	v_sub_f32_e32 v38, v37, v35
	v_sub_f32_e32 v39, v37, v38
	;; [unrolled: 1-line block ×4, first 2 shown]
	v_add_f32_e32 v9, v37, v9
	v_add_f32_e32 v8, v8, v35
	;; [unrolled: 1-line block ×3, first 2 shown]
	v_sub_f32_e32 v36, v35, v36
	v_sub_f32_e32 v9, v9, v36
	v_add_f32_e32 v8, v8, v9
	v_add_f32_e32 v8, v35, v8
	v_cmp_neq_f32_e32 vcc, s42, v6
	v_cndmask_b32_e32 v8, v28, v8, vcc
	v_cmp_ngt_f32_e32 vcc, -1.0, v6
	v_cndmask_b32_e32 v8, v29, v8, vcc
	v_cmp_neq_f32_e32 vcc, -1.0, v6
	v_cndmask_b32_e32 v8, v30, v8, vcc
	v_cmp_lt_f32_e64 vcc, |v6|, s43
	v_cndmask_b32_e32 v6, v8, v6, vcc
	v_mul_f32_e32 v6, 0x3e800000, v6
	s_andn2_saveexec_b64 s[36:37], s[4:5]
	s_cbranch_execz .LBB74_242
	s_branch .LBB74_241
.LBB74_240:                             ;   in Loop: Header=BB74_233 Depth=1
	s_andn2_saveexec_b64 s[36:37], s[4:5]
	s_cbranch_execz .LBB74_242
.LBB74_241:                             ;   in Loop: Header=BB74_233 Depth=1
	v_cmp_lt_f32_e64 vcc, |v10|, s44
	v_cndmask_b32_e64 v6, 0, 32, vcc
	v_ldexp_f32 v6, |v10|, v6
	v_log_f32_e32 v6, v6
	v_mul_f32_e32 v8, 0x3f317217, v6
	v_fma_f32 v8, v6, s45, -v8
	v_fmac_f32_e32 v8, 0x3377d1cf, v6
	v_fmac_f32_e32 v8, 0x3f317217, v6
	v_cmp_lt_f32_e64 s[4:5], |v6|, s42
	v_cndmask_b32_e64 v6, v6, v8, s[4:5]
	v_cndmask_b32_e32 v8, 0, v31, vcc
	v_sub_f32_e32 v6, v6, v8
	v_sub_f32_e32 v6, 0x3f317218, v6
	v_mul_f32_e32 v6, 0.5, v6
.LBB74_242:                             ;   in Loop: Header=BB74_233 Depth=1
	s_or_b64 exec, exec, s[36:37]
                                        ; implicit-def: $vgpr9
	s_and_saveexec_b64 s[4:5], s[34:35]
	s_xor_b64 s[34:35], exec, s[4:5]
	s_cbranch_execz .LBB74_248
; %bb.243:                              ;   in Loop: Header=BB74_233 Depth=1
	v_sub_f32_e64 v8, 1.0, |v11|
	v_add_f32_e64 v9, |v11|, 1.0
	v_add_f32_e64 v7, |v10|, |v10|
	v_mul_f32_e32 v8, v8, v9
                                        ; implicit-def: $vgpr9
	s_and_saveexec_b64 s[4:5], s[30:31]
	s_xor_b64 s[30:31], exec, s[4:5]
	s_cbranch_execz .LBB74_245
; %bb.244:                              ;   in Loop: Header=BB74_233 Depth=1
	v_fma_f32 v8, -v10, v10, v8
	v_max_f32_e32 v9, v7, v7
	v_min_f32_e64 v35, |v8|, v9
	v_max_f32_e64 v9, |v8|, v9
	v_frexp_mant_f32_e32 v36, v9
	v_rcp_f32_e32 v36, v36
	v_frexp_exp_i32_f32_e32 v9, v9
	v_frexp_exp_i32_f32_e32 v37, v35
	v_frexp_mant_f32_e32 v35, v35
	v_mul_f32_e32 v35, v35, v36
	v_sub_u32_e32 v9, v37, v9
	v_ldexp_f32 v9, v35, v9
	v_mul_f32_e32 v35, v9, v9
	v_mov_b32_e32 v36, 0xbc7a590c
	v_fmac_f32_e32 v36, 0x3b2d2a58, v35
	v_fma_f32 v36, v35, v36, v21
	v_fma_f32 v36, v35, v36, v22
	;; [unrolled: 1-line block ×6, first 2 shown]
	v_mul_f32_e32 v35, v35, v36
	v_fmac_f32_e32 v9, v9, v35
	v_sub_f32_e32 v35, 0x3fc90fdb, v9
	v_cmp_gt_f32_e64 vcc, v7, |v8|
	v_cndmask_b32_e32 v9, v9, v35, vcc
	v_sub_f32_e32 v35, 0x40490fdb, v9
	v_cmp_gt_f32_e32 vcc, 0, v8
	v_cmp_gt_i32_e64 s[4:5], 0, v8
	v_cndmask_b32_e32 v9, v9, v35, vcc
	v_cndmask_b32_e64 v35, 0, v32, s[4:5]
	v_cndmask_b32_e32 v36, v33, v34, vcc
	v_cmp_class_f32_e64 s[36:37], v8, s46
	v_cmp_eq_f32_e32 vcc, s42, v7
	v_cmp_eq_f32_e64 s[4:5], 0, v7
	v_cndmask_b32_e64 v7, |v9|, v35, s[4:5]
	s_and_b64 vcc, vcc, s[36:37]
	v_cndmask_b32_e32 v7, v7, v36, vcc
	v_cmp_o_f32_e32 vcc, v8, v8
	v_cndmask_b32_e32 v9, v29, v7, vcc
                                        ; implicit-def: $vgpr7
                                        ; implicit-def: $vgpr8
.LBB74_245:                             ;   in Loop: Header=BB74_233 Depth=1
	s_andn2_saveexec_b64 s[30:31], s[30:31]
	s_cbranch_execz .LBB74_247
; %bb.246:                              ;   in Loop: Header=BB74_233 Depth=1
	v_max_f32_e32 v9, v7, v7
	v_max_f32_e64 v35, |v8|, |v8|
	v_min_f32_e32 v36, v35, v9
	v_max_f32_e32 v9, v35, v9
	v_frexp_mant_f32_e32 v35, v9
	v_rcp_f32_e32 v35, v35
	v_frexp_exp_i32_f32_e32 v9, v9
	v_frexp_exp_i32_f32_e32 v37, v36
	v_frexp_mant_f32_e32 v36, v36
	v_mul_f32_e32 v35, v36, v35
	v_sub_u32_e32 v9, v37, v9
	v_ldexp_f32 v9, v35, v9
	v_mul_f32_e32 v35, v9, v9
	v_mov_b32_e32 v36, 0xbc7a590c
	v_fmac_f32_e32 v36, 0x3b2d2a58, v35
	v_fma_f32 v36, v35, v36, v21
	v_fma_f32 v36, v35, v36, v22
	;; [unrolled: 1-line block ×6, first 2 shown]
	v_mul_f32_e32 v35, v35, v36
	v_fmac_f32_e32 v9, v9, v35
	v_sub_f32_e32 v35, 0x3fc90fdb, v9
	v_cmp_gt_f32_e64 vcc, v7, |v8|
	v_cndmask_b32_e32 v9, v9, v35, vcc
	v_sub_f32_e32 v35, 0x40490fdb, v9
	v_cmp_gt_f32_e32 vcc, 0, v8
	v_cmp_gt_i32_e64 s[4:5], 0, v8
	v_cndmask_b32_e32 v9, v9, v35, vcc
	v_cndmask_b32_e64 v35, 0, v32, s[4:5]
	v_cndmask_b32_e32 v36, v33, v34, vcc
	v_cmp_class_f32_e64 s[36:37], v8, s46
	v_cmp_eq_f32_e32 vcc, s42, v7
	v_cmp_eq_f32_e64 s[4:5], 0, v7
	v_cndmask_b32_e64 v7, |v9|, v35, s[4:5]
	s_and_b64 vcc, vcc, s[36:37]
	v_cndmask_b32_e32 v7, v7, v36, vcc
	v_cmp_o_f32_e32 vcc, v8, v8
	v_cndmask_b32_e32 v9, v29, v7, vcc
.LBB74_247:                             ;   in Loop: Header=BB74_233 Depth=1
	s_or_b64 exec, exec, s[30:31]
                                        ; implicit-def: $vgpr7
	s_andn2_saveexec_b64 s[4:5], s[34:35]
	s_cbranch_execnz .LBB74_249
	s_branch .LBB74_250
.LBB74_248:                             ;   in Loop: Header=BB74_233 Depth=1
	s_andn2_saveexec_b64 s[4:5], s[34:35]
	s_cbranch_execz .LBB74_250
.LBB74_249:                             ;   in Loop: Header=BB74_233 Depth=1
	v_min_f32_e32 v8, 2.0, v7
	v_max_f32_e32 v7, 2.0, v7
	v_frexp_mant_f32_e32 v9, v7
	v_rcp_f32_e32 v9, v9
	v_frexp_exp_i32_f32_e32 v7, v7
	v_frexp_exp_i32_f32_e32 v35, v8
	v_frexp_mant_f32_e32 v8, v8
	v_mul_f32_e32 v8, v8, v9
	v_sub_u32_e32 v7, v35, v7
	v_ldexp_f32 v7, v8, v7
	v_mul_f32_e32 v8, v7, v7
	v_mov_b32_e32 v9, 0xbc7a590c
	v_fmac_f32_e32 v9, 0x3b2d2a58, v8
	v_fma_f32 v9, v8, v9, v21
	v_fma_f32 v9, v8, v9, v22
	;; [unrolled: 1-line block ×6, first 2 shown]
	v_mul_f32_e32 v8, v8, v9
	v_fmac_f32_e32 v7, v7, v8
	v_sub_f32_e32 v8, 0x3fc90fdb, v7
	v_cmp_lt_f32_e64 vcc, |v10|, 2.0
	v_cndmask_b32_e32 v7, v7, v8, vcc
	v_sub_f32_e32 v8, 0x40490fdb, v7
	v_cmp_lg_f32_e32 vcc, 0, v10
	v_cndmask_b32_e32 v7, v7, v8, vcc
	v_and_b32_e32 v9, 0x7fffffff, v7
.LBB74_250:                             ;   in Loop: Header=BB74_233 Depth=1
	s_or_b64 exec, exec, s[4:5]
	v_mul_f32_e32 v8, 0.5, v9
	v_bfi_b32 v7, s47, v6, v11
	v_bfi_b32 v6, s47, v8, v10
.LBB74_251:                             ;   in Loop: Header=BB74_233 Depth=1
	s_andn2_saveexec_b64 s[4:5], s[28:29]
	s_cbranch_execz .LBB74_253
; %bb.252:                              ;   in Loop: Header=BB74_233 Depth=1
	v_mov_b32_e32 v6, s12
	v_mov_b32_e32 v7, s13
	flat_store_dword v[6:7], v27
	s_waitcnt vmcnt(0)
	flat_load_dword v6, v[6:7] glc
	s_waitcnt vmcnt(0) lgkmcnt(0)
	v_add_f32_e32 v8, 1.0, v6
	v_mov_b32_e32 v6, s14
	v_mov_b32_e32 v7, s15
	flat_store_dword v[6:7], v8
	s_waitcnt vmcnt(0)
	flat_load_dword v6, v[6:7] glc
	s_waitcnt vmcnt(0) lgkmcnt(0)
	v_mov_b32_e32 v6, v10
	v_mov_b32_e32 v7, v11
.LBB74_253:                             ;   in Loop: Header=BB74_233 Depth=1
	s_or_b64 exec, exec, s[4:5]
.LBB74_254:                             ;   in Loop: Header=BB74_233 Depth=1
	s_andn2_saveexec_b64 s[4:5], s[26:27]
	s_cbranch_execz .LBB74_268
; %bb.255:                              ;   in Loop: Header=BB74_233 Depth=1
	v_and_b32_e32 v6, 0x7f800000, v11
	v_and_b32_e32 v8, 0x7f800000, v10
	v_sub_u32_e32 v7, v6, v8
	v_cmp_gt_i32_e32 vcc, s48, v7
	v_cmp_neq_f32_e64 s[26:27], |v11|, s42
	s_and_b64 s[26:27], s[26:27], vcc
                                        ; implicit-def: $vgpr7
	s_and_saveexec_b64 s[28:29], s[26:27]
	s_xor_b64 s[26:27], exec, s[28:29]
	s_cbranch_execz .LBB74_265
; %bb.256:                              ;   in Loop: Header=BB74_233 Depth=1
	v_sub_u32_e32 v7, v8, v6
	v_cmp_gt_i32_e32 vcc, s48, v7
                                        ; implicit-def: $vgpr7
	s_and_saveexec_b64 s[28:29], vcc
	s_xor_b64 s[28:29], exec, s[28:29]
	s_cbranch_execz .LBB74_262
; %bb.257:                              ;   in Loop: Header=BB74_233 Depth=1
	v_cmp_lt_u32_e32 vcc, s49, v6
                                        ; implicit-def: $vgpr7
	s_and_saveexec_b64 s[30:31], vcc
	s_xor_b64 s[30:31], exec, s[30:31]
	s_cbranch_execz .LBB74_259
; %bb.258:                              ;   in Loop: Header=BB74_233 Depth=1
	v_sub_u32_e32 v6, 0x7f800000, v6
	v_mul_f32_e32 v8, v10, v6
	v_mul_f32_e32 v7, v11, v6
	;; [unrolled: 1-line block ×3, first 2 shown]
	v_fmac_f32_e32 v8, v7, v7
	v_div_scale_f32 v9, s[34:35], v8, v8, v7
	v_div_scale_f32 v35, vcc, v7, v8, v7
	v_rcp_f32_e32 v36, v9
	v_fma_f32 v37, -v9, v36, 1.0
	v_fmac_f32_e32 v36, v37, v36
	v_mul_f32_e32 v37, v35, v36
	v_fma_f32 v38, -v9, v37, v35
	v_fmac_f32_e32 v37, v38, v36
	v_fma_f32 v9, -v9, v37, v35
	v_div_fmas_f32 v9, v9, v36, v37
	v_div_fixup_f32 v7, v9, v8, v7
	v_mul_f32_e32 v7, v7, v6
.LBB74_259:                             ;   in Loop: Header=BB74_233 Depth=1
	s_andn2_saveexec_b64 s[30:31], s[30:31]
	s_cbranch_execz .LBB74_261
; %bb.260:                              ;   in Loop: Header=BB74_233 Depth=1
	v_mul_f32_e32 v6, v11, v11
	v_fmac_f32_e32 v6, v10, v10
	v_div_scale_f32 v7, s[34:35], v6, v6, v11
	v_div_scale_f32 v8, vcc, v11, v6, v11
	v_rcp_f32_e32 v9, v7
	v_fma_f32 v35, -v7, v9, 1.0
	v_fmac_f32_e32 v9, v35, v9
	v_mul_f32_e32 v35, v8, v9
	v_fma_f32 v36, -v7, v35, v8
	v_fmac_f32_e32 v35, v36, v9
	v_fma_f32 v7, -v7, v35, v8
	v_div_fmas_f32 v7, v7, v9, v35
	v_div_fixup_f32 v7, v7, v6, v11
.LBB74_261:                             ;   in Loop: Header=BB74_233 Depth=1
	s_or_b64 exec, exec, s[30:31]
.LBB74_262:                             ;   in Loop: Header=BB74_233 Depth=1
	s_andn2_saveexec_b64 s[28:29], s[28:29]
	s_cbranch_execz .LBB74_264
; %bb.263:                              ;   in Loop: Header=BB74_233 Depth=1
	v_div_scale_f32 v6, s[30:31], v10, v10, v11
	v_div_scale_f32 v7, vcc, v11, v10, v11
	v_rcp_f32_e32 v8, v6
	v_fma_f32 v9, -v6, v8, 1.0
	v_fmac_f32_e32 v8, v9, v8
	v_mul_f32_e32 v9, v7, v8
	v_fma_f32 v35, -v6, v9, v7
	v_fmac_f32_e32 v9, v35, v8
	v_fma_f32 v6, -v6, v9, v7
	v_div_fmas_f32 v6, v6, v8, v9
	v_div_fixup_f32 v6, v6, v10, v11
	v_div_scale_f32 v7, s[30:31], v10, v10, v6
	v_div_scale_f32 v8, vcc, v6, v10, v6
	v_rcp_f32_e32 v9, v7
	v_fma_f32 v35, -v7, v9, 1.0
	v_fmac_f32_e32 v9, v35, v9
	v_mul_f32_e32 v35, v8, v9
	v_fma_f32 v36, -v7, v35, v8
	v_fmac_f32_e32 v35, v36, v9
	v_fma_f32 v7, -v7, v35, v8
	v_div_fmas_f32 v7, v7, v9, v35
	v_div_fixup_f32 v7, v7, v10, v6
.LBB74_264:                             ;   in Loop: Header=BB74_233 Depth=1
	s_or_b64 exec, exec, s[28:29]
.LBB74_265:                             ;   in Loop: Header=BB74_233 Depth=1
	s_andn2_saveexec_b64 s[26:27], s[26:27]
	s_cbranch_execz .LBB74_267
; %bb.266:                              ;   in Loop: Header=BB74_233 Depth=1
	v_div_scale_f32 v6, s[28:29], v11, v11, 1.0
	v_div_scale_f32 v7, vcc, 1.0, v11, 1.0
	v_rcp_f32_e32 v8, v6
	v_fma_f32 v9, -v6, v8, 1.0
	v_fmac_f32_e32 v8, v9, v8
	v_mul_f32_e32 v9, v7, v8
	v_fma_f32 v35, -v6, v9, v7
	v_fmac_f32_e32 v9, v35, v8
	v_fma_f32 v6, -v6, v9, v7
	v_div_fmas_f32 v6, v6, v8, v9
	v_div_fixup_f32 v7, v6, v11, 1.0
.LBB74_267:                             ;   in Loop: Header=BB74_233 Depth=1
	s_or_b64 exec, exec, s[26:27]
	v_mov_b32_e32 v8, s8
	v_mov_b32_e32 v9, s9
	flat_load_dword v6, v[8:9] glc
	s_waitcnt vmcnt(0) lgkmcnt(0)
	v_add_f32_e32 v6, 0x3fc90fdb, v6
	v_bfi_b32 v6, s47, v6, v10
.LBB74_268:                             ;   in Loop: Header=BB74_233 Depth=1
	s_or_b64 exec, exec, s[4:5]
.LBB74_269:                             ;   in Loop: Header=BB74_233 Depth=1
	s_andn2_saveexec_b64 s[4:5], s[24:25]
	s_cbranch_execz .LBB74_279
; %bb.270:                              ;   in Loop: Header=BB74_233 Depth=1
	v_cmp_neq_f32_e64 s[24:25], |v11|, s42
                                        ; implicit-def: $vgpr6
	s_and_saveexec_b64 s[26:27], s[24:25]
	s_xor_b64 s[24:25], exec, s[26:27]
	s_cbranch_execz .LBB74_276
; %bb.271:                              ;   in Loop: Header=BB74_233 Depth=1
	v_cmp_neq_f32_e64 s[26:27], |v10|, s42
                                        ; implicit-def: $vgpr6
	s_and_saveexec_b64 s[28:29], s[26:27]
	s_xor_b64 s[26:27], exec, s[28:29]
; %bb.272:                              ;   in Loop: Header=BB74_233 Depth=1
	v_add_f32_e32 v6, 0, v10
	v_add_f32_e32 v6, v6, v11
; %bb.273:                              ;   in Loop: Header=BB74_233 Depth=1
	s_or_saveexec_b64 s[26:27], s[26:27]
	v_mov_b32_e32 v7, v6
	s_xor_b64 exec, exec, s[26:27]
	s_cbranch_execz .LBB74_275
; %bb.274:                              ;   in Loop: Header=BB74_233 Depth=1
	v_mov_b32_e32 v6, s8
	v_mov_b32_e32 v7, s9
	flat_load_dword v6, v[6:7] glc
	s_waitcnt vmcnt(0)
	v_bfi_b32 v7, s47, 0, v11
	s_waitcnt lgkmcnt(0)
	v_add_f32_e32 v6, 0x3fc90fdb, v6
	v_bfi_b32 v6, s47, v6, v10
.LBB74_275:                             ;   in Loop: Header=BB74_233 Depth=1
	s_or_b64 exec, exec, s[26:27]
.LBB74_276:                             ;   in Loop: Header=BB74_233 Depth=1
	s_andn2_saveexec_b64 s[24:25], s[24:25]
; %bb.277:                              ;   in Loop: Header=BB74_233 Depth=1
	v_bfi_b32 v7, s47, 0, v11
	v_add_f32_e32 v6, v10, v10
; %bb.278:                              ;   in Loop: Header=BB74_233 Depth=1
	s_or_b64 exec, exec, s[24:25]
.LBB74_279:                             ;   in Loop: Header=BB74_233 Depth=1
	s_or_b64 exec, exec, s[4:5]
.LBB74_280:                             ;   in Loop: Header=BB74_233 Depth=1
	s_andn2_saveexec_b64 s[4:5], s[22:23]
	s_cbranch_execz .LBB74_282
; %bb.281:                              ;   in Loop: Header=BB74_233 Depth=1
	v_rcp_f32_e64 v6, |v10|
	v_cmp_gt_f32_e64 vcc, |v10|, 1.0
	v_mov_b32_e32 v7, 0xbc7a590c
	v_cndmask_b32_e64 v6, |v10|, v6, vcc
	v_mul_f32_e32 v8, v6, v6
	v_fmac_f32_e32 v7, 0x3b2d2a58, v8
	v_fma_f32 v7, v8, v7, v21
	v_fma_f32 v7, v8, v7, v22
	v_fma_f32 v7, v8, v7, v23
	v_fma_f32 v7, v8, v7, v24
	v_fma_f32 v7, v8, v7, v25
	v_fma_f32 v7, v8, v7, v26
	v_mul_f32_e32 v7, v8, v7
	v_fmac_f32_e32 v6, v6, v7
	v_sub_f32_e32 v7, 0x3fc90fdb, v6
	v_cndmask_b32_e32 v6, v6, v7, vcc
	v_bfi_b32 v6, s47, v6, v10
	v_mov_b32_e32 v7, v11
.LBB74_282:                             ;   in Loop: Header=BB74_233 Depth=1
	s_or_b64 exec, exec, s[4:5]
.LBB74_283:                             ;   in Loop: Header=BB74_233 Depth=1
	s_andn2_saveexec_b64 s[4:5], s[20:21]
	s_cbranch_execz .LBB74_285
; %bb.284:                              ;   in Loop: Header=BB74_233 Depth=1
	v_sub_f32_e64 v6, 1.0, |v11|
	v_rcp_f32_e32 v7, v6
	v_add_f32_e64 v8, |v11|, 1.0
	v_sub_f32_e32 v9, 1.0, v6
	v_sub_f32_e64 v9, v9, |v11|
	v_mul_f32_e32 v35, v8, v7
	v_mul_f32_e32 v36, v6, v35
	v_fma_f32 v6, v35, v6, -v36
	v_fmac_f32_e32 v6, v35, v9
	v_add_f32_e32 v37, v36, v6
	v_sub_f32_e32 v38, v8, v37
	v_add_f32_e32 v9, -1.0, v8
	v_sub_f32_e32 v36, v37, v36
	v_sub_f32_e32 v8, v8, v38
	;; [unrolled: 1-line block ×4, first 2 shown]
	v_sub_f32_e64 v9, |v11|, v9
	v_add_f32_e32 v6, v6, v8
	v_add_f32_e32 v6, v9, v6
	;; [unrolled: 1-line block ×3, first 2 shown]
	v_mul_f32_e32 v8, v7, v6
	v_add_f32_e32 v9, v35, v8
	v_cvt_f64_f32_e32 v[6:7], v9
	v_cmp_lt_f32_e64 s[20:21], |v11|, s50
	v_frexp_exp_i32_f64_e32 v6, v[6:7]
	v_sub_f32_e32 v7, v9, v35
	v_frexp_mant_f32_e32 v35, v9
	v_cmp_gt_f32_e32 vcc, s40, v35
	v_sub_f32_e32 v7, v8, v7
	v_subbrev_co_u32_e32 v6, vcc, 0, v6, vcc
	v_sub_u32_e32 v8, 0, v6
	v_ldexp_f32 v9, v9, v8
	v_ldexp_f32 v7, v7, v8
	v_add_f32_e32 v8, -1.0, v9
	v_add_f32_e32 v37, 1.0, v9
	v_add_f32_e32 v35, 1.0, v8
	v_add_f32_e32 v38, -1.0, v37
	v_sub_f32_e32 v35, v9, v35
	v_sub_f32_e32 v9, v9, v38
	v_add_f32_e32 v35, v7, v35
	v_add_f32_e32 v7, v7, v9
	;; [unrolled: 1-line block ×3, first 2 shown]
	v_rcp_f32_e32 v38, v9
	v_add_f32_e32 v36, v8, v35
	v_sub_f32_e32 v8, v36, v8
	v_sub_f32_e32 v8, v35, v8
	;; [unrolled: 1-line block ×4, first 2 shown]
	v_mul_f32_e32 v35, v36, v38
	v_mul_f32_e32 v37, v9, v35
	v_fma_f32 v39, v35, v9, -v37
	v_fmac_f32_e32 v39, v35, v7
	v_add_f32_e32 v40, v37, v39
	v_sub_f32_e32 v41, v36, v40
	v_sub_f32_e32 v36, v36, v41
	;; [unrolled: 1-line block ×4, first 2 shown]
	v_add_f32_e32 v8, v8, v36
	v_sub_f32_e32 v36, v37, v39
	v_add_f32_e32 v8, v36, v8
	v_add_f32_e32 v36, v41, v8
	v_mul_f32_e32 v37, v38, v36
	v_mul_f32_e32 v39, v9, v37
	v_fma_f32 v9, v37, v9, -v39
	v_fmac_f32_e32 v9, v37, v7
	v_sub_f32_e32 v7, v41, v36
	v_add_f32_e32 v7, v8, v7
	v_add_f32_e32 v8, v39, v9
	v_sub_f32_e32 v40, v36, v8
	v_sub_f32_e32 v36, v36, v40
	;; [unrolled: 1-line block ×4, first 2 shown]
	v_add_f32_e32 v7, v7, v8
	v_sub_f32_e32 v8, v39, v9
	v_cvt_f32_i32_e32 v6, v6
	v_add_f32_e32 v7, v8, v7
	v_add_f32_e32 v8, v35, v37
	;; [unrolled: 1-line block ×3, first 2 shown]
	v_sub_f32_e32 v9, v8, v35
	v_mul_f32_e32 v7, v38, v7
	v_sub_f32_e32 v9, v37, v9
	v_add_f32_e32 v7, v9, v7
	v_mul_f32_e32 v37, 0x3f317218, v6
	v_add_f32_e32 v9, v8, v7
	v_fma_f32 v38, v6, s41, -v37
	v_mul_f32_e32 v35, v9, v9
	v_mov_b32_e32 v36, 0x3ecc95a3
	v_fmac_f32_e32 v38, 0xb102e308, v6
	v_sub_f32_e32 v6, v9, v8
	v_fmac_f32_e32 v36, 0x3e9b6dac, v35
	v_sub_f32_e32 v6, v7, v6
	v_add_f32_e32 v7, v37, v38
	v_fma_f32 v36, v35, v36, v20
	v_sub_f32_e32 v8, v7, v37
	v_ldexp_f32 v37, v9, 1
	v_mul_f32_e32 v9, v9, v35
	v_mul_f32_e32 v9, v9, v36
	v_add_f32_e32 v35, v37, v9
	v_sub_f32_e32 v36, v35, v37
	v_ldexp_f32 v6, v6, 1
	v_sub_f32_e32 v9, v9, v36
	v_add_f32_e32 v6, v6, v9
	v_add_f32_e32 v9, v35, v6
	v_sub_f32_e32 v35, v9, v35
	v_sub_f32_e32 v6, v6, v35
	v_add_f32_e32 v35, v7, v9
	v_sub_f32_e32 v36, v35, v7
	v_sub_f32_e32 v37, v35, v36
	v_sub_f32_e32 v8, v38, v8
	v_sub_f32_e32 v7, v7, v37
	v_sub_f32_e32 v9, v9, v36
	v_add_f32_e32 v7, v9, v7
	v_add_f32_e32 v9, v8, v6
	v_sub_f32_e32 v36, v9, v8
	v_sub_f32_e32 v37, v9, v36
	;; [unrolled: 1-line block ×4, first 2 shown]
	v_add_f32_e32 v7, v9, v7
	v_add_f32_e32 v6, v6, v8
	;; [unrolled: 1-line block ×3, first 2 shown]
	v_sub_f32_e32 v9, v8, v35
	v_sub_f32_e32 v7, v7, v9
	v_add_f32_e32 v6, v6, v7
	v_add_f32_e32 v6, v8, v6
	v_mul_f32_e32 v6, 0.5, v6
	v_cndmask_b32_e64 v6, v6, |v11|, s[20:21]
	v_cmp_neq_f32_e64 vcc, |v11|, 1.0
	v_cndmask_b32_e32 v6, v28, v6, vcc
	v_bfi_b32 v7, s47, v6, v11
	v_mov_b32_e32 v6, v10
.LBB74_285:                             ;   in Loop: Header=BB74_233 Depth=1
	s_or_b64 exec, exec, s[4:5]
	v_mov_b32_e32 v8, s8
	v_cmp_neq_f32_e32 vcc, 0, v12
	v_cmp_nle_f32_e64 s[4:5], |v13|, 1.0
	v_mov_b32_e32 v9, s9
	s_or_b64 s[4:5], vcc, s[4:5]
	flat_store_dword v[8:9], v19
	s_waitcnt vmcnt(0)
	s_and_saveexec_b64 s[20:21], s[4:5]
	s_xor_b64 s[20:21], exec, s[20:21]
	s_cbranch_execz .LBB74_335
; %bb.286:                              ;   in Loop: Header=BB74_233 Depth=1
	v_cmp_neq_f32_e32 vcc, 0, v13
	s_and_saveexec_b64 s[4:5], vcc
	s_xor_b64 s[22:23], exec, s[4:5]
	s_cbranch_execz .LBB74_332
; %bb.287:                              ;   in Loop: Header=BB74_233 Depth=1
	v_cmp_o_f32_e32 vcc, v13, v12
	s_and_saveexec_b64 s[4:5], vcc
	s_xor_b64 s[24:25], exec, s[4:5]
	s_cbranch_execz .LBB74_321
; %bb.288:                              ;   in Loop: Header=BB74_233 Depth=1
	v_max_f32_e64 v9, |v13|, |v13|
	v_max_f32_e64 v8, |v12|, |v12|
	v_max_f32_e32 v9, v8, v9
	v_cmp_nlt_f32_e32 vcc, s17, v9
	s_and_saveexec_b64 s[4:5], vcc
	s_xor_b64 s[26:27], exec, s[4:5]
	s_cbranch_execz .LBB74_306
; %bb.289:                              ;   in Loop: Header=BB74_233 Depth=1
	v_cmp_nlt_f32_e64 s[4:5], |v13|, s33
	v_cmp_nlt_f32_e64 s[28:29], |v12|, s33
	s_or_b64 s[4:5], s[28:29], s[4:5]
	s_and_saveexec_b64 s[28:29], s[4:5]
	s_xor_b64 s[28:29], exec, s[28:29]
	s_cbranch_execz .LBB74_303
; %bb.290:                              ;   in Loop: Header=BB74_233 Depth=1
	v_cmp_neq_f32_e64 s[34:35], |v13|, 1.0
	v_cmp_nlt_f32_e64 s[30:31], |v12|, s38
	s_or_b64 s[4:5], s[30:31], s[34:35]
                                        ; implicit-def: $vgpr9
	s_and_saveexec_b64 s[36:37], s[4:5]
	s_xor_b64 s[4:5], exec, s[36:37]
	s_cbranch_execz .LBB74_292
; %bb.291:                              ;   in Loop: Header=BB74_233 Depth=1
	v_add_f32_e64 v10, |v13|, -1.0
	v_mul_f32_e32 v10, v10, v10
	v_fma_f32 v11, v12, v12, v10
	v_cmp_lt_f32_e64 vcc, |v12|, s39
	v_mul_f32_e64 v9, |v13|, 4.0
	v_cndmask_b32_e32 v10, v11, v10, vcc
	v_div_scale_f32 v11, s[36:37], v10, v10, v9
	v_div_scale_f32 v35, vcc, v9, v10, v9
	v_rcp_f32_e32 v36, v11
	v_fma_f32 v37, -v11, v36, 1.0
	v_fmac_f32_e32 v36, v37, v36
	v_mul_f32_e32 v37, v35, v36
	v_fma_f32 v38, -v11, v37, v35
	v_fmac_f32_e32 v37, v38, v36
	v_fma_f32 v11, -v11, v37, v35
	v_div_fmas_f32 v11, v11, v36, v37
	v_mov_b32_e32 v36, 0x3ecc95a3
	v_div_fixup_f32 v11, v11, v10, v9
	v_add_f32_e32 v35, 1.0, v11
	v_cvt_f64_f32_e32 v[9:10], v35
	v_add_f32_e32 v37, -1.0, v35
	v_sub_f32_e32 v38, v37, v35
	v_sub_f32_e32 v37, v11, v37
	v_frexp_exp_i32_f64_e32 v9, v[9:10]
	v_frexp_mant_f32_e32 v10, v35
	v_cmp_gt_f32_e32 vcc, s40, v10
	v_add_f32_e32 v38, 1.0, v38
	v_add_f32_e32 v37, v37, v38
	v_subbrev_co_u32_e32 v9, vcc, 0, v9, vcc
	v_sub_u32_e32 v10, 0, v9
	v_cvt_f32_i32_e32 v9, v9
	v_ldexp_f32 v35, v35, v10
	v_ldexp_f32 v10, v37, v10
	v_add_f32_e32 v37, -1.0, v35
	v_add_f32_e32 v38, 1.0, v35
	v_add_f32_e32 v39, 1.0, v37
	v_add_f32_e32 v40, -1.0, v38
	v_sub_f32_e32 v39, v35, v39
	v_sub_f32_e32 v35, v35, v40
	v_mul_f32_e32 v40, 0x3f317218, v9
	v_add_f32_e32 v39, v10, v39
	v_add_f32_e32 v10, v10, v35
	v_fma_f32 v35, v9, s41, -v40
	v_add_f32_e32 v41, v37, v39
	v_add_f32_e32 v42, v38, v10
	v_fmac_f32_e32 v35, 0xb102e308, v9
	v_sub_f32_e32 v9, v41, v37
	v_sub_f32_e32 v37, v42, v38
	v_rcp_f32_e32 v38, v42
	v_add_f32_e32 v43, v40, v35
	v_sub_f32_e32 v10, v10, v37
	v_sub_f32_e32 v37, v43, v40
	;; [unrolled: 1-line block ×3, first 2 shown]
	v_mul_f32_e32 v37, v41, v38
	v_sub_f32_e32 v9, v39, v9
	v_mul_f32_e32 v39, v42, v37
	v_fma_f32 v40, v37, v42, -v39
	v_fmac_f32_e32 v40, v37, v10
	v_add_f32_e32 v44, v39, v40
	v_sub_f32_e32 v45, v41, v44
	v_sub_f32_e32 v39, v44, v39
	;; [unrolled: 1-line block ×5, first 2 shown]
	v_add_f32_e32 v9, v9, v40
	v_add_f32_e32 v9, v39, v9
	;; [unrolled: 1-line block ×3, first 2 shown]
	v_mul_f32_e32 v40, v38, v39
	v_sub_f32_e32 v41, v45, v39
	v_mul_f32_e32 v44, v42, v40
	v_add_f32_e32 v9, v9, v41
	v_add_f32_e32 v41, v37, v40
	v_fma_f32 v42, v40, v42, -v44
	v_sub_f32_e32 v37, v41, v37
	v_fmac_f32_e32 v42, v40, v10
	v_sub_f32_e32 v10, v40, v37
	v_add_f32_e32 v37, v44, v42
	v_sub_f32_e32 v40, v37, v44
	v_sub_f32_e32 v44, v39, v37
	v_sub_f32_e32 v39, v39, v44
	v_sub_f32_e32 v37, v39, v37
	v_sub_f32_e32 v40, v40, v42
	v_add_f32_e32 v9, v9, v37
	v_add_f32_e32 v9, v40, v9
	;; [unrolled: 1-line block ×3, first 2 shown]
	v_mul_f32_e32 v9, v38, v9
	v_add_f32_e32 v9, v10, v9
	v_add_f32_e32 v10, v41, v9
	v_mul_f32_e32 v37, v10, v10
	v_fmac_f32_e32 v36, 0x3e9b6dac, v37
	v_sub_f32_e32 v38, v10, v41
	v_ldexp_f32 v39, v10, 1
	v_mul_f32_e32 v10, v10, v37
	v_fma_f32 v36, v37, v36, v20
	v_mul_f32_e32 v10, v10, v36
	v_add_f32_e32 v36, v39, v10
	v_sub_f32_e32 v9, v9, v38
	v_sub_f32_e32 v37, v36, v39
	v_ldexp_f32 v9, v9, 1
	v_sub_f32_e32 v10, v10, v37
	v_add_f32_e32 v9, v9, v10
	v_add_f32_e32 v10, v36, v9
	v_sub_f32_e32 v36, v10, v36
	v_sub_f32_e32 v9, v9, v36
	v_add_f32_e32 v36, v43, v10
	v_sub_f32_e32 v37, v36, v43
	v_sub_f32_e32 v38, v36, v37
	v_sub_f32_e32 v38, v43, v38
	v_sub_f32_e32 v10, v10, v37
	v_add_f32_e32 v37, v35, v9
	v_add_f32_e32 v10, v10, v38
	v_sub_f32_e32 v38, v37, v35
	v_sub_f32_e32 v39, v37, v38
	;; [unrolled: 1-line block ×4, first 2 shown]
	v_add_f32_e32 v10, v37, v10
	v_add_f32_e32 v9, v9, v35
	v_add_f32_e32 v35, v36, v10
	v_sub_f32_e32 v36, v35, v36
	v_sub_f32_e32 v10, v10, v36
	v_add_f32_e32 v9, v9, v10
	v_add_f32_e32 v9, v35, v9
	v_cmp_neq_f32_e32 vcc, s42, v11
	v_cndmask_b32_e32 v9, v28, v9, vcc
	v_cmp_ngt_f32_e32 vcc, -1.0, v11
	v_cndmask_b32_e32 v9, v29, v9, vcc
	v_cmp_neq_f32_e32 vcc, -1.0, v11
	v_cndmask_b32_e32 v9, v30, v9, vcc
	v_cmp_lt_f32_e64 vcc, |v11|, s43
	v_cndmask_b32_e32 v9, v9, v11, vcc
	v_mul_f32_e32 v9, 0x3e800000, v9
	s_andn2_saveexec_b64 s[36:37], s[4:5]
	s_cbranch_execz .LBB74_294
	s_branch .LBB74_293
.LBB74_292:                             ;   in Loop: Header=BB74_233 Depth=1
	s_andn2_saveexec_b64 s[36:37], s[4:5]
	s_cbranch_execz .LBB74_294
.LBB74_293:                             ;   in Loop: Header=BB74_233 Depth=1
	v_cmp_lt_f32_e64 vcc, |v12|, s44
	v_cndmask_b32_e64 v9, 0, 32, vcc
	v_ldexp_f32 v9, |v12|, v9
	v_log_f32_e32 v9, v9
	v_mul_f32_e32 v10, 0x3f317217, v9
	v_fma_f32 v10, v9, s45, -v10
	v_fmac_f32_e32 v10, 0x3377d1cf, v9
	v_fmac_f32_e32 v10, 0x3f317217, v9
	v_cmp_lt_f32_e64 s[4:5], |v9|, s42
	v_cndmask_b32_e64 v9, v9, v10, s[4:5]
	v_cndmask_b32_e32 v10, 0, v31, vcc
	v_sub_f32_e32 v9, v9, v10
	v_sub_f32_e32 v9, 0x3f317218, v9
	v_mul_f32_e32 v9, 0.5, v9
.LBB74_294:                             ;   in Loop: Header=BB74_233 Depth=1
	s_or_b64 exec, exec, s[36:37]
                                        ; implicit-def: $vgpr11
	s_and_saveexec_b64 s[4:5], s[34:35]
	s_xor_b64 s[34:35], exec, s[4:5]
	s_cbranch_execz .LBB74_300
; %bb.295:                              ;   in Loop: Header=BB74_233 Depth=1
	v_sub_f32_e64 v10, 1.0, |v13|
	v_add_f32_e64 v11, |v13|, 1.0
	v_add_f32_e64 v8, |v12|, |v12|
	v_mul_f32_e32 v10, v10, v11
                                        ; implicit-def: $vgpr11
	s_and_saveexec_b64 s[4:5], s[30:31]
	s_xor_b64 s[30:31], exec, s[4:5]
	s_cbranch_execz .LBB74_297
; %bb.296:                              ;   in Loop: Header=BB74_233 Depth=1
	v_fma_f32 v10, -v12, v12, v10
	v_max_f32_e32 v11, v8, v8
	v_min_f32_e64 v35, |v10|, v11
	v_max_f32_e64 v11, |v10|, v11
	v_frexp_mant_f32_e32 v36, v11
	v_rcp_f32_e32 v36, v36
	v_frexp_exp_i32_f32_e32 v11, v11
	v_frexp_exp_i32_f32_e32 v37, v35
	v_frexp_mant_f32_e32 v35, v35
	v_mul_f32_e32 v35, v35, v36
	v_sub_u32_e32 v11, v37, v11
	v_ldexp_f32 v11, v35, v11
	v_mul_f32_e32 v35, v11, v11
	v_mov_b32_e32 v36, 0xbc7a590c
	v_fmac_f32_e32 v36, 0x3b2d2a58, v35
	v_fma_f32 v36, v35, v36, v21
	v_fma_f32 v36, v35, v36, v22
	;; [unrolled: 1-line block ×6, first 2 shown]
	v_mul_f32_e32 v35, v35, v36
	v_fmac_f32_e32 v11, v11, v35
	v_sub_f32_e32 v35, 0x3fc90fdb, v11
	v_cmp_gt_f32_e64 vcc, v8, |v10|
	v_cndmask_b32_e32 v11, v11, v35, vcc
	v_sub_f32_e32 v35, 0x40490fdb, v11
	v_cmp_gt_f32_e32 vcc, 0, v10
	v_cmp_gt_i32_e64 s[4:5], 0, v10
	v_cndmask_b32_e32 v11, v11, v35, vcc
	v_cndmask_b32_e64 v35, 0, v32, s[4:5]
	v_cndmask_b32_e32 v36, v33, v34, vcc
	v_cmp_class_f32_e64 s[36:37], v10, s46
	v_cmp_eq_f32_e32 vcc, s42, v8
	v_cmp_eq_f32_e64 s[4:5], 0, v8
	v_cndmask_b32_e64 v8, |v11|, v35, s[4:5]
	s_and_b64 vcc, vcc, s[36:37]
	v_cndmask_b32_e32 v8, v8, v36, vcc
	v_cmp_o_f32_e32 vcc, v10, v10
	v_cndmask_b32_e32 v11, v29, v8, vcc
                                        ; implicit-def: $vgpr8
                                        ; implicit-def: $vgpr10
.LBB74_297:                             ;   in Loop: Header=BB74_233 Depth=1
	s_andn2_saveexec_b64 s[30:31], s[30:31]
	s_cbranch_execz .LBB74_299
; %bb.298:                              ;   in Loop: Header=BB74_233 Depth=1
	v_max_f32_e32 v11, v8, v8
	v_max_f32_e64 v35, |v10|, |v10|
	v_min_f32_e32 v36, v35, v11
	v_max_f32_e32 v11, v35, v11
	v_frexp_mant_f32_e32 v35, v11
	v_rcp_f32_e32 v35, v35
	v_frexp_exp_i32_f32_e32 v11, v11
	v_frexp_exp_i32_f32_e32 v37, v36
	v_frexp_mant_f32_e32 v36, v36
	v_mul_f32_e32 v35, v36, v35
	v_sub_u32_e32 v11, v37, v11
	v_ldexp_f32 v11, v35, v11
	v_mul_f32_e32 v35, v11, v11
	v_mov_b32_e32 v36, 0xbc7a590c
	v_fmac_f32_e32 v36, 0x3b2d2a58, v35
	v_fma_f32 v36, v35, v36, v21
	v_fma_f32 v36, v35, v36, v22
	;; [unrolled: 1-line block ×6, first 2 shown]
	v_mul_f32_e32 v35, v35, v36
	v_fmac_f32_e32 v11, v11, v35
	v_sub_f32_e32 v35, 0x3fc90fdb, v11
	v_cmp_gt_f32_e64 vcc, v8, |v10|
	v_cndmask_b32_e32 v11, v11, v35, vcc
	v_sub_f32_e32 v35, 0x40490fdb, v11
	v_cmp_gt_f32_e32 vcc, 0, v10
	v_cmp_gt_i32_e64 s[4:5], 0, v10
	v_cndmask_b32_e32 v11, v11, v35, vcc
	v_cndmask_b32_e64 v35, 0, v32, s[4:5]
	v_cndmask_b32_e32 v36, v33, v34, vcc
	v_cmp_class_f32_e64 s[36:37], v10, s46
	v_cmp_eq_f32_e32 vcc, s42, v8
	v_cmp_eq_f32_e64 s[4:5], 0, v8
	v_cndmask_b32_e64 v8, |v11|, v35, s[4:5]
	s_and_b64 vcc, vcc, s[36:37]
	v_cndmask_b32_e32 v8, v8, v36, vcc
	v_cmp_o_f32_e32 vcc, v10, v10
	v_cndmask_b32_e32 v11, v29, v8, vcc
.LBB74_299:                             ;   in Loop: Header=BB74_233 Depth=1
	s_or_b64 exec, exec, s[30:31]
                                        ; implicit-def: $vgpr8
	s_andn2_saveexec_b64 s[4:5], s[34:35]
	s_cbranch_execnz .LBB74_301
	s_branch .LBB74_302
.LBB74_300:                             ;   in Loop: Header=BB74_233 Depth=1
	s_andn2_saveexec_b64 s[4:5], s[34:35]
	s_cbranch_execz .LBB74_302
.LBB74_301:                             ;   in Loop: Header=BB74_233 Depth=1
	v_min_f32_e32 v10, 2.0, v8
	v_max_f32_e32 v8, 2.0, v8
	v_frexp_mant_f32_e32 v11, v8
	v_rcp_f32_e32 v11, v11
	v_frexp_exp_i32_f32_e32 v8, v8
	v_frexp_exp_i32_f32_e32 v35, v10
	v_frexp_mant_f32_e32 v10, v10
	v_mul_f32_e32 v10, v10, v11
	v_sub_u32_e32 v8, v35, v8
	v_ldexp_f32 v8, v10, v8
	v_mul_f32_e32 v10, v8, v8
	v_mov_b32_e32 v11, 0xbc7a590c
	v_fmac_f32_e32 v11, 0x3b2d2a58, v10
	v_fma_f32 v11, v10, v11, v21
	v_fma_f32 v11, v10, v11, v22
	;; [unrolled: 1-line block ×6, first 2 shown]
	v_mul_f32_e32 v10, v10, v11
	v_fmac_f32_e32 v8, v8, v10
	v_sub_f32_e32 v10, 0x3fc90fdb, v8
	v_cmp_lt_f32_e64 vcc, |v12|, 2.0
	v_cndmask_b32_e32 v8, v8, v10, vcc
	v_sub_f32_e32 v10, 0x40490fdb, v8
	v_cmp_lg_f32_e32 vcc, 0, v12
	v_cndmask_b32_e32 v8, v8, v10, vcc
	v_and_b32_e32 v11, 0x7fffffff, v8
.LBB74_302:                             ;   in Loop: Header=BB74_233 Depth=1
	s_or_b64 exec, exec, s[4:5]
	v_mul_f32_e32 v8, 0.5, v11
	v_bfi_b32 v9, s47, v9, v13
	v_bfi_b32 v8, s47, v8, v12
                                        ; implicit-def: $vgpr12
.LBB74_303:                             ;   in Loop: Header=BB74_233 Depth=1
	s_andn2_saveexec_b64 s[4:5], s[28:29]
	s_cbranch_execz .LBB74_305
; %bb.304:                              ;   in Loop: Header=BB74_233 Depth=1
	v_mov_b32_e32 v8, s12
	v_mov_b32_e32 v9, s13
	flat_store_dword v[8:9], v27
	s_waitcnt vmcnt(0)
	flat_load_dword v8, v[8:9] glc
	s_waitcnt vmcnt(0) lgkmcnt(0)
	v_add_f32_e32 v10, 1.0, v8
	v_mov_b32_e32 v8, s14
	v_mov_b32_e32 v9, s15
	flat_store_dword v[8:9], v10
	s_waitcnt vmcnt(0)
	flat_load_dword v8, v[8:9] glc
	s_waitcnt vmcnt(0) lgkmcnt(0)
	v_mov_b32_e32 v8, v12
	v_mov_b32_e32 v9, v13
.LBB74_305:                             ;   in Loop: Header=BB74_233 Depth=1
	s_or_b64 exec, exec, s[4:5]
                                        ; implicit-def: $vgpr10_vgpr11_vgpr12_vgpr13
.LBB74_306:                             ;   in Loop: Header=BB74_233 Depth=1
	s_andn2_saveexec_b64 s[4:5], s[26:27]
	s_cbranch_execz .LBB74_320
; %bb.307:                              ;   in Loop: Header=BB74_233 Depth=1
	v_and_b32_e32 v8, 0x7f800000, v13
	v_and_b32_e32 v9, 0x7f800000, v12
	v_sub_u32_e32 v10, v8, v9
	v_cmp_gt_i32_e32 vcc, s48, v10
	v_cmp_neq_f32_e64 s[26:27], |v13|, s42
	s_and_b64 s[26:27], s[26:27], vcc
	s_and_saveexec_b64 s[28:29], s[26:27]
	s_xor_b64 s[26:27], exec, s[28:29]
	s_cbranch_execz .LBB74_317
; %bb.308:                              ;   in Loop: Header=BB74_233 Depth=1
	v_sub_u32_e32 v9, v9, v8
	v_cmp_gt_i32_e32 vcc, s48, v9
	s_and_saveexec_b64 s[28:29], vcc
	s_xor_b64 s[28:29], exec, s[28:29]
	s_cbranch_execz .LBB74_314
; %bb.309:                              ;   in Loop: Header=BB74_233 Depth=1
	v_cmp_lt_u32_e32 vcc, s49, v8
	s_and_saveexec_b64 s[30:31], vcc
	s_xor_b64 s[30:31], exec, s[30:31]
	s_cbranch_execz .LBB74_311
; %bb.310:                              ;   in Loop: Header=BB74_233 Depth=1
	v_sub_u32_e32 v8, 0x7f800000, v8
	v_mul_f32_e32 v10, v12, v8
	v_mul_f32_e32 v9, v13, v8
	;; [unrolled: 1-line block ×3, first 2 shown]
	v_fmac_f32_e32 v10, v9, v9
	v_div_scale_f32 v11, s[34:35], v10, v10, v9
	v_div_scale_f32 v35, vcc, v9, v10, v9
	v_rcp_f32_e32 v36, v11
	v_fma_f32 v37, -v11, v36, 1.0
	v_fmac_f32_e32 v36, v37, v36
	v_mul_f32_e32 v37, v35, v36
	v_fma_f32 v38, -v11, v37, v35
	v_fmac_f32_e32 v37, v38, v36
	v_fma_f32 v11, -v11, v37, v35
	v_div_fmas_f32 v11, v11, v36, v37
	v_div_fixup_f32 v9, v11, v10, v9
	v_mul_f32_e32 v9, v9, v8
.LBB74_311:                             ;   in Loop: Header=BB74_233 Depth=1
	s_andn2_saveexec_b64 s[30:31], s[30:31]
	s_cbranch_execz .LBB74_313
; %bb.312:                              ;   in Loop: Header=BB74_233 Depth=1
	v_mul_f32_e32 v8, v13, v13
	v_fmac_f32_e32 v8, v12, v12
	v_div_scale_f32 v9, s[34:35], v8, v8, v13
	v_div_scale_f32 v10, vcc, v13, v8, v13
	v_rcp_f32_e32 v11, v9
	v_fma_f32 v35, -v9, v11, 1.0
	v_fmac_f32_e32 v11, v35, v11
	v_mul_f32_e32 v35, v10, v11
	v_fma_f32 v36, -v9, v35, v10
	v_fmac_f32_e32 v35, v36, v11
	v_fma_f32 v9, -v9, v35, v10
	v_div_fmas_f32 v9, v9, v11, v35
	v_div_fixup_f32 v9, v9, v8, v13
.LBB74_313:                             ;   in Loop: Header=BB74_233 Depth=1
	s_or_b64 exec, exec, s[30:31]
.LBB74_314:                             ;   in Loop: Header=BB74_233 Depth=1
	s_andn2_saveexec_b64 s[28:29], s[28:29]
	s_cbranch_execz .LBB74_316
; %bb.315:                              ;   in Loop: Header=BB74_233 Depth=1
	v_div_scale_f32 v8, s[30:31], v12, v12, v13
	v_div_scale_f32 v9, vcc, v13, v12, v13
	v_rcp_f32_e32 v10, v8
	v_fma_f32 v11, -v8, v10, 1.0
	v_fmac_f32_e32 v10, v11, v10
	v_mul_f32_e32 v11, v9, v10
	v_fma_f32 v35, -v8, v11, v9
	v_fmac_f32_e32 v11, v35, v10
	v_fma_f32 v8, -v8, v11, v9
	v_div_fmas_f32 v8, v8, v10, v11
	v_div_fixup_f32 v8, v8, v12, v13
	v_div_scale_f32 v9, s[30:31], v12, v12, v8
	v_div_scale_f32 v10, vcc, v8, v12, v8
	v_rcp_f32_e32 v11, v9
	v_fma_f32 v35, -v9, v11, 1.0
	v_fmac_f32_e32 v11, v35, v11
	v_mul_f32_e32 v35, v10, v11
	v_fma_f32 v36, -v9, v35, v10
	v_fmac_f32_e32 v35, v36, v11
	v_fma_f32 v9, -v9, v35, v10
	v_div_fmas_f32 v9, v9, v11, v35
	v_div_fixup_f32 v9, v9, v12, v8
.LBB74_316:                             ;   in Loop: Header=BB74_233 Depth=1
	s_or_b64 exec, exec, s[28:29]
.LBB74_317:                             ;   in Loop: Header=BB74_233 Depth=1
	s_andn2_saveexec_b64 s[26:27], s[26:27]
	s_cbranch_execz .LBB74_319
; %bb.318:                              ;   in Loop: Header=BB74_233 Depth=1
	v_div_scale_f32 v8, s[28:29], v13, v13, 1.0
	v_div_scale_f32 v9, vcc, 1.0, v13, 1.0
	v_rcp_f32_e32 v10, v8
	v_fma_f32 v11, -v8, v10, 1.0
	v_fmac_f32_e32 v10, v11, v10
	v_mul_f32_e32 v11, v9, v10
	v_fma_f32 v35, -v8, v11, v9
	v_fmac_f32_e32 v11, v35, v10
	v_fma_f32 v8, -v8, v11, v9
	v_div_fmas_f32 v8, v8, v10, v11
	v_div_fixup_f32 v9, v8, v13, 1.0
.LBB74_319:                             ;   in Loop: Header=BB74_233 Depth=1
	s_or_b64 exec, exec, s[26:27]
	v_mov_b32_e32 v11, s9
	v_mov_b32_e32 v10, s8
	flat_load_dword v8, v[10:11] glc
	s_waitcnt vmcnt(0) lgkmcnt(0)
	v_add_f32_e32 v8, 0x3fc90fdb, v8
	v_bfi_b32 v8, s47, v8, v12
.LBB74_320:                             ;   in Loop: Header=BB74_233 Depth=1
	s_or_b64 exec, exec, s[4:5]
                                        ; implicit-def: $vgpr10_vgpr11_vgpr12_vgpr13
.LBB74_321:                             ;   in Loop: Header=BB74_233 Depth=1
	s_andn2_saveexec_b64 s[4:5], s[24:25]
	s_cbranch_execz .LBB74_331
; %bb.322:                              ;   in Loop: Header=BB74_233 Depth=1
	v_cmp_neq_f32_e64 s[24:25], |v13|, s42
	s_and_saveexec_b64 s[26:27], s[24:25]
	s_xor_b64 s[24:25], exec, s[26:27]
	s_cbranch_execz .LBB74_328
; %bb.323:                              ;   in Loop: Header=BB74_233 Depth=1
	v_cmp_neq_f32_e64 s[26:27], |v12|, s42
	s_and_saveexec_b64 s[28:29], s[26:27]
	s_xor_b64 s[26:27], exec, s[28:29]
; %bb.324:                              ;   in Loop: Header=BB74_233 Depth=1
	v_add_f32_e32 v8, 0, v12
	v_add_f32_e32 v8, v8, v13
                                        ; implicit-def: $vgpr10_vgpr11_vgpr12_vgpr13
; %bb.325:                              ;   in Loop: Header=BB74_233 Depth=1
	s_or_saveexec_b64 s[26:27], s[26:27]
	v_mov_b32_e32 v9, v8
	s_xor_b64 exec, exec, s[26:27]
	s_cbranch_execz .LBB74_327
; %bb.326:                              ;   in Loop: Header=BB74_233 Depth=1
	v_mov_b32_e32 v8, s8
	v_mov_b32_e32 v9, s9
	flat_load_dword v8, v[8:9] glc
	s_waitcnt vmcnt(0)
	v_bfi_b32 v9, s47, 0, v13
	s_waitcnt lgkmcnt(0)
	v_add_f32_e32 v8, 0x3fc90fdb, v8
	v_bfi_b32 v8, s47, v8, v12
.LBB74_327:                             ;   in Loop: Header=BB74_233 Depth=1
	s_or_b64 exec, exec, s[26:27]
                                        ; implicit-def: $vgpr10_vgpr11_vgpr12_vgpr13
.LBB74_328:                             ;   in Loop: Header=BB74_233 Depth=1
	s_andn2_saveexec_b64 s[24:25], s[24:25]
; %bb.329:                              ;   in Loop: Header=BB74_233 Depth=1
	v_bfi_b32 v9, s47, 0, v13
	v_add_f32_e32 v8, v12, v12
; %bb.330:                              ;   in Loop: Header=BB74_233 Depth=1
	s_or_b64 exec, exec, s[24:25]
.LBB74_331:                             ;   in Loop: Header=BB74_233 Depth=1
	s_or_b64 exec, exec, s[4:5]
                                        ; implicit-def: $vgpr10_vgpr11_vgpr12_vgpr13
.LBB74_332:                             ;   in Loop: Header=BB74_233 Depth=1
	s_andn2_saveexec_b64 s[4:5], s[22:23]
	s_cbranch_execz .LBB74_334
; %bb.333:                              ;   in Loop: Header=BB74_233 Depth=1
	v_rcp_f32_e64 v8, |v12|
	v_cmp_gt_f32_e64 vcc, |v12|, 1.0
	v_mov_b32_e32 v9, 0xbc7a590c
	v_cndmask_b32_e64 v8, |v12|, v8, vcc
	v_mul_f32_e32 v10, v8, v8
	v_fmac_f32_e32 v9, 0x3b2d2a58, v10
	v_fma_f32 v9, v10, v9, v21
	v_fma_f32 v9, v10, v9, v22
	;; [unrolled: 1-line block ×6, first 2 shown]
	v_mul_f32_e32 v9, v10, v9
	v_fmac_f32_e32 v8, v8, v9
	v_sub_f32_e32 v9, 0x3fc90fdb, v8
	v_cndmask_b32_e32 v8, v8, v9, vcc
	v_bfi_b32 v8, s47, v8, v12
	v_mov_b32_e32 v9, v13
.LBB74_334:                             ;   in Loop: Header=BB74_233 Depth=1
	s_or_b64 exec, exec, s[4:5]
                                        ; implicit-def: $vgpr10_vgpr11_vgpr12_vgpr13
.LBB74_335:                             ;   in Loop: Header=BB74_233 Depth=1
	s_andn2_saveexec_b64 s[4:5], s[20:21]
	s_cbranch_execz .LBB74_337
; %bb.336:                              ;   in Loop: Header=BB74_233 Depth=1
	v_sub_f32_e64 v8, 1.0, |v13|
	v_rcp_f32_e32 v9, v8
	v_add_f32_e64 v10, |v13|, 1.0
	v_sub_f32_e32 v11, 1.0, v8
	v_sub_f32_e64 v11, v11, |v13|
	v_mul_f32_e32 v35, v10, v9
	v_mul_f32_e32 v36, v8, v35
	v_fma_f32 v8, v35, v8, -v36
	v_fmac_f32_e32 v8, v35, v11
	v_add_f32_e32 v37, v36, v8
	v_sub_f32_e32 v38, v10, v37
	v_add_f32_e32 v11, -1.0, v10
	v_sub_f32_e32 v36, v37, v36
	v_sub_f32_e32 v10, v10, v38
	;; [unrolled: 1-line block ×4, first 2 shown]
	v_sub_f32_e64 v11, |v13|, v11
	v_add_f32_e32 v8, v8, v10
	v_add_f32_e32 v8, v11, v8
	;; [unrolled: 1-line block ×3, first 2 shown]
	v_mul_f32_e32 v10, v9, v8
	v_add_f32_e32 v11, v35, v10
	v_cvt_f64_f32_e32 v[8:9], v11
	v_cmp_lt_f32_e64 s[20:21], |v13|, s50
	v_frexp_exp_i32_f64_e32 v8, v[8:9]
	v_sub_f32_e32 v9, v11, v35
	v_frexp_mant_f32_e32 v35, v11
	v_cmp_gt_f32_e32 vcc, s40, v35
	v_sub_f32_e32 v9, v10, v9
	v_subbrev_co_u32_e32 v8, vcc, 0, v8, vcc
	v_sub_u32_e32 v10, 0, v8
	v_ldexp_f32 v11, v11, v10
	v_ldexp_f32 v9, v9, v10
	v_add_f32_e32 v10, -1.0, v11
	v_add_f32_e32 v37, 1.0, v11
	v_add_f32_e32 v35, 1.0, v10
	v_add_f32_e32 v38, -1.0, v37
	v_sub_f32_e32 v35, v11, v35
	v_sub_f32_e32 v11, v11, v38
	v_add_f32_e32 v35, v9, v35
	v_add_f32_e32 v9, v9, v11
	;; [unrolled: 1-line block ×3, first 2 shown]
	v_rcp_f32_e32 v38, v11
	v_add_f32_e32 v36, v10, v35
	v_sub_f32_e32 v10, v36, v10
	v_sub_f32_e32 v10, v35, v10
	;; [unrolled: 1-line block ×4, first 2 shown]
	v_mul_f32_e32 v35, v36, v38
	v_mul_f32_e32 v37, v11, v35
	v_fma_f32 v39, v35, v11, -v37
	v_fmac_f32_e32 v39, v35, v9
	v_add_f32_e32 v40, v37, v39
	v_sub_f32_e32 v41, v36, v40
	v_sub_f32_e32 v36, v36, v41
	;; [unrolled: 1-line block ×4, first 2 shown]
	v_add_f32_e32 v10, v10, v36
	v_sub_f32_e32 v36, v37, v39
	v_add_f32_e32 v10, v36, v10
	v_add_f32_e32 v36, v41, v10
	v_mul_f32_e32 v37, v38, v36
	v_mul_f32_e32 v39, v11, v37
	v_fma_f32 v11, v37, v11, -v39
	v_fmac_f32_e32 v11, v37, v9
	v_sub_f32_e32 v9, v41, v36
	v_add_f32_e32 v9, v10, v9
	v_add_f32_e32 v10, v39, v11
	v_sub_f32_e32 v40, v36, v10
	v_sub_f32_e32 v36, v36, v40
	;; [unrolled: 1-line block ×4, first 2 shown]
	v_add_f32_e32 v9, v9, v10
	v_sub_f32_e32 v10, v39, v11
	v_cvt_f32_i32_e32 v8, v8
	v_add_f32_e32 v9, v10, v9
	v_add_f32_e32 v10, v35, v37
	;; [unrolled: 1-line block ×3, first 2 shown]
	v_sub_f32_e32 v11, v10, v35
	v_mul_f32_e32 v9, v38, v9
	v_sub_f32_e32 v11, v37, v11
	v_add_f32_e32 v9, v11, v9
	v_mul_f32_e32 v37, 0x3f317218, v8
	v_add_f32_e32 v11, v10, v9
	v_fma_f32 v38, v8, s41, -v37
	v_mul_f32_e32 v35, v11, v11
	v_mov_b32_e32 v36, 0x3ecc95a3
	v_fmac_f32_e32 v38, 0xb102e308, v8
	v_sub_f32_e32 v8, v11, v10
	v_fmac_f32_e32 v36, 0x3e9b6dac, v35
	v_sub_f32_e32 v8, v9, v8
	v_add_f32_e32 v9, v37, v38
	v_fma_f32 v36, v35, v36, v20
	v_sub_f32_e32 v10, v9, v37
	v_ldexp_f32 v37, v11, 1
	v_mul_f32_e32 v11, v11, v35
	v_mul_f32_e32 v11, v11, v36
	v_add_f32_e32 v35, v37, v11
	v_sub_f32_e32 v36, v35, v37
	v_ldexp_f32 v8, v8, 1
	v_sub_f32_e32 v11, v11, v36
	v_add_f32_e32 v8, v8, v11
	v_add_f32_e32 v11, v35, v8
	v_sub_f32_e32 v35, v11, v35
	v_sub_f32_e32 v8, v8, v35
	v_add_f32_e32 v35, v9, v11
	v_sub_f32_e32 v36, v35, v9
	v_sub_f32_e32 v37, v35, v36
	;; [unrolled: 1-line block ×5, first 2 shown]
	v_add_f32_e32 v9, v11, v9
	v_add_f32_e32 v11, v10, v8
	v_sub_f32_e32 v36, v11, v10
	v_sub_f32_e32 v37, v11, v36
	;; [unrolled: 1-line block ×4, first 2 shown]
	v_add_f32_e32 v9, v11, v9
	v_add_f32_e32 v8, v8, v10
	;; [unrolled: 1-line block ×3, first 2 shown]
	v_sub_f32_e32 v11, v10, v35
	v_sub_f32_e32 v9, v9, v11
	v_add_f32_e32 v8, v8, v9
	v_add_f32_e32 v8, v10, v8
	v_mul_f32_e32 v8, 0.5, v8
	v_cndmask_b32_e64 v8, v8, |v13|, s[20:21]
	v_cmp_neq_f32_e64 vcc, |v13|, 1.0
	v_cndmask_b32_e32 v8, v28, v8, vcc
	v_bfi_b32 v9, s47, v8, v13
	v_mov_b32_e32 v8, v12
.LBB74_337:                             ;   in Loop: Header=BB74_233 Depth=1
	s_or_b64 exec, exec, s[4:5]
	v_mov_b32_e32 v11, s9
	v_cmp_neq_f32_e32 vcc, 0, v2
	v_cmp_nle_f32_e64 s[4:5], |v3|, 1.0
	v_mov_b32_e32 v10, s8
	s_or_b64 s[4:5], vcc, s[4:5]
	flat_store_dword v[10:11], v19
	s_waitcnt vmcnt(0)
                                        ; implicit-def: $vgpr10
	s_and_saveexec_b64 s[20:21], s[4:5]
	s_xor_b64 s[20:21], exec, s[20:21]
	s_cbranch_execz .LBB74_387
; %bb.338:                              ;   in Loop: Header=BB74_233 Depth=1
	v_cmp_neq_f32_e32 vcc, 0, v3
                                        ; implicit-def: $vgpr10
	s_and_saveexec_b64 s[4:5], vcc
	s_xor_b64 s[22:23], exec, s[4:5]
	s_cbranch_execz .LBB74_384
; %bb.339:                              ;   in Loop: Header=BB74_233 Depth=1
	v_cmp_o_f32_e32 vcc, v3, v2
                                        ; implicit-def: $vgpr10
	s_and_saveexec_b64 s[4:5], vcc
	s_xor_b64 s[24:25], exec, s[4:5]
	s_cbranch_execz .LBB74_373
; %bb.340:                              ;   in Loop: Header=BB74_233 Depth=1
	v_max_f32_e64 v10, |v3|, |v3|
	v_max_f32_e64 v11, |v2|, |v2|
	v_max_f32_e32 v10, v11, v10
	v_cmp_nlt_f32_e32 vcc, s17, v10
                                        ; implicit-def: $vgpr10
	s_and_saveexec_b64 s[4:5], vcc
	s_xor_b64 s[26:27], exec, s[4:5]
	s_cbranch_execz .LBB74_358
; %bb.341:                              ;   in Loop: Header=BB74_233 Depth=1
	v_cmp_nlt_f32_e64 s[4:5], |v3|, s33
	v_cmp_nlt_f32_e64 s[28:29], |v2|, s33
	s_or_b64 s[4:5], s[28:29], s[4:5]
                                        ; implicit-def: $vgpr10
	s_and_saveexec_b64 s[28:29], s[4:5]
	s_xor_b64 s[28:29], exec, s[28:29]
	s_cbranch_execz .LBB74_355
; %bb.342:                              ;   in Loop: Header=BB74_233 Depth=1
	v_cmp_neq_f32_e64 s[34:35], |v3|, 1.0
	v_cmp_nlt_f32_e64 s[30:31], |v2|, s38
	s_or_b64 s[4:5], s[30:31], s[34:35]
                                        ; implicit-def: $vgpr10
	s_and_saveexec_b64 s[36:37], s[4:5]
	s_xor_b64 s[4:5], exec, s[36:37]
	s_cbranch_execz .LBB74_344
; %bb.343:                              ;   in Loop: Header=BB74_233 Depth=1
	v_add_f32_e64 v12, |v3|, -1.0
	v_mul_f32_e32 v12, v12, v12
	v_fma_f32 v13, v2, v2, v12
	v_cmp_lt_f32_e64 vcc, |v2|, s39
	v_mul_f32_e64 v10, |v3|, 4.0
	v_cndmask_b32_e32 v12, v13, v12, vcc
	v_div_scale_f32 v13, s[36:37], v12, v12, v10
	v_div_scale_f32 v35, vcc, v10, v12, v10
	v_rcp_f32_e32 v36, v13
	v_fma_f32 v37, -v13, v36, 1.0
	v_fmac_f32_e32 v36, v37, v36
	v_mul_f32_e32 v37, v35, v36
	v_fma_f32 v38, -v13, v37, v35
	v_fmac_f32_e32 v37, v38, v36
	v_fma_f32 v13, -v13, v37, v35
	v_div_fmas_f32 v13, v13, v36, v37
	v_mov_b32_e32 v36, 0x3ecc95a3
	v_div_fixup_f32 v10, v13, v12, v10
	v_add_f32_e32 v35, 1.0, v10
	v_cvt_f64_f32_e32 v[12:13], v35
	v_add_f32_e32 v37, -1.0, v35
	v_sub_f32_e32 v38, v37, v35
	v_sub_f32_e32 v37, v10, v37
	v_frexp_exp_i32_f64_e32 v12, v[12:13]
	v_frexp_mant_f32_e32 v13, v35
	v_cmp_gt_f32_e32 vcc, s40, v13
	v_add_f32_e32 v38, 1.0, v38
	v_add_f32_e32 v37, v37, v38
	v_subbrev_co_u32_e32 v12, vcc, 0, v12, vcc
	v_sub_u32_e32 v13, 0, v12
	v_cvt_f32_i32_e32 v12, v12
	v_ldexp_f32 v35, v35, v13
	v_ldexp_f32 v13, v37, v13
	v_add_f32_e32 v37, -1.0, v35
	v_add_f32_e32 v38, 1.0, v35
	v_add_f32_e32 v39, 1.0, v37
	v_add_f32_e32 v40, -1.0, v38
	v_sub_f32_e32 v39, v35, v39
	v_sub_f32_e32 v35, v35, v40
	v_mul_f32_e32 v40, 0x3f317218, v12
	v_add_f32_e32 v39, v13, v39
	v_add_f32_e32 v13, v13, v35
	v_fma_f32 v35, v12, s41, -v40
	v_add_f32_e32 v41, v37, v39
	v_add_f32_e32 v42, v38, v13
	v_fmac_f32_e32 v35, 0xb102e308, v12
	v_sub_f32_e32 v12, v41, v37
	v_sub_f32_e32 v37, v42, v38
	v_rcp_f32_e32 v38, v42
	v_add_f32_e32 v43, v40, v35
	v_sub_f32_e32 v13, v13, v37
	v_sub_f32_e32 v37, v43, v40
	;; [unrolled: 1-line block ×3, first 2 shown]
	v_mul_f32_e32 v37, v41, v38
	v_sub_f32_e32 v12, v39, v12
	v_mul_f32_e32 v39, v42, v37
	v_fma_f32 v40, v37, v42, -v39
	v_fmac_f32_e32 v40, v37, v13
	v_add_f32_e32 v44, v39, v40
	v_sub_f32_e32 v45, v41, v44
	v_sub_f32_e32 v39, v44, v39
	;; [unrolled: 1-line block ×5, first 2 shown]
	v_add_f32_e32 v12, v12, v40
	v_add_f32_e32 v12, v39, v12
	;; [unrolled: 1-line block ×3, first 2 shown]
	v_mul_f32_e32 v40, v38, v39
	v_sub_f32_e32 v41, v45, v39
	v_mul_f32_e32 v44, v42, v40
	v_add_f32_e32 v12, v12, v41
	v_add_f32_e32 v41, v37, v40
	v_fma_f32 v42, v40, v42, -v44
	v_sub_f32_e32 v37, v41, v37
	v_fmac_f32_e32 v42, v40, v13
	v_sub_f32_e32 v13, v40, v37
	v_add_f32_e32 v37, v44, v42
	v_sub_f32_e32 v40, v37, v44
	v_sub_f32_e32 v44, v39, v37
	;; [unrolled: 1-line block ×5, first 2 shown]
	v_add_f32_e32 v12, v12, v37
	v_add_f32_e32 v12, v40, v12
	;; [unrolled: 1-line block ×3, first 2 shown]
	v_mul_f32_e32 v12, v38, v12
	v_add_f32_e32 v12, v13, v12
	v_add_f32_e32 v13, v41, v12
	v_mul_f32_e32 v37, v13, v13
	v_fmac_f32_e32 v36, 0x3e9b6dac, v37
	v_sub_f32_e32 v38, v13, v41
	v_ldexp_f32 v39, v13, 1
	v_mul_f32_e32 v13, v13, v37
	v_fma_f32 v36, v37, v36, v20
	v_mul_f32_e32 v13, v13, v36
	v_add_f32_e32 v36, v39, v13
	v_sub_f32_e32 v12, v12, v38
	v_sub_f32_e32 v37, v36, v39
	v_ldexp_f32 v12, v12, 1
	v_sub_f32_e32 v13, v13, v37
	v_add_f32_e32 v12, v12, v13
	v_add_f32_e32 v13, v36, v12
	v_sub_f32_e32 v36, v13, v36
	v_sub_f32_e32 v12, v12, v36
	v_add_f32_e32 v36, v43, v13
	v_sub_f32_e32 v37, v36, v43
	v_sub_f32_e32 v38, v36, v37
	;; [unrolled: 1-line block ×4, first 2 shown]
	v_add_f32_e32 v37, v35, v12
	v_add_f32_e32 v13, v13, v38
	v_sub_f32_e32 v38, v37, v35
	v_sub_f32_e32 v39, v37, v38
	;; [unrolled: 1-line block ×4, first 2 shown]
	v_add_f32_e32 v13, v37, v13
	v_add_f32_e32 v12, v12, v35
	;; [unrolled: 1-line block ×3, first 2 shown]
	v_sub_f32_e32 v36, v35, v36
	v_sub_f32_e32 v13, v13, v36
	v_add_f32_e32 v12, v12, v13
	v_add_f32_e32 v12, v35, v12
	v_cmp_neq_f32_e32 vcc, s42, v10
	v_cndmask_b32_e32 v12, v28, v12, vcc
	v_cmp_ngt_f32_e32 vcc, -1.0, v10
	v_cndmask_b32_e32 v12, v29, v12, vcc
	v_cmp_neq_f32_e32 vcc, -1.0, v10
	v_cndmask_b32_e32 v12, v30, v12, vcc
	v_cmp_lt_f32_e64 vcc, |v10|, s43
	v_cndmask_b32_e32 v10, v12, v10, vcc
	v_mul_f32_e32 v10, 0x3e800000, v10
	s_andn2_saveexec_b64 s[36:37], s[4:5]
	s_cbranch_execz .LBB74_346
	s_branch .LBB74_345
.LBB74_344:                             ;   in Loop: Header=BB74_233 Depth=1
	s_andn2_saveexec_b64 s[36:37], s[4:5]
	s_cbranch_execz .LBB74_346
.LBB74_345:                             ;   in Loop: Header=BB74_233 Depth=1
	v_cmp_lt_f32_e64 vcc, |v2|, s44
	v_cndmask_b32_e64 v10, 0, 32, vcc
	v_ldexp_f32 v10, |v2|, v10
	v_log_f32_e32 v10, v10
	v_mul_f32_e32 v12, 0x3f317217, v10
	v_fma_f32 v12, v10, s45, -v12
	v_fmac_f32_e32 v12, 0x3377d1cf, v10
	v_fmac_f32_e32 v12, 0x3f317217, v10
	v_cmp_lt_f32_e64 s[4:5], |v10|, s42
	v_cndmask_b32_e64 v10, v10, v12, s[4:5]
	v_cndmask_b32_e32 v12, 0, v31, vcc
	v_sub_f32_e32 v10, v10, v12
	v_sub_f32_e32 v10, 0x3f317218, v10
	v_mul_f32_e32 v10, 0.5, v10
.LBB74_346:                             ;   in Loop: Header=BB74_233 Depth=1
	s_or_b64 exec, exec, s[36:37]
                                        ; implicit-def: $vgpr13
	s_and_saveexec_b64 s[4:5], s[34:35]
	s_xor_b64 s[34:35], exec, s[4:5]
	s_cbranch_execz .LBB74_352
; %bb.347:                              ;   in Loop: Header=BB74_233 Depth=1
	v_sub_f32_e64 v12, 1.0, |v3|
	v_add_f32_e64 v13, |v3|, 1.0
	v_add_f32_e64 v11, |v2|, |v2|
	v_mul_f32_e32 v12, v12, v13
                                        ; implicit-def: $vgpr13
	s_and_saveexec_b64 s[4:5], s[30:31]
	s_xor_b64 s[30:31], exec, s[4:5]
	s_cbranch_execz .LBB74_349
; %bb.348:                              ;   in Loop: Header=BB74_233 Depth=1
	v_fma_f32 v12, -v2, v2, v12
	v_max_f32_e32 v13, v11, v11
	v_min_f32_e64 v35, |v12|, v13
	v_max_f32_e64 v13, |v12|, v13
	v_frexp_mant_f32_e32 v36, v13
	v_rcp_f32_e32 v36, v36
	v_frexp_exp_i32_f32_e32 v13, v13
	v_frexp_exp_i32_f32_e32 v37, v35
	v_frexp_mant_f32_e32 v35, v35
	v_mul_f32_e32 v35, v35, v36
	v_sub_u32_e32 v13, v37, v13
	v_ldexp_f32 v13, v35, v13
	v_mul_f32_e32 v35, v13, v13
	v_mov_b32_e32 v36, 0xbc7a590c
	v_fmac_f32_e32 v36, 0x3b2d2a58, v35
	v_fma_f32 v36, v35, v36, v21
	v_fma_f32 v36, v35, v36, v22
	v_fma_f32 v36, v35, v36, v23
	v_fma_f32 v36, v35, v36, v24
	v_fma_f32 v36, v35, v36, v25
	v_fma_f32 v36, v35, v36, v26
	v_mul_f32_e32 v35, v35, v36
	v_fmac_f32_e32 v13, v13, v35
	v_sub_f32_e32 v35, 0x3fc90fdb, v13
	v_cmp_gt_f32_e64 vcc, v11, |v12|
	v_cndmask_b32_e32 v13, v13, v35, vcc
	v_sub_f32_e32 v35, 0x40490fdb, v13
	v_cmp_gt_f32_e32 vcc, 0, v12
	v_cmp_gt_i32_e64 s[4:5], 0, v12
	v_cndmask_b32_e32 v13, v13, v35, vcc
	v_cndmask_b32_e64 v35, 0, v32, s[4:5]
	v_cndmask_b32_e32 v36, v33, v34, vcc
	v_cmp_class_f32_e64 s[36:37], v12, s46
	v_cmp_eq_f32_e32 vcc, s42, v11
	v_cmp_eq_f32_e64 s[4:5], 0, v11
	v_cndmask_b32_e64 v11, |v13|, v35, s[4:5]
	s_and_b64 vcc, vcc, s[36:37]
	v_cndmask_b32_e32 v11, v11, v36, vcc
	v_cmp_o_f32_e32 vcc, v12, v12
	v_cndmask_b32_e32 v13, v29, v11, vcc
                                        ; implicit-def: $vgpr11
                                        ; implicit-def: $vgpr12
.LBB74_349:                             ;   in Loop: Header=BB74_233 Depth=1
	s_andn2_saveexec_b64 s[30:31], s[30:31]
	s_cbranch_execz .LBB74_351
; %bb.350:                              ;   in Loop: Header=BB74_233 Depth=1
	v_max_f32_e32 v13, v11, v11
	v_max_f32_e64 v35, |v12|, |v12|
	v_min_f32_e32 v36, v35, v13
	v_max_f32_e32 v13, v35, v13
	v_frexp_mant_f32_e32 v35, v13
	v_rcp_f32_e32 v35, v35
	v_frexp_exp_i32_f32_e32 v13, v13
	v_frexp_exp_i32_f32_e32 v37, v36
	v_frexp_mant_f32_e32 v36, v36
	v_mul_f32_e32 v35, v36, v35
	v_sub_u32_e32 v13, v37, v13
	v_ldexp_f32 v13, v35, v13
	v_mul_f32_e32 v35, v13, v13
	v_mov_b32_e32 v36, 0xbc7a590c
	v_fmac_f32_e32 v36, 0x3b2d2a58, v35
	v_fma_f32 v36, v35, v36, v21
	v_fma_f32 v36, v35, v36, v22
	;; [unrolled: 1-line block ×6, first 2 shown]
	v_mul_f32_e32 v35, v35, v36
	v_fmac_f32_e32 v13, v13, v35
	v_sub_f32_e32 v35, 0x3fc90fdb, v13
	v_cmp_gt_f32_e64 vcc, v11, |v12|
	v_cndmask_b32_e32 v13, v13, v35, vcc
	v_sub_f32_e32 v35, 0x40490fdb, v13
	v_cmp_gt_f32_e32 vcc, 0, v12
	v_cmp_gt_i32_e64 s[4:5], 0, v12
	v_cndmask_b32_e32 v13, v13, v35, vcc
	v_cndmask_b32_e64 v35, 0, v32, s[4:5]
	v_cndmask_b32_e32 v36, v33, v34, vcc
	v_cmp_class_f32_e64 s[36:37], v12, s46
	v_cmp_eq_f32_e32 vcc, s42, v11
	v_cmp_eq_f32_e64 s[4:5], 0, v11
	v_cndmask_b32_e64 v11, |v13|, v35, s[4:5]
	s_and_b64 vcc, vcc, s[36:37]
	v_cndmask_b32_e32 v11, v11, v36, vcc
	v_cmp_o_f32_e32 vcc, v12, v12
	v_cndmask_b32_e32 v13, v29, v11, vcc
.LBB74_351:                             ;   in Loop: Header=BB74_233 Depth=1
	s_or_b64 exec, exec, s[30:31]
                                        ; implicit-def: $vgpr11
	s_andn2_saveexec_b64 s[4:5], s[34:35]
	s_cbranch_execnz .LBB74_353
	s_branch .LBB74_354
.LBB74_352:                             ;   in Loop: Header=BB74_233 Depth=1
	s_andn2_saveexec_b64 s[4:5], s[34:35]
	s_cbranch_execz .LBB74_354
.LBB74_353:                             ;   in Loop: Header=BB74_233 Depth=1
	v_min_f32_e32 v12, 2.0, v11
	v_max_f32_e32 v11, 2.0, v11
	v_frexp_mant_f32_e32 v13, v11
	v_rcp_f32_e32 v13, v13
	v_frexp_exp_i32_f32_e32 v11, v11
	v_frexp_exp_i32_f32_e32 v35, v12
	v_frexp_mant_f32_e32 v12, v12
	v_mul_f32_e32 v12, v12, v13
	v_sub_u32_e32 v11, v35, v11
	v_ldexp_f32 v11, v12, v11
	v_mul_f32_e32 v12, v11, v11
	v_mov_b32_e32 v13, 0xbc7a590c
	v_fmac_f32_e32 v13, 0x3b2d2a58, v12
	v_fma_f32 v13, v12, v13, v21
	v_fma_f32 v13, v12, v13, v22
	;; [unrolled: 1-line block ×6, first 2 shown]
	v_mul_f32_e32 v12, v12, v13
	v_fmac_f32_e32 v11, v11, v12
	v_sub_f32_e32 v12, 0x3fc90fdb, v11
	v_cmp_lt_f32_e64 vcc, |v2|, 2.0
	v_cndmask_b32_e32 v11, v11, v12, vcc
	v_sub_f32_e32 v12, 0x40490fdb, v11
	v_cmp_lg_f32_e32 vcc, 0, v2
	v_cndmask_b32_e32 v11, v11, v12, vcc
	v_and_b32_e32 v13, 0x7fffffff, v11
.LBB74_354:                             ;   in Loop: Header=BB74_233 Depth=1
	s_or_b64 exec, exec, s[4:5]
	v_mul_f32_e32 v12, 0.5, v13
	v_bfi_b32 v11, s47, v10, v3
	v_bfi_b32 v10, s47, v12, v2
.LBB74_355:                             ;   in Loop: Header=BB74_233 Depth=1
	s_andn2_saveexec_b64 s[4:5], s[28:29]
	s_cbranch_execz .LBB74_357
; %bb.356:                              ;   in Loop: Header=BB74_233 Depth=1
	v_mov_b32_e32 v10, s12
	v_mov_b32_e32 v11, s13
	flat_store_dword v[10:11], v27
	s_waitcnt vmcnt(0)
	flat_load_dword v10, v[10:11] glc
	s_waitcnt vmcnt(0) lgkmcnt(0)
	v_add_f32_e32 v12, 1.0, v10
	v_mov_b32_e32 v10, s14
	v_mov_b32_e32 v11, s15
	flat_store_dword v[10:11], v12
	s_waitcnt vmcnt(0)
	flat_load_dword v10, v[10:11] glc
	s_waitcnt vmcnt(0) lgkmcnt(0)
	v_mov_b32_e32 v10, v2
	v_mov_b32_e32 v11, v3
.LBB74_357:                             ;   in Loop: Header=BB74_233 Depth=1
	s_or_b64 exec, exec, s[4:5]
.LBB74_358:                             ;   in Loop: Header=BB74_233 Depth=1
	s_andn2_saveexec_b64 s[4:5], s[26:27]
	s_cbranch_execz .LBB74_372
; %bb.359:                              ;   in Loop: Header=BB74_233 Depth=1
	v_and_b32_e32 v10, 0x7f800000, v3
	v_and_b32_e32 v12, 0x7f800000, v2
	v_sub_u32_e32 v11, v10, v12
	v_cmp_gt_i32_e32 vcc, s48, v11
	v_cmp_neq_f32_e64 s[26:27], |v3|, s42
	s_and_b64 s[26:27], s[26:27], vcc
                                        ; implicit-def: $vgpr11
	s_and_saveexec_b64 s[28:29], s[26:27]
	s_xor_b64 s[26:27], exec, s[28:29]
	s_cbranch_execz .LBB74_369
; %bb.360:                              ;   in Loop: Header=BB74_233 Depth=1
	v_sub_u32_e32 v11, v12, v10
	v_cmp_gt_i32_e32 vcc, s48, v11
                                        ; implicit-def: $vgpr11
	s_and_saveexec_b64 s[28:29], vcc
	s_xor_b64 s[28:29], exec, s[28:29]
	s_cbranch_execz .LBB74_366
; %bb.361:                              ;   in Loop: Header=BB74_233 Depth=1
	v_cmp_lt_u32_e32 vcc, s49, v10
                                        ; implicit-def: $vgpr11
	s_and_saveexec_b64 s[30:31], vcc
	s_xor_b64 s[30:31], exec, s[30:31]
	s_cbranch_execz .LBB74_363
; %bb.362:                              ;   in Loop: Header=BB74_233 Depth=1
	v_sub_u32_e32 v10, 0x7f800000, v10
	v_mul_f32_e32 v12, v2, v10
	v_mul_f32_e32 v11, v3, v10
	;; [unrolled: 1-line block ×3, first 2 shown]
	v_fmac_f32_e32 v12, v11, v11
	v_div_scale_f32 v13, s[34:35], v12, v12, v11
	v_div_scale_f32 v35, vcc, v11, v12, v11
	v_rcp_f32_e32 v36, v13
	v_fma_f32 v37, -v13, v36, 1.0
	v_fmac_f32_e32 v36, v37, v36
	v_mul_f32_e32 v37, v35, v36
	v_fma_f32 v38, -v13, v37, v35
	v_fmac_f32_e32 v37, v38, v36
	v_fma_f32 v13, -v13, v37, v35
	v_div_fmas_f32 v13, v13, v36, v37
	v_div_fixup_f32 v11, v13, v12, v11
	v_mul_f32_e32 v11, v11, v10
.LBB74_363:                             ;   in Loop: Header=BB74_233 Depth=1
	s_andn2_saveexec_b64 s[30:31], s[30:31]
	s_cbranch_execz .LBB74_365
; %bb.364:                              ;   in Loop: Header=BB74_233 Depth=1
	v_mul_f32_e32 v10, v3, v3
	v_fmac_f32_e32 v10, v2, v2
	v_div_scale_f32 v11, s[34:35], v10, v10, v3
	v_div_scale_f32 v12, vcc, v3, v10, v3
	v_rcp_f32_e32 v13, v11
	v_fma_f32 v35, -v11, v13, 1.0
	v_fmac_f32_e32 v13, v35, v13
	v_mul_f32_e32 v35, v12, v13
	v_fma_f32 v36, -v11, v35, v12
	v_fmac_f32_e32 v35, v36, v13
	v_fma_f32 v11, -v11, v35, v12
	v_div_fmas_f32 v11, v11, v13, v35
	v_div_fixup_f32 v11, v11, v10, v3
.LBB74_365:                             ;   in Loop: Header=BB74_233 Depth=1
	s_or_b64 exec, exec, s[30:31]
.LBB74_366:                             ;   in Loop: Header=BB74_233 Depth=1
	s_andn2_saveexec_b64 s[28:29], s[28:29]
	s_cbranch_execz .LBB74_368
; %bb.367:                              ;   in Loop: Header=BB74_233 Depth=1
	v_div_scale_f32 v10, s[30:31], v2, v2, v3
	v_div_scale_f32 v11, vcc, v3, v2, v3
	v_rcp_f32_e32 v12, v10
	v_fma_f32 v13, -v10, v12, 1.0
	v_fmac_f32_e32 v12, v13, v12
	v_mul_f32_e32 v13, v11, v12
	v_fma_f32 v35, -v10, v13, v11
	v_fmac_f32_e32 v13, v35, v12
	v_fma_f32 v10, -v10, v13, v11
	v_div_fmas_f32 v10, v10, v12, v13
	v_div_fixup_f32 v10, v10, v2, v3
	v_div_scale_f32 v11, s[30:31], v2, v2, v10
	v_div_scale_f32 v12, vcc, v10, v2, v10
	v_rcp_f32_e32 v13, v11
	v_fma_f32 v35, -v11, v13, 1.0
	v_fmac_f32_e32 v13, v35, v13
	v_mul_f32_e32 v35, v12, v13
	v_fma_f32 v36, -v11, v35, v12
	v_fmac_f32_e32 v35, v36, v13
	v_fma_f32 v11, -v11, v35, v12
	v_div_fmas_f32 v11, v11, v13, v35
	v_div_fixup_f32 v11, v11, v2, v10
.LBB74_368:                             ;   in Loop: Header=BB74_233 Depth=1
	s_or_b64 exec, exec, s[28:29]
.LBB74_369:                             ;   in Loop: Header=BB74_233 Depth=1
	s_andn2_saveexec_b64 s[26:27], s[26:27]
	s_cbranch_execz .LBB74_371
; %bb.370:                              ;   in Loop: Header=BB74_233 Depth=1
	v_div_scale_f32 v10, s[28:29], v3, v3, 1.0
	v_div_scale_f32 v11, vcc, 1.0, v3, 1.0
	v_rcp_f32_e32 v12, v10
	v_fma_f32 v13, -v10, v12, 1.0
	v_fmac_f32_e32 v12, v13, v12
	v_mul_f32_e32 v13, v11, v12
	v_fma_f32 v35, -v10, v13, v11
	v_fmac_f32_e32 v13, v35, v12
	v_fma_f32 v10, -v10, v13, v11
	v_div_fmas_f32 v10, v10, v12, v13
	v_div_fixup_f32 v11, v10, v3, 1.0
.LBB74_371:                             ;   in Loop: Header=BB74_233 Depth=1
	s_or_b64 exec, exec, s[26:27]
	v_mov_b32_e32 v13, s9
	v_mov_b32_e32 v12, s8
	flat_load_dword v10, v[12:13] glc
	s_waitcnt vmcnt(0) lgkmcnt(0)
	v_add_f32_e32 v10, 0x3fc90fdb, v10
	v_bfi_b32 v10, s47, v10, v2
.LBB74_372:                             ;   in Loop: Header=BB74_233 Depth=1
	s_or_b64 exec, exec, s[4:5]
.LBB74_373:                             ;   in Loop: Header=BB74_233 Depth=1
	s_andn2_saveexec_b64 s[4:5], s[24:25]
	s_cbranch_execz .LBB74_383
; %bb.374:                              ;   in Loop: Header=BB74_233 Depth=1
	v_cmp_neq_f32_e64 s[24:25], |v3|, s42
                                        ; implicit-def: $vgpr10
	s_and_saveexec_b64 s[26:27], s[24:25]
	s_xor_b64 s[24:25], exec, s[26:27]
	s_cbranch_execz .LBB74_380
; %bb.375:                              ;   in Loop: Header=BB74_233 Depth=1
	v_cmp_neq_f32_e64 s[26:27], |v2|, s42
                                        ; implicit-def: $vgpr10
	s_and_saveexec_b64 s[28:29], s[26:27]
	s_xor_b64 s[26:27], exec, s[28:29]
; %bb.376:                              ;   in Loop: Header=BB74_233 Depth=1
	v_add_f32_e32 v10, 0, v2
	v_add_f32_e32 v10, v10, v3
; %bb.377:                              ;   in Loop: Header=BB74_233 Depth=1
	s_or_saveexec_b64 s[26:27], s[26:27]
	v_mov_b32_e32 v11, v10
	s_xor_b64 exec, exec, s[26:27]
	s_cbranch_execz .LBB74_379
; %bb.378:                              ;   in Loop: Header=BB74_233 Depth=1
	v_mov_b32_e32 v11, s9
	v_mov_b32_e32 v10, s8
	flat_load_dword v10, v[10:11] glc
	s_waitcnt vmcnt(0)
	v_bfi_b32 v11, s47, 0, v3
	s_waitcnt lgkmcnt(0)
	v_add_f32_e32 v10, 0x3fc90fdb, v10
	v_bfi_b32 v10, s47, v10, v2
.LBB74_379:                             ;   in Loop: Header=BB74_233 Depth=1
	s_or_b64 exec, exec, s[26:27]
.LBB74_380:                             ;   in Loop: Header=BB74_233 Depth=1
	s_andn2_saveexec_b64 s[24:25], s[24:25]
; %bb.381:                              ;   in Loop: Header=BB74_233 Depth=1
	v_bfi_b32 v11, s47, 0, v3
	v_add_f32_e32 v10, v2, v2
; %bb.382:                              ;   in Loop: Header=BB74_233 Depth=1
	s_or_b64 exec, exec, s[24:25]
.LBB74_383:                             ;   in Loop: Header=BB74_233 Depth=1
	s_or_b64 exec, exec, s[4:5]
.LBB74_384:                             ;   in Loop: Header=BB74_233 Depth=1
	s_andn2_saveexec_b64 s[4:5], s[22:23]
	s_cbranch_execz .LBB74_386
; %bb.385:                              ;   in Loop: Header=BB74_233 Depth=1
	v_rcp_f32_e64 v10, |v2|
	v_cmp_gt_f32_e64 vcc, |v2|, 1.0
	v_mov_b32_e32 v11, 0xbc7a590c
	v_cndmask_b32_e64 v10, |v2|, v10, vcc
	v_mul_f32_e32 v12, v10, v10
	v_fmac_f32_e32 v11, 0x3b2d2a58, v12
	v_fma_f32 v11, v12, v11, v21
	v_fma_f32 v11, v12, v11, v22
	;; [unrolled: 1-line block ×6, first 2 shown]
	v_mul_f32_e32 v11, v12, v11
	v_fmac_f32_e32 v10, v10, v11
	v_sub_f32_e32 v11, 0x3fc90fdb, v10
	v_cndmask_b32_e32 v10, v10, v11, vcc
	v_bfi_b32 v10, s47, v10, v2
	v_mov_b32_e32 v11, v3
.LBB74_386:                             ;   in Loop: Header=BB74_233 Depth=1
	s_or_b64 exec, exec, s[4:5]
.LBB74_387:                             ;   in Loop: Header=BB74_233 Depth=1
	s_andn2_saveexec_b64 s[4:5], s[20:21]
	s_cbranch_execz .LBB74_389
; %bb.388:                              ;   in Loop: Header=BB74_233 Depth=1
	v_sub_f32_e64 v10, 1.0, |v3|
	v_rcp_f32_e32 v11, v10
	v_add_f32_e64 v12, |v3|, 1.0
	v_sub_f32_e32 v13, 1.0, v10
	v_sub_f32_e64 v13, v13, |v3|
	v_mul_f32_e32 v35, v12, v11
	v_mul_f32_e32 v36, v10, v35
	v_fma_f32 v10, v35, v10, -v36
	v_fmac_f32_e32 v10, v35, v13
	v_add_f32_e32 v37, v36, v10
	v_sub_f32_e32 v38, v12, v37
	v_add_f32_e32 v13, -1.0, v12
	v_sub_f32_e32 v36, v37, v36
	v_sub_f32_e32 v12, v12, v38
	v_sub_f32_e32 v12, v12, v37
	v_sub_f32_e32 v10, v36, v10
	v_sub_f32_e64 v13, |v3|, v13
	v_add_f32_e32 v10, v10, v12
	v_add_f32_e32 v10, v13, v10
	;; [unrolled: 1-line block ×3, first 2 shown]
	v_mul_f32_e32 v12, v11, v10
	v_add_f32_e32 v13, v35, v12
	v_cvt_f64_f32_e32 v[10:11], v13
	v_cmp_lt_f32_e64 s[20:21], |v3|, s50
	v_frexp_exp_i32_f64_e32 v10, v[10:11]
	v_sub_f32_e32 v11, v13, v35
	v_frexp_mant_f32_e32 v35, v13
	v_cmp_gt_f32_e32 vcc, s40, v35
	v_sub_f32_e32 v11, v12, v11
	v_subbrev_co_u32_e32 v10, vcc, 0, v10, vcc
	v_sub_u32_e32 v12, 0, v10
	v_ldexp_f32 v13, v13, v12
	v_ldexp_f32 v11, v11, v12
	v_add_f32_e32 v12, -1.0, v13
	v_add_f32_e32 v37, 1.0, v13
	v_add_f32_e32 v35, 1.0, v12
	v_add_f32_e32 v38, -1.0, v37
	v_sub_f32_e32 v35, v13, v35
	v_sub_f32_e32 v13, v13, v38
	v_add_f32_e32 v35, v11, v35
	v_add_f32_e32 v11, v11, v13
	;; [unrolled: 1-line block ×3, first 2 shown]
	v_rcp_f32_e32 v38, v13
	v_add_f32_e32 v36, v12, v35
	v_sub_f32_e32 v12, v36, v12
	v_sub_f32_e32 v12, v35, v12
	;; [unrolled: 1-line block ×4, first 2 shown]
	v_mul_f32_e32 v35, v36, v38
	v_mul_f32_e32 v37, v13, v35
	v_fma_f32 v39, v35, v13, -v37
	v_fmac_f32_e32 v39, v35, v11
	v_add_f32_e32 v40, v37, v39
	v_sub_f32_e32 v41, v36, v40
	v_sub_f32_e32 v36, v36, v41
	v_sub_f32_e32 v37, v40, v37
	v_sub_f32_e32 v36, v36, v40
	v_add_f32_e32 v12, v12, v36
	v_sub_f32_e32 v36, v37, v39
	v_add_f32_e32 v12, v36, v12
	v_add_f32_e32 v36, v41, v12
	v_mul_f32_e32 v37, v38, v36
	v_mul_f32_e32 v39, v13, v37
	v_fma_f32 v13, v37, v13, -v39
	v_fmac_f32_e32 v13, v37, v11
	v_sub_f32_e32 v11, v41, v36
	v_add_f32_e32 v11, v12, v11
	v_add_f32_e32 v12, v39, v13
	v_sub_f32_e32 v40, v36, v12
	v_sub_f32_e32 v36, v36, v40
	;; [unrolled: 1-line block ×4, first 2 shown]
	v_add_f32_e32 v11, v11, v12
	v_sub_f32_e32 v12, v39, v13
	v_cvt_f32_i32_e32 v10, v10
	v_add_f32_e32 v11, v12, v11
	v_add_f32_e32 v12, v35, v37
	;; [unrolled: 1-line block ×3, first 2 shown]
	v_sub_f32_e32 v13, v12, v35
	v_mul_f32_e32 v11, v38, v11
	v_sub_f32_e32 v13, v37, v13
	v_add_f32_e32 v11, v13, v11
	v_mul_f32_e32 v37, 0x3f317218, v10
	v_add_f32_e32 v13, v12, v11
	v_fma_f32 v38, v10, s41, -v37
	v_mul_f32_e32 v35, v13, v13
	v_mov_b32_e32 v36, 0x3ecc95a3
	v_fmac_f32_e32 v38, 0xb102e308, v10
	v_sub_f32_e32 v10, v13, v12
	v_fmac_f32_e32 v36, 0x3e9b6dac, v35
	v_sub_f32_e32 v10, v11, v10
	v_add_f32_e32 v11, v37, v38
	v_fma_f32 v36, v35, v36, v20
	v_sub_f32_e32 v12, v11, v37
	v_ldexp_f32 v37, v13, 1
	v_mul_f32_e32 v13, v13, v35
	v_mul_f32_e32 v13, v13, v36
	v_add_f32_e32 v35, v37, v13
	v_sub_f32_e32 v36, v35, v37
	v_ldexp_f32 v10, v10, 1
	v_sub_f32_e32 v13, v13, v36
	v_add_f32_e32 v10, v10, v13
	v_add_f32_e32 v13, v35, v10
	v_sub_f32_e32 v35, v13, v35
	v_sub_f32_e32 v10, v10, v35
	v_add_f32_e32 v35, v11, v13
	v_sub_f32_e32 v36, v35, v11
	v_sub_f32_e32 v37, v35, v36
	;; [unrolled: 1-line block ×5, first 2 shown]
	v_add_f32_e32 v11, v13, v11
	v_add_f32_e32 v13, v12, v10
	v_sub_f32_e32 v36, v13, v12
	v_sub_f32_e32 v37, v13, v36
	;; [unrolled: 1-line block ×4, first 2 shown]
	v_add_f32_e32 v11, v13, v11
	v_add_f32_e32 v10, v10, v12
	;; [unrolled: 1-line block ×3, first 2 shown]
	v_sub_f32_e32 v13, v12, v35
	v_sub_f32_e32 v11, v11, v13
	v_add_f32_e32 v10, v10, v11
	v_add_f32_e32 v10, v12, v10
	v_mul_f32_e32 v10, 0.5, v10
	v_cndmask_b32_e64 v10, v10, |v3|, s[20:21]
	v_cmp_neq_f32_e64 vcc, |v3|, 1.0
	v_cndmask_b32_e32 v10, v28, v10, vcc
	v_bfi_b32 v11, s47, v10, v3
	v_mov_b32_e32 v10, v2
.LBB74_389:                             ;   in Loop: Header=BB74_233 Depth=1
	s_or_b64 exec, exec, s[4:5]
	v_mov_b32_e32 v2, s8
	v_cmp_neq_f32_e32 vcc, 0, v4
	v_cmp_nle_f32_e64 s[4:5], |v5|, 1.0
	v_mov_b32_e32 v3, s9
	s_or_b64 s[4:5], vcc, s[4:5]
	flat_store_dword v[2:3], v19
	s_waitcnt vmcnt(0)
	s_and_saveexec_b64 s[20:21], s[4:5]
	s_xor_b64 s[20:21], exec, s[20:21]
	s_cbranch_execz .LBB74_439
; %bb.390:                              ;   in Loop: Header=BB74_233 Depth=1
	v_cmp_neq_f32_e32 vcc, 0, v5
	s_and_saveexec_b64 s[4:5], vcc
	s_xor_b64 s[22:23], exec, s[4:5]
	s_cbranch_execz .LBB74_436
; %bb.391:                              ;   in Loop: Header=BB74_233 Depth=1
	v_cmp_o_f32_e32 vcc, v5, v4
	s_and_saveexec_b64 s[4:5], vcc
	s_xor_b64 s[24:25], exec, s[4:5]
	s_cbranch_execz .LBB74_425
; %bb.392:                              ;   in Loop: Header=BB74_233 Depth=1
	v_max_f32_e64 v3, |v5|, |v5|
	v_max_f32_e64 v2, |v4|, |v4|
	v_max_f32_e32 v3, v2, v3
	v_cmp_nlt_f32_e32 vcc, s17, v3
	s_and_saveexec_b64 s[4:5], vcc
	s_xor_b64 s[26:27], exec, s[4:5]
	s_cbranch_execz .LBB74_410
; %bb.393:                              ;   in Loop: Header=BB74_233 Depth=1
	v_cmp_nlt_f32_e64 s[4:5], |v5|, s33
	v_cmp_nlt_f32_e64 s[28:29], |v4|, s33
	s_or_b64 s[4:5], s[28:29], s[4:5]
	s_and_saveexec_b64 s[28:29], s[4:5]
	s_xor_b64 s[28:29], exec, s[28:29]
	s_cbranch_execz .LBB74_407
; %bb.394:                              ;   in Loop: Header=BB74_233 Depth=1
	v_cmp_neq_f32_e64 s[34:35], |v5|, 1.0
	v_cmp_nlt_f32_e64 s[30:31], |v4|, s38
	s_or_b64 s[4:5], s[30:31], s[34:35]
                                        ; implicit-def: $vgpr3
	s_and_saveexec_b64 s[36:37], s[4:5]
	s_xor_b64 s[4:5], exec, s[36:37]
	s_cbranch_execz .LBB74_396
; %bb.395:                              ;   in Loop: Header=BB74_233 Depth=1
	v_add_f32_e64 v12, |v5|, -1.0
	v_mul_f32_e32 v12, v12, v12
	v_fma_f32 v13, v4, v4, v12
	v_cmp_lt_f32_e64 vcc, |v4|, s39
	v_mul_f32_e64 v3, |v5|, 4.0
	v_cndmask_b32_e32 v12, v13, v12, vcc
	v_div_scale_f32 v13, s[36:37], v12, v12, v3
	v_div_scale_f32 v35, vcc, v3, v12, v3
	v_rcp_f32_e32 v36, v13
	v_fma_f32 v37, -v13, v36, 1.0
	v_fmac_f32_e32 v36, v37, v36
	v_mul_f32_e32 v37, v35, v36
	v_fma_f32 v38, -v13, v37, v35
	v_fmac_f32_e32 v37, v38, v36
	v_fma_f32 v13, -v13, v37, v35
	v_div_fmas_f32 v13, v13, v36, v37
	v_mov_b32_e32 v36, 0x3ecc95a3
	v_div_fixup_f32 v3, v13, v12, v3
	v_add_f32_e32 v35, 1.0, v3
	v_cvt_f64_f32_e32 v[12:13], v35
	v_add_f32_e32 v37, -1.0, v35
	v_sub_f32_e32 v38, v37, v35
	v_sub_f32_e32 v37, v3, v37
	v_frexp_exp_i32_f64_e32 v12, v[12:13]
	v_frexp_mant_f32_e32 v13, v35
	v_cmp_gt_f32_e32 vcc, s40, v13
	v_add_f32_e32 v38, 1.0, v38
	v_add_f32_e32 v37, v37, v38
	v_subbrev_co_u32_e32 v12, vcc, 0, v12, vcc
	v_sub_u32_e32 v13, 0, v12
	v_cvt_f32_i32_e32 v12, v12
	v_ldexp_f32 v35, v35, v13
	v_ldexp_f32 v13, v37, v13
	v_add_f32_e32 v37, -1.0, v35
	v_add_f32_e32 v38, 1.0, v35
	v_add_f32_e32 v39, 1.0, v37
	v_add_f32_e32 v40, -1.0, v38
	v_sub_f32_e32 v39, v35, v39
	v_sub_f32_e32 v35, v35, v40
	v_mul_f32_e32 v40, 0x3f317218, v12
	v_add_f32_e32 v39, v13, v39
	v_add_f32_e32 v13, v13, v35
	v_fma_f32 v35, v12, s41, -v40
	v_add_f32_e32 v41, v37, v39
	v_add_f32_e32 v42, v38, v13
	v_fmac_f32_e32 v35, 0xb102e308, v12
	v_sub_f32_e32 v12, v41, v37
	v_sub_f32_e32 v37, v42, v38
	v_rcp_f32_e32 v38, v42
	v_add_f32_e32 v43, v40, v35
	v_sub_f32_e32 v13, v13, v37
	v_sub_f32_e32 v37, v43, v40
	v_sub_f32_e32 v35, v35, v37
	v_mul_f32_e32 v37, v41, v38
	v_sub_f32_e32 v12, v39, v12
	v_mul_f32_e32 v39, v42, v37
	v_fma_f32 v40, v37, v42, -v39
	v_fmac_f32_e32 v40, v37, v13
	v_add_f32_e32 v44, v39, v40
	v_sub_f32_e32 v45, v41, v44
	v_sub_f32_e32 v39, v44, v39
	;; [unrolled: 1-line block ×5, first 2 shown]
	v_add_f32_e32 v12, v12, v40
	v_add_f32_e32 v12, v39, v12
	;; [unrolled: 1-line block ×3, first 2 shown]
	v_mul_f32_e32 v40, v38, v39
	v_sub_f32_e32 v41, v45, v39
	v_mul_f32_e32 v44, v42, v40
	v_add_f32_e32 v12, v12, v41
	v_add_f32_e32 v41, v37, v40
	v_fma_f32 v42, v40, v42, -v44
	v_sub_f32_e32 v37, v41, v37
	v_fmac_f32_e32 v42, v40, v13
	v_sub_f32_e32 v13, v40, v37
	v_add_f32_e32 v37, v44, v42
	v_sub_f32_e32 v40, v37, v44
	v_sub_f32_e32 v44, v39, v37
	;; [unrolled: 1-line block ×5, first 2 shown]
	v_add_f32_e32 v12, v12, v37
	v_add_f32_e32 v12, v40, v12
	v_add_f32_e32 v12, v44, v12
	v_mul_f32_e32 v12, v38, v12
	v_add_f32_e32 v12, v13, v12
	v_add_f32_e32 v13, v41, v12
	v_mul_f32_e32 v37, v13, v13
	v_fmac_f32_e32 v36, 0x3e9b6dac, v37
	v_sub_f32_e32 v38, v13, v41
	v_ldexp_f32 v39, v13, 1
	v_mul_f32_e32 v13, v13, v37
	v_fma_f32 v36, v37, v36, v20
	v_mul_f32_e32 v13, v13, v36
	v_add_f32_e32 v36, v39, v13
	v_sub_f32_e32 v12, v12, v38
	v_sub_f32_e32 v37, v36, v39
	v_ldexp_f32 v12, v12, 1
	v_sub_f32_e32 v13, v13, v37
	v_add_f32_e32 v12, v12, v13
	v_add_f32_e32 v13, v36, v12
	v_sub_f32_e32 v36, v13, v36
	v_sub_f32_e32 v12, v12, v36
	v_add_f32_e32 v36, v43, v13
	v_sub_f32_e32 v37, v36, v43
	v_sub_f32_e32 v38, v36, v37
	;; [unrolled: 1-line block ×4, first 2 shown]
	v_add_f32_e32 v37, v35, v12
	v_add_f32_e32 v13, v13, v38
	v_sub_f32_e32 v38, v37, v35
	v_sub_f32_e32 v39, v37, v38
	;; [unrolled: 1-line block ×4, first 2 shown]
	v_add_f32_e32 v13, v37, v13
	v_add_f32_e32 v12, v12, v35
	;; [unrolled: 1-line block ×3, first 2 shown]
	v_sub_f32_e32 v36, v35, v36
	v_sub_f32_e32 v13, v13, v36
	v_add_f32_e32 v12, v12, v13
	v_add_f32_e32 v12, v35, v12
	v_cmp_neq_f32_e32 vcc, s42, v3
	v_cndmask_b32_e32 v12, v28, v12, vcc
	v_cmp_ngt_f32_e32 vcc, -1.0, v3
	v_cndmask_b32_e32 v12, v29, v12, vcc
	v_cmp_neq_f32_e32 vcc, -1.0, v3
	v_cndmask_b32_e32 v12, v30, v12, vcc
	v_cmp_lt_f32_e64 vcc, |v3|, s43
	v_cndmask_b32_e32 v3, v12, v3, vcc
	v_mul_f32_e32 v3, 0x3e800000, v3
	s_andn2_saveexec_b64 s[36:37], s[4:5]
	s_cbranch_execz .LBB74_398
	s_branch .LBB74_397
.LBB74_396:                             ;   in Loop: Header=BB74_233 Depth=1
	s_andn2_saveexec_b64 s[36:37], s[4:5]
	s_cbranch_execz .LBB74_398
.LBB74_397:                             ;   in Loop: Header=BB74_233 Depth=1
	v_cmp_lt_f32_e64 vcc, |v4|, s44
	v_cndmask_b32_e64 v3, 0, 32, vcc
	v_ldexp_f32 v3, |v4|, v3
	v_log_f32_e32 v3, v3
	v_mul_f32_e32 v12, 0x3f317217, v3
	v_fma_f32 v12, v3, s45, -v12
	v_fmac_f32_e32 v12, 0x3377d1cf, v3
	v_fmac_f32_e32 v12, 0x3f317217, v3
	v_cmp_lt_f32_e64 s[4:5], |v3|, s42
	v_cndmask_b32_e64 v3, v3, v12, s[4:5]
	v_cndmask_b32_e32 v12, 0, v31, vcc
	v_sub_f32_e32 v3, v3, v12
	v_sub_f32_e32 v3, 0x3f317218, v3
	v_mul_f32_e32 v3, 0.5, v3
.LBB74_398:                             ;   in Loop: Header=BB74_233 Depth=1
	s_or_b64 exec, exec, s[36:37]
                                        ; implicit-def: $vgpr13
	s_and_saveexec_b64 s[4:5], s[34:35]
	s_xor_b64 s[34:35], exec, s[4:5]
	s_cbranch_execz .LBB74_404
; %bb.399:                              ;   in Loop: Header=BB74_233 Depth=1
	v_sub_f32_e64 v12, 1.0, |v5|
	v_add_f32_e64 v13, |v5|, 1.0
	v_add_f32_e64 v2, |v4|, |v4|
	v_mul_f32_e32 v12, v12, v13
                                        ; implicit-def: $vgpr13
	s_and_saveexec_b64 s[4:5], s[30:31]
	s_xor_b64 s[30:31], exec, s[4:5]
	s_cbranch_execz .LBB74_401
; %bb.400:                              ;   in Loop: Header=BB74_233 Depth=1
	v_fma_f32 v12, -v4, v4, v12
	v_max_f32_e32 v13, v2, v2
	v_min_f32_e64 v35, |v12|, v13
	v_max_f32_e64 v13, |v12|, v13
	v_frexp_mant_f32_e32 v36, v13
	v_rcp_f32_e32 v36, v36
	v_frexp_exp_i32_f32_e32 v13, v13
	v_frexp_exp_i32_f32_e32 v37, v35
	v_frexp_mant_f32_e32 v35, v35
	v_mul_f32_e32 v35, v35, v36
	v_sub_u32_e32 v13, v37, v13
	v_ldexp_f32 v13, v35, v13
	v_mul_f32_e32 v35, v13, v13
	v_mov_b32_e32 v36, 0xbc7a590c
	v_fmac_f32_e32 v36, 0x3b2d2a58, v35
	v_fma_f32 v36, v35, v36, v21
	v_fma_f32 v36, v35, v36, v22
	v_fma_f32 v36, v35, v36, v23
	v_fma_f32 v36, v35, v36, v24
	v_fma_f32 v36, v35, v36, v25
	v_fma_f32 v36, v35, v36, v26
	v_mul_f32_e32 v35, v35, v36
	v_fmac_f32_e32 v13, v13, v35
	v_sub_f32_e32 v35, 0x3fc90fdb, v13
	v_cmp_gt_f32_e64 vcc, v2, |v12|
	v_cndmask_b32_e32 v13, v13, v35, vcc
	v_sub_f32_e32 v35, 0x40490fdb, v13
	v_cmp_gt_f32_e32 vcc, 0, v12
	v_cmp_gt_i32_e64 s[4:5], 0, v12
	v_cndmask_b32_e32 v13, v13, v35, vcc
	v_cndmask_b32_e64 v35, 0, v32, s[4:5]
	v_cndmask_b32_e32 v36, v33, v34, vcc
	v_cmp_class_f32_e64 s[36:37], v12, s46
	v_cmp_eq_f32_e32 vcc, s42, v2
	v_cmp_eq_f32_e64 s[4:5], 0, v2
	v_cndmask_b32_e64 v2, |v13|, v35, s[4:5]
	s_and_b64 vcc, vcc, s[36:37]
	v_cndmask_b32_e32 v2, v2, v36, vcc
	v_cmp_o_f32_e32 vcc, v12, v12
	v_cndmask_b32_e32 v13, v29, v2, vcc
                                        ; implicit-def: $vgpr2
                                        ; implicit-def: $vgpr12
.LBB74_401:                             ;   in Loop: Header=BB74_233 Depth=1
	s_andn2_saveexec_b64 s[30:31], s[30:31]
	s_cbranch_execz .LBB74_403
; %bb.402:                              ;   in Loop: Header=BB74_233 Depth=1
	v_max_f32_e32 v13, v2, v2
	v_max_f32_e64 v35, |v12|, |v12|
	v_min_f32_e32 v36, v35, v13
	v_max_f32_e32 v13, v35, v13
	v_frexp_mant_f32_e32 v35, v13
	v_rcp_f32_e32 v35, v35
	v_frexp_exp_i32_f32_e32 v13, v13
	v_frexp_exp_i32_f32_e32 v37, v36
	v_frexp_mant_f32_e32 v36, v36
	v_mul_f32_e32 v35, v36, v35
	v_sub_u32_e32 v13, v37, v13
	v_ldexp_f32 v13, v35, v13
	v_mul_f32_e32 v35, v13, v13
	v_mov_b32_e32 v36, 0xbc7a590c
	v_fmac_f32_e32 v36, 0x3b2d2a58, v35
	v_fma_f32 v36, v35, v36, v21
	v_fma_f32 v36, v35, v36, v22
	;; [unrolled: 1-line block ×6, first 2 shown]
	v_mul_f32_e32 v35, v35, v36
	v_fmac_f32_e32 v13, v13, v35
	v_sub_f32_e32 v35, 0x3fc90fdb, v13
	v_cmp_gt_f32_e64 vcc, v2, |v12|
	v_cndmask_b32_e32 v13, v13, v35, vcc
	v_sub_f32_e32 v35, 0x40490fdb, v13
	v_cmp_gt_f32_e32 vcc, 0, v12
	v_cmp_gt_i32_e64 s[4:5], 0, v12
	v_cndmask_b32_e32 v13, v13, v35, vcc
	v_cndmask_b32_e64 v35, 0, v32, s[4:5]
	v_cndmask_b32_e32 v36, v33, v34, vcc
	v_cmp_class_f32_e64 s[36:37], v12, s46
	v_cmp_eq_f32_e32 vcc, s42, v2
	v_cmp_eq_f32_e64 s[4:5], 0, v2
	v_cndmask_b32_e64 v2, |v13|, v35, s[4:5]
	s_and_b64 vcc, vcc, s[36:37]
	v_cndmask_b32_e32 v2, v2, v36, vcc
	v_cmp_o_f32_e32 vcc, v12, v12
	v_cndmask_b32_e32 v13, v29, v2, vcc
.LBB74_403:                             ;   in Loop: Header=BB74_233 Depth=1
	s_or_b64 exec, exec, s[30:31]
                                        ; implicit-def: $vgpr2
	s_andn2_saveexec_b64 s[4:5], s[34:35]
	s_cbranch_execnz .LBB74_405
	s_branch .LBB74_406
.LBB74_404:                             ;   in Loop: Header=BB74_233 Depth=1
	s_andn2_saveexec_b64 s[4:5], s[34:35]
	s_cbranch_execz .LBB74_406
.LBB74_405:                             ;   in Loop: Header=BB74_233 Depth=1
	v_min_f32_e32 v12, 2.0, v2
	v_max_f32_e32 v2, 2.0, v2
	v_frexp_mant_f32_e32 v13, v2
	v_rcp_f32_e32 v13, v13
	v_frexp_exp_i32_f32_e32 v2, v2
	v_frexp_exp_i32_f32_e32 v35, v12
	v_frexp_mant_f32_e32 v12, v12
	v_mul_f32_e32 v12, v12, v13
	v_sub_u32_e32 v2, v35, v2
	v_ldexp_f32 v2, v12, v2
	v_mul_f32_e32 v12, v2, v2
	v_mov_b32_e32 v13, 0xbc7a590c
	v_fmac_f32_e32 v13, 0x3b2d2a58, v12
	v_fma_f32 v13, v12, v13, v21
	v_fma_f32 v13, v12, v13, v22
	v_fma_f32 v13, v12, v13, v23
	v_fma_f32 v13, v12, v13, v24
	v_fma_f32 v13, v12, v13, v25
	v_fma_f32 v13, v12, v13, v26
	v_mul_f32_e32 v12, v12, v13
	v_fmac_f32_e32 v2, v2, v12
	v_sub_f32_e32 v12, 0x3fc90fdb, v2
	v_cmp_lt_f32_e64 vcc, |v4|, 2.0
	v_cndmask_b32_e32 v2, v2, v12, vcc
	v_sub_f32_e32 v12, 0x40490fdb, v2
	v_cmp_lg_f32_e32 vcc, 0, v4
	v_cndmask_b32_e32 v2, v2, v12, vcc
	v_and_b32_e32 v13, 0x7fffffff, v2
.LBB74_406:                             ;   in Loop: Header=BB74_233 Depth=1
	s_or_b64 exec, exec, s[4:5]
	v_mul_f32_e32 v2, 0.5, v13
	v_bfi_b32 v13, s47, v3, v5
	v_bfi_b32 v12, s47, v2, v4
                                        ; implicit-def: $vgpr4
.LBB74_407:                             ;   in Loop: Header=BB74_233 Depth=1
	s_andn2_saveexec_b64 s[4:5], s[28:29]
	s_cbranch_execz .LBB74_409
; %bb.408:                              ;   in Loop: Header=BB74_233 Depth=1
	v_mov_b32_e32 v2, s12
	v_mov_b32_e32 v3, s13
	flat_store_dword v[2:3], v27
	s_waitcnt vmcnt(0)
	flat_load_dword v2, v[2:3] glc
	s_waitcnt vmcnt(0)
	v_mov_b32_e32 v13, v5
	s_waitcnt lgkmcnt(0)
	v_add_f32_e32 v12, 1.0, v2
	v_mov_b32_e32 v2, s14
	v_mov_b32_e32 v3, s15
	flat_store_dword v[2:3], v12
	s_waitcnt vmcnt(0)
	flat_load_dword v2, v[2:3] glc
	s_waitcnt vmcnt(0)
	v_mov_b32_e32 v12, v4
.LBB74_409:                             ;   in Loop: Header=BB74_233 Depth=1
	s_or_b64 exec, exec, s[4:5]
                                        ; implicit-def: $vgpr2_vgpr3_vgpr4_vgpr5
.LBB74_410:                             ;   in Loop: Header=BB74_233 Depth=1
	s_andn2_saveexec_b64 s[4:5], s[26:27]
	s_cbranch_execz .LBB74_424
; %bb.411:                              ;   in Loop: Header=BB74_233 Depth=1
	s_waitcnt lgkmcnt(0)
	v_and_b32_e32 v2, 0x7f800000, v5
	v_and_b32_e32 v3, 0x7f800000, v4
	v_sub_u32_e32 v12, v2, v3
	v_cmp_gt_i32_e32 vcc, s48, v12
	v_cmp_neq_f32_e64 s[26:27], |v5|, s42
	s_and_b64 s[26:27], s[26:27], vcc
	s_and_saveexec_b64 s[28:29], s[26:27]
	s_xor_b64 s[26:27], exec, s[28:29]
	s_cbranch_execz .LBB74_421
; %bb.412:                              ;   in Loop: Header=BB74_233 Depth=1
	v_sub_u32_e32 v3, v3, v2
	v_cmp_gt_i32_e32 vcc, s48, v3
	s_and_saveexec_b64 s[28:29], vcc
	s_xor_b64 s[28:29], exec, s[28:29]
	s_cbranch_execz .LBB74_418
; %bb.413:                              ;   in Loop: Header=BB74_233 Depth=1
	v_cmp_lt_u32_e32 vcc, s49, v2
	s_and_saveexec_b64 s[30:31], vcc
	s_xor_b64 s[30:31], exec, s[30:31]
	s_cbranch_execz .LBB74_415
; %bb.414:                              ;   in Loop: Header=BB74_233 Depth=1
	v_sub_u32_e32 v2, 0x7f800000, v2
	v_mul_f32_e32 v12, v4, v2
	v_mul_f32_e32 v3, v5, v2
	;; [unrolled: 1-line block ×3, first 2 shown]
	v_fmac_f32_e32 v12, v3, v3
	v_div_scale_f32 v13, s[34:35], v12, v12, v3
	v_div_scale_f32 v35, vcc, v3, v12, v3
	v_rcp_f32_e32 v36, v13
	v_fma_f32 v37, -v13, v36, 1.0
	v_fmac_f32_e32 v36, v37, v36
	v_mul_f32_e32 v37, v35, v36
	v_fma_f32 v38, -v13, v37, v35
	v_fmac_f32_e32 v37, v38, v36
	v_fma_f32 v13, -v13, v37, v35
	v_div_fmas_f32 v13, v13, v36, v37
	v_div_fixup_f32 v3, v13, v12, v3
	v_mul_f32_e32 v13, v3, v2
.LBB74_415:                             ;   in Loop: Header=BB74_233 Depth=1
	s_andn2_saveexec_b64 s[30:31], s[30:31]
	s_cbranch_execz .LBB74_417
; %bb.416:                              ;   in Loop: Header=BB74_233 Depth=1
	v_mul_f32_e32 v2, v5, v5
	v_fmac_f32_e32 v2, v4, v4
	v_div_scale_f32 v3, s[34:35], v2, v2, v5
	v_div_scale_f32 v12, vcc, v5, v2, v5
	v_rcp_f32_e32 v13, v3
	v_fma_f32 v35, -v3, v13, 1.0
	v_fmac_f32_e32 v13, v35, v13
	v_mul_f32_e32 v35, v12, v13
	v_fma_f32 v36, -v3, v35, v12
	v_fmac_f32_e32 v35, v36, v13
	v_fma_f32 v3, -v3, v35, v12
	v_div_fmas_f32 v3, v3, v13, v35
	v_div_fixup_f32 v13, v3, v2, v5
.LBB74_417:                             ;   in Loop: Header=BB74_233 Depth=1
	s_or_b64 exec, exec, s[30:31]
.LBB74_418:                             ;   in Loop: Header=BB74_233 Depth=1
	s_andn2_saveexec_b64 s[28:29], s[28:29]
	s_cbranch_execz .LBB74_420
; %bb.419:                              ;   in Loop: Header=BB74_233 Depth=1
	v_div_scale_f32 v2, s[30:31], v4, v4, v5
	v_div_scale_f32 v3, vcc, v5, v4, v5
	v_rcp_f32_e32 v12, v2
	v_fma_f32 v13, -v2, v12, 1.0
	v_fmac_f32_e32 v12, v13, v12
	v_mul_f32_e32 v13, v3, v12
	v_fma_f32 v35, -v2, v13, v3
	v_fmac_f32_e32 v13, v35, v12
	v_fma_f32 v2, -v2, v13, v3
	v_div_fmas_f32 v2, v2, v12, v13
	v_div_fixup_f32 v2, v2, v4, v5
	v_div_scale_f32 v3, s[30:31], v4, v4, v2
	v_div_scale_f32 v12, vcc, v2, v4, v2
	v_rcp_f32_e32 v13, v3
	v_fma_f32 v35, -v3, v13, 1.0
	v_fmac_f32_e32 v13, v35, v13
	v_mul_f32_e32 v35, v12, v13
	v_fma_f32 v36, -v3, v35, v12
	v_fmac_f32_e32 v35, v36, v13
	v_fma_f32 v3, -v3, v35, v12
	v_div_fmas_f32 v3, v3, v13, v35
	v_div_fixup_f32 v13, v3, v4, v2
.LBB74_420:                             ;   in Loop: Header=BB74_233 Depth=1
	s_or_b64 exec, exec, s[28:29]
.LBB74_421:                             ;   in Loop: Header=BB74_233 Depth=1
	s_andn2_saveexec_b64 s[26:27], s[26:27]
	s_cbranch_execz .LBB74_423
; %bb.422:                              ;   in Loop: Header=BB74_233 Depth=1
	v_div_scale_f32 v2, s[28:29], v5, v5, 1.0
	v_div_scale_f32 v3, vcc, 1.0, v5, 1.0
	v_rcp_f32_e32 v12, v2
	v_fma_f32 v13, -v2, v12, 1.0
	v_fmac_f32_e32 v12, v13, v12
	v_mul_f32_e32 v13, v3, v12
	v_fma_f32 v35, -v2, v13, v3
	v_fmac_f32_e32 v13, v35, v12
	v_fma_f32 v2, -v2, v13, v3
	v_div_fmas_f32 v2, v2, v12, v13
	v_div_fixup_f32 v13, v2, v5, 1.0
.LBB74_423:                             ;   in Loop: Header=BB74_233 Depth=1
	s_or_b64 exec, exec, s[26:27]
	v_mov_b32_e32 v2, s8
	v_mov_b32_e32 v3, s9
	flat_load_dword v2, v[2:3] glc
	s_waitcnt vmcnt(0) lgkmcnt(0)
	v_add_f32_e32 v2, 0x3fc90fdb, v2
	v_bfi_b32 v12, s47, v2, v4
.LBB74_424:                             ;   in Loop: Header=BB74_233 Depth=1
	s_or_b64 exec, exec, s[4:5]
                                        ; implicit-def: $vgpr2_vgpr3_vgpr4_vgpr5
.LBB74_425:                             ;   in Loop: Header=BB74_233 Depth=1
	s_andn2_saveexec_b64 s[4:5], s[24:25]
	s_cbranch_execz .LBB74_435
; %bb.426:                              ;   in Loop: Header=BB74_233 Depth=1
	v_cmp_neq_f32_e64 s[24:25], |v5|, s42
	s_and_saveexec_b64 s[26:27], s[24:25]
	s_xor_b64 s[24:25], exec, s[26:27]
	s_cbranch_execz .LBB74_432
; %bb.427:                              ;   in Loop: Header=BB74_233 Depth=1
	v_cmp_neq_f32_e64 s[26:27], |v4|, s42
	s_and_saveexec_b64 s[28:29], s[26:27]
	s_xor_b64 s[26:27], exec, s[28:29]
	s_cbranch_execz .LBB74_429
; %bb.428:                              ;   in Loop: Header=BB74_233 Depth=1
	s_waitcnt lgkmcnt(0)
	v_add_f32_e32 v2, 0, v4
	v_add_f32_e32 v12, v2, v5
                                        ; implicit-def: $vgpr2_vgpr3_vgpr4_vgpr5
.LBB74_429:                             ;   in Loop: Header=BB74_233 Depth=1
	s_or_saveexec_b64 s[26:27], s[26:27]
	v_mov_b32_e32 v13, v12
	s_xor_b64 exec, exec, s[26:27]
	s_cbranch_execz .LBB74_431
; %bb.430:                              ;   in Loop: Header=BB74_233 Depth=1
	s_waitcnt lgkmcnt(0)
	v_mov_b32_e32 v2, s8
	v_mov_b32_e32 v3, s9
	flat_load_dword v2, v[2:3] glc
	s_waitcnt vmcnt(0)
	v_bfi_b32 v13, s47, 0, v5
	s_waitcnt lgkmcnt(0)
	v_add_f32_e32 v2, 0x3fc90fdb, v2
	v_bfi_b32 v12, s47, v2, v4
.LBB74_431:                             ;   in Loop: Header=BB74_233 Depth=1
	s_or_b64 exec, exec, s[26:27]
                                        ; implicit-def: $vgpr2_vgpr3_vgpr4_vgpr5
.LBB74_432:                             ;   in Loop: Header=BB74_233 Depth=1
	s_andn2_saveexec_b64 s[24:25], s[24:25]
; %bb.433:                              ;   in Loop: Header=BB74_233 Depth=1
	v_bfi_b32 v13, s47, 0, v5
	v_add_f32_e32 v12, v4, v4
; %bb.434:                              ;   in Loop: Header=BB74_233 Depth=1
	s_or_b64 exec, exec, s[24:25]
.LBB74_435:                             ;   in Loop: Header=BB74_233 Depth=1
	s_or_b64 exec, exec, s[4:5]
                                        ; implicit-def: $vgpr2_vgpr3_vgpr4_vgpr5
.LBB74_436:                             ;   in Loop: Header=BB74_233 Depth=1
	s_andn2_saveexec_b64 s[4:5], s[22:23]
	s_cbranch_execz .LBB74_438
; %bb.437:                              ;   in Loop: Header=BB74_233 Depth=1
	s_waitcnt lgkmcnt(0)
	v_rcp_f32_e64 v2, |v4|
	v_cmp_gt_f32_e64 vcc, |v4|, 1.0
	v_mov_b32_e32 v3, 0xbc7a590c
	v_mov_b32_e32 v13, v5
	v_cndmask_b32_e64 v2, |v4|, v2, vcc
	v_mul_f32_e32 v12, v2, v2
	v_fmac_f32_e32 v3, 0x3b2d2a58, v12
	v_fma_f32 v3, v12, v3, v21
	v_fma_f32 v3, v12, v3, v22
	;; [unrolled: 1-line block ×6, first 2 shown]
	v_mul_f32_e32 v3, v12, v3
	v_fmac_f32_e32 v2, v2, v3
	v_sub_f32_e32 v3, 0x3fc90fdb, v2
	v_cndmask_b32_e32 v2, v2, v3, vcc
	v_bfi_b32 v12, s47, v2, v4
.LBB74_438:                             ;   in Loop: Header=BB74_233 Depth=1
	s_or_b64 exec, exec, s[4:5]
                                        ; implicit-def: $vgpr2_vgpr3_vgpr4_vgpr5
.LBB74_439:                             ;   in Loop: Header=BB74_233 Depth=1
	s_andn2_saveexec_b64 s[4:5], s[20:21]
	s_cbranch_execz .LBB74_232
; %bb.440:                              ;   in Loop: Header=BB74_233 Depth=1
	s_waitcnt lgkmcnt(0)
	v_sub_f32_e64 v2, 1.0, |v5|
	v_rcp_f32_e32 v3, v2
	v_add_f32_e64 v12, |v5|, 1.0
	v_sub_f32_e32 v13, 1.0, v2
	v_sub_f32_e64 v13, v13, |v5|
	v_mul_f32_e32 v35, v12, v3
	v_mul_f32_e32 v36, v2, v35
	v_fma_f32 v2, v35, v2, -v36
	v_fmac_f32_e32 v2, v35, v13
	v_add_f32_e32 v37, v36, v2
	v_sub_f32_e32 v38, v12, v37
	v_add_f32_e32 v13, -1.0, v12
	v_sub_f32_e32 v36, v37, v36
	v_sub_f32_e32 v12, v12, v38
	;; [unrolled: 1-line block ×4, first 2 shown]
	v_sub_f32_e64 v13, |v5|, v13
	v_add_f32_e32 v2, v2, v12
	v_add_f32_e32 v2, v13, v2
	;; [unrolled: 1-line block ×3, first 2 shown]
	v_mul_f32_e32 v12, v3, v2
	v_add_f32_e32 v13, v35, v12
	v_cvt_f64_f32_e32 v[2:3], v13
	v_cmp_lt_f32_e64 s[20:21], |v5|, s50
	v_frexp_exp_i32_f64_e32 v2, v[2:3]
	v_sub_f32_e32 v3, v13, v35
	v_frexp_mant_f32_e32 v35, v13
	v_cmp_gt_f32_e32 vcc, s40, v35
	v_sub_f32_e32 v3, v12, v3
	v_subbrev_co_u32_e32 v2, vcc, 0, v2, vcc
	v_sub_u32_e32 v12, 0, v2
	v_ldexp_f32 v13, v13, v12
	v_ldexp_f32 v3, v3, v12
	v_add_f32_e32 v12, -1.0, v13
	v_add_f32_e32 v37, 1.0, v13
	v_add_f32_e32 v35, 1.0, v12
	v_add_f32_e32 v38, -1.0, v37
	v_sub_f32_e32 v35, v13, v35
	v_sub_f32_e32 v13, v13, v38
	v_add_f32_e32 v35, v3, v35
	v_add_f32_e32 v3, v3, v13
	;; [unrolled: 1-line block ×3, first 2 shown]
	v_rcp_f32_e32 v38, v13
	v_add_f32_e32 v36, v12, v35
	v_sub_f32_e32 v12, v36, v12
	v_sub_f32_e32 v12, v35, v12
	;; [unrolled: 1-line block ×4, first 2 shown]
	v_mul_f32_e32 v35, v36, v38
	v_mul_f32_e32 v37, v13, v35
	v_fma_f32 v39, v35, v13, -v37
	v_fmac_f32_e32 v39, v35, v3
	v_add_f32_e32 v40, v37, v39
	v_sub_f32_e32 v41, v36, v40
	v_sub_f32_e32 v36, v36, v41
	v_sub_f32_e32 v37, v40, v37
	v_sub_f32_e32 v36, v36, v40
	v_add_f32_e32 v12, v12, v36
	v_sub_f32_e32 v36, v37, v39
	v_add_f32_e32 v12, v36, v12
	v_add_f32_e32 v36, v41, v12
	v_mul_f32_e32 v37, v38, v36
	v_mul_f32_e32 v39, v13, v37
	v_fma_f32 v13, v37, v13, -v39
	v_fmac_f32_e32 v13, v37, v3
	v_sub_f32_e32 v3, v41, v36
	v_add_f32_e32 v3, v12, v3
	v_add_f32_e32 v12, v39, v13
	v_sub_f32_e32 v40, v36, v12
	v_sub_f32_e32 v36, v36, v40
	;; [unrolled: 1-line block ×4, first 2 shown]
	v_add_f32_e32 v3, v3, v12
	v_sub_f32_e32 v12, v39, v13
	v_cvt_f32_i32_e32 v2, v2
	v_add_f32_e32 v3, v12, v3
	v_add_f32_e32 v12, v35, v37
	;; [unrolled: 1-line block ×3, first 2 shown]
	v_sub_f32_e32 v13, v12, v35
	v_mul_f32_e32 v3, v38, v3
	v_sub_f32_e32 v13, v37, v13
	v_add_f32_e32 v3, v13, v3
	v_mul_f32_e32 v37, 0x3f317218, v2
	v_add_f32_e32 v13, v12, v3
	v_fma_f32 v38, v2, s41, -v37
	v_mul_f32_e32 v35, v13, v13
	v_mov_b32_e32 v36, 0x3ecc95a3
	v_fmac_f32_e32 v38, 0xb102e308, v2
	v_sub_f32_e32 v2, v13, v12
	v_fmac_f32_e32 v36, 0x3e9b6dac, v35
	v_sub_f32_e32 v2, v3, v2
	v_add_f32_e32 v3, v37, v38
	v_fma_f32 v36, v35, v36, v20
	v_sub_f32_e32 v12, v3, v37
	v_ldexp_f32 v37, v13, 1
	v_mul_f32_e32 v13, v13, v35
	v_mul_f32_e32 v13, v13, v36
	v_add_f32_e32 v35, v37, v13
	v_sub_f32_e32 v36, v35, v37
	v_ldexp_f32 v2, v2, 1
	v_sub_f32_e32 v13, v13, v36
	v_add_f32_e32 v2, v2, v13
	v_add_f32_e32 v13, v35, v2
	v_sub_f32_e32 v35, v13, v35
	v_sub_f32_e32 v2, v2, v35
	v_add_f32_e32 v35, v3, v13
	v_sub_f32_e32 v36, v35, v3
	v_sub_f32_e32 v37, v35, v36
	v_sub_f32_e32 v12, v38, v12
	v_sub_f32_e32 v3, v3, v37
	v_sub_f32_e32 v13, v13, v36
	v_add_f32_e32 v3, v13, v3
	v_add_f32_e32 v13, v12, v2
	v_sub_f32_e32 v36, v13, v12
	v_sub_f32_e32 v37, v13, v36
	;; [unrolled: 1-line block ×4, first 2 shown]
	v_add_f32_e32 v3, v13, v3
	v_add_f32_e32 v2, v2, v12
	;; [unrolled: 1-line block ×3, first 2 shown]
	v_sub_f32_e32 v13, v12, v35
	v_sub_f32_e32 v3, v3, v13
	v_add_f32_e32 v2, v2, v3
	v_add_f32_e32 v2, v12, v2
	v_mul_f32_e32 v2, 0.5, v2
	v_cndmask_b32_e64 v2, v2, |v5|, s[20:21]
	v_cmp_neq_f32_e64 vcc, |v5|, 1.0
	v_cndmask_b32_e32 v2, v28, v2, vcc
	v_bfi_b32 v13, s47, v2, v5
	v_mov_b32_e32 v12, v4
	s_branch .LBB74_232
.LBB74_441:
	s_endpgm
	.section	.rodata,"a",@progbits
	.p2align	6, 0x0
	.amdhsa_kernel _ZN2at6native12_GLOBAL__N_125multi_tensor_apply_kernelINS1_18TensorListMetadataILi1EEENS1_14UnaryOpFunctorIN3c107complexIfEELi1ELi1ELi0EEEJNS0_4AtanIS8_EEEEEvT_T0_DpT1_
		.amdhsa_group_segment_fixed_size 0
		.amdhsa_private_segment_fixed_size 16
		.amdhsa_kernarg_size 3632
		.amdhsa_user_sgpr_count 8
		.amdhsa_user_sgpr_private_segment_buffer 1
		.amdhsa_user_sgpr_dispatch_ptr 0
		.amdhsa_user_sgpr_queue_ptr 0
		.amdhsa_user_sgpr_kernarg_segment_ptr 1
		.amdhsa_user_sgpr_dispatch_id 0
		.amdhsa_user_sgpr_flat_scratch_init 1
		.amdhsa_user_sgpr_private_segment_size 0
		.amdhsa_uses_dynamic_stack 0
		.amdhsa_system_sgpr_private_segment_wavefront_offset 1
		.amdhsa_system_sgpr_workgroup_id_x 1
		.amdhsa_system_sgpr_workgroup_id_y 0
		.amdhsa_system_sgpr_workgroup_id_z 0
		.amdhsa_system_sgpr_workgroup_info 0
		.amdhsa_system_vgpr_workitem_id 0
		.amdhsa_next_free_vgpr 52
		.amdhsa_next_free_sgpr 68
		.amdhsa_reserve_vcc 1
		.amdhsa_reserve_flat_scratch 1
		.amdhsa_float_round_mode_32 0
		.amdhsa_float_round_mode_16_64 0
		.amdhsa_float_denorm_mode_32 3
		.amdhsa_float_denorm_mode_16_64 3
		.amdhsa_dx10_clamp 1
		.amdhsa_ieee_mode 1
		.amdhsa_fp16_overflow 0
		.amdhsa_exception_fp_ieee_invalid_op 0
		.amdhsa_exception_fp_denorm_src 0
		.amdhsa_exception_fp_ieee_div_zero 0
		.amdhsa_exception_fp_ieee_overflow 0
		.amdhsa_exception_fp_ieee_underflow 0
		.amdhsa_exception_fp_ieee_inexact 0
		.amdhsa_exception_int_div_zero 0
	.end_amdhsa_kernel
	.section	.text._ZN2at6native12_GLOBAL__N_125multi_tensor_apply_kernelINS1_18TensorListMetadataILi1EEENS1_14UnaryOpFunctorIN3c107complexIfEELi1ELi1ELi0EEEJNS0_4AtanIS8_EEEEEvT_T0_DpT1_,"axG",@progbits,_ZN2at6native12_GLOBAL__N_125multi_tensor_apply_kernelINS1_18TensorListMetadataILi1EEENS1_14UnaryOpFunctorIN3c107complexIfEELi1ELi1ELi0EEEJNS0_4AtanIS8_EEEEEvT_T0_DpT1_,comdat
.Lfunc_end74:
	.size	_ZN2at6native12_GLOBAL__N_125multi_tensor_apply_kernelINS1_18TensorListMetadataILi1EEENS1_14UnaryOpFunctorIN3c107complexIfEELi1ELi1ELi0EEEJNS0_4AtanIS8_EEEEEvT_T0_DpT1_, .Lfunc_end74-_ZN2at6native12_GLOBAL__N_125multi_tensor_apply_kernelINS1_18TensorListMetadataILi1EEENS1_14UnaryOpFunctorIN3c107complexIfEELi1ELi1ELi0EEEJNS0_4AtanIS8_EEEEEvT_T0_DpT1_
                                        ; -- End function
	.set _ZN2at6native12_GLOBAL__N_125multi_tensor_apply_kernelINS1_18TensorListMetadataILi1EEENS1_14UnaryOpFunctorIN3c107complexIfEELi1ELi1ELi0EEEJNS0_4AtanIS8_EEEEEvT_T0_DpT1_.num_vgpr, 52
	.set _ZN2at6native12_GLOBAL__N_125multi_tensor_apply_kernelINS1_18TensorListMetadataILi1EEENS1_14UnaryOpFunctorIN3c107complexIfEELi1ELi1ELi0EEEJNS0_4AtanIS8_EEEEEvT_T0_DpT1_.num_agpr, 0
	.set _ZN2at6native12_GLOBAL__N_125multi_tensor_apply_kernelINS1_18TensorListMetadataILi1EEENS1_14UnaryOpFunctorIN3c107complexIfEELi1ELi1ELi0EEEJNS0_4AtanIS8_EEEEEvT_T0_DpT1_.numbered_sgpr, 68
	.set _ZN2at6native12_GLOBAL__N_125multi_tensor_apply_kernelINS1_18TensorListMetadataILi1EEENS1_14UnaryOpFunctorIN3c107complexIfEELi1ELi1ELi0EEEJNS0_4AtanIS8_EEEEEvT_T0_DpT1_.num_named_barrier, 0
	.set _ZN2at6native12_GLOBAL__N_125multi_tensor_apply_kernelINS1_18TensorListMetadataILi1EEENS1_14UnaryOpFunctorIN3c107complexIfEELi1ELi1ELi0EEEJNS0_4AtanIS8_EEEEEvT_T0_DpT1_.private_seg_size, 16
	.set _ZN2at6native12_GLOBAL__N_125multi_tensor_apply_kernelINS1_18TensorListMetadataILi1EEENS1_14UnaryOpFunctorIN3c107complexIfEELi1ELi1ELi0EEEJNS0_4AtanIS8_EEEEEvT_T0_DpT1_.uses_vcc, 1
	.set _ZN2at6native12_GLOBAL__N_125multi_tensor_apply_kernelINS1_18TensorListMetadataILi1EEENS1_14UnaryOpFunctorIN3c107complexIfEELi1ELi1ELi0EEEJNS0_4AtanIS8_EEEEEvT_T0_DpT1_.uses_flat_scratch, 1
	.set _ZN2at6native12_GLOBAL__N_125multi_tensor_apply_kernelINS1_18TensorListMetadataILi1EEENS1_14UnaryOpFunctorIN3c107complexIfEELi1ELi1ELi0EEEJNS0_4AtanIS8_EEEEEvT_T0_DpT1_.has_dyn_sized_stack, 0
	.set _ZN2at6native12_GLOBAL__N_125multi_tensor_apply_kernelINS1_18TensorListMetadataILi1EEENS1_14UnaryOpFunctorIN3c107complexIfEELi1ELi1ELi0EEEJNS0_4AtanIS8_EEEEEvT_T0_DpT1_.has_recursion, 0
	.set _ZN2at6native12_GLOBAL__N_125multi_tensor_apply_kernelINS1_18TensorListMetadataILi1EEENS1_14UnaryOpFunctorIN3c107complexIfEELi1ELi1ELi0EEEJNS0_4AtanIS8_EEEEEvT_T0_DpT1_.has_indirect_call, 0
	.section	.AMDGPU.csdata,"",@progbits
; Kernel info:
; codeLenInByte = 27272
; TotalNumSgprs: 74
; NumVgprs: 52
; ScratchSize: 16
; MemoryBound: 0
; FloatMode: 240
; IeeeMode: 1
; LDSByteSize: 0 bytes/workgroup (compile time only)
; SGPRBlocks: 9
; VGPRBlocks: 12
; NumSGPRsForWavesPerEU: 74
; NumVGPRsForWavesPerEU: 52
; Occupancy: 4
; WaveLimiterHint : 0
; COMPUTE_PGM_RSRC2:SCRATCH_EN: 1
; COMPUTE_PGM_RSRC2:USER_SGPR: 8
; COMPUTE_PGM_RSRC2:TRAP_HANDLER: 0
; COMPUTE_PGM_RSRC2:TGID_X_EN: 1
; COMPUTE_PGM_RSRC2:TGID_Y_EN: 0
; COMPUTE_PGM_RSRC2:TGID_Z_EN: 0
; COMPUTE_PGM_RSRC2:TIDIG_COMP_CNT: 0
	.section	.text._ZN2at6native12_GLOBAL__N_125multi_tensor_apply_kernelINS1_18TensorListMetadataILi1EEENS1_14UnaryOpFunctorIN3c104HalfELi1ELi1ELi0EEEJNS0_4AtanIfEEEEEvT_T0_DpT1_,"axG",@progbits,_ZN2at6native12_GLOBAL__N_125multi_tensor_apply_kernelINS1_18TensorListMetadataILi1EEENS1_14UnaryOpFunctorIN3c104HalfELi1ELi1ELi0EEEJNS0_4AtanIfEEEEEvT_T0_DpT1_,comdat
	.globl	_ZN2at6native12_GLOBAL__N_125multi_tensor_apply_kernelINS1_18TensorListMetadataILi1EEENS1_14UnaryOpFunctorIN3c104HalfELi1ELi1ELi0EEEJNS0_4AtanIfEEEEEvT_T0_DpT1_ ; -- Begin function _ZN2at6native12_GLOBAL__N_125multi_tensor_apply_kernelINS1_18TensorListMetadataILi1EEENS1_14UnaryOpFunctorIN3c104HalfELi1ELi1ELi0EEEJNS0_4AtanIfEEEEEvT_T0_DpT1_
	.p2align	8
	.type	_ZN2at6native12_GLOBAL__N_125multi_tensor_apply_kernelINS1_18TensorListMetadataILi1EEENS1_14UnaryOpFunctorIN3c104HalfELi1ELi1ELi0EEEJNS0_4AtanIfEEEEEvT_T0_DpT1_,@function
_ZN2at6native12_GLOBAL__N_125multi_tensor_apply_kernelINS1_18TensorListMetadataILi1EEENS1_14UnaryOpFunctorIN3c104HalfELi1ELi1ELi0EEEJNS0_4AtanIfEEEEEvT_T0_DpT1_: ; @_ZN2at6native12_GLOBAL__N_125multi_tensor_apply_kernelINS1_18TensorListMetadataILi1EEENS1_14UnaryOpFunctorIN3c104HalfELi1ELi1ELi0EEEJNS0_4AtanIfEEEEEvT_T0_DpT1_
; %bb.0:
	v_mov_b32_e32 v1, s6
	global_load_ubyte v1, v1, s[4:5] offset:1760
	s_add_u32 s0, s4, s6
	s_mul_hi_u32 s1, s6, 3
	s_mul_i32 s6, s6, 3
	s_addc_u32 s2, s5, 0
	s_add_u32 s0, s0, s6
	s_addc_u32 s1, s2, s1
	s_load_dword s0, s[0:1], 0x820
	s_mov_b32 s7, 0
	s_waitcnt vmcnt(0)
	v_readfirstlane_b32 s1, v1
	s_lshl_b32 s1, s1, 3
	s_load_dwordx2 s[2:3], s[4:5], s1 offset:0x370
	s_load_dwordx2 s[10:11], s[4:5], s1 offset:0x0
	s_waitcnt lgkmcnt(0)
	s_ashr_i32 s1, s0, 31
	s_lshl_b64 s[12:13], s[0:1], 17
	s_lshl_b64 s[0:1], s[0:1], 16
	s_and_b32 s6, s10, 7
	s_sub_u32 s14, s2, s0
	s_subb_u32 s15, s3, s1
	s_and_b32 s0, s2, 3
	s_mov_b32 s1, s7
	s_or_b64 s[0:1], s[6:7], s[0:1]
	s_cmp_eq_u64 s[0:1], 0
	s_cbranch_scc1 .LBB75_21
; %bb.1:
	v_cmp_lt_i64_e64 s[0:1], s[14:15], 1
	s_and_b64 vcc, exec, s[0:1]
	s_cbranch_vccnz .LBB75_20
; %bb.2:
	v_mov_b32_e32 v1, 0x10000
	s_load_dword s2, s[4:5], 0xd3c
	v_mov_b32_e32 v2, 0
	v_cmp_lt_i64_e32 vcc, s[14:15], v[1:2]
	s_mov_b64 s[20:21], 0
	s_and_b64 s[0:1], vcc, exec
	v_cmp_lt_u64_e32 vcc, s[14:15], v[1:2]
	s_cselect_b32 s17, s15, 0
	s_cselect_b32 s16, s14, 0x10000
	s_waitcnt lgkmcnt(0)
	s_and_b32 s2, s2, 0xffff
	s_and_b64 s[0:1], vcc, exec
	s_cselect_b32 s19, s15, 0
	s_cselect_b32 s18, s14, 0x10000
	s_lshl_b32 s3, s2, 1
	s_lshl_b32 s24, s2, 2
	s_add_u32 s6, s10, s12
	v_lshlrev_b32_e32 v1, 1, v0
	s_addc_u32 s7, s11, s13
	v_mov_b32_e32 v2, s7
	v_add_co_u32_e32 v1, vcc, s6, v1
	s_mul_i32 s0, s2, 3
	v_addc_co_u32_e32 v2, vcc, 0, v2, vcc
	v_add_co_u32_e32 v5, vcc, s0, v0
	v_addc_co_u32_e64 v6, s[0:1], 0, 0, vcc
	v_add_co_u32_e32 v7, vcc, s3, v0
	v_addc_co_u32_e64 v8, s[0:1], 0, 0, vcc
	v_add_co_u32_e32 v9, vcc, s2, v0
	v_lshlrev_b32_e32 v3, 1, v9
	v_addc_co_u32_e64 v10, s[0:1], 0, 0, vcc
	v_mov_b32_e32 v4, s7
	v_add_co_u32_e32 v3, vcc, s6, v3
	s_lshl_b32 s25, s2, 3
	s_mul_i32 s26, s2, 6
	v_addc_co_u32_e32 v4, vcc, 0, v4, vcc
	v_mov_b32_e32 v11, 0x3d29fb3f
	v_mov_b32_e32 v12, 0xbd97d4d7
	;; [unrolled: 1-line block ×6, first 2 shown]
	s_movk_i32 s27, 0x7fff
	s_branch .LBB75_4
.LBB75_3:                               ;   in Loop: Header=BB75_4 Depth=1
	s_or_b64 exec, exec, s[0:1]
	s_add_u32 s20, s20, s24
	v_add_co_u32_e32 v1, vcc, s25, v1
	v_mov_b32_e32 v18, s17
	s_addc_u32 s21, s21, 0
	v_addc_co_u32_e32 v2, vcc, 0, v2, vcc
	v_mov_b32_e32 v17, s16
	v_cmp_lt_i64_e32 vcc, s[20:21], v[17:18]
	v_add_co_u32_e64 v3, s[0:1], s25, v3
	v_addc_co_u32_e64 v4, s[0:1], 0, v4, s[0:1]
	s_cbranch_vccz .LBB75_20
.LBB75_4:                               ; =>This Inner Loop Header: Depth=1
	v_mov_b32_e32 v18, s21
	v_add_co_u32_e32 v17, vcc, s20, v0
	v_addc_co_u32_e32 v18, vcc, 0, v18, vcc
	v_cmp_gt_u64_e64 s[6:7], s[18:19], v[17:18]
	v_mov_b32_e32 v20, 0
	s_and_saveexec_b64 s[0:1], s[6:7]
	s_cbranch_execz .LBB75_6
; %bb.5:                                ;   in Loop: Header=BB75_4 Depth=1
	global_load_ushort v17, v[1:2], off
	s_waitcnt vmcnt(0)
	v_cvt_f32_f16_e32 v20, v17
.LBB75_6:                               ;   in Loop: Header=BB75_4 Depth=1
	s_or_b64 exec, exec, s[0:1]
	v_mov_b32_e32 v18, s21
	v_add_co_u32_e32 v17, vcc, s20, v9
	v_addc_co_u32_e32 v18, vcc, v10, v18, vcc
	v_cmp_gt_u64_e64 s[2:3], s[18:19], v[17:18]
	v_mov_b32_e32 v17, 0
	v_mov_b32_e32 v19, 0
	s_and_saveexec_b64 s[0:1], s[2:3]
	s_cbranch_execz .LBB75_8
; %bb.7:                                ;   in Loop: Header=BB75_4 Depth=1
	global_load_ushort v18, v[3:4], off
	s_waitcnt vmcnt(0)
	v_cvt_f32_f16_e32 v19, v18
.LBB75_8:                               ;   in Loop: Header=BB75_4 Depth=1
	s_or_b64 exec, exec, s[0:1]
	v_mov_b32_e32 v18, s21
	v_add_co_u32_e32 v21, vcc, s20, v7
	v_addc_co_u32_e32 v22, vcc, v8, v18, vcc
	v_cmp_gt_u64_e64 s[0:1], s[18:19], v[21:22]
	s_and_saveexec_b64 s[8:9], s[0:1]
	s_cbranch_execz .LBB75_10
; %bb.9:                                ;   in Loop: Header=BB75_4 Depth=1
	v_add_co_u32_e32 v17, vcc, s24, v1
	v_addc_co_u32_e32 v18, vcc, 0, v2, vcc
	global_load_ushort v17, v[17:18], off
	s_waitcnt vmcnt(0)
	v_cvt_f32_f16_e32 v17, v17
.LBB75_10:                              ;   in Loop: Header=BB75_4 Depth=1
	s_or_b64 exec, exec, s[8:9]
	v_mov_b32_e32 v18, s21
	v_add_co_u32_e32 v21, vcc, s20, v5
	v_addc_co_u32_e32 v22, vcc, v6, v18, vcc
	v_cmp_gt_u64_e32 vcc, s[18:19], v[21:22]
	v_mov_b32_e32 v18, 0
	s_and_saveexec_b64 s[22:23], vcc
	s_cbranch_execnz .LBB75_15
; %bb.11:                               ;   in Loop: Header=BB75_4 Depth=1
	s_or_b64 exec, exec, s[22:23]
	s_and_saveexec_b64 s[8:9], s[6:7]
	s_cbranch_execnz .LBB75_16
.LBB75_12:                              ;   in Loop: Header=BB75_4 Depth=1
	s_or_b64 exec, exec, s[8:9]
	s_and_saveexec_b64 s[6:7], s[2:3]
	s_cbranch_execnz .LBB75_17
.LBB75_13:                              ;   in Loop: Header=BB75_4 Depth=1
	s_or_b64 exec, exec, s[6:7]
	s_and_saveexec_b64 s[2:3], s[0:1]
	s_cbranch_execnz .LBB75_18
.LBB75_14:                              ;   in Loop: Header=BB75_4 Depth=1
	s_or_b64 exec, exec, s[2:3]
	s_and_saveexec_b64 s[0:1], vcc
	s_cbranch_execz .LBB75_3
	s_branch .LBB75_19
.LBB75_15:                              ;   in Loop: Header=BB75_4 Depth=1
	v_add_co_u32_e64 v21, s[8:9], s26, v1
	v_addc_co_u32_e64 v22, s[8:9], 0, v2, s[8:9]
	global_load_ushort v18, v[21:22], off
	s_waitcnt vmcnt(0)
	v_cvt_f32_f16_e32 v18, v18
	s_or_b64 exec, exec, s[22:23]
	s_and_saveexec_b64 s[8:9], s[6:7]
	s_cbranch_execz .LBB75_12
.LBB75_16:                              ;   in Loop: Header=BB75_4 Depth=1
	v_rcp_f32_e64 v21, |v20|
	v_cmp_gt_f32_e64 s[6:7], |v20|, 1.0
	v_mov_b32_e32 v23, 0xbc7a590c
	v_cndmask_b32_e64 v21, |v20|, v21, s[6:7]
	v_mul_f32_e32 v22, v21, v21
	v_fmac_f32_e32 v23, 0x3b2d2a58, v22
	v_fma_f32 v23, v22, v23, v11
	v_fma_f32 v23, v22, v23, v12
	;; [unrolled: 1-line block ×6, first 2 shown]
	v_mul_f32_e32 v22, v22, v23
	v_fmac_f32_e32 v21, v21, v22
	v_sub_f32_e32 v22, 0x3fc90fdb, v21
	v_cndmask_b32_e64 v21, v21, v22, s[6:7]
	v_cvt_f16_f32_e32 v21, v21
	v_lshrrev_b32_e32 v20, 16, v20
	v_bfi_b32 v20, s27, v21, v20
	global_store_short v[1:2], v20, off
	s_or_b64 exec, exec, s[8:9]
	s_and_saveexec_b64 s[6:7], s[2:3]
	s_cbranch_execz .LBB75_13
.LBB75_17:                              ;   in Loop: Header=BB75_4 Depth=1
	v_rcp_f32_e64 v20, |v19|
	v_cmp_gt_f32_e64 s[2:3], |v19|, 1.0
	v_mov_b32_e32 v22, 0xbc7a590c
	v_cndmask_b32_e64 v20, |v19|, v20, s[2:3]
	v_mul_f32_e32 v21, v20, v20
	v_fmac_f32_e32 v22, 0x3b2d2a58, v21
	v_fma_f32 v22, v21, v22, v11
	v_fma_f32 v22, v21, v22, v12
	;; [unrolled: 1-line block ×6, first 2 shown]
	v_mul_f32_e32 v21, v21, v22
	v_fmac_f32_e32 v20, v20, v21
	v_sub_f32_e32 v21, 0x3fc90fdb, v20
	v_cndmask_b32_e64 v20, v20, v21, s[2:3]
	v_cvt_f16_f32_e32 v20, v20
	v_lshrrev_b32_e32 v19, 16, v19
	v_bfi_b32 v19, s27, v20, v19
	global_store_short v[3:4], v19, off
	s_or_b64 exec, exec, s[6:7]
	s_and_saveexec_b64 s[2:3], s[0:1]
	s_cbranch_execz .LBB75_14
.LBB75_18:                              ;   in Loop: Header=BB75_4 Depth=1
	v_rcp_f32_e64 v19, |v17|
	v_cmp_gt_f32_e64 s[0:1], |v17|, 1.0
	v_mov_b32_e32 v20, 0xbc7a590c
	v_cndmask_b32_e64 v19, |v17|, v19, s[0:1]
	v_mul_f32_e32 v21, v19, v19
	v_fmac_f32_e32 v20, 0x3b2d2a58, v21
	v_fma_f32 v20, v21, v20, v11
	v_fma_f32 v20, v21, v20, v12
	;; [unrolled: 1-line block ×6, first 2 shown]
	v_mul_f32_e32 v20, v21, v20
	v_fmac_f32_e32 v19, v19, v20
	v_sub_f32_e32 v20, 0x3fc90fdb, v19
	v_cndmask_b32_e64 v19, v19, v20, s[0:1]
	v_cvt_f16_f32_e32 v19, v19
	v_lshrrev_b32_e32 v17, 16, v17
	v_bfi_b32 v17, s27, v19, v17
	v_add_co_u32_e64 v19, s[0:1], s24, v1
	v_addc_co_u32_e64 v20, s[0:1], 0, v2, s[0:1]
	global_store_short v[19:20], v17, off
	s_or_b64 exec, exec, s[2:3]
	s_and_saveexec_b64 s[0:1], vcc
	s_cbranch_execz .LBB75_3
.LBB75_19:                              ;   in Loop: Header=BB75_4 Depth=1
	v_rcp_f32_e64 v17, |v18|
	v_cmp_gt_f32_e64 vcc, |v18|, 1.0
	v_mov_b32_e32 v19, 0xbc7a590c
	v_cndmask_b32_e64 v17, |v18|, v17, vcc
	v_mul_f32_e32 v20, v17, v17
	v_fmac_f32_e32 v19, 0x3b2d2a58, v20
	v_fma_f32 v19, v20, v19, v11
	v_fma_f32 v19, v20, v19, v12
	;; [unrolled: 1-line block ×6, first 2 shown]
	v_mul_f32_e32 v19, v20, v19
	v_fmac_f32_e32 v17, v17, v19
	v_sub_f32_e32 v19, 0x3fc90fdb, v17
	v_cndmask_b32_e32 v17, v17, v19, vcc
	v_cvt_f16_f32_e32 v17, v17
	v_lshrrev_b32_e32 v18, 16, v18
	v_bfi_b32 v19, s27, v17, v18
	v_add_co_u32_e32 v17, vcc, s26, v1
	v_addc_co_u32_e32 v18, vcc, 0, v2, vcc
	global_store_short v[17:18], v19, off
	s_branch .LBB75_3
.LBB75_20:
	s_cbranch_execz .LBB75_22
	s_branch .LBB75_25
.LBB75_21:
.LBB75_22:
	v_mov_b32_e32 v1, 0x10000
	v_mov_b32_e32 v2, 0
	v_cmp_lt_i64_e32 vcc, s[14:15], v[1:2]
	v_mov_b32_e32 v2, 0
	s_and_b64 s[0:1], vcc, exec
	s_cselect_b32 s7, s15, 0
	s_cselect_b32 s6, s14, 0x10000
	v_lshlrev_b32_e32 v1, 2, v0
	v_cmp_gt_i64_e32 vcc, s[6:7], v[1:2]
	s_and_saveexec_b64 s[0:1], vcc
	s_cbranch_execz .LBB75_25
; %bb.23:
	s_load_dword s0, s[4:5], 0xd3c
	v_mov_b32_e32 v1, v2
	v_lshlrev_b32_e32 v2, 3, v0
	s_mov_b64 s[8:9], 0
	v_mov_b32_e32 v4, 0x3d29fb3f
	s_waitcnt lgkmcnt(0)
	s_and_b32 s14, s0, 0xffff
	s_add_u32 s0, s10, s12
	s_addc_u32 s1, s11, s13
	v_mov_b32_e32 v3, s1
	v_add_co_u32_e32 v2, vcc, s0, v2
	v_addc_co_u32_e32 v3, vcc, 0, v3, vcc
	v_add_co_u32_e32 v2, vcc, 4, v2
	v_addc_co_u32_e32 v3, vcc, 0, v3, vcc
	s_lshl_b32 s10, s14, 3
	v_mov_b32_e32 v5, 0xbd97d4d7
	v_mov_b32_e32 v6, 0x3dd931b2
	v_mov_b32_e32 v7, 0xbe1160e6
	v_mov_b32_e32 v8, 0x3e4cb8bf
	v_mov_b32_e32 v9, 0xbeaaaa62
	s_movk_i32 s11, 0x7fff
.LBB75_24:                              ; =>This Inner Loop Header: Depth=1
	global_load_dwordx2 v[10:11], v[2:3], off offset:-4
	v_add_co_u32_e32 v0, vcc, s14, v0
	v_addc_co_u32_e32 v1, vcc, 0, v1, vcc
	v_lshlrev_b64 v[12:13], 2, v[0:1]
	v_mov_b32_e32 v14, 0xbc7a590c
	v_cmp_le_i64_e32 vcc, s[6:7], v[12:13]
	v_mov_b32_e32 v15, 0xbc7a590c
	s_or_b64 s[8:9], vcc, s[8:9]
	v_mov_b32_e32 v16, 0xbc7a590c
	v_mov_b32_e32 v12, 0xbc7a590c
	s_waitcnt vmcnt(0)
	v_cvt_f32_f16_e32 v17, v10
	v_cvt_f32_f16_e32 v19, v11
	v_lshrrev_b32_e32 v13, 16, v10
	v_lshrrev_b32_e32 v18, 16, v11
	v_cvt_f32_f16_e32 v20, v13
	v_rcp_f32_e64 v21, |v17|
	v_cvt_f32_f16_e32 v22, v18
	v_rcp_f32_e64 v23, |v19|
	v_cmp_gt_f32_e64 vcc, |v17|, 1.0
	v_cmp_gt_f32_e64 s[0:1], |v19|, 1.0
	v_cndmask_b32_e64 v17, |v17|, v21, vcc
	v_rcp_f32_e64 v21, |v20|
	v_cndmask_b32_e64 v19, |v19|, v23, s[0:1]
	v_rcp_f32_e64 v23, |v22|
	v_cmp_gt_f32_e64 s[2:3], |v20|, 1.0
	v_cmp_gt_f32_e64 s[4:5], |v22|, 1.0
	v_cndmask_b32_e64 v20, |v20|, v21, s[2:3]
	v_cndmask_b32_e64 v21, |v22|, v23, s[4:5]
	v_mul_f32_e32 v22, v17, v17
	v_mul_f32_e32 v23, v19, v19
	v_fmac_f32_e32 v14, 0x3b2d2a58, v22
	v_fmac_f32_e32 v15, 0x3b2d2a58, v23
	v_fma_f32 v14, v22, v14, v4
	v_fma_f32 v15, v23, v15, v4
	;; [unrolled: 1-line block ×12, first 2 shown]
	v_mul_f32_e32 v14, v22, v14
	v_mul_f32_e32 v22, v20, v20
	;; [unrolled: 1-line block ×4, first 2 shown]
	v_fmac_f32_e32 v16, 0x3b2d2a58, v22
	v_fmac_f32_e32 v12, 0x3b2d2a58, v23
	v_fma_f32 v16, v22, v16, v4
	v_fma_f32 v12, v23, v12, v4
	;; [unrolled: 1-line block ×12, first 2 shown]
	v_fmac_f32_e32 v17, v17, v14
	v_mul_f32_e32 v14, v22, v16
	v_mul_f32_e32 v12, v23, v12
	v_fmac_f32_e32 v19, v19, v15
	v_fmac_f32_e32 v20, v20, v14
	;; [unrolled: 1-line block ×3, first 2 shown]
	v_sub_f32_e32 v14, 0x3fc90fdb, v17
	v_sub_f32_e32 v12, 0x3fc90fdb, v19
	v_sub_f32_e32 v15, 0x3fc90fdb, v20
	v_sub_f32_e32 v16, 0x3fc90fdb, v21
	v_cndmask_b32_e32 v14, v17, v14, vcc
	v_cndmask_b32_e64 v12, v19, v12, s[0:1]
	v_cndmask_b32_e64 v15, v20, v15, s[2:3]
	;; [unrolled: 1-line block ×3, first 2 shown]
	v_cvt_f16_f32_e32 v14, v14
	v_cvt_f16_f32_e32 v12, v12
	;; [unrolled: 1-line block ×4, first 2 shown]
	v_bfi_b32 v10, s11, v14, v10
	v_bfi_b32 v11, s11, v12, v11
	;; [unrolled: 1-line block ×4, first 2 shown]
	v_pack_b32_f16 v11, v11, v13
	v_pack_b32_f16 v10, v10, v12
	global_store_dwordx2 v[2:3], v[10:11], off offset:-4
	v_add_co_u32_e32 v2, vcc, s10, v2
	v_addc_co_u32_e32 v3, vcc, 0, v3, vcc
	s_andn2_b64 exec, exec, s[8:9]
	s_cbranch_execnz .LBB75_24
.LBB75_25:
	s_endpgm
	.section	.rodata,"a",@progbits
	.p2align	6, 0x0
	.amdhsa_kernel _ZN2at6native12_GLOBAL__N_125multi_tensor_apply_kernelINS1_18TensorListMetadataILi1EEENS1_14UnaryOpFunctorIN3c104HalfELi1ELi1ELi0EEEJNS0_4AtanIfEEEEEvT_T0_DpT1_
		.amdhsa_group_segment_fixed_size 0
		.amdhsa_private_segment_fixed_size 0
		.amdhsa_kernarg_size 3632
		.amdhsa_user_sgpr_count 6
		.amdhsa_user_sgpr_private_segment_buffer 1
		.amdhsa_user_sgpr_dispatch_ptr 0
		.amdhsa_user_sgpr_queue_ptr 0
		.amdhsa_user_sgpr_kernarg_segment_ptr 1
		.amdhsa_user_sgpr_dispatch_id 0
		.amdhsa_user_sgpr_flat_scratch_init 0
		.amdhsa_user_sgpr_private_segment_size 0
		.amdhsa_uses_dynamic_stack 0
		.amdhsa_system_sgpr_private_segment_wavefront_offset 0
		.amdhsa_system_sgpr_workgroup_id_x 1
		.amdhsa_system_sgpr_workgroup_id_y 0
		.amdhsa_system_sgpr_workgroup_id_z 0
		.amdhsa_system_sgpr_workgroup_info 0
		.amdhsa_system_vgpr_workitem_id 0
		.amdhsa_next_free_vgpr 24
		.amdhsa_next_free_sgpr 28
		.amdhsa_reserve_vcc 1
		.amdhsa_reserve_flat_scratch 0
		.amdhsa_float_round_mode_32 0
		.amdhsa_float_round_mode_16_64 0
		.amdhsa_float_denorm_mode_32 3
		.amdhsa_float_denorm_mode_16_64 3
		.amdhsa_dx10_clamp 1
		.amdhsa_ieee_mode 1
		.amdhsa_fp16_overflow 0
		.amdhsa_exception_fp_ieee_invalid_op 0
		.amdhsa_exception_fp_denorm_src 0
		.amdhsa_exception_fp_ieee_div_zero 0
		.amdhsa_exception_fp_ieee_overflow 0
		.amdhsa_exception_fp_ieee_underflow 0
		.amdhsa_exception_fp_ieee_inexact 0
		.amdhsa_exception_int_div_zero 0
	.end_amdhsa_kernel
	.section	.text._ZN2at6native12_GLOBAL__N_125multi_tensor_apply_kernelINS1_18TensorListMetadataILi1EEENS1_14UnaryOpFunctorIN3c104HalfELi1ELi1ELi0EEEJNS0_4AtanIfEEEEEvT_T0_DpT1_,"axG",@progbits,_ZN2at6native12_GLOBAL__N_125multi_tensor_apply_kernelINS1_18TensorListMetadataILi1EEENS1_14UnaryOpFunctorIN3c104HalfELi1ELi1ELi0EEEJNS0_4AtanIfEEEEEvT_T0_DpT1_,comdat
.Lfunc_end75:
	.size	_ZN2at6native12_GLOBAL__N_125multi_tensor_apply_kernelINS1_18TensorListMetadataILi1EEENS1_14UnaryOpFunctorIN3c104HalfELi1ELi1ELi0EEEJNS0_4AtanIfEEEEEvT_T0_DpT1_, .Lfunc_end75-_ZN2at6native12_GLOBAL__N_125multi_tensor_apply_kernelINS1_18TensorListMetadataILi1EEENS1_14UnaryOpFunctorIN3c104HalfELi1ELi1ELi0EEEJNS0_4AtanIfEEEEEvT_T0_DpT1_
                                        ; -- End function
	.set _ZN2at6native12_GLOBAL__N_125multi_tensor_apply_kernelINS1_18TensorListMetadataILi1EEENS1_14UnaryOpFunctorIN3c104HalfELi1ELi1ELi0EEEJNS0_4AtanIfEEEEEvT_T0_DpT1_.num_vgpr, 24
	.set _ZN2at6native12_GLOBAL__N_125multi_tensor_apply_kernelINS1_18TensorListMetadataILi1EEENS1_14UnaryOpFunctorIN3c104HalfELi1ELi1ELi0EEEJNS0_4AtanIfEEEEEvT_T0_DpT1_.num_agpr, 0
	.set _ZN2at6native12_GLOBAL__N_125multi_tensor_apply_kernelINS1_18TensorListMetadataILi1EEENS1_14UnaryOpFunctorIN3c104HalfELi1ELi1ELi0EEEJNS0_4AtanIfEEEEEvT_T0_DpT1_.numbered_sgpr, 28
	.set _ZN2at6native12_GLOBAL__N_125multi_tensor_apply_kernelINS1_18TensorListMetadataILi1EEENS1_14UnaryOpFunctorIN3c104HalfELi1ELi1ELi0EEEJNS0_4AtanIfEEEEEvT_T0_DpT1_.num_named_barrier, 0
	.set _ZN2at6native12_GLOBAL__N_125multi_tensor_apply_kernelINS1_18TensorListMetadataILi1EEENS1_14UnaryOpFunctorIN3c104HalfELi1ELi1ELi0EEEJNS0_4AtanIfEEEEEvT_T0_DpT1_.private_seg_size, 0
	.set _ZN2at6native12_GLOBAL__N_125multi_tensor_apply_kernelINS1_18TensorListMetadataILi1EEENS1_14UnaryOpFunctorIN3c104HalfELi1ELi1ELi0EEEJNS0_4AtanIfEEEEEvT_T0_DpT1_.uses_vcc, 1
	.set _ZN2at6native12_GLOBAL__N_125multi_tensor_apply_kernelINS1_18TensorListMetadataILi1EEENS1_14UnaryOpFunctorIN3c104HalfELi1ELi1ELi0EEEJNS0_4AtanIfEEEEEvT_T0_DpT1_.uses_flat_scratch, 0
	.set _ZN2at6native12_GLOBAL__N_125multi_tensor_apply_kernelINS1_18TensorListMetadataILi1EEENS1_14UnaryOpFunctorIN3c104HalfELi1ELi1ELi0EEEJNS0_4AtanIfEEEEEvT_T0_DpT1_.has_dyn_sized_stack, 0
	.set _ZN2at6native12_GLOBAL__N_125multi_tensor_apply_kernelINS1_18TensorListMetadataILi1EEENS1_14UnaryOpFunctorIN3c104HalfELi1ELi1ELi0EEEJNS0_4AtanIfEEEEEvT_T0_DpT1_.has_recursion, 0
	.set _ZN2at6native12_GLOBAL__N_125multi_tensor_apply_kernelINS1_18TensorListMetadataILi1EEENS1_14UnaryOpFunctorIN3c104HalfELi1ELi1ELi0EEEJNS0_4AtanIfEEEEEvT_T0_DpT1_.has_indirect_call, 0
	.section	.AMDGPU.csdata,"",@progbits
; Kernel info:
; codeLenInByte = 2116
; TotalNumSgprs: 32
; NumVgprs: 24
; ScratchSize: 0
; MemoryBound: 0
; FloatMode: 240
; IeeeMode: 1
; LDSByteSize: 0 bytes/workgroup (compile time only)
; SGPRBlocks: 3
; VGPRBlocks: 5
; NumSGPRsForWavesPerEU: 32
; NumVGPRsForWavesPerEU: 24
; Occupancy: 10
; WaveLimiterHint : 0
; COMPUTE_PGM_RSRC2:SCRATCH_EN: 0
; COMPUTE_PGM_RSRC2:USER_SGPR: 6
; COMPUTE_PGM_RSRC2:TRAP_HANDLER: 0
; COMPUTE_PGM_RSRC2:TGID_X_EN: 1
; COMPUTE_PGM_RSRC2:TGID_Y_EN: 0
; COMPUTE_PGM_RSRC2:TGID_Z_EN: 0
; COMPUTE_PGM_RSRC2:TIDIG_COMP_CNT: 0
	.section	.text._ZN2at6native12_GLOBAL__N_125multi_tensor_apply_kernelINS1_18TensorListMetadataILi1EEENS1_14UnaryOpFunctorIN3c108BFloat16ELi1ELi1ELi0EEEJNS0_4AtanIfEEEEEvT_T0_DpT1_,"axG",@progbits,_ZN2at6native12_GLOBAL__N_125multi_tensor_apply_kernelINS1_18TensorListMetadataILi1EEENS1_14UnaryOpFunctorIN3c108BFloat16ELi1ELi1ELi0EEEJNS0_4AtanIfEEEEEvT_T0_DpT1_,comdat
	.globl	_ZN2at6native12_GLOBAL__N_125multi_tensor_apply_kernelINS1_18TensorListMetadataILi1EEENS1_14UnaryOpFunctorIN3c108BFloat16ELi1ELi1ELi0EEEJNS0_4AtanIfEEEEEvT_T0_DpT1_ ; -- Begin function _ZN2at6native12_GLOBAL__N_125multi_tensor_apply_kernelINS1_18TensorListMetadataILi1EEENS1_14UnaryOpFunctorIN3c108BFloat16ELi1ELi1ELi0EEEJNS0_4AtanIfEEEEEvT_T0_DpT1_
	.p2align	8
	.type	_ZN2at6native12_GLOBAL__N_125multi_tensor_apply_kernelINS1_18TensorListMetadataILi1EEENS1_14UnaryOpFunctorIN3c108BFloat16ELi1ELi1ELi0EEEJNS0_4AtanIfEEEEEvT_T0_DpT1_,@function
_ZN2at6native12_GLOBAL__N_125multi_tensor_apply_kernelINS1_18TensorListMetadataILi1EEENS1_14UnaryOpFunctorIN3c108BFloat16ELi1ELi1ELi0EEEJNS0_4AtanIfEEEEEvT_T0_DpT1_: ; @_ZN2at6native12_GLOBAL__N_125multi_tensor_apply_kernelINS1_18TensorListMetadataILi1EEENS1_14UnaryOpFunctorIN3c108BFloat16ELi1ELi1ELi0EEEJNS0_4AtanIfEEEEEvT_T0_DpT1_
; %bb.0:
	v_mov_b32_e32 v1, s6
	global_load_ubyte v1, v1, s[4:5] offset:1760
	s_add_u32 s0, s4, s6
	s_mul_hi_u32 s1, s6, 3
	s_mul_i32 s6, s6, 3
	s_addc_u32 s2, s5, 0
	s_add_u32 s0, s0, s6
	s_addc_u32 s1, s2, s1
	s_load_dword s0, s[0:1], 0x820
	s_mov_b32 s7, 0
	s_waitcnt vmcnt(0)
	v_readfirstlane_b32 s1, v1
	s_lshl_b32 s1, s1, 3
	s_load_dwordx2 s[2:3], s[4:5], s1 offset:0x370
	s_load_dwordx2 s[10:11], s[4:5], s1 offset:0x0
	s_waitcnt lgkmcnt(0)
	s_ashr_i32 s1, s0, 31
	s_lshl_b64 s[12:13], s[0:1], 17
	s_lshl_b64 s[0:1], s[0:1], 16
	s_and_b32 s6, s10, 7
	s_sub_u32 s14, s2, s0
	s_subb_u32 s15, s3, s1
	s_and_b32 s0, s2, 3
	s_mov_b32 s1, s7
	s_or_b64 s[0:1], s[6:7], s[0:1]
	s_cmp_eq_u64 s[0:1], 0
	s_cbranch_scc1 .LBB76_21
; %bb.1:
	v_cmp_lt_i64_e64 s[0:1], s[14:15], 1
	s_and_b64 vcc, exec, s[0:1]
	s_cbranch_vccnz .LBB76_20
; %bb.2:
	v_mov_b32_e32 v1, 0x10000
	s_load_dword s2, s[4:5], 0xd3c
	v_mov_b32_e32 v2, 0
	v_cmp_lt_i64_e32 vcc, s[14:15], v[1:2]
	s_mov_b64 s[20:21], 0
	s_and_b64 s[0:1], vcc, exec
	v_cmp_lt_u64_e32 vcc, s[14:15], v[1:2]
	s_cselect_b32 s17, s15, 0
	s_cselect_b32 s16, s14, 0x10000
	s_waitcnt lgkmcnt(0)
	s_and_b32 s2, s2, 0xffff
	s_and_b64 s[0:1], vcc, exec
	s_cselect_b32 s19, s15, 0
	s_cselect_b32 s18, s14, 0x10000
	s_lshl_b32 s3, s2, 1
	s_lshl_b32 s24, s2, 2
	s_add_u32 s6, s10, s12
	v_lshlrev_b32_e32 v1, 1, v0
	s_addc_u32 s7, s11, s13
	v_mov_b32_e32 v2, s7
	v_add_co_u32_e32 v1, vcc, s6, v1
	s_mul_i32 s0, s2, 3
	v_addc_co_u32_e32 v2, vcc, 0, v2, vcc
	v_add_co_u32_e32 v5, vcc, s0, v0
	v_addc_co_u32_e64 v6, s[0:1], 0, 0, vcc
	v_add_co_u32_e32 v7, vcc, s3, v0
	v_addc_co_u32_e64 v8, s[0:1], 0, 0, vcc
	v_add_co_u32_e32 v9, vcc, s2, v0
	v_lshlrev_b32_e32 v3, 1, v9
	v_addc_co_u32_e64 v10, s[0:1], 0, 0, vcc
	v_mov_b32_e32 v4, s7
	v_add_co_u32_e32 v3, vcc, s6, v3
	s_lshl_b32 s25, s2, 3
	s_mul_i32 s26, s2, 6
	v_addc_co_u32_e32 v4, vcc, 0, v4, vcc
	v_mov_b32_e32 v11, 0x3d29fb3f
	v_mov_b32_e32 v12, 0xbd97d4d7
	;; [unrolled: 1-line block ×6, first 2 shown]
	s_brev_b32 s27, -2
	s_movk_i32 s28, 0x7fff
	v_mov_b32_e32 v17, 0x7fc0
	s_branch .LBB76_4
.LBB76_3:                               ;   in Loop: Header=BB76_4 Depth=1
	s_or_b64 exec, exec, s[2:3]
	s_add_u32 s20, s20, s24
	v_add_co_u32_e32 v1, vcc, s25, v1
	v_mov_b32_e32 v19, s17
	s_addc_u32 s21, s21, 0
	v_addc_co_u32_e32 v2, vcc, 0, v2, vcc
	v_mov_b32_e32 v18, s16
	v_cmp_lt_i64_e32 vcc, s[20:21], v[18:19]
	v_add_co_u32_e64 v3, s[0:1], s25, v3
	v_addc_co_u32_e64 v4, s[0:1], 0, v4, s[0:1]
	s_cbranch_vccz .LBB76_20
.LBB76_4:                               ; =>This Inner Loop Header: Depth=1
	v_mov_b32_e32 v19, s21
	v_add_co_u32_e32 v18, vcc, s20, v0
	v_addc_co_u32_e32 v19, vcc, 0, v19, vcc
	v_cmp_gt_u64_e32 vcc, s[18:19], v[18:19]
	v_mov_b32_e32 v21, 0
	s_and_saveexec_b64 s[0:1], vcc
	s_cbranch_execz .LBB76_6
; %bb.5:                                ;   in Loop: Header=BB76_4 Depth=1
	global_load_ushort v18, v[1:2], off
	s_waitcnt vmcnt(0)
	v_lshlrev_b32_e32 v21, 16, v18
.LBB76_6:                               ;   in Loop: Header=BB76_4 Depth=1
	s_or_b64 exec, exec, s[0:1]
	v_mov_b32_e32 v19, s21
	v_add_co_u32_e64 v18, s[0:1], s20, v9
	v_addc_co_u32_e64 v19, s[0:1], v10, v19, s[0:1]
	v_cmp_gt_u64_e64 s[6:7], s[18:19], v[18:19]
	v_mov_b32_e32 v18, 0
	v_mov_b32_e32 v20, 0
	s_and_saveexec_b64 s[0:1], s[6:7]
	s_cbranch_execz .LBB76_8
; %bb.7:                                ;   in Loop: Header=BB76_4 Depth=1
	global_load_ushort v19, v[3:4], off
	s_waitcnt vmcnt(0)
	v_lshlrev_b32_e32 v20, 16, v19
.LBB76_8:                               ;   in Loop: Header=BB76_4 Depth=1
	s_or_b64 exec, exec, s[0:1]
	v_mov_b32_e32 v19, s21
	v_add_co_u32_e64 v22, s[0:1], s20, v7
	v_addc_co_u32_e64 v23, s[0:1], v8, v19, s[0:1]
	v_cmp_gt_u64_e64 s[2:3], s[18:19], v[22:23]
	s_and_saveexec_b64 s[8:9], s[2:3]
	s_cbranch_execz .LBB76_10
; %bb.9:                                ;   in Loop: Header=BB76_4 Depth=1
	v_add_co_u32_e64 v18, s[0:1], s24, v1
	v_addc_co_u32_e64 v19, s[0:1], 0, v2, s[0:1]
	global_load_ushort v18, v[18:19], off
	s_waitcnt vmcnt(0)
	v_lshlrev_b32_e32 v18, 16, v18
.LBB76_10:                              ;   in Loop: Header=BB76_4 Depth=1
	s_or_b64 exec, exec, s[8:9]
	v_mov_b32_e32 v19, s21
	v_add_co_u32_e64 v22, s[0:1], s20, v5
	v_addc_co_u32_e64 v23, s[0:1], v6, v19, s[0:1]
	v_cmp_gt_u64_e64 s[0:1], s[18:19], v[22:23]
	v_mov_b32_e32 v19, 0
	s_and_saveexec_b64 s[22:23], s[0:1]
	s_cbranch_execnz .LBB76_15
; %bb.11:                               ;   in Loop: Header=BB76_4 Depth=1
	s_or_b64 exec, exec, s[22:23]
	s_and_saveexec_b64 s[8:9], vcc
	s_cbranch_execnz .LBB76_16
.LBB76_12:                              ;   in Loop: Header=BB76_4 Depth=1
	s_or_b64 exec, exec, s[8:9]
	s_and_saveexec_b64 s[8:9], s[6:7]
	s_cbranch_execnz .LBB76_17
.LBB76_13:                              ;   in Loop: Header=BB76_4 Depth=1
	s_or_b64 exec, exec, s[8:9]
	s_and_saveexec_b64 s[6:7], s[2:3]
	s_cbranch_execnz .LBB76_18
.LBB76_14:                              ;   in Loop: Header=BB76_4 Depth=1
	s_or_b64 exec, exec, s[6:7]
	s_and_saveexec_b64 s[2:3], s[0:1]
	s_cbranch_execz .LBB76_3
	s_branch .LBB76_19
.LBB76_15:                              ;   in Loop: Header=BB76_4 Depth=1
	v_add_co_u32_e64 v22, s[8:9], s26, v1
	v_addc_co_u32_e64 v23, s[8:9], 0, v2, s[8:9]
	global_load_ushort v19, v[22:23], off
	s_waitcnt vmcnt(0)
	v_lshlrev_b32_e32 v19, 16, v19
	s_or_b64 exec, exec, s[22:23]
	s_and_saveexec_b64 s[8:9], vcc
	s_cbranch_execz .LBB76_12
.LBB76_16:                              ;   in Loop: Header=BB76_4 Depth=1
	v_rcp_f32_e64 v22, |v21|
	v_cmp_gt_f32_e64 vcc, |v21|, 1.0
	v_mov_b32_e32 v23, 0xbc7a590c
	v_cndmask_b32_e64 v22, |v21|, v22, vcc
	v_mul_f32_e32 v24, v22, v22
	v_fmac_f32_e32 v23, 0x3b2d2a58, v24
	v_fma_f32 v23, v24, v23, v11
	v_fma_f32 v23, v24, v23, v12
	;; [unrolled: 1-line block ×6, first 2 shown]
	v_mul_f32_e32 v23, v24, v23
	v_fmac_f32_e32 v22, v22, v23
	v_sub_f32_e32 v23, 0x3fc90fdb, v22
	v_cndmask_b32_e32 v22, v22, v23, vcc
	v_bfi_b32 v21, s27, v22, v21
	v_bfe_u32 v22, v21, 16, 1
	v_cmp_o_f32_e32 vcc, v21, v21
	v_add3_u32 v21, v21, v22, s28
	v_cndmask_b32_sdwa v21, v17, v21, vcc dst_sel:DWORD dst_unused:UNUSED_PAD src0_sel:DWORD src1_sel:WORD_1
	global_store_short v[1:2], v21, off
	s_or_b64 exec, exec, s[8:9]
	s_and_saveexec_b64 s[8:9], s[6:7]
	s_cbranch_execz .LBB76_13
.LBB76_17:                              ;   in Loop: Header=BB76_4 Depth=1
	v_rcp_f32_e64 v21, |v20|
	v_cmp_gt_f32_e64 vcc, |v20|, 1.0
	v_mov_b32_e32 v22, 0xbc7a590c
	v_cndmask_b32_e64 v21, |v20|, v21, vcc
	v_mul_f32_e32 v23, v21, v21
	v_fmac_f32_e32 v22, 0x3b2d2a58, v23
	v_fma_f32 v22, v23, v22, v11
	v_fma_f32 v22, v23, v22, v12
	;; [unrolled: 1-line block ×6, first 2 shown]
	v_mul_f32_e32 v22, v23, v22
	v_fmac_f32_e32 v21, v21, v22
	v_sub_f32_e32 v22, 0x3fc90fdb, v21
	v_cndmask_b32_e32 v21, v21, v22, vcc
	v_bfi_b32 v20, s27, v21, v20
	v_bfe_u32 v21, v20, 16, 1
	v_cmp_o_f32_e32 vcc, v20, v20
	v_add3_u32 v20, v20, v21, s28
	v_cndmask_b32_sdwa v20, v17, v20, vcc dst_sel:DWORD dst_unused:UNUSED_PAD src0_sel:DWORD src1_sel:WORD_1
	global_store_short v[3:4], v20, off
	s_or_b64 exec, exec, s[8:9]
	s_and_saveexec_b64 s[6:7], s[2:3]
	s_cbranch_execz .LBB76_14
.LBB76_18:                              ;   in Loop: Header=BB76_4 Depth=1
	v_rcp_f32_e64 v20, |v18|
	v_cmp_gt_f32_e64 vcc, |v18|, 1.0
	v_mov_b32_e32 v21, 0xbc7a590c
	v_cndmask_b32_e64 v20, |v18|, v20, vcc
	v_mul_f32_e32 v22, v20, v20
	v_fmac_f32_e32 v21, 0x3b2d2a58, v22
	v_fma_f32 v21, v22, v21, v11
	v_fma_f32 v21, v22, v21, v12
	;; [unrolled: 1-line block ×6, first 2 shown]
	v_mul_f32_e32 v21, v22, v21
	v_fmac_f32_e32 v20, v20, v21
	v_sub_f32_e32 v21, 0x3fc90fdb, v20
	v_cndmask_b32_e32 v20, v20, v21, vcc
	v_bfi_b32 v18, s27, v20, v18
	v_bfe_u32 v20, v18, 16, 1
	v_cmp_o_f32_e32 vcc, v18, v18
	v_add3_u32 v18, v18, v20, s28
	v_cndmask_b32_sdwa v18, v17, v18, vcc dst_sel:DWORD dst_unused:UNUSED_PAD src0_sel:DWORD src1_sel:WORD_1
	v_add_co_u32_e32 v20, vcc, s24, v1
	v_addc_co_u32_e32 v21, vcc, 0, v2, vcc
	global_store_short v[20:21], v18, off
	s_or_b64 exec, exec, s[6:7]
	s_and_saveexec_b64 s[2:3], s[0:1]
	s_cbranch_execz .LBB76_3
.LBB76_19:                              ;   in Loop: Header=BB76_4 Depth=1
	v_rcp_f32_e64 v18, |v19|
	v_cmp_gt_f32_e64 vcc, |v19|, 1.0
	v_mov_b32_e32 v20, 0xbc7a590c
	v_cndmask_b32_e64 v18, |v19|, v18, vcc
	v_mul_f32_e32 v21, v18, v18
	v_fmac_f32_e32 v20, 0x3b2d2a58, v21
	v_fma_f32 v20, v21, v20, v11
	v_fma_f32 v20, v21, v20, v12
	;; [unrolled: 1-line block ×6, first 2 shown]
	v_mul_f32_e32 v20, v21, v20
	v_fmac_f32_e32 v18, v18, v20
	v_sub_f32_e32 v20, 0x3fc90fdb, v18
	v_cndmask_b32_e32 v18, v18, v20, vcc
	v_bfi_b32 v18, s27, v18, v19
	v_bfe_u32 v19, v18, 16, 1
	v_cmp_o_f32_e32 vcc, v18, v18
	v_add3_u32 v18, v18, v19, s28
	v_cndmask_b32_sdwa v20, v17, v18, vcc dst_sel:DWORD dst_unused:UNUSED_PAD src0_sel:DWORD src1_sel:WORD_1
	v_add_co_u32_e32 v18, vcc, s26, v1
	v_addc_co_u32_e32 v19, vcc, 0, v2, vcc
	global_store_short v[18:19], v20, off
	s_branch .LBB76_3
.LBB76_20:
	s_cbranch_execz .LBB76_22
	s_branch .LBB76_25
.LBB76_21:
.LBB76_22:
	v_mov_b32_e32 v1, 0x10000
	v_mov_b32_e32 v2, 0
	v_cmp_lt_i64_e32 vcc, s[14:15], v[1:2]
	v_mov_b32_e32 v2, 0
	s_and_b64 s[0:1], vcc, exec
	s_cselect_b32 s7, s15, 0
	s_cselect_b32 s6, s14, 0x10000
	v_lshlrev_b32_e32 v1, 2, v0
	v_cmp_gt_i64_e32 vcc, s[6:7], v[1:2]
	s_and_saveexec_b64 s[0:1], vcc
	s_cbranch_execz .LBB76_25
; %bb.23:
	s_load_dword s0, s[4:5], 0xd3c
	v_mov_b32_e32 v1, v2
	v_lshlrev_b32_e32 v2, 3, v0
	s_mov_b64 s[8:9], 0
	v_mov_b32_e32 v4, 0x3d29fb3f
	s_waitcnt lgkmcnt(0)
	s_and_b32 s14, s0, 0xffff
	s_add_u32 s0, s10, s12
	s_addc_u32 s1, s11, s13
	v_mov_b32_e32 v3, s1
	v_add_co_u32_e32 v2, vcc, s0, v2
	v_addc_co_u32_e32 v3, vcc, 0, v3, vcc
	s_lshl_b32 s10, s14, 3
	v_mov_b32_e32 v5, 0xbd97d4d7
	v_mov_b32_e32 v6, 0x3dd931b2
	;; [unrolled: 1-line block ×5, first 2 shown]
	s_brev_b32 s11, -2
	s_movk_i32 s12, 0x7fff
	v_mov_b32_e32 v10, 0x7fc00000
	v_mov_b32_e32 v11, 0x7fc0
.LBB76_24:                              ; =>This Inner Loop Header: Depth=1
	global_load_dwordx2 v[12:13], v[2:3], off
	v_add_co_u32_e32 v0, vcc, s14, v0
	v_addc_co_u32_e32 v1, vcc, 0, v1, vcc
	v_lshlrev_b64 v[14:15], 2, v[0:1]
	v_mov_b32_e32 v16, 0xbc7a590c
	v_cmp_le_i64_e32 vcc, s[6:7], v[14:15]
	v_mov_b32_e32 v17, 0xbc7a590c
	v_mov_b32_e32 v18, 0xbc7a590c
	s_or_b64 s[8:9], vcc, s[8:9]
	s_waitcnt vmcnt(0)
	v_lshlrev_b32_e32 v15, 16, v12
	v_rcp_f32_e64 v19, |v15|
	v_cmp_gt_f32_e64 s[0:1], |v15|, 1.0
	v_and_b32_e32 v14, 0xffff0000, v12
	v_rcp_f32_e64 v20, |v14|
	v_cndmask_b32_e64 v19, |v15|, v19, s[0:1]
	v_mul_f32_e32 v23, v19, v19
	v_fmac_f32_e32 v16, 0x3b2d2a58, v23
	v_fma_f32 v16, v23, v16, v4
	v_fma_f32 v16, v23, v16, v5
	;; [unrolled: 1-line block ×4, first 2 shown]
	v_cmp_gt_f32_e64 s[2:3], |v14|, 1.0
	v_fma_f32 v16, v23, v16, v8
	v_cndmask_b32_e64 v20, |v14|, v20, s[2:3]
	v_fma_f32 v16, v23, v16, v9
	v_mul_f32_e32 v16, v23, v16
	v_mul_f32_e32 v23, v20, v20
	v_fmac_f32_e32 v17, 0x3b2d2a58, v23
	v_alignbit_b32 v12, v13, v12, 16
	v_and_b32_e32 v13, 0xffff0000, v13
	v_fma_f32 v17, v23, v17, v4
	v_rcp_f32_e64 v21, |v13|
	v_fma_f32 v17, v23, v17, v5
	v_fma_f32 v17, v23, v17, v6
	v_fma_f32 v17, v23, v17, v7
	v_cmp_gt_f32_e64 s[4:5], |v13|, 1.0
	v_fma_f32 v17, v23, v17, v8
	v_cndmask_b32_e64 v21, |v13|, v21, s[4:5]
	v_fma_f32 v17, v23, v17, v9
	v_mul_f32_e32 v17, v23, v17
	v_mul_f32_e32 v23, v21, v21
	v_fmac_f32_e32 v18, 0x3b2d2a58, v23
	v_and_b32_e32 v12, 0xffff0000, v12
	v_fma_f32 v18, v23, v18, v4
	v_rcp_f32_e64 v22, |v12|
	v_fma_f32 v18, v23, v18, v5
	v_fma_f32 v18, v23, v18, v6
	;; [unrolled: 1-line block ×4, first 2 shown]
	v_cmp_gt_f32_e64 vcc, |v12|, 1.0
	v_fma_f32 v18, v23, v18, v9
	v_cndmask_b32_e64 v22, |v12|, v22, vcc
	v_mul_f32_e32 v18, v23, v18
	v_mov_b32_e32 v23, 0xbc7a590c
	v_fmac_f32_e32 v19, v19, v16
	v_mul_f32_e32 v16, v22, v22
	v_fmac_f32_e32 v23, 0x3b2d2a58, v16
	v_fma_f32 v23, v16, v23, v4
	v_fma_f32 v23, v16, v23, v5
	;; [unrolled: 1-line block ×6, first 2 shown]
	v_mul_f32_e32 v16, v16, v23
	v_fmac_f32_e32 v21, v21, v18
	v_fmac_f32_e32 v20, v20, v17
	;; [unrolled: 1-line block ×3, first 2 shown]
	v_sub_f32_e32 v16, 0x3fc90fdb, v19
	v_sub_f32_e32 v18, 0x3fc90fdb, v21
	;; [unrolled: 1-line block ×3, first 2 shown]
	v_cndmask_b32_e64 v16, v19, v16, s[0:1]
	v_cndmask_b32_e64 v18, v21, v18, s[4:5]
	v_sub_f32_e32 v19, 0x3fc90fdb, v22
	v_cndmask_b32_e64 v17, v20, v17, s[2:3]
	v_bfi_b32 v15, s11, v16, v15
	v_cndmask_b32_e32 v16, v22, v19, vcc
	v_bfi_b32 v13, s11, v18, v13
	v_bfi_b32 v14, s11, v17, v14
	;; [unrolled: 1-line block ×3, first 2 shown]
	v_bfe_u32 v16, v13, 16, 1
	v_bfe_u32 v18, v14, 16, 1
	v_add3_u32 v16, v13, v16, s12
	v_bfe_u32 v17, v15, 16, 1
	v_add3_u32 v18, v14, v18, s12
	v_and_b32_e32 v16, 0xffff0000, v16
	v_cmp_o_f32_e32 vcc, v13, v13
	v_add3_u32 v17, v15, v17, s12
	v_bfe_u32 v19, v12, 16, 1
	v_and_b32_e32 v18, 0xffff0000, v18
	v_cndmask_b32_e32 v13, v10, v16, vcc
	v_cmp_o_f32_e32 vcc, v14, v14
	v_lshrrev_b32_e32 v17, 16, v17
	v_add3_u32 v19, v12, v19, s12
	v_cndmask_b32_e32 v14, v10, v18, vcc
	v_cmp_o_f32_e32 vcc, v15, v15
	v_lshrrev_b32_e32 v19, 16, v19
	v_cndmask_b32_e32 v15, v11, v17, vcc
	v_cmp_o_f32_e32 vcc, v12, v12
	v_cndmask_b32_e32 v12, v11, v19, vcc
	v_or_b32_e32 v14, v15, v14
	v_or3_b32 v13, 0, v12, v13
	v_or3_b32 v12, v14, 0, 0
	global_store_dwordx2 v[2:3], v[12:13], off
	v_add_co_u32_e32 v2, vcc, s10, v2
	v_addc_co_u32_e32 v3, vcc, 0, v3, vcc
	s_andn2_b64 exec, exec, s[8:9]
	s_cbranch_execnz .LBB76_24
.LBB76_25:
	s_endpgm
	.section	.rodata,"a",@progbits
	.p2align	6, 0x0
	.amdhsa_kernel _ZN2at6native12_GLOBAL__N_125multi_tensor_apply_kernelINS1_18TensorListMetadataILi1EEENS1_14UnaryOpFunctorIN3c108BFloat16ELi1ELi1ELi0EEEJNS0_4AtanIfEEEEEvT_T0_DpT1_
		.amdhsa_group_segment_fixed_size 0
		.amdhsa_private_segment_fixed_size 0
		.amdhsa_kernarg_size 3632
		.amdhsa_user_sgpr_count 6
		.amdhsa_user_sgpr_private_segment_buffer 1
		.amdhsa_user_sgpr_dispatch_ptr 0
		.amdhsa_user_sgpr_queue_ptr 0
		.amdhsa_user_sgpr_kernarg_segment_ptr 1
		.amdhsa_user_sgpr_dispatch_id 0
		.amdhsa_user_sgpr_flat_scratch_init 0
		.amdhsa_user_sgpr_private_segment_size 0
		.amdhsa_uses_dynamic_stack 0
		.amdhsa_system_sgpr_private_segment_wavefront_offset 0
		.amdhsa_system_sgpr_workgroup_id_x 1
		.amdhsa_system_sgpr_workgroup_id_y 0
		.amdhsa_system_sgpr_workgroup_id_z 0
		.amdhsa_system_sgpr_workgroup_info 0
		.amdhsa_system_vgpr_workitem_id 0
		.amdhsa_next_free_vgpr 25
		.amdhsa_next_free_sgpr 29
		.amdhsa_reserve_vcc 1
		.amdhsa_reserve_flat_scratch 0
		.amdhsa_float_round_mode_32 0
		.amdhsa_float_round_mode_16_64 0
		.amdhsa_float_denorm_mode_32 3
		.amdhsa_float_denorm_mode_16_64 3
		.amdhsa_dx10_clamp 1
		.amdhsa_ieee_mode 1
		.amdhsa_fp16_overflow 0
		.amdhsa_exception_fp_ieee_invalid_op 0
		.amdhsa_exception_fp_denorm_src 0
		.amdhsa_exception_fp_ieee_div_zero 0
		.amdhsa_exception_fp_ieee_overflow 0
		.amdhsa_exception_fp_ieee_underflow 0
		.amdhsa_exception_fp_ieee_inexact 0
		.amdhsa_exception_int_div_zero 0
	.end_amdhsa_kernel
	.section	.text._ZN2at6native12_GLOBAL__N_125multi_tensor_apply_kernelINS1_18TensorListMetadataILi1EEENS1_14UnaryOpFunctorIN3c108BFloat16ELi1ELi1ELi0EEEJNS0_4AtanIfEEEEEvT_T0_DpT1_,"axG",@progbits,_ZN2at6native12_GLOBAL__N_125multi_tensor_apply_kernelINS1_18TensorListMetadataILi1EEENS1_14UnaryOpFunctorIN3c108BFloat16ELi1ELi1ELi0EEEJNS0_4AtanIfEEEEEvT_T0_DpT1_,comdat
.Lfunc_end76:
	.size	_ZN2at6native12_GLOBAL__N_125multi_tensor_apply_kernelINS1_18TensorListMetadataILi1EEENS1_14UnaryOpFunctorIN3c108BFloat16ELi1ELi1ELi0EEEJNS0_4AtanIfEEEEEvT_T0_DpT1_, .Lfunc_end76-_ZN2at6native12_GLOBAL__N_125multi_tensor_apply_kernelINS1_18TensorListMetadataILi1EEENS1_14UnaryOpFunctorIN3c108BFloat16ELi1ELi1ELi0EEEJNS0_4AtanIfEEEEEvT_T0_DpT1_
                                        ; -- End function
	.set _ZN2at6native12_GLOBAL__N_125multi_tensor_apply_kernelINS1_18TensorListMetadataILi1EEENS1_14UnaryOpFunctorIN3c108BFloat16ELi1ELi1ELi0EEEJNS0_4AtanIfEEEEEvT_T0_DpT1_.num_vgpr, 25
	.set _ZN2at6native12_GLOBAL__N_125multi_tensor_apply_kernelINS1_18TensorListMetadataILi1EEENS1_14UnaryOpFunctorIN3c108BFloat16ELi1ELi1ELi0EEEJNS0_4AtanIfEEEEEvT_T0_DpT1_.num_agpr, 0
	.set _ZN2at6native12_GLOBAL__N_125multi_tensor_apply_kernelINS1_18TensorListMetadataILi1EEENS1_14UnaryOpFunctorIN3c108BFloat16ELi1ELi1ELi0EEEJNS0_4AtanIfEEEEEvT_T0_DpT1_.numbered_sgpr, 29
	.set _ZN2at6native12_GLOBAL__N_125multi_tensor_apply_kernelINS1_18TensorListMetadataILi1EEENS1_14UnaryOpFunctorIN3c108BFloat16ELi1ELi1ELi0EEEJNS0_4AtanIfEEEEEvT_T0_DpT1_.num_named_barrier, 0
	.set _ZN2at6native12_GLOBAL__N_125multi_tensor_apply_kernelINS1_18TensorListMetadataILi1EEENS1_14UnaryOpFunctorIN3c108BFloat16ELi1ELi1ELi0EEEJNS0_4AtanIfEEEEEvT_T0_DpT1_.private_seg_size, 0
	.set _ZN2at6native12_GLOBAL__N_125multi_tensor_apply_kernelINS1_18TensorListMetadataILi1EEENS1_14UnaryOpFunctorIN3c108BFloat16ELi1ELi1ELi0EEEJNS0_4AtanIfEEEEEvT_T0_DpT1_.uses_vcc, 1
	.set _ZN2at6native12_GLOBAL__N_125multi_tensor_apply_kernelINS1_18TensorListMetadataILi1EEENS1_14UnaryOpFunctorIN3c108BFloat16ELi1ELi1ELi0EEEJNS0_4AtanIfEEEEEvT_T0_DpT1_.uses_flat_scratch, 0
	.set _ZN2at6native12_GLOBAL__N_125multi_tensor_apply_kernelINS1_18TensorListMetadataILi1EEENS1_14UnaryOpFunctorIN3c108BFloat16ELi1ELi1ELi0EEEJNS0_4AtanIfEEEEEvT_T0_DpT1_.has_dyn_sized_stack, 0
	.set _ZN2at6native12_GLOBAL__N_125multi_tensor_apply_kernelINS1_18TensorListMetadataILi1EEENS1_14UnaryOpFunctorIN3c108BFloat16ELi1ELi1ELi0EEEJNS0_4AtanIfEEEEEvT_T0_DpT1_.has_recursion, 0
	.set _ZN2at6native12_GLOBAL__N_125multi_tensor_apply_kernelINS1_18TensorListMetadataILi1EEENS1_14UnaryOpFunctorIN3c108BFloat16ELi1ELi1ELi0EEEJNS0_4AtanIfEEEEEvT_T0_DpT1_.has_indirect_call, 0
	.section	.AMDGPU.csdata,"",@progbits
; Kernel info:
; codeLenInByte = 2352
; TotalNumSgprs: 33
; NumVgprs: 25
; ScratchSize: 0
; MemoryBound: 0
; FloatMode: 240
; IeeeMode: 1
; LDSByteSize: 0 bytes/workgroup (compile time only)
; SGPRBlocks: 4
; VGPRBlocks: 6
; NumSGPRsForWavesPerEU: 33
; NumVGPRsForWavesPerEU: 25
; Occupancy: 9
; WaveLimiterHint : 0
; COMPUTE_PGM_RSRC2:SCRATCH_EN: 0
; COMPUTE_PGM_RSRC2:USER_SGPR: 6
; COMPUTE_PGM_RSRC2:TRAP_HANDLER: 0
; COMPUTE_PGM_RSRC2:TGID_X_EN: 1
; COMPUTE_PGM_RSRC2:TGID_Y_EN: 0
; COMPUTE_PGM_RSRC2:TGID_Z_EN: 0
; COMPUTE_PGM_RSRC2:TIDIG_COMP_CNT: 0
	.section	.text._ZN2at6native12_GLOBAL__N_125multi_tensor_apply_kernelINS1_18TensorListMetadataILi2EEENS1_14UnaryOpFunctorIdLi2ELi1ELi1EEEJNS0_4CoshIdEEEEEvT_T0_DpT1_,"axG",@progbits,_ZN2at6native12_GLOBAL__N_125multi_tensor_apply_kernelINS1_18TensorListMetadataILi2EEENS1_14UnaryOpFunctorIdLi2ELi1ELi1EEEJNS0_4CoshIdEEEEEvT_T0_DpT1_,comdat
	.globl	_ZN2at6native12_GLOBAL__N_125multi_tensor_apply_kernelINS1_18TensorListMetadataILi2EEENS1_14UnaryOpFunctorIdLi2ELi1ELi1EEEJNS0_4CoshIdEEEEEvT_T0_DpT1_ ; -- Begin function _ZN2at6native12_GLOBAL__N_125multi_tensor_apply_kernelINS1_18TensorListMetadataILi2EEENS1_14UnaryOpFunctorIdLi2ELi1ELi1EEEJNS0_4CoshIdEEEEEvT_T0_DpT1_
	.p2align	8
	.type	_ZN2at6native12_GLOBAL__N_125multi_tensor_apply_kernelINS1_18TensorListMetadataILi2EEENS1_14UnaryOpFunctorIdLi2ELi1ELi1EEEJNS0_4CoshIdEEEEEvT_T0_DpT1_,@function
_ZN2at6native12_GLOBAL__N_125multi_tensor_apply_kernelINS1_18TensorListMetadataILi2EEENS1_14UnaryOpFunctorIdLi2ELi1ELi1EEEJNS0_4CoshIdEEEEEvT_T0_DpT1_: ; @_ZN2at6native12_GLOBAL__N_125multi_tensor_apply_kernelINS1_18TensorListMetadataILi2EEENS1_14UnaryOpFunctorIdLi2ELi1ELi1EEEJNS0_4CoshIdEEEEEvT_T0_DpT1_
; %bb.0:
	v_mov_b32_e32 v1, s6
	global_load_ubyte v1, v1, s[4:5] offset:1536
	s_add_u32 s0, s4, s6
	s_mul_hi_u32 s1, s6, 3
	s_mul_i32 s6, s6, 3
	s_addc_u32 s2, s5, 0
	s_add_u32 s0, s0, s6
	s_addc_u32 s1, s2, s1
	s_load_dword s6, s[0:1], 0x740
	s_mov_b32 s11, 0
	s_mov_b32 s13, s11
	s_waitcnt vmcnt(0)
	v_readfirstlane_b32 s0, v1
	s_lshl_b32 s7, s0, 3
	s_load_dwordx2 s[14:15], s[4:5], s7 offset:0x400
	s_load_dwordx2 s[2:3], s[4:5], s7 offset:0x0
	;; [unrolled: 1-line block ×3, first 2 shown]
	s_waitcnt lgkmcnt(0)
	s_ashr_i32 s7, s6, 31
	s_lshl_b64 s[8:9], s[6:7], 19
	s_lshl_b64 s[6:7], s[6:7], 16
	s_add_u32 s10, s2, s8
	s_and_b32 s12, s0, 31
	s_and_b32 s10, s10, 31
	s_sub_u32 s6, s14, s6
	s_subb_u32 s7, s15, s7
	s_and_b32 s14, s14, 3
	s_mov_b32 s15, s11
	s_or_b64 s[12:13], s[12:13], s[14:15]
	s_or_b64 s[10:11], s[12:13], s[10:11]
	s_cmp_eq_u64 s[10:11], 0
	s_mov_b64 s[10:11], -1
	s_cbranch_scc0 .LBB77_5
; %bb.1:
	v_mov_b32_e32 v1, 0x10000
	v_mov_b32_e32 v2, 0
	v_cmp_lt_i64_e32 vcc, s[6:7], v[1:2]
	v_mov_b32_e32 v2, 0
	s_and_b64 s[10:11], vcc, exec
	s_cselect_b32 s11, s7, 0
	s_cselect_b32 s10, s6, 0x10000
	v_lshlrev_b32_e32 v1, 2, v0
	v_cmp_gt_i64_e32 vcc, s[10:11], v[1:2]
	s_and_saveexec_b64 s[12:13], vcc
	s_cbranch_execz .LBB77_4
; %bb.2:
	s_load_dword s14, s[4:5], 0xc5c
	s_mov_b32 s34, 0xfca7ab0c
	v_mov_b32_e32 v1, v2
	v_lshlrev_b32_e32 v2, 5, v0
	s_mov_b32 s16, 0xfefa39ef
	s_mov_b32 s35, 0x3e928af3
	v_mov_b32_e32 v9, s34
	v_mov_b32_e32 v3, s9
	s_waitcnt lgkmcnt(0)
	s_and_b32 s33, s14, 0xffff
	v_add_co_u32_e32 v13, vcc, s8, v2
	s_mov_b32 s17, 0xbfe62e42
	s_mov_b32 s20, 0x3b39803f
	;; [unrolled: 1-line block ×6, first 2 shown]
	v_mov_b32_e32 v10, s35
	s_mov_b32 s34, 0x623fde64
	s_mov_b32 s36, 0x7c89e6b0
	s_mov_b32 s38, 0x14761f6e
	s_mov_b32 s40, 0x1852b7b0
	s_mov_b32 s42, 0x11122322
	s_mov_b32 s44, 0x555502a1
	s_mov_b32 s46, 0x55555511
	s_mov_b32 s48, 11
	s_mov_b32 s50, 0x8fb9f87e
	v_mov_b32_e32 v12, v1
	v_addc_co_u32_e32 v14, vcc, 0, v3, vcc
	s_lshl_b32 s52, s33, 5
	s_mov_b64 s[14:15], 0
	v_mov_b32_e32 v15, s3
	s_mov_b32 s19, 0x3fe62e42
	s_mov_b32 s18, s16
	s_mov_b32 s21, 0xbc7abc9e
	s_mov_b32 s23, 0x3ff71547
	s_mov_b32 s24, 0xfefa3000
	s_mov_b32 s25, s17
	s_mov_b32 s27, 0x3d53de6a
	s_mov_b32 s29, 0x3ac9cc01
	s_mov_b32 s31, 0x3e5ade15
	s_mov_b32 s35, 0x3ec71dee
	s_mov_b32 s37, 0x3efa0199
	s_mov_b32 s39, 0x3f2a01a0
	s_mov_b32 s41, 0x3f56c16c
	s_mov_b32 s43, 0x3f811111
	s_mov_b32 s45, 0x3fa55555
	s_mov_b32 s47, 0x3fc55555
	s_mov_b32 s49, 0x3fe00000
	s_mov_b32 s51, 0x408633ce
	v_mov_b32_e32 v16, 0x7ff00000
	v_mov_b32_e32 v17, s1
	;; [unrolled: 1-line block ×3, first 2 shown]
.LBB77_3:                               ; =>This Inner Loop Header: Depth=1
	v_add_co_u32_e32 v5, vcc, s2, v13
	v_addc_co_u32_e32 v6, vcc, v15, v14, vcc
	global_load_dwordx4 v[1:4], v[5:6], off offset:16
	s_nop 0
	global_load_dwordx4 v[5:8], v[5:6], off
	s_waitcnt vmcnt(0)
	v_add_f64 v[18:19], |v[5:6]|, s[16:17]
	v_cmp_nge_f64_e64 vcc, |v[5:6]|, s[50:51]
	v_add_f64 v[20:21], v[18:19], -|v[5:6]|
	v_add_f64 v[22:23], v[20:21], -v[18:19]
	v_add_f64 v[20:21], v[20:21], s[18:19]
	v_add_f64 v[22:23], |v[5:6]|, v[22:23]
	v_add_f64 v[20:21], v[22:23], -v[20:21]
	v_add_f64 v[20:21], v[20:21], s[20:21]
	v_add_f64 v[22:23], v[18:19], v[20:21]
	v_add_f64 v[18:19], v[18:19], -v[22:23]
	v_add_f64 v[18:19], v[20:21], v[18:19]
	v_mul_f64 v[20:21], v[22:23], s[22:23]
	v_rndne_f64_e32 v[20:21], v[20:21]
	v_fma_f64 v[22:23], v[20:21], s[24:25], v[22:23]
	v_add_f64 v[24:25], v[18:19], v[22:23]
	v_add_f64 v[22:23], v[22:23], -v[24:25]
	v_add_f64 v[18:19], v[18:19], v[22:23]
	v_mul_f64 v[22:23], v[20:21], s[26:27]
	v_add_f64 v[26:27], v[24:25], -v[22:23]
	v_add_f64 v[24:25], v[24:25], -v[26:27]
	;; [unrolled: 1-line block ×3, first 2 shown]
	v_add_f64 v[18:19], v[18:19], v[22:23]
	v_add_f64 v[22:23], v[26:27], v[18:19]
	v_add_f64 v[24:25], v[26:27], -v[22:23]
	v_add_f64 v[18:19], v[18:19], v[24:25]
	v_mul_f64 v[24:25], v[20:21], s[28:29]
	v_add_f64 v[26:27], v[22:23], -v[24:25]
	v_add_f64 v[22:23], v[22:23], -v[26:27]
	;; [unrolled: 1-line block ×3, first 2 shown]
	v_add_f64 v[18:19], v[18:19], v[22:23]
	v_add_f64 v[22:23], v[26:27], v[18:19]
	v_add_f64 v[24:25], v[26:27], -v[22:23]
	v_mul_f64 v[26:27], v[22:23], v[22:23]
	v_add_f64 v[18:19], v[18:19], v[24:25]
	v_fma_f64 v[24:25], v[22:23], s[30:31], v[9:10]
	v_fma_f64 v[28:29], v[22:23], v[22:23], -v[26:27]
	v_add_f64 v[30:31], v[18:19], v[18:19]
	v_fma_f64 v[24:25], v[22:23], v[24:25], s[34:35]
	v_fma_f64 v[28:29], v[22:23], v[30:31], v[28:29]
	;; [unrolled: 1-line block ×3, first 2 shown]
	v_add_f64 v[30:31], v[26:27], v[28:29]
	v_fma_f64 v[24:25], v[22:23], v[24:25], s[38:39]
	v_add_f64 v[26:27], v[30:31], -v[26:27]
	v_fma_f64 v[24:25], v[22:23], v[24:25], s[40:41]
	v_add_f64 v[26:27], v[28:29], -v[26:27]
	v_fma_f64 v[24:25], v[22:23], v[24:25], s[42:43]
	v_fma_f64 v[24:25], v[22:23], v[24:25], s[44:45]
	;; [unrolled: 1-line block ×4, first 2 shown]
	v_mul_f64 v[28:29], v[30:31], v[24:25]
	v_fma_f64 v[30:31], v[30:31], v[24:25], -v[28:29]
	v_fma_f64 v[24:25], v[26:27], v[24:25], v[30:31]
	v_add_f64 v[26:27], v[28:29], v[24:25]
	v_add_f64 v[28:29], v[26:27], -v[28:29]
	v_add_f64 v[24:25], v[24:25], -v[28:29]
	v_add_f64 v[28:29], v[22:23], v[26:27]
	v_add_f64 v[18:19], v[18:19], v[24:25]
	v_add_f64 v[22:23], v[28:29], -v[22:23]
	v_add_f64 v[22:23], v[26:27], -v[22:23]
	v_add_f64 v[18:19], v[18:19], v[22:23]
	v_add_f64 v[22:23], v[28:29], v[18:19]
	v_add_f64 v[24:25], v[22:23], -v[28:29]
	v_add_f64 v[18:19], v[18:19], -v[24:25]
	v_add_f64 v[24:25], v[22:23], 1.0
	v_add_f64 v[26:27], v[24:25], -1.0
	v_add_f64 v[22:23], v[22:23], -v[26:27]
	v_add_f64 v[18:19], v[18:19], v[22:23]
	v_add_f64 v[22:23], v[24:25], v[18:19]
	v_add_f64 v[24:25], v[22:23], -v[24:25]
	v_add_f64 v[18:19], v[18:19], -v[24:25]
	v_cvt_i32_f64_e32 v24, v[20:21]
	v_ldexp_f64 v[20:21], v[22:23], v24
	v_ldexp_f64 v[18:19], v[18:19], v24
	v_rcp_f64_e32 v[22:23], v[20:21]
	v_fma_f64 v[24:25], -v[20:21], v[22:23], 1.0
	v_fma_f64 v[22:23], v[24:25], v[22:23], v[22:23]
	v_fma_f64 v[24:25], -v[20:21], v[22:23], 1.0
	v_fma_f64 v[22:23], v[24:25], v[22:23], v[22:23]
	v_mul_f64 v[24:25], v[20:21], v[22:23]
	v_fma_f64 v[26:27], v[22:23], v[20:21], -v[24:25]
	v_fma_f64 v[26:27], v[22:23], v[18:19], v[26:27]
	v_add_f64 v[28:29], v[24:25], v[26:27]
	v_add_f64 v[30:31], -v[28:29], 1.0
	v_add_f64 v[24:25], v[28:29], -v[24:25]
	v_add_f64 v[32:33], -v[30:31], 1.0
	v_add_f64 v[24:25], v[24:25], -v[26:27]
	v_add_f64 v[28:29], v[32:33], -v[28:29]
	v_add_f64 v[24:25], v[24:25], v[28:29]
	v_add_f64 v[26:27], v[30:31], v[24:25]
	v_add_f64 v[28:29], v[30:31], -v[26:27]
	v_add_f64 v[24:25], v[24:25], v[28:29]
	v_mul_f64 v[28:29], v[22:23], v[26:27]
	v_mul_f64 v[30:31], v[20:21], v[28:29]
	v_fma_f64 v[32:33], v[28:29], v[20:21], -v[30:31]
	v_fma_f64 v[32:33], v[28:29], v[18:19], v[32:33]
	v_add_f64 v[34:35], v[30:31], v[32:33]
	v_add_f64 v[36:37], v[26:27], -v[34:35]
	v_add_f64 v[30:31], v[34:35], -v[30:31]
	;; [unrolled: 1-line block ×4, first 2 shown]
	v_add_f64 v[24:25], v[24:25], v[26:27]
	v_add_f64 v[26:27], v[30:31], -v[32:33]
	v_add_f64 v[24:25], v[26:27], v[24:25]
	v_add_f64 v[26:27], v[22:23], v[28:29]
	;; [unrolled: 1-line block ×3, first 2 shown]
	v_mul_f64 v[24:25], v[22:23], v[24:25]
	v_add_f64 v[22:23], v[26:27], -v[22:23]
	v_add_f64 v[22:23], v[28:29], -v[22:23]
	v_add_f64 v[22:23], v[22:23], v[24:25]
	v_add_f64 v[24:25], v[26:27], v[22:23]
	v_add_f64 v[26:27], v[24:25], -v[26:27]
	v_ldexp_f64 v[24:25], v[24:25], -2
	v_add_f64 v[22:23], v[22:23], -v[26:27]
	v_add_f64 v[26:27], v[20:21], v[24:25]
	v_ldexp_f64 v[22:23], v[22:23], -2
	v_add_f64 v[20:21], v[26:27], -v[20:21]
	v_add_f64 v[18:19], v[18:19], v[22:23]
	v_add_f64 v[20:21], v[24:25], -v[20:21]
	v_add_f64 v[18:19], v[18:19], v[20:21]
	v_add_f64 v[18:19], v[26:27], v[18:19]
	v_cndmask_b32_e32 v6, v16, v19, vcc
	v_cndmask_b32_e32 v5, 0, v18, vcc
	v_add_f64 v[18:19], |v[7:8]|, s[16:17]
	v_cmp_nge_f64_e64 vcc, |v[7:8]|, s[50:51]
	v_add_f64 v[20:21], v[18:19], -|v[7:8]|
	v_add_f64 v[22:23], v[20:21], -v[18:19]
	v_add_f64 v[20:21], v[20:21], s[18:19]
	v_add_f64 v[22:23], |v[7:8]|, v[22:23]
	v_add_f64 v[20:21], v[22:23], -v[20:21]
	v_add_f64 v[20:21], v[20:21], s[20:21]
	v_add_f64 v[22:23], v[18:19], v[20:21]
	v_add_f64 v[18:19], v[18:19], -v[22:23]
	v_add_f64 v[18:19], v[20:21], v[18:19]
	v_mul_f64 v[20:21], v[22:23], s[22:23]
	v_rndne_f64_e32 v[20:21], v[20:21]
	v_fma_f64 v[22:23], v[20:21], s[24:25], v[22:23]
	v_add_f64 v[24:25], v[18:19], v[22:23]
	v_add_f64 v[22:23], v[22:23], -v[24:25]
	v_add_f64 v[18:19], v[18:19], v[22:23]
	v_mul_f64 v[22:23], v[20:21], s[26:27]
	v_add_f64 v[26:27], v[24:25], -v[22:23]
	v_add_f64 v[24:25], v[24:25], -v[26:27]
	v_add_f64 v[22:23], v[24:25], -v[22:23]
	v_add_f64 v[18:19], v[18:19], v[22:23]
	v_add_f64 v[22:23], v[26:27], v[18:19]
	v_add_f64 v[24:25], v[26:27], -v[22:23]
	v_add_f64 v[18:19], v[18:19], v[24:25]
	v_mul_f64 v[24:25], v[20:21], s[28:29]
	v_add_f64 v[26:27], v[22:23], -v[24:25]
	v_add_f64 v[22:23], v[22:23], -v[26:27]
	;; [unrolled: 1-line block ×3, first 2 shown]
	v_add_f64 v[18:19], v[18:19], v[22:23]
	v_add_f64 v[22:23], v[26:27], v[18:19]
	v_add_f64 v[24:25], v[26:27], -v[22:23]
	v_mul_f64 v[26:27], v[22:23], v[22:23]
	v_add_f64 v[18:19], v[18:19], v[24:25]
	v_fma_f64 v[24:25], v[22:23], s[30:31], v[9:10]
	v_fma_f64 v[28:29], v[22:23], v[22:23], -v[26:27]
	v_add_f64 v[30:31], v[18:19], v[18:19]
	v_fma_f64 v[24:25], v[22:23], v[24:25], s[34:35]
	v_fma_f64 v[28:29], v[22:23], v[30:31], v[28:29]
	;; [unrolled: 1-line block ×3, first 2 shown]
	v_add_f64 v[30:31], v[26:27], v[28:29]
	v_fma_f64 v[24:25], v[22:23], v[24:25], s[38:39]
	v_add_f64 v[26:27], v[30:31], -v[26:27]
	v_fma_f64 v[24:25], v[22:23], v[24:25], s[40:41]
	v_add_f64 v[26:27], v[28:29], -v[26:27]
	v_fma_f64 v[24:25], v[22:23], v[24:25], s[42:43]
	v_fma_f64 v[24:25], v[22:23], v[24:25], s[44:45]
	v_fma_f64 v[24:25], v[22:23], v[24:25], s[46:47]
	v_fma_f64 v[24:25], v[22:23], v[24:25], s[48:49]
	v_mul_f64 v[28:29], v[30:31], v[24:25]
	v_fma_f64 v[30:31], v[30:31], v[24:25], -v[28:29]
	v_fma_f64 v[24:25], v[26:27], v[24:25], v[30:31]
	v_add_f64 v[26:27], v[28:29], v[24:25]
	v_add_f64 v[28:29], v[26:27], -v[28:29]
	v_add_f64 v[24:25], v[24:25], -v[28:29]
	v_add_f64 v[28:29], v[22:23], v[26:27]
	v_add_f64 v[18:19], v[18:19], v[24:25]
	v_add_f64 v[22:23], v[28:29], -v[22:23]
	v_add_f64 v[22:23], v[26:27], -v[22:23]
	v_add_f64 v[18:19], v[18:19], v[22:23]
	v_add_f64 v[22:23], v[28:29], v[18:19]
	v_add_f64 v[24:25], v[22:23], -v[28:29]
	v_add_f64 v[18:19], v[18:19], -v[24:25]
	v_add_f64 v[24:25], v[22:23], 1.0
	v_add_f64 v[26:27], v[24:25], -1.0
	v_add_f64 v[22:23], v[22:23], -v[26:27]
	v_add_f64 v[18:19], v[18:19], v[22:23]
	v_add_f64 v[22:23], v[24:25], v[18:19]
	v_add_f64 v[24:25], v[22:23], -v[24:25]
	v_add_f64 v[18:19], v[18:19], -v[24:25]
	v_cvt_i32_f64_e32 v24, v[20:21]
	v_ldexp_f64 v[20:21], v[22:23], v24
	v_ldexp_f64 v[18:19], v[18:19], v24
	v_rcp_f64_e32 v[22:23], v[20:21]
	v_fma_f64 v[24:25], -v[20:21], v[22:23], 1.0
	v_fma_f64 v[22:23], v[24:25], v[22:23], v[22:23]
	v_fma_f64 v[24:25], -v[20:21], v[22:23], 1.0
	v_fma_f64 v[22:23], v[24:25], v[22:23], v[22:23]
	v_mul_f64 v[24:25], v[20:21], v[22:23]
	v_fma_f64 v[26:27], v[22:23], v[20:21], -v[24:25]
	v_fma_f64 v[26:27], v[22:23], v[18:19], v[26:27]
	v_add_f64 v[28:29], v[24:25], v[26:27]
	v_add_f64 v[30:31], -v[28:29], 1.0
	v_add_f64 v[24:25], v[28:29], -v[24:25]
	v_add_f64 v[32:33], -v[30:31], 1.0
	v_add_f64 v[24:25], v[24:25], -v[26:27]
	v_add_f64 v[28:29], v[32:33], -v[28:29]
	v_add_f64 v[24:25], v[24:25], v[28:29]
	v_add_f64 v[26:27], v[30:31], v[24:25]
	v_add_f64 v[28:29], v[30:31], -v[26:27]
	v_add_f64 v[24:25], v[24:25], v[28:29]
	v_mul_f64 v[28:29], v[22:23], v[26:27]
	v_mul_f64 v[30:31], v[20:21], v[28:29]
	v_fma_f64 v[32:33], v[28:29], v[20:21], -v[30:31]
	v_fma_f64 v[32:33], v[28:29], v[18:19], v[32:33]
	v_add_f64 v[34:35], v[30:31], v[32:33]
	v_add_f64 v[36:37], v[26:27], -v[34:35]
	v_add_f64 v[30:31], v[34:35], -v[30:31]
	;; [unrolled: 1-line block ×4, first 2 shown]
	v_add_f64 v[24:25], v[24:25], v[26:27]
	v_add_f64 v[26:27], v[30:31], -v[32:33]
	v_add_f64 v[24:25], v[26:27], v[24:25]
	v_add_f64 v[26:27], v[22:23], v[28:29]
	;; [unrolled: 1-line block ×3, first 2 shown]
	v_mul_f64 v[24:25], v[22:23], v[24:25]
	v_add_f64 v[22:23], v[26:27], -v[22:23]
	v_add_f64 v[22:23], v[28:29], -v[22:23]
	v_add_f64 v[22:23], v[22:23], v[24:25]
	v_add_f64 v[24:25], v[26:27], v[22:23]
	v_add_f64 v[26:27], v[24:25], -v[26:27]
	v_ldexp_f64 v[24:25], v[24:25], -2
	v_add_f64 v[22:23], v[22:23], -v[26:27]
	v_add_f64 v[26:27], v[20:21], v[24:25]
	v_ldexp_f64 v[22:23], v[22:23], -2
	v_add_f64 v[20:21], v[26:27], -v[20:21]
	v_add_f64 v[18:19], v[18:19], v[22:23]
	v_add_f64 v[20:21], v[24:25], -v[20:21]
	v_add_f64 v[18:19], v[18:19], v[20:21]
	v_add_f64 v[18:19], v[26:27], v[18:19]
	v_cndmask_b32_e32 v8, v16, v19, vcc
	v_cndmask_b32_e32 v7, 0, v18, vcc
	v_add_f64 v[18:19], |v[1:2]|, s[16:17]
	v_cmp_nge_f64_e64 vcc, |v[1:2]|, s[50:51]
	v_add_f64 v[20:21], v[18:19], -|v[1:2]|
	v_add_f64 v[22:23], v[20:21], -v[18:19]
	v_add_f64 v[20:21], v[20:21], s[18:19]
	v_add_f64 v[22:23], |v[1:2]|, v[22:23]
	v_add_f64 v[20:21], v[22:23], -v[20:21]
	v_add_f64 v[20:21], v[20:21], s[20:21]
	v_add_f64 v[22:23], v[18:19], v[20:21]
	v_add_f64 v[18:19], v[18:19], -v[22:23]
	v_add_f64 v[18:19], v[20:21], v[18:19]
	v_mul_f64 v[20:21], v[22:23], s[22:23]
	v_rndne_f64_e32 v[20:21], v[20:21]
	v_fma_f64 v[22:23], v[20:21], s[24:25], v[22:23]
	v_add_f64 v[24:25], v[18:19], v[22:23]
	v_add_f64 v[22:23], v[22:23], -v[24:25]
	v_add_f64 v[18:19], v[18:19], v[22:23]
	v_mul_f64 v[22:23], v[20:21], s[26:27]
	v_add_f64 v[26:27], v[24:25], -v[22:23]
	v_add_f64 v[24:25], v[24:25], -v[26:27]
	;; [unrolled: 1-line block ×3, first 2 shown]
	v_add_f64 v[18:19], v[18:19], v[22:23]
	v_add_f64 v[22:23], v[26:27], v[18:19]
	v_add_f64 v[24:25], v[26:27], -v[22:23]
	v_add_f64 v[18:19], v[18:19], v[24:25]
	v_mul_f64 v[24:25], v[20:21], s[28:29]
	v_add_f64 v[26:27], v[22:23], -v[24:25]
	v_add_f64 v[22:23], v[22:23], -v[26:27]
	;; [unrolled: 1-line block ×3, first 2 shown]
	v_add_f64 v[18:19], v[18:19], v[22:23]
	v_add_f64 v[22:23], v[26:27], v[18:19]
	v_add_f64 v[24:25], v[26:27], -v[22:23]
	v_mul_f64 v[26:27], v[22:23], v[22:23]
	v_add_f64 v[18:19], v[18:19], v[24:25]
	v_fma_f64 v[24:25], v[22:23], s[30:31], v[9:10]
	v_fma_f64 v[28:29], v[22:23], v[22:23], -v[26:27]
	v_add_f64 v[30:31], v[18:19], v[18:19]
	v_fma_f64 v[24:25], v[22:23], v[24:25], s[34:35]
	v_fma_f64 v[28:29], v[22:23], v[30:31], v[28:29]
	;; [unrolled: 1-line block ×3, first 2 shown]
	v_add_f64 v[30:31], v[26:27], v[28:29]
	v_fma_f64 v[24:25], v[22:23], v[24:25], s[38:39]
	v_add_f64 v[26:27], v[30:31], -v[26:27]
	v_fma_f64 v[24:25], v[22:23], v[24:25], s[40:41]
	v_add_f64 v[26:27], v[28:29], -v[26:27]
	v_fma_f64 v[24:25], v[22:23], v[24:25], s[42:43]
	v_fma_f64 v[24:25], v[22:23], v[24:25], s[44:45]
	;; [unrolled: 1-line block ×4, first 2 shown]
	v_mul_f64 v[28:29], v[30:31], v[24:25]
	v_fma_f64 v[30:31], v[30:31], v[24:25], -v[28:29]
	v_fma_f64 v[24:25], v[26:27], v[24:25], v[30:31]
	v_add_f64 v[26:27], v[28:29], v[24:25]
	v_add_f64 v[28:29], v[26:27], -v[28:29]
	v_add_f64 v[24:25], v[24:25], -v[28:29]
	v_add_f64 v[28:29], v[22:23], v[26:27]
	v_add_f64 v[18:19], v[18:19], v[24:25]
	v_add_f64 v[22:23], v[28:29], -v[22:23]
	v_add_f64 v[22:23], v[26:27], -v[22:23]
	v_add_f64 v[18:19], v[18:19], v[22:23]
	v_add_f64 v[22:23], v[28:29], v[18:19]
	v_add_f64 v[24:25], v[22:23], -v[28:29]
	v_add_f64 v[18:19], v[18:19], -v[24:25]
	v_add_f64 v[24:25], v[22:23], 1.0
	v_add_f64 v[26:27], v[24:25], -1.0
	v_add_f64 v[22:23], v[22:23], -v[26:27]
	v_add_f64 v[18:19], v[18:19], v[22:23]
	v_add_f64 v[22:23], v[24:25], v[18:19]
	v_add_f64 v[24:25], v[22:23], -v[24:25]
	v_add_f64 v[18:19], v[18:19], -v[24:25]
	v_cvt_i32_f64_e32 v24, v[20:21]
	v_ldexp_f64 v[20:21], v[22:23], v24
	v_ldexp_f64 v[18:19], v[18:19], v24
	v_rcp_f64_e32 v[22:23], v[20:21]
	v_fma_f64 v[24:25], -v[20:21], v[22:23], 1.0
	v_fma_f64 v[22:23], v[24:25], v[22:23], v[22:23]
	v_fma_f64 v[24:25], -v[20:21], v[22:23], 1.0
	v_fma_f64 v[22:23], v[24:25], v[22:23], v[22:23]
	v_mul_f64 v[24:25], v[20:21], v[22:23]
	v_fma_f64 v[26:27], v[22:23], v[20:21], -v[24:25]
	v_fma_f64 v[26:27], v[22:23], v[18:19], v[26:27]
	v_add_f64 v[28:29], v[24:25], v[26:27]
	v_add_f64 v[30:31], -v[28:29], 1.0
	v_add_f64 v[24:25], v[28:29], -v[24:25]
	v_add_f64 v[32:33], -v[30:31], 1.0
	v_add_f64 v[24:25], v[24:25], -v[26:27]
	v_add_f64 v[28:29], v[32:33], -v[28:29]
	v_add_f64 v[24:25], v[24:25], v[28:29]
	v_add_f64 v[26:27], v[30:31], v[24:25]
	v_add_f64 v[28:29], v[30:31], -v[26:27]
	v_add_f64 v[24:25], v[24:25], v[28:29]
	v_mul_f64 v[28:29], v[22:23], v[26:27]
	v_mul_f64 v[30:31], v[20:21], v[28:29]
	v_fma_f64 v[32:33], v[28:29], v[20:21], -v[30:31]
	v_fma_f64 v[32:33], v[28:29], v[18:19], v[32:33]
	v_add_f64 v[34:35], v[30:31], v[32:33]
	v_add_f64 v[36:37], v[26:27], -v[34:35]
	v_add_f64 v[30:31], v[34:35], -v[30:31]
	;; [unrolled: 1-line block ×4, first 2 shown]
	v_add_f64 v[24:25], v[24:25], v[26:27]
	v_add_f64 v[26:27], v[30:31], -v[32:33]
	v_add_f64 v[24:25], v[26:27], v[24:25]
	v_add_f64 v[26:27], v[22:23], v[28:29]
	;; [unrolled: 1-line block ×3, first 2 shown]
	v_mul_f64 v[24:25], v[22:23], v[24:25]
	v_add_f64 v[22:23], v[26:27], -v[22:23]
	v_add_f64 v[22:23], v[28:29], -v[22:23]
	v_add_f64 v[22:23], v[22:23], v[24:25]
	v_add_f64 v[24:25], v[26:27], v[22:23]
	v_add_f64 v[26:27], v[24:25], -v[26:27]
	v_ldexp_f64 v[24:25], v[24:25], -2
	v_add_f64 v[22:23], v[22:23], -v[26:27]
	v_add_f64 v[26:27], v[20:21], v[24:25]
	v_ldexp_f64 v[22:23], v[22:23], -2
	v_add_f64 v[20:21], v[26:27], -v[20:21]
	v_add_f64 v[18:19], v[18:19], v[22:23]
	v_add_f64 v[20:21], v[24:25], -v[20:21]
	v_add_f64 v[18:19], v[18:19], v[20:21]
	v_add_f64 v[18:19], v[26:27], v[18:19]
	v_cndmask_b32_e32 v2, v16, v19, vcc
	v_cndmask_b32_e32 v1, 0, v18, vcc
	v_add_f64 v[18:19], |v[3:4]|, s[16:17]
	v_cmp_nge_f64_e64 vcc, |v[3:4]|, s[50:51]
	v_add_f64 v[20:21], v[18:19], -|v[3:4]|
	v_add_f64 v[22:23], v[20:21], -v[18:19]
	v_add_f64 v[20:21], v[20:21], s[18:19]
	v_add_f64 v[22:23], |v[3:4]|, v[22:23]
	v_add_f64 v[20:21], v[22:23], -v[20:21]
	v_add_f64 v[20:21], v[20:21], s[20:21]
	v_add_f64 v[22:23], v[18:19], v[20:21]
	v_add_f64 v[18:19], v[18:19], -v[22:23]
	v_add_f64 v[18:19], v[20:21], v[18:19]
	v_mul_f64 v[20:21], v[22:23], s[22:23]
	v_rndne_f64_e32 v[20:21], v[20:21]
	v_fma_f64 v[22:23], v[20:21], s[24:25], v[22:23]
	v_add_f64 v[24:25], v[18:19], v[22:23]
	v_add_f64 v[22:23], v[22:23], -v[24:25]
	v_add_f64 v[18:19], v[18:19], v[22:23]
	v_mul_f64 v[22:23], v[20:21], s[26:27]
	v_add_f64 v[26:27], v[24:25], -v[22:23]
	v_add_f64 v[24:25], v[24:25], -v[26:27]
	v_add_f64 v[22:23], v[24:25], -v[22:23]
	v_add_f64 v[18:19], v[18:19], v[22:23]
	v_add_f64 v[22:23], v[26:27], v[18:19]
	v_add_f64 v[24:25], v[26:27], -v[22:23]
	v_add_f64 v[18:19], v[18:19], v[24:25]
	v_mul_f64 v[24:25], v[20:21], s[28:29]
	v_add_f64 v[26:27], v[22:23], -v[24:25]
	v_add_f64 v[22:23], v[22:23], -v[26:27]
	;; [unrolled: 1-line block ×3, first 2 shown]
	v_add_f64 v[18:19], v[18:19], v[22:23]
	v_add_f64 v[22:23], v[26:27], v[18:19]
	v_add_f64 v[24:25], v[26:27], -v[22:23]
	v_mul_f64 v[26:27], v[22:23], v[22:23]
	v_add_f64 v[18:19], v[18:19], v[24:25]
	v_fma_f64 v[24:25], v[22:23], s[30:31], v[9:10]
	v_fma_f64 v[28:29], v[22:23], v[22:23], -v[26:27]
	v_add_f64 v[30:31], v[18:19], v[18:19]
	v_fma_f64 v[24:25], v[22:23], v[24:25], s[34:35]
	v_fma_f64 v[28:29], v[22:23], v[30:31], v[28:29]
	;; [unrolled: 1-line block ×3, first 2 shown]
	v_add_f64 v[30:31], v[26:27], v[28:29]
	v_fma_f64 v[24:25], v[22:23], v[24:25], s[38:39]
	v_add_f64 v[26:27], v[30:31], -v[26:27]
	v_fma_f64 v[24:25], v[22:23], v[24:25], s[40:41]
	v_add_f64 v[26:27], v[28:29], -v[26:27]
	v_fma_f64 v[24:25], v[22:23], v[24:25], s[42:43]
	v_fma_f64 v[24:25], v[22:23], v[24:25], s[44:45]
	;; [unrolled: 1-line block ×4, first 2 shown]
	v_mul_f64 v[28:29], v[30:31], v[24:25]
	v_fma_f64 v[30:31], v[30:31], v[24:25], -v[28:29]
	v_fma_f64 v[24:25], v[26:27], v[24:25], v[30:31]
	v_add_f64 v[26:27], v[28:29], v[24:25]
	v_add_f64 v[28:29], v[26:27], -v[28:29]
	v_add_f64 v[24:25], v[24:25], -v[28:29]
	v_add_f64 v[28:29], v[22:23], v[26:27]
	v_add_f64 v[18:19], v[18:19], v[24:25]
	v_add_f64 v[22:23], v[28:29], -v[22:23]
	v_add_f64 v[22:23], v[26:27], -v[22:23]
	v_add_f64 v[18:19], v[18:19], v[22:23]
	v_add_f64 v[22:23], v[28:29], v[18:19]
	v_add_f64 v[24:25], v[22:23], -v[28:29]
	v_add_f64 v[18:19], v[18:19], -v[24:25]
	v_add_f64 v[24:25], v[22:23], 1.0
	v_add_f64 v[26:27], v[24:25], -1.0
	v_add_f64 v[22:23], v[22:23], -v[26:27]
	v_add_f64 v[18:19], v[18:19], v[22:23]
	v_add_f64 v[22:23], v[24:25], v[18:19]
	v_add_f64 v[24:25], v[22:23], -v[24:25]
	v_add_f64 v[18:19], v[18:19], -v[24:25]
	v_cvt_i32_f64_e32 v24, v[20:21]
	v_ldexp_f64 v[20:21], v[22:23], v24
	v_ldexp_f64 v[18:19], v[18:19], v24
	v_rcp_f64_e32 v[22:23], v[20:21]
	v_fma_f64 v[24:25], -v[20:21], v[22:23], 1.0
	v_fma_f64 v[22:23], v[24:25], v[22:23], v[22:23]
	v_fma_f64 v[24:25], -v[20:21], v[22:23], 1.0
	v_fma_f64 v[22:23], v[24:25], v[22:23], v[22:23]
	v_mul_f64 v[24:25], v[20:21], v[22:23]
	v_fma_f64 v[26:27], v[22:23], v[20:21], -v[24:25]
	v_fma_f64 v[26:27], v[22:23], v[18:19], v[26:27]
	v_add_f64 v[28:29], v[24:25], v[26:27]
	v_add_f64 v[30:31], -v[28:29], 1.0
	v_add_f64 v[24:25], v[28:29], -v[24:25]
	v_add_f64 v[32:33], -v[30:31], 1.0
	v_add_f64 v[24:25], v[24:25], -v[26:27]
	v_add_f64 v[28:29], v[32:33], -v[28:29]
	v_add_f64 v[24:25], v[24:25], v[28:29]
	v_add_f64 v[26:27], v[30:31], v[24:25]
	v_add_f64 v[28:29], v[30:31], -v[26:27]
	v_add_f64 v[24:25], v[24:25], v[28:29]
	v_mul_f64 v[28:29], v[22:23], v[26:27]
	v_mul_f64 v[30:31], v[20:21], v[28:29]
	v_fma_f64 v[32:33], v[28:29], v[20:21], -v[30:31]
	v_fma_f64 v[32:33], v[28:29], v[18:19], v[32:33]
	v_add_f64 v[34:35], v[30:31], v[32:33]
	v_add_f64 v[36:37], v[26:27], -v[34:35]
	v_add_f64 v[30:31], v[34:35], -v[30:31]
	;; [unrolled: 1-line block ×4, first 2 shown]
	v_add_f64 v[24:25], v[24:25], v[26:27]
	v_add_f64 v[26:27], v[30:31], -v[32:33]
	v_add_f64 v[24:25], v[26:27], v[24:25]
	v_add_f64 v[26:27], v[22:23], v[28:29]
	;; [unrolled: 1-line block ×3, first 2 shown]
	v_mul_f64 v[24:25], v[22:23], v[24:25]
	v_add_f64 v[22:23], v[26:27], -v[22:23]
	v_add_f64 v[22:23], v[28:29], -v[22:23]
	v_add_f64 v[22:23], v[22:23], v[24:25]
	v_add_f64 v[24:25], v[26:27], v[22:23]
	v_add_f64 v[26:27], v[24:25], -v[26:27]
	v_ldexp_f64 v[24:25], v[24:25], -2
	v_add_f64 v[22:23], v[22:23], -v[26:27]
	v_add_f64 v[26:27], v[20:21], v[24:25]
	v_ldexp_f64 v[22:23], v[22:23], -2
	v_add_f64 v[20:21], v[26:27], -v[20:21]
	v_add_f64 v[18:19], v[18:19], v[22:23]
	v_add_f64 v[20:21], v[24:25], -v[20:21]
	v_add_f64 v[18:19], v[18:19], v[20:21]
	v_add_f64 v[18:19], v[26:27], v[18:19]
	v_cndmask_b32_e32 v4, v16, v19, vcc
	v_cndmask_b32_e32 v3, 0, v18, vcc
	v_add_co_u32_e32 v18, vcc, s0, v13
	v_addc_co_u32_e32 v19, vcc, v17, v14, vcc
	v_add_co_u32_e32 v11, vcc, s33, v11
	v_addc_co_u32_e32 v12, vcc, 0, v12, vcc
	global_store_dwordx4 v[18:19], v[5:8], off
	global_store_dwordx4 v[18:19], v[1:4], off offset:16
	v_add_co_u32_e32 v13, vcc, s52, v13
	v_lshlrev_b64 v[1:2], 2, v[11:12]
	v_addc_co_u32_e32 v14, vcc, 0, v14, vcc
	v_cmp_le_i64_e32 vcc, s[10:11], v[1:2]
	s_or_b64 s[14:15], vcc, s[14:15]
	s_andn2_b64 exec, exec, s[14:15]
	s_cbranch_execnz .LBB77_3
.LBB77_4:
	s_or_b64 exec, exec, s[12:13]
	s_mov_b64 s[10:11], 0
.LBB77_5:
	s_andn2_b64 vcc, exec, s[10:11]
	s_cbranch_vccnz .LBB77_25
; %bb.6:
	v_cmp_lt_i64_e64 s[10:11], s[6:7], 1
	s_and_b64 vcc, exec, s[10:11]
	s_cbranch_vccnz .LBB77_25
; %bb.7:
	v_mov_b32_e32 v1, 0x10000
	s_load_dword s12, s[4:5], 0xc5c
	v_mov_b32_e32 v2, 0
	v_cmp_lt_i64_e32 vcc, s[6:7], v[1:2]
	v_mov_b32_e32 v3, 0
	s_and_b64 s[4:5], vcc, exec
	v_cmp_lt_u64_e32 vcc, s[6:7], v[1:2]
	s_cselect_b32 s11, s7, 0
	s_cselect_b32 s10, s6, 0x10000
	s_waitcnt lgkmcnt(0)
	s_and_b32 s14, s12, 0xffff
	v_lshlrev_b32_e32 v2, 3, v0
	s_and_b64 s[4:5], vcc, exec
	v_mov_b32_e32 v1, s3
	v_add_co_u32_e32 v11, vcc, s2, v2
	v_mad_u64_u32 v[3:4], s[4:5], s14, 24, v[2:3]
	v_addc_co_u32_e32 v12, vcc, 0, v1, vcc
	v_mov_b32_e32 v1, s1
	v_add_co_u32_e32 v13, vcc, s0, v2
	v_addc_co_u32_e32 v14, vcc, 0, v1, vcc
	v_mov_b32_e32 v1, s3
	v_add_co_u32_e32 v15, vcc, s2, v3
	;; [unrolled: 3-line block ×3, first 2 shown]
	s_cselect_b32 s13, s7, 0
	s_cselect_b32 s12, s6, 0x10000
	v_addc_co_u32_e32 v18, vcc, v1, v4, vcc
	s_lshl_b32 s4, s14, 4
	v_add_co_u32_e32 v1, vcc, s4, v2
	v_addc_co_u32_e64 v2, s[4:5], 0, 0, vcc
	v_mov_b32_e32 v3, s3
	v_add_co_u32_e32 v19, vcc, s2, v1
	v_addc_co_u32_e32 v20, vcc, v3, v2, vcc
	v_mov_b32_e32 v3, s1
	v_add_co_u32_e32 v21, vcc, s0, v1
	v_addc_co_u32_e32 v22, vcc, v3, v2, vcc
	v_add_co_u32_e32 v23, vcc, s14, v0
	v_lshlrev_b32_e32 v1, 3, v23
	v_addc_co_u32_e64 v24, s[4:5], 0, 0, vcc
	v_mov_b32_e32 v2, s3
	v_add_co_u32_e32 v25, vcc, s2, v1
	v_addc_co_u32_e32 v26, vcc, 0, v2, vcc
	v_mov_b32_e32 v2, s1
	v_add_co_u32_e32 v27, vcc, s0, v1
	s_mul_i32 s7, s14, 3
	v_addc_co_u32_e32 v28, vcc, 0, v2, vcc
	s_lshl_b32 s6, s14, 1
	v_add_co_u32_e32 v29, vcc, s7, v0
	s_mov_b32 s16, 0xfefa39ef
	s_mov_b32 s20, 0x3b39803f
	;; [unrolled: 1-line block ×15, first 2 shown]
	v_addc_co_u32_e64 v30, s[0:1], 0, 0, vcc
	v_add_co_u32_e32 v31, vcc, s6, v0
	s_lshl_b32 s33, s14, 2
	s_lshl_b32 s54, s14, 5
	s_mov_b64 s[14:15], 0
	s_mov_b32 s17, 0xbfe62e42
	s_mov_b32 s19, 0x3fe62e42
	;; [unrolled: 1-line block ×17, first 2 shown]
	v_mov_b32_e32 v1, 0xfca7ab0c
	v_mov_b32_e32 v2, 0x3e928af3
	v_addc_co_u32_e64 v32, s[0:1], 0, 0, vcc
	v_mov_b32_e32 v33, 0x7ff00000
	s_branch .LBB77_9
.LBB77_8:                               ;   in Loop: Header=BB77_9 Depth=1
	s_or_b64 exec, exec, s[0:1]
	v_add_co_u32_e32 v11, vcc, s54, v11
	v_addc_co_u32_e32 v12, vcc, 0, v12, vcc
	v_add_co_u32_e32 v13, vcc, s54, v13
	v_addc_co_u32_e32 v14, vcc, 0, v14, vcc
	;; [unrolled: 2-line block ×6, first 2 shown]
	s_add_u32 s14, s14, s33
	v_add_co_u32_e32 v25, vcc, s54, v25
	v_mov_b32_e32 v3, s10
	s_addc_u32 s15, s15, 0
	v_addc_co_u32_e32 v26, vcc, 0, v26, vcc
	v_mov_b32_e32 v4, s11
	v_cmp_ge_i64_e32 vcc, s[14:15], v[3:4]
	v_add_co_u32_e64 v27, s[0:1], s54, v27
	v_addc_co_u32_e64 v28, s[0:1], 0, v28, s[0:1]
	s_cbranch_vccnz .LBB77_25
.LBB77_9:                               ; =>This Inner Loop Header: Depth=1
	v_mov_b32_e32 v4, s15
	v_add_co_u32_e32 v3, vcc, s14, v0
	v_addc_co_u32_e32 v4, vcc, 0, v4, vcc
	v_cmp_gt_u64_e64 s[4:5], s[12:13], v[3:4]
	v_mov_b32_e32 v7, 0
	v_mov_b32_e32 v9, 0
	;; [unrolled: 1-line block ×4, first 2 shown]
	s_and_saveexec_b64 s[0:1], s[4:5]
	s_cbranch_execz .LBB77_11
; %bb.10:                               ;   in Loop: Header=BB77_9 Depth=1
	v_mov_b32_e32 v4, s9
	v_add_co_u32_e32 v3, vcc, s8, v11
	v_addc_co_u32_e32 v4, vcc, v12, v4, vcc
	global_load_dwordx2 v[9:10], v[3:4], off
	s_waitcnt vmcnt(0)
	v_and_b32_e32 v10, 0x7fffffff, v10
.LBB77_11:                              ;   in Loop: Header=BB77_9 Depth=1
	s_or_b64 exec, exec, s[0:1]
	v_mov_b32_e32 v4, s15
	v_add_co_u32_e32 v3, vcc, s14, v23
	v_addc_co_u32_e32 v4, vcc, v24, v4, vcc
	v_cmp_gt_u64_e64 s[2:3], s[12:13], v[3:4]
	s_and_saveexec_b64 s[0:1], s[2:3]
	s_cbranch_execz .LBB77_13
; %bb.12:                               ;   in Loop: Header=BB77_9 Depth=1
	v_mov_b32_e32 v4, s9
	v_add_co_u32_e32 v3, vcc, s8, v25
	v_addc_co_u32_e32 v4, vcc, v26, v4, vcc
	global_load_dwordx2 v[7:8], v[3:4], off
	s_waitcnt vmcnt(0)
	v_and_b32_e32 v8, 0x7fffffff, v8
.LBB77_13:                              ;   in Loop: Header=BB77_9 Depth=1
	s_or_b64 exec, exec, s[0:1]
	v_mov_b32_e32 v4, s15
	v_add_co_u32_e32 v3, vcc, s14, v31
	v_addc_co_u32_e32 v4, vcc, v32, v4, vcc
	v_cmp_gt_u64_e64 s[0:1], s[12:13], v[3:4]
	v_mov_b32_e32 v3, 0
	v_mov_b32_e32 v5, 0
	v_mov_b32_e32 v4, 0
	v_mov_b32_e32 v6, 0
	s_and_saveexec_b64 s[6:7], s[0:1]
	s_cbranch_execz .LBB77_15
; %bb.14:                               ;   in Loop: Header=BB77_9 Depth=1
	v_mov_b32_e32 v6, s9
	v_add_co_u32_e32 v5, vcc, s8, v19
	v_addc_co_u32_e32 v6, vcc, v20, v6, vcc
	global_load_dwordx2 v[5:6], v[5:6], off
	s_waitcnt vmcnt(0)
	v_and_b32_e32 v6, 0x7fffffff, v6
.LBB77_15:                              ;   in Loop: Header=BB77_9 Depth=1
	s_or_b64 exec, exec, s[6:7]
	v_mov_b32_e32 v35, s15
	v_add_co_u32_e32 v34, vcc, s14, v29
	v_addc_co_u32_e32 v35, vcc, v30, v35, vcc
	v_cmp_gt_u64_e32 vcc, s[12:13], v[34:35]
	s_and_saveexec_b64 s[52:53], vcc
	s_cbranch_execnz .LBB77_20
; %bb.16:                               ;   in Loop: Header=BB77_9 Depth=1
	s_or_b64 exec, exec, s[52:53]
	s_and_saveexec_b64 s[52:53], s[4:5]
	s_cbranch_execnz .LBB77_21
.LBB77_17:                              ;   in Loop: Header=BB77_9 Depth=1
	s_or_b64 exec, exec, s[52:53]
	s_and_saveexec_b64 s[4:5], s[2:3]
	s_cbranch_execnz .LBB77_22
.LBB77_18:                              ;   in Loop: Header=BB77_9 Depth=1
	s_or_b64 exec, exec, s[4:5]
	s_and_saveexec_b64 s[2:3], s[0:1]
	s_cbranch_execnz .LBB77_23
.LBB77_19:                              ;   in Loop: Header=BB77_9 Depth=1
	s_or_b64 exec, exec, s[2:3]
	s_and_saveexec_b64 s[0:1], vcc
	s_cbranch_execz .LBB77_8
	s_branch .LBB77_24
.LBB77_20:                              ;   in Loop: Header=BB77_9 Depth=1
	v_mov_b32_e32 v4, s9
	v_add_co_u32_e64 v3, s[6:7], s8, v15
	v_addc_co_u32_e64 v4, s[6:7], v16, v4, s[6:7]
	global_load_dwordx2 v[3:4], v[3:4], off
	s_waitcnt vmcnt(0)
	v_and_b32_e32 v4, 0x7fffffff, v4
	s_or_b64 exec, exec, s[52:53]
	s_and_saveexec_b64 s[52:53], s[4:5]
	s_cbranch_execz .LBB77_17
.LBB77_21:                              ;   in Loop: Header=BB77_9 Depth=1
	v_add_f64 v[34:35], v[9:10], s[16:17]
	s_mov_b32 s18, s16
	s_mov_b32 s25, s17
	v_cmp_nle_f64_e64 s[4:5], s[50:51], v[9:10]
	v_add_f64 v[36:37], v[34:35], -v[9:10]
	v_add_f64 v[38:39], v[36:37], -v[34:35]
	v_add_f64 v[36:37], v[36:37], s[18:19]
	v_add_f64 v[38:39], v[9:10], v[38:39]
	v_add_f64 v[36:37], v[38:39], -v[36:37]
	v_add_f64 v[36:37], v[36:37], s[20:21]
	v_add_f64 v[38:39], v[34:35], v[36:37]
	v_mul_f64 v[40:41], v[38:39], s[22:23]
	v_add_f64 v[34:35], v[34:35], -v[38:39]
	v_rndne_f64_e32 v[40:41], v[40:41]
	v_add_f64 v[34:35], v[36:37], v[34:35]
	v_fma_f64 v[36:37], v[40:41], s[24:25], v[38:39]
	v_mul_f64 v[38:39], v[40:41], s[26:27]
	v_add_f64 v[42:43], v[34:35], v[36:37]
	v_add_f64 v[44:45], v[42:43], v[38:39]
	v_add_f64 v[36:37], v[36:37], -v[42:43]
	v_add_f64 v[42:43], v[42:43], -v[44:45]
	v_add_f64 v[34:35], v[34:35], v[36:37]
	v_add_f64 v[36:37], v[42:43], v[38:39]
	;; [unrolled: 1-line block ×3, first 2 shown]
	v_mul_f64 v[36:37], v[40:41], s[28:29]
	v_add_f64 v[38:39], v[44:45], v[34:35]
	v_add_f64 v[42:43], v[38:39], v[36:37]
	v_add_f64 v[44:45], v[44:45], -v[38:39]
	v_add_f64 v[38:39], v[38:39], -v[42:43]
	v_add_f64 v[34:35], v[34:35], v[44:45]
	v_add_f64 v[36:37], v[38:39], v[36:37]
	v_add_f64 v[34:35], v[34:35], v[36:37]
	v_add_f64 v[36:37], v[42:43], v[34:35]
	v_fma_f64 v[38:39], v[36:37], s[30:31], v[1:2]
	v_add_f64 v[42:43], v[42:43], -v[36:37]
	v_mul_f64 v[44:45], v[36:37], v[36:37]
	v_fma_f64 v[38:39], v[36:37], v[38:39], s[34:35]
	v_add_f64 v[34:35], v[34:35], v[42:43]
	v_fma_f64 v[42:43], v[36:37], v[36:37], -v[44:45]
	v_fma_f64 v[38:39], v[36:37], v[38:39], s[36:37]
	v_add_f64 v[46:47], v[34:35], v[34:35]
	v_fma_f64 v[38:39], v[36:37], v[38:39], s[38:39]
	v_fma_f64 v[42:43], v[36:37], v[46:47], v[42:43]
	;; [unrolled: 1-line block ×3, first 2 shown]
	v_add_f64 v[46:47], v[44:45], v[42:43]
	v_fma_f64 v[38:39], v[36:37], v[38:39], s[42:43]
	v_add_f64 v[44:45], v[46:47], -v[44:45]
	v_fma_f64 v[38:39], v[36:37], v[38:39], s[44:45]
	v_add_f64 v[42:43], v[42:43], -v[44:45]
	v_fma_f64 v[38:39], v[36:37], v[38:39], s[46:47]
	v_fma_f64 v[38:39], v[36:37], v[38:39], s[48:49]
	v_mul_f64 v[48:49], v[46:47], v[38:39]
	v_fma_f64 v[44:45], v[46:47], v[38:39], -v[48:49]
	v_fma_f64 v[38:39], v[42:43], v[38:39], v[44:45]
	v_add_f64 v[42:43], v[48:49], v[38:39]
	v_add_f64 v[44:45], v[42:43], -v[48:49]
	v_add_f64 v[46:47], v[36:37], v[42:43]
	v_add_f64 v[38:39], v[38:39], -v[44:45]
	v_add_f64 v[36:37], v[46:47], -v[36:37]
	v_add_f64 v[34:35], v[34:35], v[38:39]
	v_add_f64 v[36:37], v[42:43], -v[36:37]
	v_add_f64 v[34:35], v[34:35], v[36:37]
	v_add_f64 v[36:37], v[46:47], v[34:35]
	v_add_f64 v[38:39], v[36:37], 1.0
	v_add_f64 v[42:43], v[36:37], -v[46:47]
	v_cvt_i32_f64_e32 v46, v[40:41]
	v_add_f64 v[44:45], v[38:39], -1.0
	v_add_f64 v[34:35], v[34:35], -v[42:43]
	v_add_f64 v[36:37], v[36:37], -v[44:45]
	v_add_f64 v[34:35], v[34:35], v[36:37]
	v_add_f64 v[36:37], v[38:39], v[34:35]
	v_ldexp_f64 v[40:41], v[36:37], v46
	v_add_f64 v[36:37], v[36:37], -v[38:39]
	v_rcp_f64_e32 v[42:43], v[40:41]
	v_add_f64 v[34:35], v[34:35], -v[36:37]
	v_ldexp_f64 v[34:35], v[34:35], v46
	v_fma_f64 v[44:45], -v[40:41], v[42:43], 1.0
	v_fma_f64 v[42:43], v[44:45], v[42:43], v[42:43]
	v_fma_f64 v[44:45], -v[40:41], v[42:43], 1.0
	v_fma_f64 v[38:39], v[44:45], v[42:43], v[42:43]
	v_mul_f64 v[36:37], v[40:41], v[38:39]
	v_fma_f64 v[42:43], v[38:39], v[40:41], -v[36:37]
	v_fma_f64 v[42:43], v[38:39], v[34:35], v[42:43]
	v_add_f64 v[44:45], v[36:37], v[42:43]
	v_add_f64 v[46:47], -v[44:45], 1.0
	v_add_f64 v[36:37], v[44:45], -v[36:37]
	v_add_f64 v[48:49], -v[46:47], 1.0
	v_add_f64 v[36:37], v[36:37], -v[42:43]
	v_add_f64 v[42:43], v[48:49], -v[44:45]
	v_add_f64 v[36:37], v[36:37], v[42:43]
	v_add_f64 v[42:43], v[46:47], v[36:37]
	v_mul_f64 v[44:45], v[38:39], v[42:43]
	v_add_f64 v[46:47], v[46:47], -v[42:43]
	v_mul_f64 v[48:49], v[40:41], v[44:45]
	v_add_f64 v[36:37], v[36:37], v[46:47]
	v_fma_f64 v[50:51], v[44:45], v[40:41], -v[48:49]
	v_fma_f64 v[50:51], v[44:45], v[34:35], v[50:51]
	v_add_f64 v[52:53], v[48:49], v[50:51]
	v_add_f64 v[54:55], v[42:43], -v[52:53]
	v_add_f64 v[46:47], v[52:53], -v[48:49]
	;; [unrolled: 1-line block ×5, first 2 shown]
	v_add_f64 v[36:37], v[36:37], v[42:43]
	v_add_f64 v[42:43], v[38:39], v[44:45]
	;; [unrolled: 1-line block ×3, first 2 shown]
	v_add_f64 v[46:47], v[42:43], -v[38:39]
	v_add_f64 v[36:37], v[54:55], v[36:37]
	v_add_f64 v[44:45], v[44:45], -v[46:47]
	v_mul_f64 v[36:37], v[38:39], v[36:37]
	v_add_f64 v[36:37], v[44:45], v[36:37]
	v_add_f64 v[38:39], v[42:43], v[36:37]
	v_add_f64 v[42:43], v[38:39], -v[42:43]
	v_ldexp_f64 v[38:39], v[38:39], -2
	v_add_f64 v[36:37], v[36:37], -v[42:43]
	v_add_f64 v[42:43], v[40:41], v[38:39]
	v_ldexp_f64 v[36:37], v[36:37], -2
	v_add_f64 v[40:41], v[42:43], -v[40:41]
	v_add_f64 v[34:35], v[34:35], v[36:37]
	v_add_f64 v[36:37], v[38:39], -v[40:41]
	v_add_f64 v[34:35], v[34:35], v[36:37]
	v_add_f64 v[9:10], v[42:43], v[34:35]
	v_mov_b32_e32 v35, s9
	v_add_co_u32_e64 v34, s[6:7], s8, v13
	v_cndmask_b32_e64 v10, v33, v10, s[4:5]
	v_cndmask_b32_e64 v9, 0, v9, s[4:5]
	v_addc_co_u32_e64 v35, s[4:5], v14, v35, s[6:7]
	global_store_dwordx2 v[34:35], v[9:10], off
	s_or_b64 exec, exec, s[52:53]
	s_and_saveexec_b64 s[4:5], s[2:3]
	s_cbranch_execz .LBB77_18
.LBB77_22:                              ;   in Loop: Header=BB77_9 Depth=1
	v_add_f64 v[9:10], v[7:8], s[16:17]
	s_mov_b32 s18, s16
	s_mov_b32 s25, s17
	v_cmp_nle_f64_e64 s[2:3], s[50:51], v[7:8]
	v_add_f64 v[34:35], v[9:10], -v[7:8]
	v_add_f64 v[36:37], v[34:35], -v[9:10]
	v_add_f64 v[34:35], v[34:35], s[18:19]
	v_add_f64 v[36:37], v[7:8], v[36:37]
	v_add_f64 v[34:35], v[36:37], -v[34:35]
	v_add_f64 v[34:35], v[34:35], s[20:21]
	v_add_f64 v[36:37], v[9:10], v[34:35]
	v_mul_f64 v[38:39], v[36:37], s[22:23]
	v_add_f64 v[9:10], v[9:10], -v[36:37]
	v_rndne_f64_e32 v[38:39], v[38:39]
	v_add_f64 v[9:10], v[34:35], v[9:10]
	v_fma_f64 v[34:35], v[38:39], s[24:25], v[36:37]
	v_mul_f64 v[36:37], v[38:39], s[26:27]
	v_add_f64 v[40:41], v[9:10], v[34:35]
	v_add_f64 v[42:43], v[40:41], v[36:37]
	v_add_f64 v[34:35], v[34:35], -v[40:41]
	v_add_f64 v[40:41], v[40:41], -v[42:43]
	v_add_f64 v[9:10], v[9:10], v[34:35]
	v_add_f64 v[34:35], v[40:41], v[36:37]
	;; [unrolled: 1-line block ×3, first 2 shown]
	v_mul_f64 v[34:35], v[38:39], s[28:29]
	v_add_f64 v[36:37], v[42:43], v[9:10]
	v_add_f64 v[40:41], v[36:37], v[34:35]
	v_add_f64 v[42:43], v[42:43], -v[36:37]
	v_add_f64 v[36:37], v[36:37], -v[40:41]
	v_add_f64 v[9:10], v[9:10], v[42:43]
	v_add_f64 v[34:35], v[36:37], v[34:35]
	v_add_f64 v[9:10], v[9:10], v[34:35]
	v_add_f64 v[34:35], v[40:41], v[9:10]
	v_fma_f64 v[36:37], v[34:35], s[30:31], v[1:2]
	v_add_f64 v[40:41], v[40:41], -v[34:35]
	v_mul_f64 v[42:43], v[34:35], v[34:35]
	v_fma_f64 v[36:37], v[34:35], v[36:37], s[34:35]
	v_add_f64 v[9:10], v[9:10], v[40:41]
	v_fma_f64 v[40:41], v[34:35], v[34:35], -v[42:43]
	v_fma_f64 v[36:37], v[34:35], v[36:37], s[36:37]
	v_add_f64 v[44:45], v[9:10], v[9:10]
	v_fma_f64 v[36:37], v[34:35], v[36:37], s[38:39]
	v_fma_f64 v[40:41], v[34:35], v[44:45], v[40:41]
	;; [unrolled: 1-line block ×3, first 2 shown]
	v_add_f64 v[44:45], v[42:43], v[40:41]
	v_fma_f64 v[36:37], v[34:35], v[36:37], s[42:43]
	v_add_f64 v[42:43], v[44:45], -v[42:43]
	v_fma_f64 v[36:37], v[34:35], v[36:37], s[44:45]
	v_add_f64 v[40:41], v[40:41], -v[42:43]
	v_fma_f64 v[36:37], v[34:35], v[36:37], s[46:47]
	v_fma_f64 v[36:37], v[34:35], v[36:37], s[48:49]
	v_mul_f64 v[46:47], v[44:45], v[36:37]
	v_fma_f64 v[42:43], v[44:45], v[36:37], -v[46:47]
	v_fma_f64 v[36:37], v[40:41], v[36:37], v[42:43]
	v_add_f64 v[40:41], v[46:47], v[36:37]
	v_add_f64 v[42:43], v[34:35], v[40:41]
	v_add_f64 v[44:45], v[40:41], -v[46:47]
	v_add_f64 v[34:35], v[42:43], -v[34:35]
	;; [unrolled: 1-line block ×3, first 2 shown]
	v_cvt_i32_f64_e32 v44, v[38:39]
	v_add_f64 v[34:35], v[40:41], -v[34:35]
	v_add_f64 v[9:10], v[9:10], v[36:37]
	v_add_f64 v[9:10], v[9:10], v[34:35]
	v_add_f64 v[34:35], v[42:43], v[9:10]
	v_add_f64 v[36:37], v[34:35], 1.0
	v_add_f64 v[40:41], v[34:35], -v[42:43]
	v_add_f64 v[42:43], v[36:37], -1.0
	v_add_f64 v[9:10], v[9:10], -v[40:41]
	v_add_f64 v[34:35], v[34:35], -v[42:43]
	v_add_f64 v[9:10], v[9:10], v[34:35]
	v_add_f64 v[34:35], v[36:37], v[9:10]
	v_ldexp_f64 v[38:39], v[34:35], v44
	v_add_f64 v[34:35], v[34:35], -v[36:37]
	v_rcp_f64_e32 v[40:41], v[38:39]
	v_add_f64 v[9:10], v[9:10], -v[34:35]
	v_ldexp_f64 v[9:10], v[9:10], v44
	v_fma_f64 v[42:43], -v[38:39], v[40:41], 1.0
	v_fma_f64 v[40:41], v[42:43], v[40:41], v[40:41]
	v_fma_f64 v[42:43], -v[38:39], v[40:41], 1.0
	v_fma_f64 v[36:37], v[42:43], v[40:41], v[40:41]
	v_mul_f64 v[34:35], v[38:39], v[36:37]
	v_fma_f64 v[40:41], v[36:37], v[38:39], -v[34:35]
	v_fma_f64 v[40:41], v[36:37], v[9:10], v[40:41]
	v_add_f64 v[42:43], v[34:35], v[40:41]
	v_add_f64 v[44:45], -v[42:43], 1.0
	v_add_f64 v[34:35], v[42:43], -v[34:35]
	v_add_f64 v[46:47], -v[44:45], 1.0
	v_add_f64 v[34:35], v[34:35], -v[40:41]
	v_add_f64 v[40:41], v[46:47], -v[42:43]
	v_add_f64 v[34:35], v[34:35], v[40:41]
	v_add_f64 v[40:41], v[44:45], v[34:35]
	v_mul_f64 v[42:43], v[36:37], v[40:41]
	v_add_f64 v[44:45], v[44:45], -v[40:41]
	v_mul_f64 v[46:47], v[38:39], v[42:43]
	v_add_f64 v[34:35], v[34:35], v[44:45]
	v_fma_f64 v[48:49], v[42:43], v[38:39], -v[46:47]
	v_fma_f64 v[48:49], v[42:43], v[9:10], v[48:49]
	v_add_f64 v[50:51], v[46:47], v[48:49]
	v_add_f64 v[52:53], v[40:41], -v[50:51]
	v_add_f64 v[44:45], v[50:51], -v[46:47]
	;; [unrolled: 1-line block ×5, first 2 shown]
	v_add_f64 v[34:35], v[34:35], v[40:41]
	v_add_f64 v[40:41], v[36:37], v[42:43]
	;; [unrolled: 1-line block ×3, first 2 shown]
	v_add_f64 v[44:45], v[40:41], -v[36:37]
	v_add_f64 v[34:35], v[52:53], v[34:35]
	v_add_f64 v[42:43], v[42:43], -v[44:45]
	v_mul_f64 v[34:35], v[36:37], v[34:35]
	v_add_f64 v[34:35], v[42:43], v[34:35]
	v_add_f64 v[36:37], v[40:41], v[34:35]
	v_ldexp_f64 v[42:43], v[36:37], -2
	v_add_f64 v[36:37], v[36:37], -v[40:41]
	v_add_f64 v[40:41], v[38:39], v[42:43]
	v_add_f64 v[34:35], v[34:35], -v[36:37]
	v_add_f64 v[36:37], v[40:41], -v[38:39]
	v_ldexp_f64 v[34:35], v[34:35], -2
	v_add_f64 v[36:37], v[42:43], -v[36:37]
	v_add_f64 v[9:10], v[9:10], v[34:35]
	v_mov_b32_e32 v34, s9
	v_add_f64 v[9:10], v[9:10], v[36:37]
	v_add_f64 v[9:10], v[40:41], v[9:10]
	v_cndmask_b32_e64 v8, v33, v10, s[2:3]
	v_cndmask_b32_e64 v7, 0, v9, s[2:3]
	v_add_co_u32_e64 v9, s[2:3], s8, v27
	v_addc_co_u32_e64 v10, s[2:3], v28, v34, s[2:3]
	global_store_dwordx2 v[9:10], v[7:8], off
	s_or_b64 exec, exec, s[4:5]
	s_and_saveexec_b64 s[2:3], s[0:1]
	s_cbranch_execz .LBB77_19
.LBB77_23:                              ;   in Loop: Header=BB77_9 Depth=1
	v_add_f64 v[7:8], v[5:6], s[16:17]
	s_mov_b32 s18, s16
	s_mov_b32 s25, s17
	v_cmp_nle_f64_e64 s[0:1], s[50:51], v[5:6]
	v_add_f64 v[9:10], v[7:8], -v[5:6]
	v_add_f64 v[34:35], v[9:10], -v[7:8]
	v_add_f64 v[9:10], v[9:10], s[18:19]
	v_add_f64 v[34:35], v[5:6], v[34:35]
	v_add_f64 v[9:10], v[34:35], -v[9:10]
	v_add_f64 v[9:10], v[9:10], s[20:21]
	v_add_f64 v[34:35], v[7:8], v[9:10]
	v_mul_f64 v[36:37], v[34:35], s[22:23]
	v_add_f64 v[7:8], v[7:8], -v[34:35]
	v_rndne_f64_e32 v[36:37], v[36:37]
	v_add_f64 v[7:8], v[9:10], v[7:8]
	v_fma_f64 v[9:10], v[36:37], s[24:25], v[34:35]
	v_mul_f64 v[34:35], v[36:37], s[26:27]
	v_add_f64 v[38:39], v[7:8], v[9:10]
	v_add_f64 v[40:41], v[38:39], v[34:35]
	v_add_f64 v[9:10], v[9:10], -v[38:39]
	v_add_f64 v[38:39], v[38:39], -v[40:41]
	v_add_f64 v[7:8], v[7:8], v[9:10]
	v_add_f64 v[9:10], v[38:39], v[34:35]
	;; [unrolled: 1-line block ×3, first 2 shown]
	v_mul_f64 v[9:10], v[36:37], s[28:29]
	v_add_f64 v[34:35], v[40:41], v[7:8]
	v_add_f64 v[38:39], v[34:35], v[9:10]
	v_add_f64 v[40:41], v[40:41], -v[34:35]
	v_add_f64 v[34:35], v[34:35], -v[38:39]
	v_add_f64 v[7:8], v[7:8], v[40:41]
	v_add_f64 v[9:10], v[34:35], v[9:10]
	;; [unrolled: 1-line block ×4, first 2 shown]
	v_fma_f64 v[34:35], v[9:10], s[30:31], v[1:2]
	v_add_f64 v[38:39], v[38:39], -v[9:10]
	v_mul_f64 v[40:41], v[9:10], v[9:10]
	v_fma_f64 v[34:35], v[9:10], v[34:35], s[34:35]
	v_add_f64 v[7:8], v[7:8], v[38:39]
	v_fma_f64 v[38:39], v[9:10], v[9:10], -v[40:41]
	v_fma_f64 v[34:35], v[9:10], v[34:35], s[36:37]
	v_add_f64 v[42:43], v[7:8], v[7:8]
	v_fma_f64 v[34:35], v[9:10], v[34:35], s[38:39]
	v_fma_f64 v[38:39], v[9:10], v[42:43], v[38:39]
	;; [unrolled: 1-line block ×3, first 2 shown]
	v_add_f64 v[42:43], v[40:41], v[38:39]
	v_fma_f64 v[34:35], v[9:10], v[34:35], s[42:43]
	v_add_f64 v[40:41], v[42:43], -v[40:41]
	v_fma_f64 v[34:35], v[9:10], v[34:35], s[44:45]
	v_add_f64 v[38:39], v[38:39], -v[40:41]
	v_fma_f64 v[34:35], v[9:10], v[34:35], s[46:47]
	v_fma_f64 v[34:35], v[9:10], v[34:35], s[48:49]
	v_mul_f64 v[44:45], v[42:43], v[34:35]
	v_fma_f64 v[40:41], v[42:43], v[34:35], -v[44:45]
	v_fma_f64 v[34:35], v[38:39], v[34:35], v[40:41]
	v_add_f64 v[38:39], v[44:45], v[34:35]
	v_add_f64 v[40:41], v[9:10], v[38:39]
	v_add_f64 v[42:43], v[38:39], -v[44:45]
	v_add_f64 v[9:10], v[40:41], -v[9:10]
	;; [unrolled: 1-line block ×3, first 2 shown]
	v_cvt_i32_f64_e32 v42, v[36:37]
	v_add_f64 v[9:10], v[38:39], -v[9:10]
	v_add_f64 v[7:8], v[7:8], v[34:35]
	v_add_f64 v[7:8], v[7:8], v[9:10]
	;; [unrolled: 1-line block ×3, first 2 shown]
	v_add_f64 v[34:35], v[9:10], 1.0
	v_add_f64 v[38:39], v[9:10], -v[40:41]
	v_add_f64 v[40:41], v[34:35], -1.0
	v_add_f64 v[7:8], v[7:8], -v[38:39]
	v_add_f64 v[9:10], v[9:10], -v[40:41]
	v_add_f64 v[7:8], v[7:8], v[9:10]
	v_add_f64 v[9:10], v[34:35], v[7:8]
	v_ldexp_f64 v[36:37], v[9:10], v42
	v_add_f64 v[9:10], v[9:10], -v[34:35]
	v_rcp_f64_e32 v[38:39], v[36:37]
	v_add_f64 v[7:8], v[7:8], -v[9:10]
	v_ldexp_f64 v[7:8], v[7:8], v42
	v_fma_f64 v[40:41], -v[36:37], v[38:39], 1.0
	v_fma_f64 v[38:39], v[40:41], v[38:39], v[38:39]
	v_fma_f64 v[40:41], -v[36:37], v[38:39], 1.0
	v_fma_f64 v[34:35], v[40:41], v[38:39], v[38:39]
	v_mul_f64 v[9:10], v[36:37], v[34:35]
	v_fma_f64 v[38:39], v[34:35], v[36:37], -v[9:10]
	v_fma_f64 v[38:39], v[34:35], v[7:8], v[38:39]
	v_add_f64 v[40:41], v[9:10], v[38:39]
	v_add_f64 v[42:43], -v[40:41], 1.0
	v_add_f64 v[9:10], v[40:41], -v[9:10]
	v_add_f64 v[44:45], -v[42:43], 1.0
	v_add_f64 v[9:10], v[9:10], -v[38:39]
	v_add_f64 v[38:39], v[44:45], -v[40:41]
	v_add_f64 v[9:10], v[9:10], v[38:39]
	v_add_f64 v[38:39], v[42:43], v[9:10]
	v_mul_f64 v[40:41], v[34:35], v[38:39]
	v_add_f64 v[42:43], v[42:43], -v[38:39]
	v_mul_f64 v[44:45], v[36:37], v[40:41]
	v_add_f64 v[9:10], v[9:10], v[42:43]
	v_fma_f64 v[46:47], v[40:41], v[36:37], -v[44:45]
	v_fma_f64 v[46:47], v[40:41], v[7:8], v[46:47]
	v_add_f64 v[48:49], v[44:45], v[46:47]
	v_add_f64 v[50:51], v[38:39], -v[48:49]
	v_add_f64 v[42:43], v[48:49], -v[44:45]
	;; [unrolled: 1-line block ×5, first 2 shown]
	v_add_f64 v[9:10], v[9:10], v[38:39]
	v_add_f64 v[38:39], v[34:35], v[40:41]
	;; [unrolled: 1-line block ×3, first 2 shown]
	v_add_f64 v[42:43], v[38:39], -v[34:35]
	v_add_f64 v[9:10], v[50:51], v[9:10]
	v_add_f64 v[40:41], v[40:41], -v[42:43]
	v_mul_f64 v[9:10], v[34:35], v[9:10]
	v_add_f64 v[9:10], v[40:41], v[9:10]
	v_add_f64 v[34:35], v[38:39], v[9:10]
	v_ldexp_f64 v[40:41], v[34:35], -2
	v_add_f64 v[34:35], v[34:35], -v[38:39]
	v_add_f64 v[38:39], v[36:37], v[40:41]
	v_add_f64 v[9:10], v[9:10], -v[34:35]
	v_add_f64 v[34:35], v[38:39], -v[36:37]
	v_ldexp_f64 v[9:10], v[9:10], -2
	v_add_f64 v[34:35], v[40:41], -v[34:35]
	v_add_f64 v[7:8], v[7:8], v[9:10]
	v_mov_b32_e32 v9, s9
	v_add_f64 v[7:8], v[7:8], v[34:35]
	v_add_f64 v[7:8], v[38:39], v[7:8]
	v_cndmask_b32_e64 v6, v33, v8, s[0:1]
	v_cndmask_b32_e64 v5, 0, v7, s[0:1]
	v_add_co_u32_e64 v7, s[0:1], s8, v21
	v_addc_co_u32_e64 v8, s[0:1], v22, v9, s[0:1]
	global_store_dwordx2 v[7:8], v[5:6], off
	s_or_b64 exec, exec, s[2:3]
	s_and_saveexec_b64 s[0:1], vcc
	s_cbranch_execz .LBB77_8
.LBB77_24:                              ;   in Loop: Header=BB77_9 Depth=1
	v_add_f64 v[5:6], v[3:4], s[16:17]
	s_mov_b32 s18, s16
	s_mov_b32 s25, s17
	v_cmp_nle_f64_e32 vcc, s[50:51], v[3:4]
	v_add_f64 v[7:8], v[5:6], -v[3:4]
	v_add_f64 v[9:10], v[7:8], -v[5:6]
	v_add_f64 v[7:8], v[7:8], s[18:19]
	v_add_f64 v[9:10], v[3:4], v[9:10]
	v_add_f64 v[7:8], v[9:10], -v[7:8]
	v_add_f64 v[7:8], v[7:8], s[20:21]
	v_add_f64 v[9:10], v[5:6], v[7:8]
	v_mul_f64 v[34:35], v[9:10], s[22:23]
	v_add_f64 v[5:6], v[5:6], -v[9:10]
	v_rndne_f64_e32 v[34:35], v[34:35]
	v_add_f64 v[5:6], v[7:8], v[5:6]
	v_fma_f64 v[7:8], v[34:35], s[24:25], v[9:10]
	v_mul_f64 v[9:10], v[34:35], s[26:27]
	v_add_f64 v[36:37], v[5:6], v[7:8]
	v_add_f64 v[38:39], v[36:37], v[9:10]
	v_add_f64 v[7:8], v[7:8], -v[36:37]
	v_add_f64 v[36:37], v[36:37], -v[38:39]
	v_add_f64 v[5:6], v[5:6], v[7:8]
	v_add_f64 v[7:8], v[36:37], v[9:10]
	;; [unrolled: 1-line block ×3, first 2 shown]
	v_mul_f64 v[7:8], v[34:35], s[28:29]
	v_add_f64 v[9:10], v[38:39], v[5:6]
	v_add_f64 v[36:37], v[9:10], v[7:8]
	v_add_f64 v[38:39], v[38:39], -v[9:10]
	v_add_f64 v[9:10], v[9:10], -v[36:37]
	v_add_f64 v[5:6], v[5:6], v[38:39]
	v_add_f64 v[7:8], v[9:10], v[7:8]
	;; [unrolled: 1-line block ×4, first 2 shown]
	v_fma_f64 v[9:10], v[7:8], s[30:31], v[1:2]
	v_add_f64 v[36:37], v[36:37], -v[7:8]
	v_mul_f64 v[38:39], v[7:8], v[7:8]
	v_fma_f64 v[9:10], v[7:8], v[9:10], s[34:35]
	v_add_f64 v[5:6], v[5:6], v[36:37]
	v_fma_f64 v[36:37], v[7:8], v[7:8], -v[38:39]
	v_fma_f64 v[9:10], v[7:8], v[9:10], s[36:37]
	v_add_f64 v[40:41], v[5:6], v[5:6]
	v_fma_f64 v[9:10], v[7:8], v[9:10], s[38:39]
	v_fma_f64 v[36:37], v[7:8], v[40:41], v[36:37]
	;; [unrolled: 1-line block ×3, first 2 shown]
	v_add_f64 v[40:41], v[38:39], v[36:37]
	v_fma_f64 v[9:10], v[7:8], v[9:10], s[42:43]
	v_add_f64 v[38:39], v[40:41], -v[38:39]
	v_fma_f64 v[9:10], v[7:8], v[9:10], s[44:45]
	v_add_f64 v[36:37], v[36:37], -v[38:39]
	v_fma_f64 v[9:10], v[7:8], v[9:10], s[46:47]
	v_fma_f64 v[9:10], v[7:8], v[9:10], s[48:49]
	v_mul_f64 v[42:43], v[40:41], v[9:10]
	v_fma_f64 v[38:39], v[40:41], v[9:10], -v[42:43]
	v_fma_f64 v[9:10], v[36:37], v[9:10], v[38:39]
	v_add_f64 v[36:37], v[42:43], v[9:10]
	v_add_f64 v[38:39], v[7:8], v[36:37]
	v_add_f64 v[40:41], v[36:37], -v[42:43]
	v_add_f64 v[7:8], v[38:39], -v[7:8]
	;; [unrolled: 1-line block ×3, first 2 shown]
	v_cvt_i32_f64_e32 v40, v[34:35]
	v_add_f64 v[7:8], v[36:37], -v[7:8]
	v_add_f64 v[5:6], v[5:6], v[9:10]
	v_add_f64 v[5:6], v[5:6], v[7:8]
	;; [unrolled: 1-line block ×3, first 2 shown]
	v_add_f64 v[9:10], v[7:8], 1.0
	v_add_f64 v[36:37], v[7:8], -v[38:39]
	v_add_f64 v[38:39], v[9:10], -1.0
	v_add_f64 v[5:6], v[5:6], -v[36:37]
	v_add_f64 v[7:8], v[7:8], -v[38:39]
	v_add_f64 v[5:6], v[5:6], v[7:8]
	v_add_f64 v[7:8], v[9:10], v[5:6]
	v_ldexp_f64 v[34:35], v[7:8], v40
	v_add_f64 v[7:8], v[7:8], -v[9:10]
	v_rcp_f64_e32 v[36:37], v[34:35]
	v_add_f64 v[5:6], v[5:6], -v[7:8]
	v_ldexp_f64 v[5:6], v[5:6], v40
	v_fma_f64 v[38:39], -v[34:35], v[36:37], 1.0
	v_fma_f64 v[36:37], v[38:39], v[36:37], v[36:37]
	v_fma_f64 v[38:39], -v[34:35], v[36:37], 1.0
	v_fma_f64 v[9:10], v[38:39], v[36:37], v[36:37]
	v_mul_f64 v[7:8], v[34:35], v[9:10]
	v_fma_f64 v[36:37], v[9:10], v[34:35], -v[7:8]
	v_fma_f64 v[36:37], v[9:10], v[5:6], v[36:37]
	v_add_f64 v[38:39], v[7:8], v[36:37]
	v_add_f64 v[40:41], -v[38:39], 1.0
	v_add_f64 v[7:8], v[38:39], -v[7:8]
	v_add_f64 v[42:43], -v[40:41], 1.0
	v_add_f64 v[7:8], v[7:8], -v[36:37]
	v_add_f64 v[36:37], v[42:43], -v[38:39]
	v_add_f64 v[7:8], v[7:8], v[36:37]
	v_add_f64 v[36:37], v[40:41], v[7:8]
	v_mul_f64 v[38:39], v[9:10], v[36:37]
	v_add_f64 v[40:41], v[40:41], -v[36:37]
	v_mul_f64 v[42:43], v[34:35], v[38:39]
	v_add_f64 v[7:8], v[7:8], v[40:41]
	v_fma_f64 v[44:45], v[38:39], v[34:35], -v[42:43]
	v_fma_f64 v[44:45], v[38:39], v[5:6], v[44:45]
	v_add_f64 v[46:47], v[42:43], v[44:45]
	v_add_f64 v[48:49], v[36:37], -v[46:47]
	v_add_f64 v[40:41], v[46:47], -v[42:43]
	;; [unrolled: 1-line block ×5, first 2 shown]
	v_add_f64 v[7:8], v[7:8], v[36:37]
	v_add_f64 v[36:37], v[9:10], v[38:39]
	;; [unrolled: 1-line block ×3, first 2 shown]
	v_add_f64 v[40:41], v[36:37], -v[9:10]
	v_add_f64 v[7:8], v[48:49], v[7:8]
	v_add_f64 v[38:39], v[38:39], -v[40:41]
	v_mul_f64 v[7:8], v[9:10], v[7:8]
	v_add_f64 v[7:8], v[38:39], v[7:8]
	v_add_f64 v[9:10], v[36:37], v[7:8]
	v_ldexp_f64 v[38:39], v[9:10], -2
	v_add_f64 v[9:10], v[9:10], -v[36:37]
	v_add_f64 v[36:37], v[34:35], v[38:39]
	v_add_f64 v[7:8], v[7:8], -v[9:10]
	v_add_f64 v[9:10], v[36:37], -v[34:35]
	v_ldexp_f64 v[7:8], v[7:8], -2
	v_add_f64 v[9:10], v[38:39], -v[9:10]
	v_add_f64 v[5:6], v[5:6], v[7:8]
	v_mov_b32_e32 v7, s9
	v_add_f64 v[5:6], v[5:6], v[9:10]
	v_add_f64 v[5:6], v[36:37], v[5:6]
	v_cndmask_b32_e32 v4, v33, v6, vcc
	v_cndmask_b32_e32 v3, 0, v5, vcc
	v_add_co_u32_e32 v5, vcc, s8, v17
	v_addc_co_u32_e32 v6, vcc, v18, v7, vcc
	global_store_dwordx2 v[5:6], v[3:4], off
	s_branch .LBB77_8
.LBB77_25:
	s_endpgm
	.section	.rodata,"a",@progbits
	.p2align	6, 0x0
	.amdhsa_kernel _ZN2at6native12_GLOBAL__N_125multi_tensor_apply_kernelINS1_18TensorListMetadataILi2EEENS1_14UnaryOpFunctorIdLi2ELi1ELi1EEEJNS0_4CoshIdEEEEEvT_T0_DpT1_
		.amdhsa_group_segment_fixed_size 0
		.amdhsa_private_segment_fixed_size 0
		.amdhsa_kernarg_size 3408
		.amdhsa_user_sgpr_count 6
		.amdhsa_user_sgpr_private_segment_buffer 1
		.amdhsa_user_sgpr_dispatch_ptr 0
		.amdhsa_user_sgpr_queue_ptr 0
		.amdhsa_user_sgpr_kernarg_segment_ptr 1
		.amdhsa_user_sgpr_dispatch_id 0
		.amdhsa_user_sgpr_flat_scratch_init 0
		.amdhsa_user_sgpr_private_segment_size 0
		.amdhsa_uses_dynamic_stack 0
		.amdhsa_system_sgpr_private_segment_wavefront_offset 0
		.amdhsa_system_sgpr_workgroup_id_x 1
		.amdhsa_system_sgpr_workgroup_id_y 0
		.amdhsa_system_sgpr_workgroup_id_z 0
		.amdhsa_system_sgpr_workgroup_info 0
		.amdhsa_system_vgpr_workitem_id 0
		.amdhsa_next_free_vgpr 56
		.amdhsa_next_free_sgpr 55
		.amdhsa_reserve_vcc 1
		.amdhsa_reserve_flat_scratch 0
		.amdhsa_float_round_mode_32 0
		.amdhsa_float_round_mode_16_64 0
		.amdhsa_float_denorm_mode_32 3
		.amdhsa_float_denorm_mode_16_64 3
		.amdhsa_dx10_clamp 1
		.amdhsa_ieee_mode 1
		.amdhsa_fp16_overflow 0
		.amdhsa_exception_fp_ieee_invalid_op 0
		.amdhsa_exception_fp_denorm_src 0
		.amdhsa_exception_fp_ieee_div_zero 0
		.amdhsa_exception_fp_ieee_overflow 0
		.amdhsa_exception_fp_ieee_underflow 0
		.amdhsa_exception_fp_ieee_inexact 0
		.amdhsa_exception_int_div_zero 0
	.end_amdhsa_kernel
	.section	.text._ZN2at6native12_GLOBAL__N_125multi_tensor_apply_kernelINS1_18TensorListMetadataILi2EEENS1_14UnaryOpFunctorIdLi2ELi1ELi1EEEJNS0_4CoshIdEEEEEvT_T0_DpT1_,"axG",@progbits,_ZN2at6native12_GLOBAL__N_125multi_tensor_apply_kernelINS1_18TensorListMetadataILi2EEENS1_14UnaryOpFunctorIdLi2ELi1ELi1EEEJNS0_4CoshIdEEEEEvT_T0_DpT1_,comdat
.Lfunc_end77:
	.size	_ZN2at6native12_GLOBAL__N_125multi_tensor_apply_kernelINS1_18TensorListMetadataILi2EEENS1_14UnaryOpFunctorIdLi2ELi1ELi1EEEJNS0_4CoshIdEEEEEvT_T0_DpT1_, .Lfunc_end77-_ZN2at6native12_GLOBAL__N_125multi_tensor_apply_kernelINS1_18TensorListMetadataILi2EEENS1_14UnaryOpFunctorIdLi2ELi1ELi1EEEJNS0_4CoshIdEEEEEvT_T0_DpT1_
                                        ; -- End function
	.set _ZN2at6native12_GLOBAL__N_125multi_tensor_apply_kernelINS1_18TensorListMetadataILi2EEENS1_14UnaryOpFunctorIdLi2ELi1ELi1EEEJNS0_4CoshIdEEEEEvT_T0_DpT1_.num_vgpr, 56
	.set _ZN2at6native12_GLOBAL__N_125multi_tensor_apply_kernelINS1_18TensorListMetadataILi2EEENS1_14UnaryOpFunctorIdLi2ELi1ELi1EEEJNS0_4CoshIdEEEEEvT_T0_DpT1_.num_agpr, 0
	.set _ZN2at6native12_GLOBAL__N_125multi_tensor_apply_kernelINS1_18TensorListMetadataILi2EEENS1_14UnaryOpFunctorIdLi2ELi1ELi1EEEJNS0_4CoshIdEEEEEvT_T0_DpT1_.numbered_sgpr, 55
	.set _ZN2at6native12_GLOBAL__N_125multi_tensor_apply_kernelINS1_18TensorListMetadataILi2EEENS1_14UnaryOpFunctorIdLi2ELi1ELi1EEEJNS0_4CoshIdEEEEEvT_T0_DpT1_.num_named_barrier, 0
	.set _ZN2at6native12_GLOBAL__N_125multi_tensor_apply_kernelINS1_18TensorListMetadataILi2EEENS1_14UnaryOpFunctorIdLi2ELi1ELi1EEEJNS0_4CoshIdEEEEEvT_T0_DpT1_.private_seg_size, 0
	.set _ZN2at6native12_GLOBAL__N_125multi_tensor_apply_kernelINS1_18TensorListMetadataILi2EEENS1_14UnaryOpFunctorIdLi2ELi1ELi1EEEJNS0_4CoshIdEEEEEvT_T0_DpT1_.uses_vcc, 1
	.set _ZN2at6native12_GLOBAL__N_125multi_tensor_apply_kernelINS1_18TensorListMetadataILi2EEENS1_14UnaryOpFunctorIdLi2ELi1ELi1EEEJNS0_4CoshIdEEEEEvT_T0_DpT1_.uses_flat_scratch, 0
	.set _ZN2at6native12_GLOBAL__N_125multi_tensor_apply_kernelINS1_18TensorListMetadataILi2EEENS1_14UnaryOpFunctorIdLi2ELi1ELi1EEEJNS0_4CoshIdEEEEEvT_T0_DpT1_.has_dyn_sized_stack, 0
	.set _ZN2at6native12_GLOBAL__N_125multi_tensor_apply_kernelINS1_18TensorListMetadataILi2EEENS1_14UnaryOpFunctorIdLi2ELi1ELi1EEEJNS0_4CoshIdEEEEEvT_T0_DpT1_.has_recursion, 0
	.set _ZN2at6native12_GLOBAL__N_125multi_tensor_apply_kernelINS1_18TensorListMetadataILi2EEENS1_14UnaryOpFunctorIdLi2ELi1ELi1EEEJNS0_4CoshIdEEEEEvT_T0_DpT1_.has_indirect_call, 0
	.section	.AMDGPU.csdata,"",@progbits
; Kernel info:
; codeLenInByte = 9528
; TotalNumSgprs: 59
; NumVgprs: 56
; ScratchSize: 0
; MemoryBound: 0
; FloatMode: 240
; IeeeMode: 1
; LDSByteSize: 0 bytes/workgroup (compile time only)
; SGPRBlocks: 7
; VGPRBlocks: 13
; NumSGPRsForWavesPerEU: 59
; NumVGPRsForWavesPerEU: 56
; Occupancy: 4
; WaveLimiterHint : 0
; COMPUTE_PGM_RSRC2:SCRATCH_EN: 0
; COMPUTE_PGM_RSRC2:USER_SGPR: 6
; COMPUTE_PGM_RSRC2:TRAP_HANDLER: 0
; COMPUTE_PGM_RSRC2:TGID_X_EN: 1
; COMPUTE_PGM_RSRC2:TGID_Y_EN: 0
; COMPUTE_PGM_RSRC2:TGID_Z_EN: 0
; COMPUTE_PGM_RSRC2:TIDIG_COMP_CNT: 0
	.section	.text._ZN2at6native12_GLOBAL__N_125multi_tensor_apply_kernelINS1_18TensorListMetadataILi2EEENS1_14UnaryOpFunctorIfLi2ELi1ELi1EEEJNS0_4CoshIfEEEEEvT_T0_DpT1_,"axG",@progbits,_ZN2at6native12_GLOBAL__N_125multi_tensor_apply_kernelINS1_18TensorListMetadataILi2EEENS1_14UnaryOpFunctorIfLi2ELi1ELi1EEEJNS0_4CoshIfEEEEEvT_T0_DpT1_,comdat
	.globl	_ZN2at6native12_GLOBAL__N_125multi_tensor_apply_kernelINS1_18TensorListMetadataILi2EEENS1_14UnaryOpFunctorIfLi2ELi1ELi1EEEJNS0_4CoshIfEEEEEvT_T0_DpT1_ ; -- Begin function _ZN2at6native12_GLOBAL__N_125multi_tensor_apply_kernelINS1_18TensorListMetadataILi2EEENS1_14UnaryOpFunctorIfLi2ELi1ELi1EEEJNS0_4CoshIfEEEEEvT_T0_DpT1_
	.p2align	8
	.type	_ZN2at6native12_GLOBAL__N_125multi_tensor_apply_kernelINS1_18TensorListMetadataILi2EEENS1_14UnaryOpFunctorIfLi2ELi1ELi1EEEJNS0_4CoshIfEEEEEvT_T0_DpT1_,@function
_ZN2at6native12_GLOBAL__N_125multi_tensor_apply_kernelINS1_18TensorListMetadataILi2EEENS1_14UnaryOpFunctorIfLi2ELi1ELi1EEEJNS0_4CoshIfEEEEEvT_T0_DpT1_: ; @_ZN2at6native12_GLOBAL__N_125multi_tensor_apply_kernelINS1_18TensorListMetadataILi2EEENS1_14UnaryOpFunctorIfLi2ELi1ELi1EEEJNS0_4CoshIfEEEEEvT_T0_DpT1_
; %bb.0:
	v_mov_b32_e32 v1, s6
	global_load_ubyte v1, v1, s[4:5] offset:1536
	s_add_u32 s0, s4, s6
	s_mul_hi_u32 s1, s6, 3
	s_mul_i32 s6, s6, 3
	s_addc_u32 s2, s5, 0
	s_add_u32 s0, s0, s6
	s_addc_u32 s1, s2, s1
	s_load_dword s6, s[0:1], 0x740
	s_mov_b32 s11, 0
	s_mov_b32 s13, s11
	s_waitcnt vmcnt(0)
	v_readfirstlane_b32 s0, v1
	s_lshl_b32 s7, s0, 3
	s_load_dwordx2 s[14:15], s[4:5], s7 offset:0x400
	s_load_dwordx2 s[2:3], s[4:5], s7 offset:0x0
	;; [unrolled: 1-line block ×3, first 2 shown]
	s_waitcnt lgkmcnt(0)
	s_ashr_i32 s7, s6, 31
	s_lshl_b64 s[8:9], s[6:7], 18
	s_lshl_b64 s[6:7], s[6:7], 16
	s_add_u32 s10, s2, s8
	s_and_b32 s12, s0, 15
	s_and_b32 s10, s10, 15
	s_sub_u32 s6, s14, s6
	s_subb_u32 s7, s15, s7
	s_and_b32 s14, s14, 3
	s_mov_b32 s15, s11
	s_or_b64 s[12:13], s[12:13], s[14:15]
	s_or_b64 s[10:11], s[12:13], s[10:11]
	s_cmp_eq_u64 s[10:11], 0
	s_mov_b64 s[10:11], -1
	s_cbranch_scc0 .LBB78_5
; %bb.1:
	v_mov_b32_e32 v1, 0x10000
	v_mov_b32_e32 v2, 0
	v_cmp_lt_i64_e32 vcc, s[6:7], v[1:2]
	v_mov_b32_e32 v2, 0
	s_and_b64 s[10:11], vcc, exec
	s_cselect_b32 s11, s7, 0
	s_cselect_b32 s10, s6, 0x10000
	v_lshlrev_b32_e32 v1, 2, v0
	v_cmp_gt_i64_e32 vcc, s[10:11], v[1:2]
	s_and_saveexec_b64 s[12:13], vcc
	s_cbranch_execz .LBB78_4
; %bb.2:
	s_load_dword s14, s[4:5], 0xc5c
	v_mov_b32_e32 v1, v2
	v_lshlrev_b32_e32 v2, 4, v0
	v_mov_b32_e32 v3, s9
	v_add_co_u32_e32 v7, vcc, s8, v2
	s_waitcnt lgkmcnt(0)
	s_and_b32 s16, s14, 0xffff
	v_mov_b32_e32 v6, v1
	v_addc_co_u32_e32 v8, vcc, 0, v3, vcc
	s_lshl_b32 s17, s16, 4
	s_mov_b64 s[14:15], 0
	v_mov_b32_e32 v9, s3
	s_mov_b32 s18, 0xbf317218
	v_mov_b32_e32 v10, 0x3d2aadcc
	v_mov_b32_e32 v11, 0x3e2aaa47
	;; [unrolled: 1-line block ×3, first 2 shown]
	s_mov_b32 s19, 0x42b2d4fc
	v_mov_b32_e32 v13, 0x7f800000
	v_mov_b32_e32 v14, s1
	;; [unrolled: 1-line block ×3, first 2 shown]
.LBB78_3:                               ; =>This Inner Loop Header: Depth=1
	v_add_co_u32_e32 v1, vcc, s2, v7
	v_addc_co_u32_e32 v2, vcc, v9, v8, vcc
	global_load_dwordx4 v[1:4], v[1:2], off
	s_waitcnt vmcnt(0)
	v_add_f32_e64 v15, |v1|, s18
	v_sub_f32_e64 v16, v15, |v1|
	v_sub_f32_e32 v17, v16, v15
	v_add_f32_e64 v17, |v1|, v17
	v_add_f32_e32 v16, 0x3f317218, v16
	v_sub_f32_e32 v16, v17, v16
	v_add_f32_e32 v16, 0x3102e308, v16
	v_add_f32_e32 v17, v15, v16
	v_sub_f32_e32 v15, v15, v17
	v_add_f32_e32 v15, v16, v15
	v_mul_f32_e32 v16, 0x3fb8aa3b, v17
	v_rndne_f32_e32 v16, v16
	v_fmac_f32_e32 v17, 0xbf317200, v16
	v_add_f32_e32 v18, v15, v17
	v_sub_f32_e32 v17, v17, v18
	v_add_f32_e32 v15, v15, v17
	v_mul_f32_e32 v17, 0x35bfbc00, v16
	v_sub_f32_e32 v19, v18, v17
	v_sub_f32_e32 v18, v18, v19
	v_sub_f32_e32 v17, v18, v17
	v_add_f32_e32 v15, v15, v17
	v_add_f32_e32 v17, v19, v15
	v_sub_f32_e32 v18, v19, v17
	v_add_f32_e32 v15, v15, v18
	v_mul_f32_e32 v18, 0x2ea39ef3, v16
	v_sub_f32_e32 v19, v17, v18
	v_sub_f32_e32 v17, v17, v19
	;; [unrolled: 1-line block ×3, first 2 shown]
	v_add_f32_e32 v15, v15, v17
	v_add_f32_e32 v17, v19, v15
	v_sub_f32_e32 v19, v19, v17
	v_mov_b32_e32 v18, 0x3c091de6
	v_add_f32_e32 v15, v15, v19
	v_mul_f32_e32 v20, v17, v17
	v_fmac_f32_e32 v18, 0x3ab42872, v17
	v_add_f32_e32 v19, v15, v15
	v_fma_f32 v21, v17, v17, -v20
	v_fma_f32 v18, v17, v18, v10
	v_fmac_f32_e32 v21, v17, v19
	v_fma_f32 v18, v17, v18, v11
	v_add_f32_e32 v19, v20, v21
	v_fma_f32 v18, v17, v18, v12
	v_sub_f32_e32 v20, v19, v20
	v_sub_f32_e32 v20, v21, v20
	v_mul_f32_e32 v21, v18, v19
	v_fma_f32 v19, v19, v18, -v21
	v_fmac_f32_e32 v19, v20, v18
	v_add_f32_e32 v18, v21, v19
	v_sub_f32_e32 v20, v18, v21
	v_sub_f32_e32 v19, v19, v20
	v_add_f32_e32 v20, v17, v18
	v_sub_f32_e32 v17, v20, v17
	v_sub_f32_e32 v17, v18, v17
	v_add_f32_e32 v15, v15, v19
	v_add_f32_e32 v15, v15, v17
	v_add_f32_e32 v17, v20, v15
	v_sub_f32_e32 v18, v17, v20
	v_sub_f32_e32 v15, v15, v18
	v_add_f32_e32 v18, 1.0, v17
	v_add_f32_e32 v19, -1.0, v18
	v_sub_f32_e32 v17, v17, v19
	v_cvt_i32_f32_e32 v16, v16
	v_add_f32_e32 v15, v15, v17
	v_add_f32_e32 v17, v18, v15
	v_sub_f32_e32 v18, v17, v18
	v_sub_f32_e32 v15, v15, v18
	v_ldexp_f32 v17, v17, v16
	v_ldexp_f32 v15, v15, v16
	v_rcp_f32_e32 v16, v17
	v_cmp_ngt_f32_e64 vcc, |v1|, s19
	v_mul_f32_e32 v18, v17, v16
	v_fma_f32 v19, v16, v17, -v18
	v_fmac_f32_e32 v19, v16, v15
	v_add_f32_e32 v20, v18, v19
	v_sub_f32_e32 v21, 1.0, v20
	v_sub_f32_e32 v22, 1.0, v21
	v_sub_f32_e32 v18, v20, v18
	v_sub_f32_e32 v22, v22, v20
	;; [unrolled: 1-line block ×3, first 2 shown]
	v_add_f32_e32 v18, v18, v22
	v_add_f32_e32 v19, v21, v18
	v_mul_f32_e32 v20, v16, v19
	v_mul_f32_e32 v22, v17, v20
	v_fma_f32 v23, v20, v17, -v22
	v_fmac_f32_e32 v23, v20, v15
	v_sub_f32_e32 v21, v21, v19
	v_add_f32_e32 v18, v18, v21
	v_add_f32_e32 v21, v22, v23
	v_sub_f32_e32 v24, v19, v21
	v_sub_f32_e32 v19, v19, v24
	;; [unrolled: 1-line block ×4, first 2 shown]
	v_add_f32_e32 v18, v18, v19
	v_sub_f32_e32 v19, v22, v23
	v_add_f32_e32 v18, v19, v18
	v_add_f32_e32 v18, v24, v18
	;; [unrolled: 1-line block ×3, first 2 shown]
	v_mul_f32_e32 v18, v16, v18
	v_sub_f32_e32 v16, v19, v16
	v_sub_f32_e32 v16, v20, v16
	v_add_f32_e32 v16, v16, v18
	v_add_f32_e32 v18, v19, v16
	v_sub_f32_e32 v19, v18, v19
	v_ldexp_f32 v18, v18, -2
	v_sub_f32_e32 v16, v16, v19
	v_add_f32_e32 v19, v17, v18
	v_ldexp_f32 v16, v16, -2
	v_sub_f32_e32 v17, v19, v17
	v_sub_f32_e32 v17, v18, v17
	v_add_f32_e32 v15, v15, v16
	v_add_f32_e32 v15, v15, v17
	;; [unrolled: 1-line block ×3, first 2 shown]
	v_cndmask_b32_e32 v1, v13, v15, vcc
	v_add_f32_e64 v15, |v2|, s18
	v_sub_f32_e64 v16, v15, |v2|
	v_sub_f32_e32 v17, v16, v15
	v_add_f32_e64 v17, |v2|, v17
	v_add_f32_e32 v16, 0x3f317218, v16
	v_sub_f32_e32 v16, v17, v16
	v_add_f32_e32 v16, 0x3102e308, v16
	v_add_f32_e32 v17, v15, v16
	v_sub_f32_e32 v15, v15, v17
	v_add_f32_e32 v15, v16, v15
	v_mul_f32_e32 v16, 0x3fb8aa3b, v17
	v_rndne_f32_e32 v16, v16
	v_fmac_f32_e32 v17, 0xbf317200, v16
	v_add_f32_e32 v18, v15, v17
	v_sub_f32_e32 v17, v17, v18
	v_add_f32_e32 v15, v15, v17
	v_mul_f32_e32 v17, 0x35bfbc00, v16
	v_sub_f32_e32 v19, v18, v17
	v_sub_f32_e32 v18, v18, v19
	;; [unrolled: 1-line block ×3, first 2 shown]
	v_add_f32_e32 v15, v15, v17
	v_add_f32_e32 v17, v19, v15
	v_sub_f32_e32 v18, v19, v17
	v_add_f32_e32 v15, v15, v18
	v_mul_f32_e32 v18, 0x2ea39ef3, v16
	v_sub_f32_e32 v19, v17, v18
	v_sub_f32_e32 v17, v17, v19
	;; [unrolled: 1-line block ×3, first 2 shown]
	v_add_f32_e32 v15, v15, v17
	v_add_f32_e32 v17, v19, v15
	v_sub_f32_e32 v19, v19, v17
	v_mov_b32_e32 v18, 0x3c091de6
	v_add_f32_e32 v15, v15, v19
	v_mul_f32_e32 v20, v17, v17
	v_fmac_f32_e32 v18, 0x3ab42872, v17
	v_add_f32_e32 v19, v15, v15
	v_fma_f32 v21, v17, v17, -v20
	v_fma_f32 v18, v17, v18, v10
	v_fmac_f32_e32 v21, v17, v19
	v_fma_f32 v18, v17, v18, v11
	v_add_f32_e32 v19, v20, v21
	v_fma_f32 v18, v17, v18, v12
	v_sub_f32_e32 v20, v19, v20
	v_sub_f32_e32 v20, v21, v20
	v_mul_f32_e32 v21, v18, v19
	v_fma_f32 v19, v19, v18, -v21
	v_fmac_f32_e32 v19, v20, v18
	v_add_f32_e32 v18, v21, v19
	v_sub_f32_e32 v20, v18, v21
	v_sub_f32_e32 v19, v19, v20
	v_add_f32_e32 v20, v17, v18
	v_sub_f32_e32 v17, v20, v17
	v_sub_f32_e32 v17, v18, v17
	v_add_f32_e32 v15, v15, v19
	v_add_f32_e32 v15, v15, v17
	;; [unrolled: 1-line block ×3, first 2 shown]
	v_sub_f32_e32 v18, v17, v20
	v_sub_f32_e32 v15, v15, v18
	v_add_f32_e32 v18, 1.0, v17
	v_add_f32_e32 v19, -1.0, v18
	v_sub_f32_e32 v17, v17, v19
	v_cvt_i32_f32_e32 v16, v16
	v_add_f32_e32 v15, v15, v17
	v_add_f32_e32 v17, v18, v15
	v_sub_f32_e32 v18, v17, v18
	v_sub_f32_e32 v15, v15, v18
	v_ldexp_f32 v17, v17, v16
	v_ldexp_f32 v15, v15, v16
	v_rcp_f32_e32 v16, v17
	v_cmp_ngt_f32_e64 vcc, |v2|, s19
	v_mul_f32_e32 v18, v17, v16
	v_fma_f32 v19, v16, v17, -v18
	v_fmac_f32_e32 v19, v16, v15
	v_add_f32_e32 v20, v18, v19
	v_sub_f32_e32 v21, 1.0, v20
	v_sub_f32_e32 v22, 1.0, v21
	v_sub_f32_e32 v18, v20, v18
	v_sub_f32_e32 v22, v22, v20
	v_sub_f32_e32 v18, v18, v19
	v_add_f32_e32 v18, v18, v22
	v_add_f32_e32 v19, v21, v18
	v_mul_f32_e32 v20, v16, v19
	v_mul_f32_e32 v22, v17, v20
	v_fma_f32 v23, v20, v17, -v22
	v_fmac_f32_e32 v23, v20, v15
	v_sub_f32_e32 v21, v21, v19
	v_add_f32_e32 v18, v18, v21
	v_add_f32_e32 v21, v22, v23
	v_sub_f32_e32 v24, v19, v21
	v_sub_f32_e32 v19, v19, v24
	;; [unrolled: 1-line block ×4, first 2 shown]
	v_add_f32_e32 v18, v18, v19
	v_sub_f32_e32 v19, v22, v23
	v_add_f32_e32 v18, v19, v18
	v_add_f32_e32 v18, v24, v18
	;; [unrolled: 1-line block ×3, first 2 shown]
	v_mul_f32_e32 v18, v16, v18
	v_sub_f32_e32 v16, v19, v16
	v_sub_f32_e32 v16, v20, v16
	v_add_f32_e32 v16, v16, v18
	v_add_f32_e32 v18, v19, v16
	v_sub_f32_e32 v19, v18, v19
	v_ldexp_f32 v18, v18, -2
	v_sub_f32_e32 v16, v16, v19
	v_add_f32_e32 v19, v17, v18
	v_ldexp_f32 v16, v16, -2
	v_sub_f32_e32 v17, v19, v17
	v_sub_f32_e32 v17, v18, v17
	v_add_f32_e32 v15, v15, v16
	v_add_f32_e32 v15, v15, v17
	;; [unrolled: 1-line block ×3, first 2 shown]
	v_cndmask_b32_e32 v2, v13, v15, vcc
	v_add_f32_e64 v15, |v3|, s18
	v_sub_f32_e64 v16, v15, |v3|
	v_sub_f32_e32 v17, v16, v15
	v_add_f32_e64 v17, |v3|, v17
	v_add_f32_e32 v16, 0x3f317218, v16
	v_sub_f32_e32 v16, v17, v16
	v_add_f32_e32 v16, 0x3102e308, v16
	v_add_f32_e32 v17, v15, v16
	v_sub_f32_e32 v15, v15, v17
	v_add_f32_e32 v15, v16, v15
	v_mul_f32_e32 v16, 0x3fb8aa3b, v17
	v_rndne_f32_e32 v16, v16
	v_fmac_f32_e32 v17, 0xbf317200, v16
	v_add_f32_e32 v18, v15, v17
	v_sub_f32_e32 v17, v17, v18
	v_add_f32_e32 v15, v15, v17
	v_mul_f32_e32 v17, 0x35bfbc00, v16
	v_sub_f32_e32 v19, v18, v17
	v_sub_f32_e32 v18, v18, v19
	;; [unrolled: 1-line block ×3, first 2 shown]
	v_add_f32_e32 v15, v15, v17
	v_add_f32_e32 v17, v19, v15
	v_sub_f32_e32 v18, v19, v17
	v_add_f32_e32 v15, v15, v18
	v_mul_f32_e32 v18, 0x2ea39ef3, v16
	v_sub_f32_e32 v19, v17, v18
	v_sub_f32_e32 v17, v17, v19
	;; [unrolled: 1-line block ×3, first 2 shown]
	v_add_f32_e32 v15, v15, v17
	v_add_f32_e32 v17, v19, v15
	v_sub_f32_e32 v19, v19, v17
	v_mov_b32_e32 v18, 0x3c091de6
	v_add_f32_e32 v15, v15, v19
	v_mul_f32_e32 v20, v17, v17
	v_fmac_f32_e32 v18, 0x3ab42872, v17
	v_add_f32_e32 v19, v15, v15
	v_fma_f32 v21, v17, v17, -v20
	v_fma_f32 v18, v17, v18, v10
	v_fmac_f32_e32 v21, v17, v19
	v_fma_f32 v18, v17, v18, v11
	v_add_f32_e32 v19, v20, v21
	v_fma_f32 v18, v17, v18, v12
	v_sub_f32_e32 v20, v19, v20
	v_sub_f32_e32 v20, v21, v20
	v_mul_f32_e32 v21, v18, v19
	v_fma_f32 v19, v19, v18, -v21
	v_fmac_f32_e32 v19, v20, v18
	v_add_f32_e32 v18, v21, v19
	v_sub_f32_e32 v20, v18, v21
	v_sub_f32_e32 v19, v19, v20
	v_add_f32_e32 v20, v17, v18
	v_sub_f32_e32 v17, v20, v17
	v_sub_f32_e32 v17, v18, v17
	v_add_f32_e32 v15, v15, v19
	v_add_f32_e32 v15, v15, v17
	;; [unrolled: 1-line block ×3, first 2 shown]
	v_sub_f32_e32 v18, v17, v20
	v_sub_f32_e32 v15, v15, v18
	v_add_f32_e32 v18, 1.0, v17
	v_add_f32_e32 v19, -1.0, v18
	v_sub_f32_e32 v17, v17, v19
	v_cvt_i32_f32_e32 v16, v16
	v_add_f32_e32 v15, v15, v17
	v_add_f32_e32 v17, v18, v15
	v_sub_f32_e32 v18, v17, v18
	v_sub_f32_e32 v15, v15, v18
	v_ldexp_f32 v17, v17, v16
	v_ldexp_f32 v15, v15, v16
	v_rcp_f32_e32 v16, v17
	v_cmp_ngt_f32_e64 vcc, |v3|, s19
	v_mul_f32_e32 v18, v17, v16
	v_fma_f32 v19, v16, v17, -v18
	v_fmac_f32_e32 v19, v16, v15
	v_add_f32_e32 v20, v18, v19
	v_sub_f32_e32 v21, 1.0, v20
	v_sub_f32_e32 v22, 1.0, v21
	v_sub_f32_e32 v18, v20, v18
	v_sub_f32_e32 v22, v22, v20
	;; [unrolled: 1-line block ×3, first 2 shown]
	v_add_f32_e32 v18, v18, v22
	v_add_f32_e32 v19, v21, v18
	v_mul_f32_e32 v20, v16, v19
	v_mul_f32_e32 v22, v17, v20
	v_fma_f32 v23, v20, v17, -v22
	v_fmac_f32_e32 v23, v20, v15
	v_sub_f32_e32 v21, v21, v19
	v_add_f32_e32 v18, v18, v21
	v_add_f32_e32 v21, v22, v23
	v_sub_f32_e32 v24, v19, v21
	v_sub_f32_e32 v19, v19, v24
	v_sub_f32_e32 v22, v21, v22
	v_sub_f32_e32 v19, v19, v21
	v_add_f32_e32 v18, v18, v19
	v_sub_f32_e32 v19, v22, v23
	v_add_f32_e32 v18, v19, v18
	v_add_f32_e32 v18, v24, v18
	;; [unrolled: 1-line block ×3, first 2 shown]
	v_mul_f32_e32 v18, v16, v18
	v_sub_f32_e32 v16, v19, v16
	v_sub_f32_e32 v16, v20, v16
	v_add_f32_e32 v16, v16, v18
	v_add_f32_e32 v18, v19, v16
	v_sub_f32_e32 v19, v18, v19
	v_ldexp_f32 v18, v18, -2
	v_sub_f32_e32 v16, v16, v19
	v_add_f32_e32 v19, v17, v18
	v_ldexp_f32 v16, v16, -2
	v_sub_f32_e32 v17, v19, v17
	v_sub_f32_e32 v17, v18, v17
	v_add_f32_e32 v15, v15, v16
	v_add_f32_e32 v15, v15, v17
	;; [unrolled: 1-line block ×3, first 2 shown]
	v_cndmask_b32_e32 v3, v13, v15, vcc
	v_add_f32_e64 v15, |v4|, s18
	v_sub_f32_e64 v16, v15, |v4|
	v_sub_f32_e32 v17, v16, v15
	v_add_f32_e64 v17, |v4|, v17
	v_add_f32_e32 v16, 0x3f317218, v16
	v_sub_f32_e32 v16, v17, v16
	v_add_f32_e32 v16, 0x3102e308, v16
	v_add_f32_e32 v17, v15, v16
	v_sub_f32_e32 v15, v15, v17
	v_add_f32_e32 v15, v16, v15
	v_mul_f32_e32 v16, 0x3fb8aa3b, v17
	v_rndne_f32_e32 v16, v16
	v_fmac_f32_e32 v17, 0xbf317200, v16
	v_add_f32_e32 v18, v15, v17
	v_sub_f32_e32 v17, v17, v18
	v_add_f32_e32 v15, v15, v17
	v_mul_f32_e32 v17, 0x35bfbc00, v16
	v_sub_f32_e32 v19, v18, v17
	v_sub_f32_e32 v18, v18, v19
	;; [unrolled: 1-line block ×3, first 2 shown]
	v_add_f32_e32 v15, v15, v17
	v_add_f32_e32 v17, v19, v15
	v_sub_f32_e32 v18, v19, v17
	v_add_f32_e32 v15, v15, v18
	v_mul_f32_e32 v18, 0x2ea39ef3, v16
	v_sub_f32_e32 v19, v17, v18
	v_sub_f32_e32 v17, v17, v19
	;; [unrolled: 1-line block ×3, first 2 shown]
	v_add_f32_e32 v15, v15, v17
	v_add_f32_e32 v17, v19, v15
	v_sub_f32_e32 v19, v19, v17
	v_mov_b32_e32 v18, 0x3c091de6
	v_add_f32_e32 v15, v15, v19
	v_mul_f32_e32 v20, v17, v17
	v_fmac_f32_e32 v18, 0x3ab42872, v17
	v_add_f32_e32 v19, v15, v15
	v_fma_f32 v21, v17, v17, -v20
	v_fma_f32 v18, v17, v18, v10
	v_fmac_f32_e32 v21, v17, v19
	v_fma_f32 v18, v17, v18, v11
	v_add_f32_e32 v19, v20, v21
	v_fma_f32 v18, v17, v18, v12
	v_sub_f32_e32 v20, v19, v20
	v_sub_f32_e32 v20, v21, v20
	v_mul_f32_e32 v21, v18, v19
	v_fma_f32 v19, v19, v18, -v21
	v_fmac_f32_e32 v19, v20, v18
	v_add_f32_e32 v18, v21, v19
	v_sub_f32_e32 v20, v18, v21
	v_sub_f32_e32 v19, v19, v20
	v_add_f32_e32 v20, v17, v18
	v_sub_f32_e32 v17, v20, v17
	v_sub_f32_e32 v17, v18, v17
	v_add_f32_e32 v15, v15, v19
	v_add_f32_e32 v15, v15, v17
	;; [unrolled: 1-line block ×3, first 2 shown]
	v_sub_f32_e32 v18, v17, v20
	v_sub_f32_e32 v15, v15, v18
	v_add_f32_e32 v18, 1.0, v17
	v_add_f32_e32 v19, -1.0, v18
	v_sub_f32_e32 v17, v17, v19
	v_cvt_i32_f32_e32 v16, v16
	v_add_f32_e32 v15, v15, v17
	v_add_f32_e32 v17, v18, v15
	v_sub_f32_e32 v18, v17, v18
	v_sub_f32_e32 v15, v15, v18
	v_ldexp_f32 v17, v17, v16
	v_ldexp_f32 v15, v15, v16
	v_rcp_f32_e32 v16, v17
	v_cmp_ngt_f32_e64 vcc, |v4|, s19
	v_mul_f32_e32 v18, v17, v16
	v_fma_f32 v19, v16, v17, -v18
	v_fmac_f32_e32 v19, v16, v15
	v_add_f32_e32 v20, v18, v19
	v_sub_f32_e32 v21, 1.0, v20
	v_sub_f32_e32 v22, 1.0, v21
	v_sub_f32_e32 v18, v20, v18
	v_sub_f32_e32 v22, v22, v20
	;; [unrolled: 1-line block ×3, first 2 shown]
	v_add_f32_e32 v18, v18, v22
	v_add_f32_e32 v19, v21, v18
	v_mul_f32_e32 v20, v16, v19
	v_mul_f32_e32 v22, v17, v20
	v_fma_f32 v23, v20, v17, -v22
	v_fmac_f32_e32 v23, v20, v15
	v_sub_f32_e32 v21, v21, v19
	v_add_f32_e32 v18, v18, v21
	v_add_f32_e32 v21, v22, v23
	v_sub_f32_e32 v24, v19, v21
	v_sub_f32_e32 v19, v19, v24
	;; [unrolled: 1-line block ×4, first 2 shown]
	v_add_f32_e32 v18, v18, v19
	v_sub_f32_e32 v19, v22, v23
	v_add_f32_e32 v18, v19, v18
	v_add_f32_e32 v18, v24, v18
	;; [unrolled: 1-line block ×3, first 2 shown]
	v_mul_f32_e32 v18, v16, v18
	v_sub_f32_e32 v16, v19, v16
	v_sub_f32_e32 v16, v20, v16
	v_add_f32_e32 v16, v16, v18
	v_add_f32_e32 v18, v19, v16
	v_sub_f32_e32 v19, v18, v19
	v_ldexp_f32 v18, v18, -2
	v_sub_f32_e32 v16, v16, v19
	v_add_f32_e32 v19, v17, v18
	v_ldexp_f32 v16, v16, -2
	v_sub_f32_e32 v17, v19, v17
	v_sub_f32_e32 v17, v18, v17
	v_add_f32_e32 v15, v15, v16
	v_add_f32_e32 v15, v15, v17
	;; [unrolled: 1-line block ×3, first 2 shown]
	v_cndmask_b32_e32 v4, v13, v15, vcc
	v_add_co_u32_e32 v15, vcc, s0, v7
	v_addc_co_u32_e32 v16, vcc, v14, v8, vcc
	v_add_co_u32_e32 v5, vcc, s16, v5
	v_addc_co_u32_e32 v6, vcc, 0, v6, vcc
	global_store_dwordx4 v[15:16], v[1:4], off
	v_add_co_u32_e32 v7, vcc, s17, v7
	v_lshlrev_b64 v[1:2], 2, v[5:6]
	v_addc_co_u32_e32 v8, vcc, 0, v8, vcc
	v_cmp_le_i64_e32 vcc, s[10:11], v[1:2]
	s_or_b64 s[14:15], vcc, s[14:15]
	s_andn2_b64 exec, exec, s[14:15]
	s_cbranch_execnz .LBB78_3
.LBB78_4:
	s_or_b64 exec, exec, s[12:13]
	s_mov_b64 s[10:11], 0
.LBB78_5:
	s_andn2_b64 vcc, exec, s[10:11]
	s_cbranch_vccnz .LBB78_25
; %bb.6:
	v_cmp_lt_i64_e64 s[10:11], s[6:7], 1
	s_and_b64 vcc, exec, s[10:11]
	s_cbranch_vccnz .LBB78_25
; %bb.7:
	v_mov_b32_e32 v1, 0x10000
	s_load_dword s12, s[4:5], 0xc5c
	v_mov_b32_e32 v2, 0
	v_cmp_lt_i64_e32 vcc, s[6:7], v[1:2]
	v_mov_b32_e32 v10, 0
	s_and_b64 s[4:5], vcc, exec
	v_cmp_lt_u64_e32 vcc, s[6:7], v[1:2]
	s_cselect_b32 s11, s7, 0
	s_cselect_b32 s10, s6, 0x10000
	s_waitcnt lgkmcnt(0)
	s_and_b32 s14, s12, 0xffff
	v_lshlrev_b32_e32 v9, 2, v0
	s_and_b64 s[4:5], vcc, exec
	v_mov_b32_e32 v2, s3
	v_add_co_u32_e32 v1, vcc, s2, v9
	v_mad_u64_u32 v[7:8], s[4:5], s14, 12, v[9:10]
	v_addc_co_u32_e32 v2, vcc, 0, v2, vcc
	v_mov_b32_e32 v4, s1
	v_add_co_u32_e32 v3, vcc, s0, v9
	v_addc_co_u32_e32 v4, vcc, 0, v4, vcc
	v_mov_b32_e32 v6, s3
	v_add_co_u32_e32 v5, vcc, s2, v7
	;; [unrolled: 3-line block ×3, first 2 shown]
	s_cselect_b32 s13, s7, 0
	s_cselect_b32 s12, s6, 0x10000
	v_addc_co_u32_e32 v8, vcc, v10, v8, vcc
	s_lshl_b32 s4, s14, 3
	v_add_co_u32_e32 v11, vcc, s4, v9
	v_addc_co_u32_e64 v12, s[4:5], 0, 0, vcc
	v_mov_b32_e32 v10, s3
	v_add_co_u32_e32 v9, vcc, s2, v11
	v_addc_co_u32_e32 v10, vcc, v10, v12, vcc
	v_mov_b32_e32 v13, s1
	v_add_co_u32_e32 v11, vcc, s0, v11
	v_addc_co_u32_e32 v12, vcc, v13, v12, vcc
	v_add_co_u32_e32 v13, vcc, s14, v0
	v_lshlrev_b32_e32 v17, 2, v13
	v_addc_co_u32_e64 v14, s[4:5], 0, 0, vcc
	v_mov_b32_e32 v16, s3
	v_add_co_u32_e32 v15, vcc, s2, v17
	v_addc_co_u32_e32 v16, vcc, 0, v16, vcc
	v_mov_b32_e32 v18, s1
	v_add_co_u32_e32 v17, vcc, s0, v17
	s_mul_i32 s7, s14, 3
	v_addc_co_u32_e32 v18, vcc, 0, v18, vcc
	s_lshl_b32 s6, s14, 1
	v_add_co_u32_e32 v19, vcc, s7, v0
	v_addc_co_u32_e64 v20, s[0:1], 0, 0, vcc
	v_add_co_u32_e32 v21, vcc, s6, v0
	s_lshl_b32 s18, s14, 2
	s_lshl_b32 s19, s14, 4
	s_mov_b64 s[14:15], 0
	s_mov_b32 s20, 0x42b2d4fc
	v_addc_co_u32_e64 v22, s[0:1], 0, 0, vcc
	v_mov_b32_e32 v23, 0x3d2aadcc
	v_mov_b32_e32 v24, 0x3e2aaa47
	v_mov_b32_e32 v25, 0x3efffffc
	v_mov_b32_e32 v26, 0x7f800000
	s_branch .LBB78_9
.LBB78_8:                               ;   in Loop: Header=BB78_9 Depth=1
	s_or_b64 exec, exec, s[0:1]
	v_add_co_u32_e32 v1, vcc, s19, v1
	v_addc_co_u32_e32 v2, vcc, 0, v2, vcc
	v_add_co_u32_e32 v3, vcc, s19, v3
	v_addc_co_u32_e32 v4, vcc, 0, v4, vcc
	;; [unrolled: 2-line block ×6, first 2 shown]
	s_add_u32 s14, s14, s18
	v_add_co_u32_e32 v15, vcc, s19, v15
	v_mov_b32_e32 v28, s11
	s_addc_u32 s15, s15, 0
	v_addc_co_u32_e32 v16, vcc, 0, v16, vcc
	v_mov_b32_e32 v27, s10
	v_cmp_ge_i64_e32 vcc, s[14:15], v[27:28]
	v_add_co_u32_e64 v17, s[0:1], s19, v17
	v_addc_co_u32_e64 v18, s[0:1], 0, v18, s[0:1]
	s_cbranch_vccnz .LBB78_25
.LBB78_9:                               ; =>This Inner Loop Header: Depth=1
	v_mov_b32_e32 v28, s15
	v_add_co_u32_e32 v27, vcc, s14, v0
	v_addc_co_u32_e32 v28, vcc, 0, v28, vcc
	v_cmp_gt_u64_e64 s[4:5], s[12:13], v[27:28]
	v_mov_b32_e32 v30, 0
	s_and_saveexec_b64 s[0:1], s[4:5]
	s_cbranch_execz .LBB78_11
; %bb.10:                               ;   in Loop: Header=BB78_9 Depth=1
	v_mov_b32_e32 v28, s9
	v_add_co_u32_e32 v27, vcc, s8, v1
	v_addc_co_u32_e32 v28, vcc, v2, v28, vcc
	global_load_dword v27, v[27:28], off
	s_waitcnt vmcnt(0)
	v_and_b32_e32 v30, 0x7fffffff, v27
.LBB78_11:                              ;   in Loop: Header=BB78_9 Depth=1
	s_or_b64 exec, exec, s[0:1]
	v_mov_b32_e32 v28, s15
	v_add_co_u32_e32 v27, vcc, s14, v13
	v_addc_co_u32_e32 v28, vcc, v14, v28, vcc
	v_cmp_gt_u64_e64 s[2:3], s[12:13], v[27:28]
	v_mov_b32_e32 v28, 0
	v_mov_b32_e32 v29, 0
	s_and_saveexec_b64 s[0:1], s[2:3]
	s_cbranch_execz .LBB78_13
; %bb.12:                               ;   in Loop: Header=BB78_9 Depth=1
	v_mov_b32_e32 v27, s9
	v_add_co_u32_e32 v31, vcc, s8, v15
	v_addc_co_u32_e32 v32, vcc, v16, v27, vcc
	global_load_dword v27, v[31:32], off
	s_waitcnt vmcnt(0)
	v_and_b32_e32 v29, 0x7fffffff, v27
.LBB78_13:                              ;   in Loop: Header=BB78_9 Depth=1
	s_or_b64 exec, exec, s[0:1]
	v_mov_b32_e32 v27, s15
	v_add_co_u32_e32 v31, vcc, s14, v21
	v_addc_co_u32_e32 v32, vcc, v22, v27, vcc
	v_cmp_gt_u64_e64 s[0:1], s[12:13], v[31:32]
	s_and_saveexec_b64 s[6:7], s[0:1]
	s_cbranch_execz .LBB78_15
; %bb.14:                               ;   in Loop: Header=BB78_9 Depth=1
	v_mov_b32_e32 v28, s9
	v_add_co_u32_e32 v27, vcc, s8, v9
	v_addc_co_u32_e32 v28, vcc, v10, v28, vcc
	global_load_dword v27, v[27:28], off
	s_waitcnt vmcnt(0)
	v_and_b32_e32 v28, 0x7fffffff, v27
.LBB78_15:                              ;   in Loop: Header=BB78_9 Depth=1
	s_or_b64 exec, exec, s[6:7]
	v_mov_b32_e32 v27, s15
	v_add_co_u32_e32 v31, vcc, s14, v19
	v_addc_co_u32_e32 v32, vcc, v20, v27, vcc
	v_cmp_gt_u64_e32 vcc, s[12:13], v[31:32]
	v_mov_b32_e32 v27, 0
	s_and_saveexec_b64 s[16:17], vcc
	s_cbranch_execnz .LBB78_20
; %bb.16:                               ;   in Loop: Header=BB78_9 Depth=1
	s_or_b64 exec, exec, s[16:17]
	s_and_saveexec_b64 s[6:7], s[4:5]
	s_cbranch_execnz .LBB78_21
.LBB78_17:                              ;   in Loop: Header=BB78_9 Depth=1
	s_or_b64 exec, exec, s[6:7]
	s_and_saveexec_b64 s[4:5], s[2:3]
	s_cbranch_execnz .LBB78_22
.LBB78_18:                              ;   in Loop: Header=BB78_9 Depth=1
	s_or_b64 exec, exec, s[4:5]
	s_and_saveexec_b64 s[2:3], s[0:1]
	s_cbranch_execnz .LBB78_23
.LBB78_19:                              ;   in Loop: Header=BB78_9 Depth=1
	s_or_b64 exec, exec, s[2:3]
	s_and_saveexec_b64 s[0:1], vcc
	s_cbranch_execz .LBB78_8
	s_branch .LBB78_24
.LBB78_20:                              ;   in Loop: Header=BB78_9 Depth=1
	v_mov_b32_e32 v27, s9
	v_add_co_u32_e64 v31, s[6:7], s8, v5
	v_addc_co_u32_e64 v32, s[6:7], v6, v27, s[6:7]
	global_load_dword v27, v[31:32], off
	s_waitcnt vmcnt(0)
	v_and_b32_e32 v27, 0x7fffffff, v27
	s_or_b64 exec, exec, s[16:17]
	s_and_saveexec_b64 s[6:7], s[4:5]
	s_cbranch_execz .LBB78_17
.LBB78_21:                              ;   in Loop: Header=BB78_9 Depth=1
	v_add_f32_e32 v31, 0xbf317218, v30
	v_sub_f32_e32 v32, v31, v30
	v_sub_f32_e32 v33, v32, v31
	v_add_f32_e32 v33, v30, v33
	v_add_f32_e32 v32, 0x3f317218, v32
	v_sub_f32_e32 v32, v33, v32
	v_add_f32_e32 v32, 0x3102e308, v32
	v_add_f32_e32 v33, v31, v32
	v_sub_f32_e32 v31, v31, v33
	v_add_f32_e32 v31, v32, v31
	v_mul_f32_e32 v32, 0x3fb8aa3b, v33
	v_rndne_f32_e32 v32, v32
	v_fmac_f32_e32 v33, 0xbf317200, v32
	v_add_f32_e32 v34, v31, v33
	v_mul_f32_e32 v35, 0x35bfbc00, v32
	v_sub_f32_e32 v36, v34, v35
	v_sub_f32_e32 v33, v33, v34
	v_add_f32_e32 v31, v31, v33
	v_sub_f32_e32 v33, v34, v36
	v_sub_f32_e32 v33, v33, v35
	v_add_f32_e32 v31, v31, v33
	v_add_f32_e32 v33, v36, v31
	v_mul_f32_e32 v34, 0x2ea39ef3, v32
	v_sub_f32_e32 v35, v33, v34
	v_sub_f32_e32 v36, v36, v33
	;; [unrolled: 1-line block ×3, first 2 shown]
	v_add_f32_e32 v31, v31, v36
	v_sub_f32_e32 v33, v33, v34
	v_add_f32_e32 v31, v31, v33
	v_add_f32_e32 v33, v35, v31
	v_mov_b32_e32 v34, 0x3c091de6
	v_sub_f32_e32 v35, v35, v33
	v_fmac_f32_e32 v34, 0x3ab42872, v33
	v_mul_f32_e32 v36, v33, v33
	v_add_f32_e32 v31, v31, v35
	v_fma_f32 v34, v33, v34, v23
	v_add_f32_e32 v35, v31, v31
	v_fma_f32 v37, v33, v33, -v36
	v_fma_f32 v34, v33, v34, v24
	v_fmac_f32_e32 v37, v33, v35
	v_fma_f32 v34, v33, v34, v25
	v_add_f32_e32 v35, v36, v37
	v_mul_f32_e32 v38, v34, v35
	v_sub_f32_e32 v36, v35, v36
	v_sub_f32_e32 v36, v37, v36
	v_fma_f32 v35, v35, v34, -v38
	v_fmac_f32_e32 v35, v36, v34
	v_add_f32_e32 v34, v38, v35
	v_add_f32_e32 v36, v33, v34
	v_sub_f32_e32 v37, v34, v38
	v_sub_f32_e32 v35, v35, v37
	;; [unrolled: 1-line block ×3, first 2 shown]
	v_add_f32_e32 v31, v31, v35
	v_sub_f32_e32 v33, v34, v33
	v_add_f32_e32 v31, v31, v33
	v_add_f32_e32 v33, v36, v31
	v_add_f32_e32 v34, 1.0, v33
	v_sub_f32_e32 v35, v33, v36
	v_sub_f32_e32 v31, v31, v35
	v_add_f32_e32 v35, -1.0, v34
	v_cvt_i32_f32_e32 v32, v32
	v_sub_f32_e32 v33, v33, v35
	v_add_f32_e32 v31, v31, v33
	v_add_f32_e32 v33, v34, v31
	v_ldexp_f32 v35, v33, v32
	v_rcp_f32_e32 v36, v35
	v_sub_f32_e32 v33, v33, v34
	v_sub_f32_e32 v31, v31, v33
	v_ldexp_f32 v31, v31, v32
	v_mul_f32_e32 v37, v35, v36
	v_fma_f32 v32, v36, v35, -v37
	v_fmac_f32_e32 v32, v36, v31
	v_add_f32_e32 v33, v37, v32
	v_sub_f32_e32 v34, 1.0, v33
	v_sub_f32_e32 v37, v33, v37
	v_sub_f32_e32 v32, v37, v32
	v_sub_f32_e32 v37, 1.0, v34
	v_sub_f32_e32 v33, v37, v33
	v_add_f32_e32 v32, v32, v33
	v_add_f32_e32 v33, v34, v32
	v_mul_f32_e32 v37, v36, v33
	v_mul_f32_e32 v40, v35, v37
	v_add_f32_e32 v38, v36, v37
	v_fma_f32 v41, v37, v35, -v40
	v_sub_f32_e32 v39, v38, v36
	v_fmac_f32_e32 v41, v37, v31
	v_sub_f32_e32 v39, v37, v39
	v_add_f32_e32 v37, v40, v41
	v_sub_f32_e32 v42, v33, v37
	v_sub_f32_e32 v34, v34, v33
	;; [unrolled: 1-line block ×4, first 2 shown]
	v_add_f32_e32 v32, v32, v34
	v_sub_f32_e32 v33, v33, v37
	v_sub_f32_e32 v40, v40, v41
	v_add_f32_e32 v32, v32, v33
	v_add_f32_e32 v32, v40, v32
	;; [unrolled: 1-line block ×3, first 2 shown]
	v_mul_f32_e32 v32, v36, v32
	v_add_f32_e32 v32, v39, v32
	v_add_f32_e32 v33, v38, v32
	v_ldexp_f32 v34, v33, -2
	v_sub_f32_e32 v33, v33, v38
	v_sub_f32_e32 v32, v32, v33
	v_add_f32_e32 v36, v35, v34
	v_ldexp_f32 v32, v32, -2
	v_add_f32_e32 v31, v31, v32
	v_sub_f32_e32 v32, v36, v35
	v_sub_f32_e32 v32, v34, v32
	v_add_f32_e32 v31, v31, v32
	v_add_f32_e32 v31, v36, v31
	v_cmp_nlt_f32_e64 s[4:5], s20, v30
	v_cndmask_b32_e64 v32, v26, v31, s[4:5]
	v_mov_b32_e32 v31, s9
	v_add_co_u32_e64 v30, s[4:5], s8, v3
	v_addc_co_u32_e64 v31, s[4:5], v4, v31, s[4:5]
	global_store_dword v[30:31], v32, off
	s_or_b64 exec, exec, s[6:7]
	s_and_saveexec_b64 s[4:5], s[2:3]
	s_cbranch_execz .LBB78_18
.LBB78_22:                              ;   in Loop: Header=BB78_9 Depth=1
	v_add_f32_e32 v30, 0xbf317218, v29
	v_sub_f32_e32 v31, v30, v29
	v_sub_f32_e32 v32, v31, v30
	v_add_f32_e32 v32, v29, v32
	v_add_f32_e32 v31, 0x3f317218, v31
	v_sub_f32_e32 v31, v32, v31
	v_add_f32_e32 v31, 0x3102e308, v31
	v_add_f32_e32 v32, v30, v31
	v_sub_f32_e32 v30, v30, v32
	v_add_f32_e32 v30, v31, v30
	v_mul_f32_e32 v31, 0x3fb8aa3b, v32
	v_rndne_f32_e32 v31, v31
	v_fmac_f32_e32 v32, 0xbf317200, v31
	v_add_f32_e32 v33, v30, v32
	v_sub_f32_e32 v32, v32, v33
	v_add_f32_e32 v30, v30, v32
	v_mul_f32_e32 v32, 0x35bfbc00, v31
	v_sub_f32_e32 v34, v33, v32
	v_sub_f32_e32 v33, v33, v34
	;; [unrolled: 1-line block ×3, first 2 shown]
	v_add_f32_e32 v30, v30, v32
	v_add_f32_e32 v32, v34, v30
	v_sub_f32_e32 v33, v34, v32
	v_add_f32_e32 v30, v30, v33
	v_mul_f32_e32 v33, 0x2ea39ef3, v31
	v_sub_f32_e32 v34, v32, v33
	v_sub_f32_e32 v32, v32, v34
	;; [unrolled: 1-line block ×3, first 2 shown]
	v_add_f32_e32 v30, v30, v32
	v_add_f32_e32 v32, v34, v30
	v_sub_f32_e32 v34, v34, v32
	v_mov_b32_e32 v33, 0x3c091de6
	v_add_f32_e32 v30, v30, v34
	v_mul_f32_e32 v35, v32, v32
	v_fmac_f32_e32 v33, 0x3ab42872, v32
	v_add_f32_e32 v34, v30, v30
	v_fma_f32 v36, v32, v32, -v35
	v_fma_f32 v33, v32, v33, v23
	v_fmac_f32_e32 v36, v32, v34
	v_fma_f32 v33, v32, v33, v24
	v_add_f32_e32 v34, v35, v36
	v_fma_f32 v33, v32, v33, v25
	v_sub_f32_e32 v35, v34, v35
	v_sub_f32_e32 v35, v36, v35
	v_mul_f32_e32 v36, v33, v34
	v_fma_f32 v34, v34, v33, -v36
	v_fmac_f32_e32 v34, v35, v33
	v_add_f32_e32 v33, v36, v34
	v_sub_f32_e32 v35, v33, v36
	v_sub_f32_e32 v34, v34, v35
	v_add_f32_e32 v35, v32, v33
	v_sub_f32_e32 v32, v35, v32
	v_sub_f32_e32 v32, v33, v32
	v_add_f32_e32 v30, v30, v34
	v_add_f32_e32 v30, v30, v32
	v_add_f32_e32 v32, v35, v30
	v_sub_f32_e32 v33, v32, v35
	v_sub_f32_e32 v30, v30, v33
	v_add_f32_e32 v33, 1.0, v32
	v_add_f32_e32 v34, -1.0, v33
	v_cvt_i32_f32_e32 v31, v31
	v_sub_f32_e32 v32, v32, v34
	v_add_f32_e32 v30, v30, v32
	v_add_f32_e32 v32, v33, v30
	v_ldexp_f32 v34, v32, v31
	v_rcp_f32_e32 v35, v34
	v_sub_f32_e32 v32, v32, v33
	v_sub_f32_e32 v30, v30, v32
	v_ldexp_f32 v30, v30, v31
	v_mul_f32_e32 v31, v34, v35
	v_fma_f32 v32, v35, v34, -v31
	v_fmac_f32_e32 v32, v35, v30
	v_add_f32_e32 v33, v31, v32
	v_sub_f32_e32 v36, 1.0, v33
	v_sub_f32_e32 v37, 1.0, v36
	v_sub_f32_e32 v31, v33, v31
	v_sub_f32_e32 v37, v37, v33
	;; [unrolled: 1-line block ×3, first 2 shown]
	v_add_f32_e32 v31, v31, v37
	v_add_f32_e32 v32, v36, v31
	v_mul_f32_e32 v33, v35, v32
	v_mul_f32_e32 v37, v34, v33
	v_fma_f32 v38, v33, v34, -v37
	v_fmac_f32_e32 v38, v33, v30
	v_sub_f32_e32 v36, v36, v32
	v_add_f32_e32 v31, v31, v36
	v_add_f32_e32 v36, v37, v38
	v_sub_f32_e32 v39, v32, v36
	v_sub_f32_e32 v32, v32, v39
	;; [unrolled: 1-line block ×4, first 2 shown]
	v_add_f32_e32 v31, v31, v32
	v_sub_f32_e32 v32, v37, v38
	v_add_f32_e32 v31, v32, v31
	v_add_f32_e32 v31, v39, v31
	;; [unrolled: 1-line block ×3, first 2 shown]
	v_mul_f32_e32 v31, v35, v31
	v_sub_f32_e32 v35, v32, v35
	v_sub_f32_e32 v33, v33, v35
	v_add_f32_e32 v31, v33, v31
	v_add_f32_e32 v33, v32, v31
	v_sub_f32_e32 v32, v33, v32
	v_sub_f32_e32 v31, v31, v32
	v_ldexp_f32 v32, v33, -2
	v_add_f32_e32 v33, v34, v32
	v_ldexp_f32 v31, v31, -2
	v_sub_f32_e32 v34, v33, v34
	v_sub_f32_e32 v32, v32, v34
	v_add_f32_e32 v30, v30, v31
	v_add_f32_e32 v30, v30, v32
	;; [unrolled: 1-line block ×3, first 2 shown]
	v_cmp_nlt_f32_e64 s[2:3], s20, v29
	v_cndmask_b32_e64 v31, v26, v30, s[2:3]
	v_mov_b32_e32 v30, s9
	v_add_co_u32_e64 v29, s[2:3], s8, v17
	v_addc_co_u32_e64 v30, s[2:3], v18, v30, s[2:3]
	global_store_dword v[29:30], v31, off
	s_or_b64 exec, exec, s[4:5]
	s_and_saveexec_b64 s[2:3], s[0:1]
	s_cbranch_execz .LBB78_19
.LBB78_23:                              ;   in Loop: Header=BB78_9 Depth=1
	v_add_f32_e32 v29, 0xbf317218, v28
	v_sub_f32_e32 v30, v29, v28
	v_sub_f32_e32 v31, v30, v29
	v_add_f32_e32 v31, v28, v31
	v_add_f32_e32 v30, 0x3f317218, v30
	v_sub_f32_e32 v30, v31, v30
	v_add_f32_e32 v30, 0x3102e308, v30
	v_add_f32_e32 v31, v29, v30
	v_sub_f32_e32 v29, v29, v31
	v_add_f32_e32 v29, v30, v29
	v_mul_f32_e32 v30, 0x3fb8aa3b, v31
	v_rndne_f32_e32 v30, v30
	v_fmac_f32_e32 v31, 0xbf317200, v30
	v_add_f32_e32 v32, v29, v31
	v_sub_f32_e32 v31, v31, v32
	v_add_f32_e32 v29, v29, v31
	v_mul_f32_e32 v31, 0x35bfbc00, v30
	v_sub_f32_e32 v33, v32, v31
	v_sub_f32_e32 v32, v32, v33
	;; [unrolled: 1-line block ×3, first 2 shown]
	v_add_f32_e32 v29, v29, v31
	v_add_f32_e32 v31, v33, v29
	v_sub_f32_e32 v32, v33, v31
	v_add_f32_e32 v29, v29, v32
	v_mul_f32_e32 v32, 0x2ea39ef3, v30
	v_sub_f32_e32 v33, v31, v32
	v_sub_f32_e32 v31, v31, v33
	;; [unrolled: 1-line block ×3, first 2 shown]
	v_add_f32_e32 v29, v29, v31
	v_add_f32_e32 v31, v33, v29
	v_sub_f32_e32 v33, v33, v31
	v_mov_b32_e32 v32, 0x3c091de6
	v_add_f32_e32 v29, v29, v33
	v_mul_f32_e32 v34, v31, v31
	v_fmac_f32_e32 v32, 0x3ab42872, v31
	v_add_f32_e32 v33, v29, v29
	v_fma_f32 v35, v31, v31, -v34
	v_fma_f32 v32, v31, v32, v23
	v_fmac_f32_e32 v35, v31, v33
	v_fma_f32 v32, v31, v32, v24
	v_add_f32_e32 v33, v34, v35
	v_fma_f32 v32, v31, v32, v25
	v_sub_f32_e32 v34, v33, v34
	v_sub_f32_e32 v34, v35, v34
	v_mul_f32_e32 v35, v32, v33
	v_fma_f32 v33, v33, v32, -v35
	v_fmac_f32_e32 v33, v34, v32
	v_add_f32_e32 v32, v35, v33
	v_sub_f32_e32 v34, v32, v35
	v_sub_f32_e32 v33, v33, v34
	v_add_f32_e32 v34, v31, v32
	v_sub_f32_e32 v31, v34, v31
	v_sub_f32_e32 v31, v32, v31
	v_add_f32_e32 v29, v29, v33
	v_add_f32_e32 v29, v29, v31
	;; [unrolled: 1-line block ×3, first 2 shown]
	v_sub_f32_e32 v32, v31, v34
	v_sub_f32_e32 v29, v29, v32
	v_add_f32_e32 v32, 1.0, v31
	v_add_f32_e32 v33, -1.0, v32
	v_cvt_i32_f32_e32 v30, v30
	v_sub_f32_e32 v31, v31, v33
	v_add_f32_e32 v29, v29, v31
	v_add_f32_e32 v31, v32, v29
	v_ldexp_f32 v33, v31, v30
	v_rcp_f32_e32 v34, v33
	v_sub_f32_e32 v31, v31, v32
	v_sub_f32_e32 v29, v29, v31
	v_ldexp_f32 v29, v29, v30
	v_mul_f32_e32 v30, v33, v34
	v_fma_f32 v31, v34, v33, -v30
	v_fmac_f32_e32 v31, v34, v29
	v_add_f32_e32 v32, v30, v31
	v_sub_f32_e32 v35, 1.0, v32
	v_sub_f32_e32 v36, 1.0, v35
	v_sub_f32_e32 v30, v32, v30
	v_sub_f32_e32 v36, v36, v32
	;; [unrolled: 1-line block ×3, first 2 shown]
	v_add_f32_e32 v30, v30, v36
	v_add_f32_e32 v31, v35, v30
	v_mul_f32_e32 v32, v34, v31
	v_mul_f32_e32 v36, v33, v32
	v_fma_f32 v37, v32, v33, -v36
	v_fmac_f32_e32 v37, v32, v29
	v_sub_f32_e32 v35, v35, v31
	v_add_f32_e32 v30, v30, v35
	v_add_f32_e32 v35, v36, v37
	v_sub_f32_e32 v38, v31, v35
	v_sub_f32_e32 v31, v31, v38
	;; [unrolled: 1-line block ×4, first 2 shown]
	v_add_f32_e32 v30, v30, v31
	v_sub_f32_e32 v31, v36, v37
	v_add_f32_e32 v30, v31, v30
	v_add_f32_e32 v30, v38, v30
	;; [unrolled: 1-line block ×3, first 2 shown]
	v_mul_f32_e32 v30, v34, v30
	v_sub_f32_e32 v34, v31, v34
	v_sub_f32_e32 v32, v32, v34
	v_add_f32_e32 v30, v32, v30
	v_add_f32_e32 v32, v31, v30
	v_sub_f32_e32 v31, v32, v31
	v_sub_f32_e32 v30, v30, v31
	v_ldexp_f32 v31, v32, -2
	v_add_f32_e32 v32, v33, v31
	v_ldexp_f32 v30, v30, -2
	v_sub_f32_e32 v33, v32, v33
	v_sub_f32_e32 v31, v31, v33
	v_add_f32_e32 v29, v29, v30
	v_add_f32_e32 v29, v29, v31
	;; [unrolled: 1-line block ×3, first 2 shown]
	v_cmp_nlt_f32_e64 s[0:1], s20, v28
	v_cndmask_b32_e64 v30, v26, v29, s[0:1]
	v_mov_b32_e32 v29, s9
	v_add_co_u32_e64 v28, s[0:1], s8, v11
	v_addc_co_u32_e64 v29, s[0:1], v12, v29, s[0:1]
	global_store_dword v[28:29], v30, off
	s_or_b64 exec, exec, s[2:3]
	s_and_saveexec_b64 s[0:1], vcc
	s_cbranch_execz .LBB78_8
.LBB78_24:                              ;   in Loop: Header=BB78_9 Depth=1
	v_add_f32_e32 v28, 0xbf317218, v27
	v_sub_f32_e32 v29, v28, v27
	v_sub_f32_e32 v30, v29, v28
	v_add_f32_e32 v30, v27, v30
	v_add_f32_e32 v29, 0x3f317218, v29
	v_sub_f32_e32 v29, v30, v29
	v_add_f32_e32 v29, 0x3102e308, v29
	v_add_f32_e32 v30, v28, v29
	v_sub_f32_e32 v28, v28, v30
	v_add_f32_e32 v28, v29, v28
	v_mul_f32_e32 v29, 0x3fb8aa3b, v30
	v_rndne_f32_e32 v29, v29
	v_fmac_f32_e32 v30, 0xbf317200, v29
	v_add_f32_e32 v31, v28, v30
	v_sub_f32_e32 v30, v30, v31
	v_add_f32_e32 v28, v28, v30
	v_mul_f32_e32 v30, 0x35bfbc00, v29
	v_sub_f32_e32 v32, v31, v30
	v_sub_f32_e32 v31, v31, v32
	;; [unrolled: 1-line block ×3, first 2 shown]
	v_add_f32_e32 v28, v28, v30
	v_add_f32_e32 v30, v32, v28
	v_sub_f32_e32 v31, v32, v30
	v_add_f32_e32 v28, v28, v31
	v_mul_f32_e32 v31, 0x2ea39ef3, v29
	v_sub_f32_e32 v32, v30, v31
	v_sub_f32_e32 v30, v30, v32
	;; [unrolled: 1-line block ×3, first 2 shown]
	v_add_f32_e32 v28, v28, v30
	v_add_f32_e32 v30, v32, v28
	v_sub_f32_e32 v32, v32, v30
	v_mov_b32_e32 v31, 0x3c091de6
	v_add_f32_e32 v28, v28, v32
	v_mul_f32_e32 v33, v30, v30
	v_fmac_f32_e32 v31, 0x3ab42872, v30
	v_add_f32_e32 v32, v28, v28
	v_fma_f32 v34, v30, v30, -v33
	v_fma_f32 v31, v30, v31, v23
	v_fmac_f32_e32 v34, v30, v32
	v_fma_f32 v31, v30, v31, v24
	v_add_f32_e32 v32, v33, v34
	v_fma_f32 v31, v30, v31, v25
	v_sub_f32_e32 v33, v32, v33
	v_sub_f32_e32 v33, v34, v33
	v_mul_f32_e32 v34, v31, v32
	v_fma_f32 v32, v32, v31, -v34
	v_fmac_f32_e32 v32, v33, v31
	v_add_f32_e32 v31, v34, v32
	v_sub_f32_e32 v33, v31, v34
	v_sub_f32_e32 v32, v32, v33
	v_add_f32_e32 v33, v30, v31
	v_sub_f32_e32 v30, v33, v30
	v_sub_f32_e32 v30, v31, v30
	v_add_f32_e32 v28, v28, v32
	v_add_f32_e32 v28, v28, v30
	;; [unrolled: 1-line block ×3, first 2 shown]
	v_sub_f32_e32 v31, v30, v33
	v_sub_f32_e32 v28, v28, v31
	v_add_f32_e32 v31, 1.0, v30
	v_add_f32_e32 v32, -1.0, v31
	v_cvt_i32_f32_e32 v29, v29
	v_sub_f32_e32 v30, v30, v32
	v_add_f32_e32 v28, v28, v30
	v_add_f32_e32 v30, v31, v28
	v_ldexp_f32 v32, v30, v29
	v_rcp_f32_e32 v33, v32
	v_sub_f32_e32 v30, v30, v31
	v_sub_f32_e32 v28, v28, v30
	v_ldexp_f32 v28, v28, v29
	v_mul_f32_e32 v29, v32, v33
	v_fma_f32 v30, v33, v32, -v29
	v_fmac_f32_e32 v30, v33, v28
	v_add_f32_e32 v31, v29, v30
	v_sub_f32_e32 v34, 1.0, v31
	v_sub_f32_e32 v35, 1.0, v34
	v_sub_f32_e32 v29, v31, v29
	v_sub_f32_e32 v35, v35, v31
	;; [unrolled: 1-line block ×3, first 2 shown]
	v_add_f32_e32 v29, v29, v35
	v_add_f32_e32 v30, v34, v29
	v_mul_f32_e32 v31, v33, v30
	v_mul_f32_e32 v35, v32, v31
	v_fma_f32 v36, v31, v32, -v35
	v_fmac_f32_e32 v36, v31, v28
	v_sub_f32_e32 v34, v34, v30
	v_add_f32_e32 v29, v29, v34
	v_add_f32_e32 v34, v35, v36
	v_sub_f32_e32 v37, v30, v34
	v_sub_f32_e32 v30, v30, v37
	;; [unrolled: 1-line block ×4, first 2 shown]
	v_add_f32_e32 v29, v29, v30
	v_sub_f32_e32 v30, v35, v36
	v_add_f32_e32 v29, v30, v29
	v_add_f32_e32 v29, v37, v29
	v_add_f32_e32 v30, v33, v31
	v_mul_f32_e32 v29, v33, v29
	v_sub_f32_e32 v33, v30, v33
	v_sub_f32_e32 v31, v31, v33
	v_add_f32_e32 v29, v31, v29
	v_add_f32_e32 v31, v30, v29
	v_sub_f32_e32 v30, v31, v30
	v_sub_f32_e32 v29, v29, v30
	v_ldexp_f32 v30, v31, -2
	v_add_f32_e32 v31, v32, v30
	v_ldexp_f32 v29, v29, -2
	v_sub_f32_e32 v32, v31, v32
	v_sub_f32_e32 v30, v30, v32
	v_add_f32_e32 v28, v28, v29
	v_add_f32_e32 v28, v28, v30
	;; [unrolled: 1-line block ×3, first 2 shown]
	v_cmp_nlt_f32_e32 vcc, s20, v27
	v_cndmask_b32_e32 v29, v26, v28, vcc
	v_mov_b32_e32 v28, s9
	v_add_co_u32_e32 v27, vcc, s8, v7
	v_addc_co_u32_e32 v28, vcc, v8, v28, vcc
	global_store_dword v[27:28], v29, off
	s_branch .LBB78_8
.LBB78_25:
	s_endpgm
	.section	.rodata,"a",@progbits
	.p2align	6, 0x0
	.amdhsa_kernel _ZN2at6native12_GLOBAL__N_125multi_tensor_apply_kernelINS1_18TensorListMetadataILi2EEENS1_14UnaryOpFunctorIfLi2ELi1ELi1EEEJNS0_4CoshIfEEEEEvT_T0_DpT1_
		.amdhsa_group_segment_fixed_size 0
		.amdhsa_private_segment_fixed_size 0
		.amdhsa_kernarg_size 3408
		.amdhsa_user_sgpr_count 6
		.amdhsa_user_sgpr_private_segment_buffer 1
		.amdhsa_user_sgpr_dispatch_ptr 0
		.amdhsa_user_sgpr_queue_ptr 0
		.amdhsa_user_sgpr_kernarg_segment_ptr 1
		.amdhsa_user_sgpr_dispatch_id 0
		.amdhsa_user_sgpr_flat_scratch_init 0
		.amdhsa_user_sgpr_private_segment_size 0
		.amdhsa_uses_dynamic_stack 0
		.amdhsa_system_sgpr_private_segment_wavefront_offset 0
		.amdhsa_system_sgpr_workgroup_id_x 1
		.amdhsa_system_sgpr_workgroup_id_y 0
		.amdhsa_system_sgpr_workgroup_id_z 0
		.amdhsa_system_sgpr_workgroup_info 0
		.amdhsa_system_vgpr_workitem_id 0
		.amdhsa_next_free_vgpr 43
		.amdhsa_next_free_sgpr 21
		.amdhsa_reserve_vcc 1
		.amdhsa_reserve_flat_scratch 0
		.amdhsa_float_round_mode_32 0
		.amdhsa_float_round_mode_16_64 0
		.amdhsa_float_denorm_mode_32 3
		.amdhsa_float_denorm_mode_16_64 3
		.amdhsa_dx10_clamp 1
		.amdhsa_ieee_mode 1
		.amdhsa_fp16_overflow 0
		.amdhsa_exception_fp_ieee_invalid_op 0
		.amdhsa_exception_fp_denorm_src 0
		.amdhsa_exception_fp_ieee_div_zero 0
		.amdhsa_exception_fp_ieee_overflow 0
		.amdhsa_exception_fp_ieee_underflow 0
		.amdhsa_exception_fp_ieee_inexact 0
		.amdhsa_exception_int_div_zero 0
	.end_amdhsa_kernel
	.section	.text._ZN2at6native12_GLOBAL__N_125multi_tensor_apply_kernelINS1_18TensorListMetadataILi2EEENS1_14UnaryOpFunctorIfLi2ELi1ELi1EEEJNS0_4CoshIfEEEEEvT_T0_DpT1_,"axG",@progbits,_ZN2at6native12_GLOBAL__N_125multi_tensor_apply_kernelINS1_18TensorListMetadataILi2EEENS1_14UnaryOpFunctorIfLi2ELi1ELi1EEEJNS0_4CoshIfEEEEEvT_T0_DpT1_,comdat
.Lfunc_end78:
	.size	_ZN2at6native12_GLOBAL__N_125multi_tensor_apply_kernelINS1_18TensorListMetadataILi2EEENS1_14UnaryOpFunctorIfLi2ELi1ELi1EEEJNS0_4CoshIfEEEEEvT_T0_DpT1_, .Lfunc_end78-_ZN2at6native12_GLOBAL__N_125multi_tensor_apply_kernelINS1_18TensorListMetadataILi2EEENS1_14UnaryOpFunctorIfLi2ELi1ELi1EEEJNS0_4CoshIfEEEEEvT_T0_DpT1_
                                        ; -- End function
	.set _ZN2at6native12_GLOBAL__N_125multi_tensor_apply_kernelINS1_18TensorListMetadataILi2EEENS1_14UnaryOpFunctorIfLi2ELi1ELi1EEEJNS0_4CoshIfEEEEEvT_T0_DpT1_.num_vgpr, 43
	.set _ZN2at6native12_GLOBAL__N_125multi_tensor_apply_kernelINS1_18TensorListMetadataILi2EEENS1_14UnaryOpFunctorIfLi2ELi1ELi1EEEJNS0_4CoshIfEEEEEvT_T0_DpT1_.num_agpr, 0
	.set _ZN2at6native12_GLOBAL__N_125multi_tensor_apply_kernelINS1_18TensorListMetadataILi2EEENS1_14UnaryOpFunctorIfLi2ELi1ELi1EEEJNS0_4CoshIfEEEEEvT_T0_DpT1_.numbered_sgpr, 21
	.set _ZN2at6native12_GLOBAL__N_125multi_tensor_apply_kernelINS1_18TensorListMetadataILi2EEENS1_14UnaryOpFunctorIfLi2ELi1ELi1EEEJNS0_4CoshIfEEEEEvT_T0_DpT1_.num_named_barrier, 0
	.set _ZN2at6native12_GLOBAL__N_125multi_tensor_apply_kernelINS1_18TensorListMetadataILi2EEENS1_14UnaryOpFunctorIfLi2ELi1ELi1EEEJNS0_4CoshIfEEEEEvT_T0_DpT1_.private_seg_size, 0
	.set _ZN2at6native12_GLOBAL__N_125multi_tensor_apply_kernelINS1_18TensorListMetadataILi2EEENS1_14UnaryOpFunctorIfLi2ELi1ELi1EEEJNS0_4CoshIfEEEEEvT_T0_DpT1_.uses_vcc, 1
	.set _ZN2at6native12_GLOBAL__N_125multi_tensor_apply_kernelINS1_18TensorListMetadataILi2EEENS1_14UnaryOpFunctorIfLi2ELi1ELi1EEEJNS0_4CoshIfEEEEEvT_T0_DpT1_.uses_flat_scratch, 0
	.set _ZN2at6native12_GLOBAL__N_125multi_tensor_apply_kernelINS1_18TensorListMetadataILi2EEENS1_14UnaryOpFunctorIfLi2ELi1ELi1EEEJNS0_4CoshIfEEEEEvT_T0_DpT1_.has_dyn_sized_stack, 0
	.set _ZN2at6native12_GLOBAL__N_125multi_tensor_apply_kernelINS1_18TensorListMetadataILi2EEENS1_14UnaryOpFunctorIfLi2ELi1ELi1EEEJNS0_4CoshIfEEEEEvT_T0_DpT1_.has_recursion, 0
	.set _ZN2at6native12_GLOBAL__N_125multi_tensor_apply_kernelINS1_18TensorListMetadataILi2EEENS1_14UnaryOpFunctorIfLi2ELi1ELi1EEEJNS0_4CoshIfEEEEEvT_T0_DpT1_.has_indirect_call, 0
	.section	.AMDGPU.csdata,"",@progbits
; Kernel info:
; codeLenInByte = 5640
; TotalNumSgprs: 25
; NumVgprs: 43
; ScratchSize: 0
; MemoryBound: 0
; FloatMode: 240
; IeeeMode: 1
; LDSByteSize: 0 bytes/workgroup (compile time only)
; SGPRBlocks: 3
; VGPRBlocks: 10
; NumSGPRsForWavesPerEU: 25
; NumVGPRsForWavesPerEU: 43
; Occupancy: 5
; WaveLimiterHint : 0
; COMPUTE_PGM_RSRC2:SCRATCH_EN: 0
; COMPUTE_PGM_RSRC2:USER_SGPR: 6
; COMPUTE_PGM_RSRC2:TRAP_HANDLER: 0
; COMPUTE_PGM_RSRC2:TGID_X_EN: 1
; COMPUTE_PGM_RSRC2:TGID_Y_EN: 0
; COMPUTE_PGM_RSRC2:TGID_Z_EN: 0
; COMPUTE_PGM_RSRC2:TIDIG_COMP_CNT: 0
	.text
	.p2align	2                               ; -- Begin function _ZN6thrust23THRUST_200600_302600_NS6detail7complex5ccoshERKNS0_7complexIdEE
	.type	_ZN6thrust23THRUST_200600_302600_NS6detail7complex5ccoshERKNS0_7complexIdEE,@function
_ZN6thrust23THRUST_200600_302600_NS6detail7complex5ccoshERKNS0_7complexIdEE: ; @_ZN6thrust23THRUST_200600_302600_NS6detail7complex5ccoshERKNS0_7complexIdEE
; %bb.0:
	s_waitcnt vmcnt(0) expcnt(0) lgkmcnt(0)
	v_and_b32_e32 v8, 0x7fffffff, v1
	v_and_b32_e32 v9, 0x7fffffff, v3
	s_mov_b32 s10, 0x7ff00000
	v_max_u32_e32 v4, v8, v9
	s_mov_b32 s6, 0x7fefffff
	v_cmp_gt_u32_e64 s[4:5], s10, v8
	v_cmp_lt_u32_e32 vcc, s6, v4
                                        ; implicit-def: $vgpr6_vgpr7
                                        ; implicit-def: $vgpr4_vgpr5
	s_and_saveexec_b64 s[8:9], vcc
	s_xor_b64 s[12:13], exec, s[8:9]
	s_cbranch_execz .LBB79_36
; %bb.1:
	v_or_b32_e32 v4, v8, v0
	v_cmp_ne_u32_e64 s[8:9], 0, v4
	v_cmp_gt_u32_e32 vcc, s10, v9
	v_cmp_lt_u32_e64 s[6:7], s6, v9
	s_or_b64 s[8:9], s[8:9], vcc
                                        ; implicit-def: $vgpr6_vgpr7
                                        ; implicit-def: $vgpr4_vgpr5
	s_and_saveexec_b64 s[10:11], s[8:9]
	s_xor_b64 s[14:15], exec, s[10:11]
	s_cbranch_execz .LBB79_33
; %bb.2:
	v_or_b32_e32 v4, v9, v2
	s_mov_b32 s16, 0x7ff00000
	v_cmp_ne_u32_e64 s[10:11], 0, v4
	s_mov_b32 s8, 0x7fefffff
	v_cmp_gt_u32_e64 s[16:17], s16, v8
	v_cmp_lt_u32_e64 s[8:9], s8, v8
	s_or_b64 s[10:11], s[10:11], s[16:17]
                                        ; implicit-def: $vgpr6_vgpr7
                                        ; implicit-def: $vgpr4_vgpr5
	s_and_saveexec_b64 s[18:19], s[10:11]
	s_xor_b64 s[10:11], exec, s[18:19]
	s_cbranch_execz .LBB79_26
; %bb.3:
	s_and_b64 s[4:5], s[4:5], s[6:7]
	s_xor_b64 s[4:5], s[4:5], -1
                                        ; implicit-def: $vgpr6_vgpr7
                                        ; implicit-def: $vgpr4_vgpr5
	s_and_saveexec_b64 s[6:7], s[4:5]
	s_xor_b64 s[6:7], exec, s[6:7]
	s_cbranch_execz .LBB79_23
; %bb.4:
	s_mov_b64 s[18:19], 0
	s_and_saveexec_b64 s[20:21], s[8:9]
; %bb.5:
	s_mov_b32 s4, 0xfffff
	v_and_or_b32 v4, v1, s4, v0
	v_cmp_ne_u32_e64 s[4:5], 0, v4
	s_andn2_b64 s[8:9], s[16:17], exec
	s_and_b64 s[4:5], s[4:5], exec
	s_mov_b64 s[18:19], exec
	s_or_b64 s[16:17], s[8:9], s[4:5]
; %bb.6:
	s_or_b64 exec, exec, s[20:21]
                                        ; implicit-def: $vgpr6_vgpr7
                                        ; implicit-def: $vgpr4_vgpr5
	s_and_saveexec_b64 s[4:5], s[16:17]
	s_xor_b64 s[4:5], exec, s[4:5]
	s_cbranch_execz .LBB79_8
; %bb.7:
	v_mul_f64 v[4:5], v[0:1], v[0:1]
	v_add_f64 v[6:7], v[2:3], -v[2:3]
	v_add_f64 v[8:9], v[0:1], v[0:1]
	s_andn2_b64 s[18:19], s[18:19], exec
	v_mul_f64 v[4:5], v[4:5], v[6:7]
	v_mul_f64 v[6:7], v[8:9], v[6:7]
	s_or_b64 exec, exec, s[4:5]
	s_and_saveexec_b64 s[8:9], s[18:19]
	s_cbranch_execz .LBB79_22
	s_branch .LBB79_9
.LBB79_8:
	s_or_b64 exec, exec, s[4:5]
	s_and_saveexec_b64 s[8:9], s[18:19]
	s_cbranch_execz .LBB79_22
.LBB79_9:
	v_mul_f64 v[4:5], v[0:1], v[0:1]
                                        ; implicit-def: $vgpr6_vgpr7
	s_and_saveexec_b64 s[4:5], vcc
	s_xor_b64 s[16:17], exec, s[4:5]
	s_cbranch_execz .LBB79_19
; %bb.10:
	s_mov_b32 s4, 0
	s_mov_b32 s5, 0x41d00000
	v_cmp_nlt_f64_e64 s[18:19], |v[2:3]|, s[4:5]
                                        ; implicit-def: $vgpr14
                                        ; implicit-def: $vgpr6_vgpr7
                                        ; implicit-def: $vgpr8_vgpr9
	s_and_saveexec_b64 s[4:5], s[18:19]
	s_xor_b64 s[20:21], exec, s[4:5]
	s_cbranch_execz .LBB79_12
; %bb.11:
	v_trig_preop_f64 v[6:7], |v[2:3]|, 0
	s_mov_b32 s4, 0
	s_mov_b32 s5, 0x7b000000
	s_movk_i32 s22, 0xff80
	v_ldexp_f64 v[10:11], |v[2:3]|, s22
	v_cmp_ge_f64_e64 vcc, |v[2:3]|, s[4:5]
	v_trig_preop_f64 v[8:9], |v[2:3]|, 1
	v_and_b32_e32 v12, 0x7fffffff, v3
	v_trig_preop_f64 v[18:19], |v[2:3]|, 2
	s_mov_b32 s4, 0
	s_mov_b32 s5, 0x7ff00000
	v_mov_b32_e32 v29, 0x40100000
	v_mov_b32_e32 v28, 0
	v_cndmask_b32_e32 v11, v12, v11, vcc
	v_cndmask_b32_e32 v10, v2, v10, vcc
	s_mov_b32 s22, 0x33145c07
	v_mul_f64 v[12:13], v[6:7], v[10:11]
	s_mov_b32 s23, 0x3c91a626
	v_mul_f64 v[14:15], v[8:9], v[10:11]
	v_mul_f64 v[24:25], v[18:19], v[10:11]
	v_fma_f64 v[6:7], v[6:7], v[10:11], -v[12:13]
	v_fma_f64 v[8:9], v[8:9], v[10:11], -v[14:15]
	;; [unrolled: 1-line block ×3, first 2 shown]
	v_add_f64 v[16:17], v[14:15], v[6:7]
	v_add_f64 v[20:21], v[16:17], -v[14:15]
	v_add_f64 v[26:27], v[12:13], v[16:17]
	v_add_f64 v[22:23], v[16:17], -v[20:21]
	v_add_f64 v[6:7], v[6:7], -v[20:21]
	v_add_f64 v[20:21], v[24:25], v[8:9]
	v_add_f64 v[12:13], v[26:27], -v[12:13]
	v_add_f64 v[14:15], v[14:15], -v[22:23]
	v_ldexp_f64 v[22:23], v[26:27], -2
	v_add_f64 v[30:31], v[20:21], -v[24:25]
	v_add_f64 v[12:13], v[16:17], -v[12:13]
	v_add_f64 v[6:7], v[6:7], v[14:15]
	v_fract_f64_e32 v[14:15], v[22:23]
	v_cmp_neq_f64_e64 vcc, |v[22:23]|, s[4:5]
	v_add_f64 v[8:9], v[8:9], -v[30:31]
	v_add_f64 v[16:17], v[20:21], v[6:7]
	v_ldexp_f64 v[14:15], v[14:15], 2
	v_add_f64 v[22:23], v[12:13], v[16:17]
	v_cndmask_b32_e32 v15, 0, v15, vcc
	v_cndmask_b32_e32 v14, 0, v14, vcc
	v_add_f64 v[32:33], v[16:17], -v[20:21]
	v_add_f64 v[26:27], v[22:23], v[14:15]
	v_add_f64 v[12:13], v[22:23], -v[12:13]
	v_add_f64 v[34:35], v[16:17], -v[32:33]
	v_add_f64 v[6:7], v[6:7], -v[32:33]
	v_cmp_gt_f64_e32 vcc, 0, v[26:27]
	v_add_f64 v[26:27], v[20:21], -v[30:31]
	v_add_f64 v[12:13], v[16:17], -v[12:13]
	;; [unrolled: 1-line block ×3, first 2 shown]
	v_cndmask_b32_e32 v29, 0, v29, vcc
	v_add_f64 v[14:15], v[14:15], v[28:29]
	v_add_f64 v[26:27], v[24:25], -v[26:27]
	v_add_f64 v[6:7], v[6:7], v[20:21]
	v_add_f64 v[36:37], v[22:23], v[14:15]
	;; [unrolled: 1-line block ×3, first 2 shown]
	v_cvt_i32_f64_e32 v31, v[36:37]
	v_add_f64 v[6:7], v[8:9], v[6:7]
	v_cvt_f64_i32_e32 v[29:30], v31
	v_add_f64 v[14:15], v[14:15], -v[29:30]
	v_add_f64 v[6:7], v[10:11], v[6:7]
	v_add_f64 v[8:9], v[22:23], v[14:15]
	;; [unrolled: 1-line block ×3, first 2 shown]
	v_mov_b32_e32 v12, 0x3ff00000
	v_add_f64 v[10:11], v[8:9], -v[14:15]
	v_cmp_le_f64_e32 vcc, 0.5, v[8:9]
	v_add_f64 v[10:11], v[22:23], -v[10:11]
	v_cndmask_b32_e32 v29, 0, v12, vcc
	v_add_f64 v[8:9], v[8:9], -v[28:29]
	v_addc_co_u32_e64 v14, s[4:5], 0, v31, vcc
	s_mov_b32 s4, 0x54442d18
	s_mov_b32 s5, 0x3ff921fb
	v_add_f64 v[6:7], v[6:7], v[10:11]
	v_add_f64 v[10:11], v[8:9], v[6:7]
	v_mul_f64 v[12:13], v[10:11], s[4:5]
	v_add_f64 v[8:9], v[10:11], -v[8:9]
	v_fma_f64 v[15:16], v[10:11], s[4:5], -v[12:13]
	v_add_f64 v[6:7], v[6:7], -v[8:9]
	v_fma_f64 v[8:9], v[10:11], s[22:23], v[15:16]
	v_fma_f64 v[8:9], v[6:7], s[4:5], v[8:9]
	v_add_f64 v[6:7], v[12:13], v[8:9]
	v_add_f64 v[10:11], v[6:7], -v[12:13]
	v_add_f64 v[8:9], v[8:9], -v[10:11]
	s_andn2_saveexec_b64 s[4:5], s[20:21]
	s_cbranch_execz .LBB79_14
	s_branch .LBB79_13
.LBB79_12:
	s_andn2_saveexec_b64 s[4:5], s[20:21]
	s_cbranch_execz .LBB79_14
.LBB79_13:
	s_mov_b32 s20, 0x6dc9c883
	s_mov_b32 s21, 0x3fe45f30
	v_mul_f64 v[6:7], |v[2:3]|, s[20:21]
	s_mov_b32 s20, 0x54442d18
	s_mov_b32 s21, 0xbff921fb
	;; [unrolled: 1-line block ×4, first 2 shown]
	v_rndne_f64_e32 v[10:11], v[6:7]
	v_fma_f64 v[6:7], v[10:11], s[20:21], |v[2:3]|
	v_mul_f64 v[8:9], v[10:11], s[22:23]
	s_mov_b32 s20, 0x252049c0
	s_mov_b32 s21, 0xb97b839a
	v_fma_f64 v[16:17], v[10:11], s[22:23], v[6:7]
	v_add_f64 v[12:13], v[6:7], v[8:9]
	s_mov_b32 s23, 0x3c91a626
	v_add_f64 v[14:15], v[6:7], -v[12:13]
	v_add_f64 v[12:13], v[12:13], -v[16:17]
	v_add_f64 v[6:7], v[14:15], v[8:9]
	v_fma_f64 v[8:9], v[10:11], s[22:23], v[8:9]
	v_cvt_i32_f64_e32 v14, v[10:11]
	v_add_f64 v[6:7], v[12:13], v[6:7]
	v_add_f64 v[6:7], v[6:7], -v[8:9]
	v_fma_f64 v[8:9], v[10:11], s[20:21], v[6:7]
	v_add_f64 v[6:7], v[16:17], v[8:9]
	v_add_f64 v[12:13], v[6:7], -v[16:17]
	v_add_f64 v[8:9], v[8:9], -v[12:13]
.LBB79_14:
	s_or_b64 exec, exec, s[4:5]
                                        ; implicit-def: $vgpr15
                                        ; implicit-def: $vgpr10_vgpr11
                                        ; implicit-def: $vgpr12_vgpr13
	s_and_saveexec_b64 s[4:5], s[18:19]
	s_xor_b64 s[18:19], exec, s[4:5]
	s_cbranch_execz .LBB79_16
; %bb.15:
	v_trig_preop_f64 v[10:11], |v[2:3]|, 0
	s_mov_b32 s4, 0
	s_mov_b32 s5, 0x7b000000
	s_movk_i32 s20, 0xff80
	v_ldexp_f64 v[15:16], |v[2:3]|, s20
	v_cmp_ge_f64_e64 vcc, |v[2:3]|, s[4:5]
	v_trig_preop_f64 v[12:13], |v[2:3]|, 1
	v_and_b32_e32 v17, 0x7fffffff, v3
	v_trig_preop_f64 v[23:24], |v[2:3]|, 2
	s_mov_b32 s4, 0
	s_mov_b32 s5, 0x7ff00000
	v_mov_b32_e32 v34, 0x40100000
	v_mov_b32_e32 v33, 0
	v_cndmask_b32_e32 v16, v17, v16, vcc
	v_cndmask_b32_e32 v15, v2, v15, vcc
	s_mov_b32 s20, 0x33145c07
	v_mul_f64 v[17:18], v[10:11], v[15:16]
	s_mov_b32 s21, 0x3c91a626
	v_mul_f64 v[19:20], v[12:13], v[15:16]
	v_mul_f64 v[29:30], v[23:24], v[15:16]
	v_fma_f64 v[10:11], v[10:11], v[15:16], -v[17:18]
	v_fma_f64 v[12:13], v[12:13], v[15:16], -v[19:20]
	;; [unrolled: 1-line block ×3, first 2 shown]
	v_add_f64 v[21:22], v[19:20], v[10:11]
	v_add_f64 v[25:26], v[21:22], -v[19:20]
	v_add_f64 v[31:32], v[17:18], v[21:22]
	v_add_f64 v[27:28], v[21:22], -v[25:26]
	v_add_f64 v[10:11], v[10:11], -v[25:26]
	v_add_f64 v[25:26], v[29:30], v[12:13]
	v_add_f64 v[17:18], v[31:32], -v[17:18]
	v_add_f64 v[19:20], v[19:20], -v[27:28]
	v_ldexp_f64 v[27:28], v[31:32], -2
	v_add_f64 v[35:36], v[25:26], -v[29:30]
	v_add_f64 v[17:18], v[21:22], -v[17:18]
	v_add_f64 v[10:11], v[10:11], v[19:20]
	v_fract_f64_e32 v[19:20], v[27:28]
	v_cmp_neq_f64_e64 vcc, |v[27:28]|, s[4:5]
	v_add_f64 v[12:13], v[12:13], -v[35:36]
	v_add_f64 v[21:22], v[25:26], v[10:11]
	v_ldexp_f64 v[19:20], v[19:20], 2
	v_add_f64 v[27:28], v[17:18], v[21:22]
	v_cndmask_b32_e32 v20, 0, v20, vcc
	v_cndmask_b32_e32 v19, 0, v19, vcc
	v_add_f64 v[37:38], v[21:22], -v[25:26]
	v_add_f64 v[31:32], v[27:28], v[19:20]
	v_add_f64 v[17:18], v[27:28], -v[17:18]
	v_add_f64 v[48:49], v[21:22], -v[37:38]
	v_add_f64 v[10:11], v[10:11], -v[37:38]
	v_cmp_gt_f64_e32 vcc, 0, v[31:32]
	v_add_f64 v[31:32], v[25:26], -v[35:36]
	v_add_f64 v[17:18], v[21:22], -v[17:18]
	v_add_f64 v[25:26], v[25:26], -v[48:49]
	v_cndmask_b32_e32 v34, 0, v34, vcc
	v_add_f64 v[19:20], v[19:20], v[33:34]
	v_add_f64 v[31:32], v[29:30], -v[31:32]
	v_add_f64 v[10:11], v[10:11], v[25:26]
	v_add_f64 v[50:51], v[27:28], v[19:20]
	;; [unrolled: 1-line block ×3, first 2 shown]
	v_cvt_i32_f64_e32 v36, v[50:51]
	v_add_f64 v[10:11], v[12:13], v[10:11]
	v_cvt_f64_i32_e32 v[34:35], v36
	v_add_f64 v[19:20], v[19:20], -v[34:35]
	v_add_f64 v[10:11], v[15:16], v[10:11]
	v_add_f64 v[12:13], v[27:28], v[19:20]
	;; [unrolled: 1-line block ×3, first 2 shown]
	v_mov_b32_e32 v18, 0x3ff00000
	v_add_f64 v[15:16], v[12:13], -v[19:20]
	v_cmp_le_f64_e32 vcc, 0.5, v[12:13]
	v_add_f64 v[16:17], v[27:28], -v[15:16]
	v_cndmask_b32_e32 v34, 0, v18, vcc
	v_add_f64 v[12:13], v[12:13], -v[33:34]
	v_addc_co_u32_e64 v15, s[4:5], 0, v36, vcc
	s_mov_b32 s4, 0x54442d18
	s_mov_b32 s5, 0x3ff921fb
	v_add_f64 v[10:11], v[10:11], v[16:17]
	v_add_f64 v[16:17], v[12:13], v[10:11]
	v_mul_f64 v[18:19], v[16:17], s[4:5]
	v_add_f64 v[12:13], v[16:17], -v[12:13]
	v_fma_f64 v[20:21], v[16:17], s[4:5], -v[18:19]
	v_add_f64 v[10:11], v[10:11], -v[12:13]
	v_fma_f64 v[12:13], v[16:17], s[20:21], v[20:21]
	v_fma_f64 v[12:13], v[10:11], s[4:5], v[12:13]
	v_add_f64 v[10:11], v[18:19], v[12:13]
	v_add_f64 v[16:17], v[10:11], -v[18:19]
	v_add_f64 v[12:13], v[12:13], -v[16:17]
	s_andn2_saveexec_b64 s[4:5], s[18:19]
	s_cbranch_execnz .LBB79_17
	s_branch .LBB79_18
.LBB79_16:
	s_andn2_saveexec_b64 s[4:5], s[18:19]
	s_cbranch_execz .LBB79_18
.LBB79_17:
	s_mov_b32 s18, 0x6dc9c883
	s_mov_b32 s19, 0x3fe45f30
	v_mul_f64 v[10:11], |v[2:3]|, s[18:19]
	s_mov_b32 s18, 0x54442d18
	s_mov_b32 s19, 0xbff921fb
	;; [unrolled: 1-line block ×4, first 2 shown]
	v_rndne_f64_e32 v[15:16], v[10:11]
	v_fma_f64 v[10:11], v[15:16], s[18:19], |v[2:3]|
	v_mul_f64 v[12:13], v[15:16], s[20:21]
	s_mov_b32 s18, 0x252049c0
	s_mov_b32 s19, 0xb97b839a
	v_fma_f64 v[21:22], v[15:16], s[20:21], v[10:11]
	v_add_f64 v[17:18], v[10:11], v[12:13]
	s_mov_b32 s21, 0x3c91a626
	v_add_f64 v[19:20], v[10:11], -v[17:18]
	v_add_f64 v[17:18], v[17:18], -v[21:22]
	v_add_f64 v[10:11], v[19:20], v[12:13]
	v_fma_f64 v[12:13], v[15:16], s[20:21], v[12:13]
	v_add_f64 v[10:11], v[17:18], v[10:11]
	v_add_f64 v[10:11], v[10:11], -v[12:13]
	v_fma_f64 v[12:13], v[15:16], s[18:19], v[10:11]
	v_cvt_i32_f64_e32 v15, v[15:16]
	v_add_f64 v[10:11], v[21:22], v[12:13]
	v_add_f64 v[17:18], v[10:11], -v[21:22]
	v_add_f64 v[12:13], v[12:13], -v[17:18]
.LBB79_18:
	s_or_b64 exec, exec, s[4:5]
	v_mul_f64 v[16:17], v[6:7], v[6:7]
	s_mov_b32 s20, 0xb42fdfa7
	s_mov_b32 s21, 0xbe5ae600
	;; [unrolled: 1-line block ×3, first 2 shown]
	v_mov_b32_e32 v18, s20
	s_mov_b32 s5, 0x3de5e0b2
	v_mov_b32_e32 v19, s21
	s_mov_b32 s24, 0x796cde01
	v_fma_f64 v[20:21], v[16:17], s[4:5], v[18:19]
	s_mov_b32 s25, 0x3ec71de3
	v_mul_f64 v[26:27], v[10:11], v[10:11]
	s_mov_b32 s18, 0x9037ab78
	s_mov_b32 s19, 0x3e21eeb6
	;; [unrolled: 1-line block ×3, first 2 shown]
	v_mov_b32_e32 v23, s19
	s_mov_b32 s21, 0xbda907db
	v_fma_f64 v[20:21], v[16:17], v[20:21], s[24:25]
	v_mov_b32_e32 v22, s18
	v_fma_f64 v[24:25], v[16:17], s[20:21], v[22:23]
	s_mov_b32 s26, 0x19e83e5c
	v_mul_f64 v[28:29], v[16:17], 0.5
	s_mov_b32 s27, 0xbf2a01a0
	v_fma_f64 v[18:19], v[26:27], s[4:5], v[18:19]
	s_mov_b32 s22, 0xa17f65f6
	v_fma_f64 v[20:21], v[16:17], v[20:21], s[26:27]
	;; [unrolled: 2-line block ×3, first 2 shown]
	s_mov_b32 s28, 0x11110bb3
	v_add_f64 v[30:31], -v[28:29], 1.0
	s_mov_b32 s29, 0x3f811111
	v_mul_f64 v[32:33], v[6:7], -v[16:17]
	v_mul_f64 v[34:35], v[8:9], 0.5
	v_fma_f64 v[20:21], v[16:17], v[20:21], s[28:29]
	v_mul_f64 v[36:37], v[26:27], 0.5
	v_fma_f64 v[22:23], v[26:27], s[20:21], v[22:23]
	v_fma_f64 v[18:19], v[26:27], v[18:19], s[24:25]
	s_mov_b32 s18, 0x19f4ec90
	s_mov_b32 s19, 0x3efa01a0
	v_fma_f64 v[24:25], v[16:17], v[24:25], s[18:19]
	v_add_f64 v[38:39], -v[30:31], 1.0
	v_fma_f64 v[20:21], v[32:33], v[20:21], v[34:35]
	v_add_f64 v[34:35], -v[36:37], 1.0
	v_fma_f64 v[22:23], v[26:27], v[22:23], s[22:23]
	v_fma_f64 v[18:19], v[26:27], v[18:19], s[26:27]
	s_mov_b32 s4, 0x16c16967
	s_mov_b32 s5, 0xbf56c16c
	v_fma_f64 v[24:25], v[16:17], v[24:25], s[4:5]
	v_add_f64 v[28:29], v[38:39], -v[28:29]
	v_mul_f64 v[48:49], v[10:11], -v[26:27]
	v_add_f64 v[38:39], -v[34:35], 1.0
	v_fma_f64 v[22:23], v[26:27], v[22:23], s[18:19]
	v_fma_f64 v[18:19], v[26:27], v[18:19], s[28:29]
	v_mul_f64 v[50:51], v[12:13], 0.5
	s_mov_b32 s20, 0x55555555
	s_mov_b32 s21, 0x3fa55555
	v_fma_f64 v[20:21], v[16:17], v[20:21], -v[8:9]
	v_fma_f64 v[24:25], v[16:17], v[24:25], s[20:21]
	v_mul_f64 v[16:17], v[16:17], v[16:17]
	v_fma_f64 v[8:9], v[6:7], -v[8:9], v[28:29]
	v_fma_f64 v[22:23], v[26:27], v[22:23], s[4:5]
	v_add_f64 v[28:29], v[38:39], -v[36:37]
	v_fma_f64 v[18:19], v[48:49], v[18:19], v[50:51]
	s_mov_b32 s19, 0xbfc55555
	s_mov_b32 s18, s20
	v_fma_f64 v[20:21], v[32:33], s[18:19], v[20:21]
	s_movk_i32 s4, 0x1f8
	v_fma_f64 v[8:9], v[16:17], v[24:25], v[8:9]
	v_mul_f64 v[16:17], v[26:27], v[26:27]
	v_fma_f64 v[22:23], v[26:27], v[22:23], s[20:21]
	v_fma_f64 v[24:25], v[10:11], -v[12:13], v[28:29]
	v_fma_f64 v[12:13], v[26:27], v[18:19], -v[12:13]
	v_and_b32_e32 v18, 1, v14
	v_add_f64 v[6:7], v[6:7], -v[20:21]
	v_cmp_eq_u32_e32 vcc, 0, v18
	v_add_f64 v[8:9], v[30:31], v[8:9]
	v_fma_f64 v[16:17], v[16:17], v[22:23], v[24:25]
	v_fma_f64 v[12:13], v[48:49], s[18:19], v[12:13]
	v_xor_b32_e32 v7, 0x80000000, v7
	v_cndmask_b32_e32 v18, v6, v8, vcc
	v_cndmask_b32_e32 v19, v7, v9, vcc
	v_cmp_class_f64_e64 vcc, v[2:3], s4
	v_add_f64 v[6:7], v[34:35], v[16:17]
	v_add_f64 v[8:9], v[10:11], -v[12:13]
	v_lshlrev_b32_e32 v2, 30, v14
	v_and_b32_e32 v2, 0x80000000, v2
	v_xor_b32_e32 v2, v19, v2
	v_mov_b32_e32 v12, 0x7ff80000
	v_cndmask_b32_e32 v11, v12, v2, vcc
	v_and_b32_e32 v2, 1, v15
	v_cmp_eq_u32_e64 s[4:5], 0, v2
	v_cndmask_b32_e64 v2, v6, v8, s[4:5]
	v_cndmask_b32_e64 v6, v7, v9, s[4:5]
	v_lshlrev_b32_e32 v7, 30, v15
	v_xor_b32_e32 v3, v7, v3
	v_and_b32_e32 v3, 0x80000000, v3
	v_xor_b32_e32 v3, v6, v3
	v_cndmask_b32_e32 v10, 0, v18, vcc
	v_cndmask_b32_e32 v2, 0, v2, vcc
	;; [unrolled: 1-line block ×3, first 2 shown]
	v_mul_f64 v[4:5], v[4:5], v[10:11]
	v_mul_f64 v[6:7], v[0:1], v[2:3]
                                        ; implicit-def: $vgpr2_vgpr3
                                        ; implicit-def: $vgpr0_vgpr1
.LBB79_19:
	s_andn2_saveexec_b64 s[4:5], s[16:17]
	s_cbranch_execz .LBB79_21
; %bb.20:
	v_add_f64 v[2:3], v[2:3], -v[2:3]
	v_mul_f64 v[6:7], v[0:1], v[2:3]
.LBB79_21:
	s_or_b64 exec, exec, s[4:5]
.LBB79_22:
	s_or_b64 exec, exec, s[8:9]
                                        ; implicit-def: $vgpr2_vgpr3
                                        ; implicit-def: $vgpr0_vgpr1
.LBB79_23:
	s_andn2_saveexec_b64 s[4:5], s[6:7]
	s_cbranch_execz .LBB79_25
; %bb.24:
	v_add_f64 v[4:5], v[2:3], -v[2:3]
	v_mul_f64 v[6:7], v[0:1], v[4:5]
.LBB79_25:
	s_or_b64 exec, exec, s[4:5]
                                        ; implicit-def: $vgpr0_vgpr1
                                        ; implicit-def: $vgpr2_vgpr3
.LBB79_26:
	s_andn2_saveexec_b64 s[4:5], s[10:11]
	s_cbranch_execz .LBB79_32
; %bb.27:
	s_mov_b32 s6, 0xfffff
	v_and_or_b32 v4, v1, s6, v0
	v_cmp_ne_u32_e32 vcc, 0, v4
                                        ; implicit-def: $vgpr6_vgpr7
	s_and_saveexec_b64 s[6:7], vcc
	s_xor_b64 s[6:7], exec, s[6:7]
	s_cbranch_execz .LBB79_29
; %bb.28:
	v_add_f64 v[4:5], v[0:1], v[0:1]
	s_brev_b32 s8, -2
	v_mov_b32_e32 v6, 0
	v_mul_f64 v[2:3], v[4:5], v[2:3]
	v_bfi_b32 v7, s8, 0, v3
                                        ; implicit-def: $vgpr2_vgpr3
.LBB79_29:
	s_andn2_saveexec_b64 s[6:7], s[6:7]
	s_cbranch_execz .LBB79_31
; %bb.30:
	s_brev_b32 s8, -2
	v_bfi_b32 v5, s8, 0, v1
	v_mov_b32_e32 v4, 0
	v_mul_f64 v[6:7], v[4:5], v[2:3]
.LBB79_31:
	s_or_b64 exec, exec, s[6:7]
	v_mul_f64 v[4:5], v[0:1], v[0:1]
.LBB79_32:
	s_or_b64 exec, exec, s[4:5]
                                        ; implicit-def: $vgpr2_vgpr3
                                        ; implicit-def: $vgpr0_vgpr1
.LBB79_33:
	s_andn2_saveexec_b64 s[4:5], s[14:15]
	s_cbranch_execz .LBB79_35
; %bb.34:
	v_add_f64 v[4:5], v[2:3], -v[2:3]
	s_brev_b32 s6, -2
	v_mov_b32_e32 v6, 0
	v_mul_f64 v[0:1], v[0:1], v[4:5]
	v_bfi_b32 v7, s6, 0, v1
.LBB79_35:
	s_or_b64 exec, exec, s[4:5]
                                        ; implicit-def: $vgpr0_vgpr1
                                        ; implicit-def: $vgpr2_vgpr3
                                        ; implicit-def: $vgpr9
                                        ; implicit-def: $vgpr8
.LBB79_36:
	s_andn2_saveexec_b64 s[12:13], s[12:13]
	s_cbranch_execz .LBB79_86
; %bb.37:
	v_or_b32_e32 v4, v9, v2
	v_cmp_ne_u32_e32 vcc, 0, v4
                                        ; implicit-def: $vgpr6_vgpr7
                                        ; implicit-def: $vgpr4_vgpr5
	s_and_saveexec_b64 s[4:5], vcc
	s_xor_b64 s[14:15], exec, s[4:5]
	s_cbranch_execz .LBB79_83
; %bb.38:
	s_mov_b32 s4, 0x4035ffff
	v_cmp_lt_u32_e32 vcc, s4, v8
                                        ; implicit-def: $vgpr6_vgpr7
                                        ; implicit-def: $vgpr4_vgpr5
	s_and_saveexec_b64 s[4:5], vcc
	s_xor_b64 s[10:11], exec, s[4:5]
	s_cbranch_execz .LBB79_72
; %bb.39:
	s_mov_b32 s4, 0x40862e41
	v_cmp_lt_u32_e32 vcc, s4, v8
	;; [unrolled: 8-line block ×3, first 2 shown]
                                        ; implicit-def: $vgpr6_vgpr7
                                        ; implicit-def: $vgpr4_vgpr5
	s_and_saveexec_b64 s[4:5], vcc
	s_xor_b64 s[6:7], exec, s[4:5]
	s_cbranch_execz .LBB79_50
; %bb.41:
	s_mov_b32 s4, 0
	s_mov_b32 s5, 0x41d00000
	v_cmp_nlt_f64_e64 s[8:9], |v[2:3]|, s[4:5]
                                        ; implicit-def: $vgpr12
                                        ; implicit-def: $vgpr4_vgpr5
                                        ; implicit-def: $vgpr6_vgpr7
	s_and_saveexec_b64 s[4:5], s[8:9]
	s_xor_b64 s[18:19], exec, s[4:5]
	s_cbranch_execz .LBB79_43
; %bb.42:
	v_trig_preop_f64 v[4:5], |v[2:3]|, 0
	s_mov_b32 s4, 0
	s_mov_b32 s5, 0x7b000000
	s_movk_i32 s20, 0xff80
	v_ldexp_f64 v[8:9], |v[2:3]|, s20
	v_cmp_ge_f64_e64 vcc, |v[2:3]|, s[4:5]
	v_trig_preop_f64 v[6:7], |v[2:3]|, 1
	v_and_b32_e32 v10, 0x7fffffff, v3
	v_trig_preop_f64 v[16:17], |v[2:3]|, 2
	s_mov_b32 s4, 0
	s_mov_b32 s5, 0x7ff00000
	v_mov_b32_e32 v27, 0x40100000
	v_mov_b32_e32 v26, 0
	v_cndmask_b32_e32 v9, v10, v9, vcc
	v_cndmask_b32_e32 v8, v2, v8, vcc
	s_mov_b32 s20, 0x33145c07
	v_mul_f64 v[10:11], v[4:5], v[8:9]
	s_mov_b32 s21, 0x3c91a626
	v_mul_f64 v[12:13], v[6:7], v[8:9]
	v_mul_f64 v[22:23], v[16:17], v[8:9]
	v_fma_f64 v[4:5], v[4:5], v[8:9], -v[10:11]
	v_fma_f64 v[6:7], v[6:7], v[8:9], -v[12:13]
	;; [unrolled: 1-line block ×3, first 2 shown]
	v_add_f64 v[14:15], v[12:13], v[4:5]
	v_add_f64 v[18:19], v[14:15], -v[12:13]
	v_add_f64 v[24:25], v[10:11], v[14:15]
	v_add_f64 v[20:21], v[14:15], -v[18:19]
	v_add_f64 v[4:5], v[4:5], -v[18:19]
	v_add_f64 v[18:19], v[22:23], v[6:7]
	v_add_f64 v[10:11], v[24:25], -v[10:11]
	v_add_f64 v[12:13], v[12:13], -v[20:21]
	v_ldexp_f64 v[20:21], v[24:25], -2
	v_add_f64 v[28:29], v[18:19], -v[22:23]
	v_add_f64 v[10:11], v[14:15], -v[10:11]
	v_add_f64 v[4:5], v[4:5], v[12:13]
	v_fract_f64_e32 v[12:13], v[20:21]
	v_cmp_neq_f64_e64 vcc, |v[20:21]|, s[4:5]
	v_add_f64 v[6:7], v[6:7], -v[28:29]
	v_add_f64 v[14:15], v[18:19], v[4:5]
	v_ldexp_f64 v[12:13], v[12:13], 2
	v_add_f64 v[20:21], v[10:11], v[14:15]
	v_cndmask_b32_e32 v13, 0, v13, vcc
	v_cndmask_b32_e32 v12, 0, v12, vcc
	v_add_f64 v[30:31], v[14:15], -v[18:19]
	v_add_f64 v[24:25], v[20:21], v[12:13]
	v_add_f64 v[10:11], v[20:21], -v[10:11]
	v_add_f64 v[32:33], v[14:15], -v[30:31]
	;; [unrolled: 1-line block ×3, first 2 shown]
	v_cmp_gt_f64_e32 vcc, 0, v[24:25]
	v_add_f64 v[24:25], v[18:19], -v[28:29]
	v_add_f64 v[10:11], v[14:15], -v[10:11]
	;; [unrolled: 1-line block ×3, first 2 shown]
	v_cndmask_b32_e32 v27, 0, v27, vcc
	v_add_f64 v[12:13], v[12:13], v[26:27]
	v_add_f64 v[24:25], v[22:23], -v[24:25]
	v_add_f64 v[4:5], v[4:5], v[18:19]
	v_add_f64 v[34:35], v[20:21], v[12:13]
	;; [unrolled: 1-line block ×3, first 2 shown]
	v_cvt_i32_f64_e32 v29, v[34:35]
	v_add_f64 v[4:5], v[6:7], v[4:5]
	v_cvt_f64_i32_e32 v[27:28], v29
	v_add_f64 v[12:13], v[12:13], -v[27:28]
	v_add_f64 v[4:5], v[8:9], v[4:5]
	v_add_f64 v[6:7], v[20:21], v[12:13]
	;; [unrolled: 1-line block ×3, first 2 shown]
	v_mov_b32_e32 v10, 0x3ff00000
	v_add_f64 v[8:9], v[6:7], -v[12:13]
	v_cmp_le_f64_e32 vcc, 0.5, v[6:7]
	v_add_f64 v[8:9], v[20:21], -v[8:9]
	v_cndmask_b32_e32 v27, 0, v10, vcc
	v_add_f64 v[6:7], v[6:7], -v[26:27]
	v_addc_co_u32_e64 v12, s[4:5], 0, v29, vcc
	s_mov_b32 s4, 0x54442d18
	s_mov_b32 s5, 0x3ff921fb
	v_add_f64 v[4:5], v[4:5], v[8:9]
	v_add_f64 v[8:9], v[6:7], v[4:5]
	v_mul_f64 v[10:11], v[8:9], s[4:5]
	v_add_f64 v[6:7], v[8:9], -v[6:7]
	v_fma_f64 v[13:14], v[8:9], s[4:5], -v[10:11]
	v_add_f64 v[4:5], v[4:5], -v[6:7]
	v_fma_f64 v[6:7], v[8:9], s[20:21], v[13:14]
	v_fma_f64 v[6:7], v[4:5], s[4:5], v[6:7]
	v_add_f64 v[4:5], v[10:11], v[6:7]
	v_add_f64 v[8:9], v[4:5], -v[10:11]
	v_add_f64 v[6:7], v[6:7], -v[8:9]
	s_andn2_saveexec_b64 s[4:5], s[18:19]
	s_cbranch_execz .LBB79_45
	s_branch .LBB79_44
.LBB79_43:
	s_andn2_saveexec_b64 s[4:5], s[18:19]
	s_cbranch_execz .LBB79_45
.LBB79_44:
	s_mov_b32 s18, 0x6dc9c883
	s_mov_b32 s19, 0x3fe45f30
	v_mul_f64 v[4:5], |v[2:3]|, s[18:19]
	s_mov_b32 s18, 0x54442d18
	s_mov_b32 s19, 0xbff921fb
	s_mov_b32 s21, 0xbc91a626
	s_mov_b32 s20, 0x33145c00
	v_rndne_f64_e32 v[8:9], v[4:5]
	v_fma_f64 v[4:5], v[8:9], s[18:19], |v[2:3]|
	v_mul_f64 v[6:7], v[8:9], s[20:21]
	s_mov_b32 s18, 0x252049c0
	s_mov_b32 s19, 0xb97b839a
	v_fma_f64 v[14:15], v[8:9], s[20:21], v[4:5]
	v_add_f64 v[10:11], v[4:5], v[6:7]
	s_mov_b32 s21, 0x3c91a626
	v_add_f64 v[12:13], v[4:5], -v[10:11]
	v_add_f64 v[10:11], v[10:11], -v[14:15]
	v_add_f64 v[4:5], v[12:13], v[6:7]
	v_fma_f64 v[6:7], v[8:9], s[20:21], v[6:7]
	v_cvt_i32_f64_e32 v12, v[8:9]
	v_add_f64 v[4:5], v[10:11], v[4:5]
	v_add_f64 v[4:5], v[4:5], -v[6:7]
	v_fma_f64 v[6:7], v[8:9], s[18:19], v[4:5]
	v_add_f64 v[4:5], v[14:15], v[6:7]
	v_add_f64 v[10:11], v[4:5], -v[14:15]
	v_add_f64 v[6:7], v[6:7], -v[10:11]
.LBB79_45:
	s_or_b64 exec, exec, s[4:5]
                                        ; implicit-def: $vgpr13
                                        ; implicit-def: $vgpr8_vgpr9
                                        ; implicit-def: $vgpr10_vgpr11
	s_and_saveexec_b64 s[4:5], s[8:9]
	s_xor_b64 s[8:9], exec, s[4:5]
	s_cbranch_execz .LBB79_47
; %bb.46:
	v_trig_preop_f64 v[8:9], |v[2:3]|, 0
	s_mov_b32 s4, 0
	s_mov_b32 s5, 0x7b000000
	s_movk_i32 s18, 0xff80
	v_ldexp_f64 v[13:14], |v[2:3]|, s18
	v_cmp_ge_f64_e64 vcc, |v[2:3]|, s[4:5]
	v_trig_preop_f64 v[10:11], |v[2:3]|, 1
	v_and_b32_e32 v15, 0x7fffffff, v3
	v_trig_preop_f64 v[21:22], |v[2:3]|, 2
	s_mov_b32 s4, 0
	s_mov_b32 s5, 0x7ff00000
	v_mov_b32_e32 v32, 0x40100000
	v_mov_b32_e32 v31, 0
	v_cndmask_b32_e32 v14, v15, v14, vcc
	v_cndmask_b32_e32 v13, v2, v13, vcc
	s_mov_b32 s18, 0x33145c07
	v_mul_f64 v[15:16], v[8:9], v[13:14]
	s_mov_b32 s19, 0x3c91a626
	v_mul_f64 v[17:18], v[10:11], v[13:14]
	v_mul_f64 v[27:28], v[21:22], v[13:14]
	v_fma_f64 v[8:9], v[8:9], v[13:14], -v[15:16]
	v_fma_f64 v[10:11], v[10:11], v[13:14], -v[17:18]
	v_fma_f64 v[13:14], v[21:22], v[13:14], -v[27:28]
	v_add_f64 v[19:20], v[17:18], v[8:9]
	v_add_f64 v[23:24], v[19:20], -v[17:18]
	v_add_f64 v[29:30], v[15:16], v[19:20]
	v_add_f64 v[25:26], v[19:20], -v[23:24]
	v_add_f64 v[8:9], v[8:9], -v[23:24]
	v_add_f64 v[23:24], v[27:28], v[10:11]
	v_add_f64 v[15:16], v[29:30], -v[15:16]
	v_add_f64 v[17:18], v[17:18], -v[25:26]
	v_ldexp_f64 v[25:26], v[29:30], -2
	v_add_f64 v[33:34], v[23:24], -v[27:28]
	v_add_f64 v[15:16], v[19:20], -v[15:16]
	v_add_f64 v[8:9], v[8:9], v[17:18]
	v_fract_f64_e32 v[17:18], v[25:26]
	v_cmp_neq_f64_e64 vcc, |v[25:26]|, s[4:5]
	v_add_f64 v[10:11], v[10:11], -v[33:34]
	v_add_f64 v[19:20], v[23:24], v[8:9]
	v_ldexp_f64 v[17:18], v[17:18], 2
	v_add_f64 v[25:26], v[15:16], v[19:20]
	v_cndmask_b32_e32 v18, 0, v18, vcc
	v_cndmask_b32_e32 v17, 0, v17, vcc
	v_add_f64 v[35:36], v[19:20], -v[23:24]
	v_add_f64 v[29:30], v[25:26], v[17:18]
	v_add_f64 v[15:16], v[25:26], -v[15:16]
	v_add_f64 v[37:38], v[19:20], -v[35:36]
	v_add_f64 v[8:9], v[8:9], -v[35:36]
	v_cmp_gt_f64_e32 vcc, 0, v[29:30]
	v_add_f64 v[29:30], v[23:24], -v[33:34]
	v_add_f64 v[15:16], v[19:20], -v[15:16]
	;; [unrolled: 1-line block ×3, first 2 shown]
	v_cndmask_b32_e32 v32, 0, v32, vcc
	v_add_f64 v[17:18], v[17:18], v[31:32]
	v_add_f64 v[29:30], v[27:28], -v[29:30]
	v_add_f64 v[8:9], v[8:9], v[23:24]
	v_add_f64 v[48:49], v[25:26], v[17:18]
	;; [unrolled: 1-line block ×3, first 2 shown]
	v_cvt_i32_f64_e32 v34, v[48:49]
	v_add_f64 v[8:9], v[10:11], v[8:9]
	v_cvt_f64_i32_e32 v[32:33], v34
	v_add_f64 v[17:18], v[17:18], -v[32:33]
	v_add_f64 v[8:9], v[13:14], v[8:9]
	v_add_f64 v[10:11], v[25:26], v[17:18]
	;; [unrolled: 1-line block ×3, first 2 shown]
	v_mov_b32_e32 v16, 0x3ff00000
	v_add_f64 v[13:14], v[10:11], -v[17:18]
	v_cmp_le_f64_e32 vcc, 0.5, v[10:11]
	v_add_f64 v[14:15], v[25:26], -v[13:14]
	v_cndmask_b32_e32 v32, 0, v16, vcc
	v_add_f64 v[10:11], v[10:11], -v[31:32]
	v_addc_co_u32_e64 v13, s[4:5], 0, v34, vcc
	s_mov_b32 s4, 0x54442d18
	s_mov_b32 s5, 0x3ff921fb
	v_add_f64 v[8:9], v[8:9], v[14:15]
	v_add_f64 v[14:15], v[10:11], v[8:9]
	v_mul_f64 v[16:17], v[14:15], s[4:5]
	v_add_f64 v[10:11], v[14:15], -v[10:11]
	v_fma_f64 v[18:19], v[14:15], s[4:5], -v[16:17]
	v_add_f64 v[8:9], v[8:9], -v[10:11]
	v_fma_f64 v[10:11], v[14:15], s[18:19], v[18:19]
	v_fma_f64 v[10:11], v[8:9], s[4:5], v[10:11]
	v_add_f64 v[8:9], v[16:17], v[10:11]
	v_add_f64 v[14:15], v[8:9], -v[16:17]
	v_add_f64 v[10:11], v[10:11], -v[14:15]
	s_andn2_saveexec_b64 s[4:5], s[8:9]
	s_cbranch_execnz .LBB79_48
	s_branch .LBB79_49
.LBB79_47:
	s_andn2_saveexec_b64 s[4:5], s[8:9]
	s_cbranch_execz .LBB79_49
.LBB79_48:
	s_mov_b32 s8, 0x6dc9c883
	s_mov_b32 s9, 0x3fe45f30
	v_mul_f64 v[8:9], |v[2:3]|, s[8:9]
	s_mov_b32 s8, 0x54442d18
	s_mov_b32 s9, 0xbff921fb
	;; [unrolled: 1-line block ×4, first 2 shown]
	v_rndne_f64_e32 v[13:14], v[8:9]
	v_fma_f64 v[8:9], v[13:14], s[8:9], |v[2:3]|
	v_mul_f64 v[10:11], v[13:14], s[18:19]
	s_mov_b32 s8, 0x252049c0
	s_mov_b32 s9, 0xb97b839a
	v_fma_f64 v[19:20], v[13:14], s[18:19], v[8:9]
	v_add_f64 v[15:16], v[8:9], v[10:11]
	s_mov_b32 s19, 0x3c91a626
	v_add_f64 v[17:18], v[8:9], -v[15:16]
	v_add_f64 v[15:16], v[15:16], -v[19:20]
	v_add_f64 v[8:9], v[17:18], v[10:11]
	v_fma_f64 v[10:11], v[13:14], s[18:19], v[10:11]
	v_add_f64 v[8:9], v[15:16], v[8:9]
	v_add_f64 v[8:9], v[8:9], -v[10:11]
	v_fma_f64 v[10:11], v[13:14], s[8:9], v[8:9]
	v_cvt_i32_f64_e32 v13, v[13:14]
	v_add_f64 v[8:9], v[19:20], v[10:11]
	v_add_f64 v[15:16], v[8:9], -v[19:20]
	v_add_f64 v[10:11], v[10:11], -v[15:16]
.LBB79_49:
	s_or_b64 exec, exec, s[4:5]
	v_mul_f64 v[14:15], v[4:5], v[4:5]
	s_mov_b32 s18, 0xb42fdfa7
	s_mov_b32 s19, 0xbe5ae600
	;; [unrolled: 1-line block ×3, first 2 shown]
	v_mov_b32_e32 v16, s18
	s_mov_b32 s5, 0x3de5e0b2
	v_mov_b32_e32 v17, s19
	s_mov_b32 s8, 0x9037ab78
	v_fma_f64 v[18:19], v[14:15], s[4:5], v[16:17]
	s_mov_b32 s9, 0x3e21eeb6
	s_mov_b32 s18, 0x46cc5e42
	;; [unrolled: 1-line block ×3, first 2 shown]
	v_mov_b32_e32 v21, s9
	s_mov_b32 s19, 0xbda907db
	s_mov_b32 s21, 0x3ec71de3
	v_mov_b32_e32 v20, s8
	v_mul_f64 v[22:23], v[14:15], 0.5
	v_fma_f64 v[24:25], v[14:15], s[18:19], v[20:21]
	v_fma_f64 v[18:19], v[14:15], v[18:19], s[20:21]
	v_mul_f64 v[26:27], v[8:9], v[8:9]
	s_mov_b32 s8, 0xa17f65f6
	s_mov_b32 s22, 0x19e83e5c
	;; [unrolled: 1-line block ×4, first 2 shown]
	v_add_f64 v[28:29], -v[22:23], 1.0
	v_fma_f64 v[24:25], v[14:15], v[24:25], s[8:9]
	v_fma_f64 v[18:19], v[14:15], v[18:19], s[22:23]
	;; [unrolled: 1-line block ×3, first 2 shown]
	s_mov_b32 s24, 0x19f4ec90
	s_mov_b32 s26, 0x11110bb3
	;; [unrolled: 1-line block ×4, first 2 shown]
	v_add_f64 v[30:31], -v[28:29], 1.0
	v_fma_f64 v[24:25], v[14:15], v[24:25], s[24:25]
	v_fma_f64 v[18:19], v[14:15], v[18:19], s[26:27]
	v_mul_f64 v[32:33], v[4:5], -v[14:15]
	v_mul_f64 v[34:35], v[6:7], 0.5
	v_mul_f64 v[36:37], v[26:27], 0.5
	v_fma_f64 v[20:21], v[26:27], s[18:19], v[20:21]
	v_fma_f64 v[16:17], v[26:27], v[16:17], s[20:21]
	s_mov_b32 s4, 0x16c16967
	s_mov_b32 s5, 0xbf56c16c
	v_add_f64 v[22:23], v[30:31], -v[22:23]
	v_fma_f64 v[24:25], v[14:15], v[24:25], s[4:5]
	v_fma_f64 v[18:19], v[32:33], v[18:19], v[34:35]
	v_add_f64 v[30:31], -v[36:37], 1.0
	v_fma_f64 v[20:21], v[26:27], v[20:21], s[8:9]
	v_fma_f64 v[16:17], v[26:27], v[16:17], s[22:23]
	s_mov_b32 s8, 0x55555555
	s_mov_b32 s9, 0x3fa55555
	v_mul_f64 v[34:35], v[14:15], v[14:15]
	v_fma_f64 v[24:25], v[14:15], v[24:25], s[8:9]
	v_fma_f64 v[14:15], v[14:15], v[18:19], -v[6:7]
	v_add_f64 v[18:19], -v[30:31], 1.0
	v_fma_f64 v[20:21], v[26:27], v[20:21], s[24:25]
	v_fma_f64 v[16:17], v[26:27], v[16:17], s[26:27]
	v_mul_f64 v[38:39], v[8:9], -v[26:27]
	v_mul_f64 v[48:49], v[10:11], 0.5
	v_fma_f64 v[6:7], v[4:5], -v[6:7], v[22:23]
	s_mov_b32 s19, 0xbfc55555
	s_mov_b32 s18, s8
	v_fma_f64 v[14:15], v[32:33], s[18:19], v[14:15]
	v_fma_f64 v[20:21], v[26:27], v[20:21], s[4:5]
	v_add_f64 v[18:19], v[18:19], -v[36:37]
	s_movk_i32 s4, 0x3ff
	v_fma_f64 v[16:17], v[38:39], v[16:17], v[48:49]
	v_fma_f64 v[6:7], v[34:35], v[24:25], v[6:7]
	v_and_b32_e32 v22, 1, v12
	v_ldexp_f64 v[0:1], v[0:1], s4
	v_add_f64 v[4:5], v[4:5], -v[14:15]
	v_mul_f64 v[14:15], v[26:27], v[26:27]
	v_fma_f64 v[20:21], v[26:27], v[20:21], s[8:9]
	v_fma_f64 v[18:19], v[8:9], -v[10:11], v[18:19]
	v_fma_f64 v[10:11], v[26:27], v[16:17], -v[10:11]
	v_add_f64 v[6:7], v[28:29], v[6:7]
	v_cmp_eq_u32_e32 vcc, 0, v22
	s_movk_i32 s4, 0x1f8
	v_xor_b32_e32 v5, 0x80000000, v5
	v_mul_f64 v[16:17], v[0:1], v[0:1]
	v_fma_f64 v[14:15], v[14:15], v[20:21], v[18:19]
	v_fma_f64 v[10:11], v[38:39], s[18:19], v[10:11]
	v_cndmask_b32_e32 v4, v4, v6, vcc
	v_cndmask_b32_e32 v5, v5, v7, vcc
	v_cmp_class_f64_e64 vcc, v[2:3], s4
	v_lshlrev_b32_e32 v2, 30, v12
	v_and_b32_e32 v2, 0x80000000, v2
	v_xor_b32_e32 v2, v5, v2
	v_add_f64 v[6:7], v[30:31], v[14:15]
	v_add_f64 v[8:9], v[8:9], -v[10:11]
	v_mov_b32_e32 v10, 0x7ff80000
	v_cndmask_b32_e32 v5, v10, v2, vcc
	v_and_b32_e32 v2, 1, v13
	v_cmp_eq_u32_e64 s[4:5], 0, v2
	v_cndmask_b32_e32 v4, 0, v4, vcc
	v_mul_f64 v[4:5], v[16:17], v[4:5]
	v_cndmask_b32_e64 v2, v6, v8, s[4:5]
	v_cndmask_b32_e64 v6, v7, v9, s[4:5]
	v_lshlrev_b32_e32 v7, 30, v13
	v_xor_b32_e32 v3, v7, v3
	v_and_b32_e32 v3, 0x80000000, v3
	v_xor_b32_e32 v3, v6, v3
	v_cndmask_b32_e32 v2, 0, v2, vcc
	v_cndmask_b32_e32 v3, v10, v3, vcc
	v_mul_f64 v[6:7], v[0:1], v[2:3]
                                        ; implicit-def: $vgpr2_vgpr3
                                        ; implicit-def: $vgpr0_vgpr1
.LBB79_50:
	s_andn2_saveexec_b64 s[18:19], s[6:7]
	s_cbranch_execz .LBB79_60
; %bb.51:
	s_mov_b32 s4, 0
	s_mov_b32 s5, 0x41d00000
	v_cmp_nlt_f64_e64 s[6:7], |v[2:3]|, s[4:5]
                                        ; implicit-def: $vgpr12
                                        ; implicit-def: $vgpr4_vgpr5
                                        ; implicit-def: $vgpr6_vgpr7
	s_and_saveexec_b64 s[4:5], s[6:7]
	s_xor_b64 s[8:9], exec, s[4:5]
	s_cbranch_execz .LBB79_53
; %bb.52:
	v_trig_preop_f64 v[4:5], |v[2:3]|, 0
	s_mov_b32 s4, 0
	s_mov_b32 s5, 0x7b000000
	s_movk_i32 s20, 0xff80
	v_ldexp_f64 v[8:9], |v[2:3]|, s20
	v_cmp_ge_f64_e64 vcc, |v[2:3]|, s[4:5]
	v_trig_preop_f64 v[6:7], |v[2:3]|, 1
	v_and_b32_e32 v10, 0x7fffffff, v3
	v_trig_preop_f64 v[16:17], |v[2:3]|, 2
	s_mov_b32 s4, 0
	s_mov_b32 s5, 0x7ff00000
	v_mov_b32_e32 v27, 0x40100000
	v_mov_b32_e32 v26, 0
	v_cndmask_b32_e32 v9, v10, v9, vcc
	v_cndmask_b32_e32 v8, v2, v8, vcc
	s_mov_b32 s20, 0x33145c07
	v_mul_f64 v[10:11], v[4:5], v[8:9]
	s_mov_b32 s21, 0x3c91a626
	v_mul_f64 v[12:13], v[6:7], v[8:9]
	v_mul_f64 v[22:23], v[16:17], v[8:9]
	v_fma_f64 v[4:5], v[4:5], v[8:9], -v[10:11]
	v_fma_f64 v[6:7], v[6:7], v[8:9], -v[12:13]
	;; [unrolled: 1-line block ×3, first 2 shown]
	v_add_f64 v[14:15], v[12:13], v[4:5]
	v_add_f64 v[18:19], v[14:15], -v[12:13]
	v_add_f64 v[24:25], v[10:11], v[14:15]
	v_add_f64 v[20:21], v[14:15], -v[18:19]
	v_add_f64 v[4:5], v[4:5], -v[18:19]
	v_add_f64 v[18:19], v[22:23], v[6:7]
	v_add_f64 v[10:11], v[24:25], -v[10:11]
	v_add_f64 v[12:13], v[12:13], -v[20:21]
	v_ldexp_f64 v[20:21], v[24:25], -2
	v_add_f64 v[28:29], v[18:19], -v[22:23]
	v_add_f64 v[10:11], v[14:15], -v[10:11]
	v_add_f64 v[4:5], v[4:5], v[12:13]
	v_fract_f64_e32 v[12:13], v[20:21]
	v_cmp_neq_f64_e64 vcc, |v[20:21]|, s[4:5]
	v_add_f64 v[6:7], v[6:7], -v[28:29]
	v_add_f64 v[14:15], v[18:19], v[4:5]
	v_ldexp_f64 v[12:13], v[12:13], 2
	v_add_f64 v[20:21], v[10:11], v[14:15]
	v_cndmask_b32_e32 v13, 0, v13, vcc
	v_cndmask_b32_e32 v12, 0, v12, vcc
	v_add_f64 v[30:31], v[14:15], -v[18:19]
	v_add_f64 v[24:25], v[20:21], v[12:13]
	v_add_f64 v[10:11], v[20:21], -v[10:11]
	v_add_f64 v[32:33], v[14:15], -v[30:31]
	;; [unrolled: 1-line block ×3, first 2 shown]
	v_cmp_gt_f64_e32 vcc, 0, v[24:25]
	v_add_f64 v[24:25], v[18:19], -v[28:29]
	v_add_f64 v[10:11], v[14:15], -v[10:11]
	;; [unrolled: 1-line block ×3, first 2 shown]
	v_cndmask_b32_e32 v27, 0, v27, vcc
	v_add_f64 v[12:13], v[12:13], v[26:27]
	v_add_f64 v[24:25], v[22:23], -v[24:25]
	v_add_f64 v[4:5], v[4:5], v[18:19]
	v_add_f64 v[34:35], v[20:21], v[12:13]
	;; [unrolled: 1-line block ×3, first 2 shown]
	v_cvt_i32_f64_e32 v29, v[34:35]
	v_add_f64 v[4:5], v[6:7], v[4:5]
	v_cvt_f64_i32_e32 v[27:28], v29
	v_add_f64 v[12:13], v[12:13], -v[27:28]
	v_add_f64 v[4:5], v[8:9], v[4:5]
	v_add_f64 v[6:7], v[20:21], v[12:13]
	;; [unrolled: 1-line block ×3, first 2 shown]
	v_mov_b32_e32 v10, 0x3ff00000
	v_add_f64 v[8:9], v[6:7], -v[12:13]
	v_cmp_le_f64_e32 vcc, 0.5, v[6:7]
	v_add_f64 v[8:9], v[20:21], -v[8:9]
	v_cndmask_b32_e32 v27, 0, v10, vcc
	v_add_f64 v[6:7], v[6:7], -v[26:27]
	v_addc_co_u32_e64 v12, s[4:5], 0, v29, vcc
	s_mov_b32 s4, 0x54442d18
	s_mov_b32 s5, 0x3ff921fb
	v_add_f64 v[4:5], v[4:5], v[8:9]
	v_add_f64 v[8:9], v[6:7], v[4:5]
	v_mul_f64 v[10:11], v[8:9], s[4:5]
	v_add_f64 v[6:7], v[8:9], -v[6:7]
	v_fma_f64 v[13:14], v[8:9], s[4:5], -v[10:11]
	v_add_f64 v[4:5], v[4:5], -v[6:7]
	v_fma_f64 v[6:7], v[8:9], s[20:21], v[13:14]
	v_fma_f64 v[6:7], v[4:5], s[4:5], v[6:7]
	v_add_f64 v[4:5], v[10:11], v[6:7]
	v_add_f64 v[8:9], v[4:5], -v[10:11]
	v_add_f64 v[6:7], v[6:7], -v[8:9]
	s_andn2_saveexec_b64 s[4:5], s[8:9]
	s_cbranch_execz .LBB79_55
	s_branch .LBB79_54
.LBB79_53:
	s_andn2_saveexec_b64 s[4:5], s[8:9]
	s_cbranch_execz .LBB79_55
.LBB79_54:
	s_mov_b32 s8, 0x6dc9c883
	s_mov_b32 s9, 0x3fe45f30
	v_mul_f64 v[4:5], |v[2:3]|, s[8:9]
	s_mov_b32 s8, 0x54442d18
	s_mov_b32 s9, 0xbff921fb
	;; [unrolled: 1-line block ×4, first 2 shown]
	v_rndne_f64_e32 v[8:9], v[4:5]
	v_fma_f64 v[4:5], v[8:9], s[8:9], |v[2:3]|
	v_mul_f64 v[6:7], v[8:9], s[20:21]
	s_mov_b32 s8, 0x252049c0
	s_mov_b32 s9, 0xb97b839a
	v_fma_f64 v[14:15], v[8:9], s[20:21], v[4:5]
	v_add_f64 v[10:11], v[4:5], v[6:7]
	s_mov_b32 s21, 0x3c91a626
	v_add_f64 v[12:13], v[4:5], -v[10:11]
	v_add_f64 v[10:11], v[10:11], -v[14:15]
	v_add_f64 v[4:5], v[12:13], v[6:7]
	v_fma_f64 v[6:7], v[8:9], s[20:21], v[6:7]
	v_cvt_i32_f64_e32 v12, v[8:9]
	v_add_f64 v[4:5], v[10:11], v[4:5]
	v_add_f64 v[4:5], v[4:5], -v[6:7]
	v_fma_f64 v[6:7], v[8:9], s[8:9], v[4:5]
	v_add_f64 v[4:5], v[14:15], v[6:7]
	v_add_f64 v[10:11], v[4:5], -v[14:15]
	v_add_f64 v[6:7], v[6:7], -v[10:11]
.LBB79_55:
	s_or_b64 exec, exec, s[4:5]
                                        ; implicit-def: $vgpr13
                                        ; implicit-def: $vgpr8_vgpr9
                                        ; implicit-def: $vgpr10_vgpr11
	s_and_saveexec_b64 s[4:5], s[6:7]
	s_xor_b64 s[6:7], exec, s[4:5]
	s_cbranch_execz .LBB79_57
; %bb.56:
	v_trig_preop_f64 v[8:9], |v[2:3]|, 0
	s_mov_b32 s4, 0
	s_mov_b32 s5, 0x7b000000
	s_movk_i32 s8, 0xff80
	v_ldexp_f64 v[13:14], |v[2:3]|, s8
	v_cmp_ge_f64_e64 vcc, |v[2:3]|, s[4:5]
	v_trig_preop_f64 v[10:11], |v[2:3]|, 1
	v_and_b32_e32 v15, 0x7fffffff, v3
	v_trig_preop_f64 v[21:22], |v[2:3]|, 2
	s_mov_b32 s4, 0
	s_mov_b32 s5, 0x7ff00000
	v_mov_b32_e32 v32, 0x40100000
	v_mov_b32_e32 v31, 0
	v_cndmask_b32_e32 v14, v15, v14, vcc
	v_cndmask_b32_e32 v13, v2, v13, vcc
	s_mov_b32 s8, 0x33145c07
	v_mul_f64 v[15:16], v[8:9], v[13:14]
	s_mov_b32 s9, 0x3c91a626
	v_mul_f64 v[17:18], v[10:11], v[13:14]
	v_mul_f64 v[27:28], v[21:22], v[13:14]
	v_fma_f64 v[8:9], v[8:9], v[13:14], -v[15:16]
	v_fma_f64 v[10:11], v[10:11], v[13:14], -v[17:18]
	;; [unrolled: 1-line block ×3, first 2 shown]
	v_add_f64 v[19:20], v[17:18], v[8:9]
	v_add_f64 v[23:24], v[19:20], -v[17:18]
	v_add_f64 v[29:30], v[15:16], v[19:20]
	v_add_f64 v[25:26], v[19:20], -v[23:24]
	v_add_f64 v[8:9], v[8:9], -v[23:24]
	v_add_f64 v[23:24], v[27:28], v[10:11]
	v_add_f64 v[15:16], v[29:30], -v[15:16]
	v_add_f64 v[17:18], v[17:18], -v[25:26]
	v_ldexp_f64 v[25:26], v[29:30], -2
	v_add_f64 v[33:34], v[23:24], -v[27:28]
	v_add_f64 v[15:16], v[19:20], -v[15:16]
	v_add_f64 v[8:9], v[8:9], v[17:18]
	v_fract_f64_e32 v[17:18], v[25:26]
	v_cmp_neq_f64_e64 vcc, |v[25:26]|, s[4:5]
	v_add_f64 v[10:11], v[10:11], -v[33:34]
	v_add_f64 v[19:20], v[23:24], v[8:9]
	v_ldexp_f64 v[17:18], v[17:18], 2
	v_add_f64 v[25:26], v[15:16], v[19:20]
	v_cndmask_b32_e32 v18, 0, v18, vcc
	v_cndmask_b32_e32 v17, 0, v17, vcc
	v_add_f64 v[35:36], v[19:20], -v[23:24]
	v_add_f64 v[29:30], v[25:26], v[17:18]
	v_add_f64 v[15:16], v[25:26], -v[15:16]
	v_add_f64 v[37:38], v[19:20], -v[35:36]
	;; [unrolled: 1-line block ×3, first 2 shown]
	v_cmp_gt_f64_e32 vcc, 0, v[29:30]
	v_add_f64 v[29:30], v[23:24], -v[33:34]
	v_add_f64 v[15:16], v[19:20], -v[15:16]
	;; [unrolled: 1-line block ×3, first 2 shown]
	v_cndmask_b32_e32 v32, 0, v32, vcc
	v_add_f64 v[17:18], v[17:18], v[31:32]
	v_add_f64 v[29:30], v[27:28], -v[29:30]
	v_add_f64 v[8:9], v[8:9], v[23:24]
	v_add_f64 v[48:49], v[25:26], v[17:18]
	;; [unrolled: 1-line block ×3, first 2 shown]
	v_cvt_i32_f64_e32 v34, v[48:49]
	v_add_f64 v[8:9], v[10:11], v[8:9]
	v_cvt_f64_i32_e32 v[32:33], v34
	v_add_f64 v[17:18], v[17:18], -v[32:33]
	v_add_f64 v[8:9], v[13:14], v[8:9]
	v_add_f64 v[10:11], v[25:26], v[17:18]
	;; [unrolled: 1-line block ×3, first 2 shown]
	v_mov_b32_e32 v16, 0x3ff00000
	v_add_f64 v[13:14], v[10:11], -v[17:18]
	v_cmp_le_f64_e32 vcc, 0.5, v[10:11]
	v_add_f64 v[14:15], v[25:26], -v[13:14]
	v_cndmask_b32_e32 v32, 0, v16, vcc
	v_add_f64 v[10:11], v[10:11], -v[31:32]
	v_addc_co_u32_e64 v13, s[4:5], 0, v34, vcc
	s_mov_b32 s4, 0x54442d18
	s_mov_b32 s5, 0x3ff921fb
	v_add_f64 v[8:9], v[8:9], v[14:15]
	v_add_f64 v[14:15], v[10:11], v[8:9]
	v_mul_f64 v[16:17], v[14:15], s[4:5]
	v_add_f64 v[10:11], v[14:15], -v[10:11]
	v_fma_f64 v[18:19], v[14:15], s[4:5], -v[16:17]
	v_add_f64 v[8:9], v[8:9], -v[10:11]
	v_fma_f64 v[10:11], v[14:15], s[8:9], v[18:19]
	v_fma_f64 v[10:11], v[8:9], s[4:5], v[10:11]
	v_add_f64 v[8:9], v[16:17], v[10:11]
	v_add_f64 v[14:15], v[8:9], -v[16:17]
	v_add_f64 v[10:11], v[10:11], -v[14:15]
	s_andn2_saveexec_b64 s[4:5], s[6:7]
	s_cbranch_execnz .LBB79_58
	s_branch .LBB79_59
.LBB79_57:
	s_andn2_saveexec_b64 s[4:5], s[6:7]
	s_cbranch_execz .LBB79_59
.LBB79_58:
	s_mov_b32 s6, 0x6dc9c883
	s_mov_b32 s7, 0x3fe45f30
	v_mul_f64 v[8:9], |v[2:3]|, s[6:7]
	s_mov_b32 s6, 0x54442d18
	s_mov_b32 s7, 0xbff921fb
	;; [unrolled: 1-line block ×4, first 2 shown]
	v_rndne_f64_e32 v[13:14], v[8:9]
	v_fma_f64 v[8:9], v[13:14], s[6:7], |v[2:3]|
	v_mul_f64 v[10:11], v[13:14], s[8:9]
	s_mov_b32 s6, 0x252049c0
	s_mov_b32 s7, 0xb97b839a
	v_fma_f64 v[19:20], v[13:14], s[8:9], v[8:9]
	v_add_f64 v[15:16], v[8:9], v[10:11]
	s_mov_b32 s9, 0x3c91a626
	v_add_f64 v[17:18], v[8:9], -v[15:16]
	v_add_f64 v[15:16], v[15:16], -v[19:20]
	v_add_f64 v[8:9], v[17:18], v[10:11]
	v_fma_f64 v[10:11], v[13:14], s[8:9], v[10:11]
	v_add_f64 v[8:9], v[15:16], v[8:9]
	v_add_f64 v[8:9], v[8:9], -v[10:11]
	v_fma_f64 v[10:11], v[13:14], s[6:7], v[8:9]
	v_cvt_i32_f64_e32 v13, v[13:14]
	v_add_f64 v[8:9], v[19:20], v[10:11]
	v_add_f64 v[15:16], v[8:9], -v[19:20]
	v_add_f64 v[10:11], v[10:11], -v[15:16]
.LBB79_59:
	s_or_b64 exec, exec, s[4:5]
	s_mov_b32 s4, 0x19ba0da4
	s_mov_b32 s5, 0xc0937be3
	v_add_f64 v[14:15], |v[0:1]|, s[4:5]
	s_mov_b32 s4, 0x652b82fe
	s_mov_b32 s5, 0x3ff71547
	;; [unrolled: 1-line block ×7, first 2 shown]
	v_mul_f64 v[18:19], v[14:15], s[4:5]
	v_mul_f64 v[16:17], v[4:5], v[4:5]
	s_mov_b32 s29, 0x3e21eeb6
	v_mov_b32_e32 v22, s28
	v_mov_b32_e32 v23, s29
	s_mov_b32 s28, 0x6a5dcb37
	v_mov_b32_e32 v28, 0xfca7ab0c
	v_mov_b32_e32 v29, 0x3e928af3
	v_rndne_f64_e32 v[18:19], v[18:19]
	s_mov_b32 s29, 0x3e5ade15
	s_mov_b32 s22, 0x46cc5e42
	;; [unrolled: 1-line block ×3, first 2 shown]
	v_fma_f64 v[24:25], v[16:17], s[22:23], v[22:23]
	v_mul_f64 v[26:27], v[16:17], 0.5
	s_mov_b32 s44, 0x623fde64
	s_mov_b32 s45, 0x3ec71dee
	v_fma_f64 v[20:21], v[18:19], s[24:25], v[14:15]
	s_mov_b32 s20, 0xa17f65f6
	s_mov_b32 s21, 0xbe927e4f
	s_mov_b32 s42, 0xb42fdfa7
	s_mov_b32 s43, 0xbe5ae600
	v_fma_f64 v[24:25], v[16:17], v[24:25], s[20:21]
	v_add_f64 v[30:31], -v[26:27], 1.0
	v_mov_b32_e32 v34, s42
	v_fma_f64 v[20:21], v[18:19], s[40:41], v[20:21]
	v_mov_b32_e32 v35, s43
	s_mov_b32 s42, 0x7c89e6b0
	s_mov_b32 s43, 0x3efa0199
	;; [unrolled: 1-line block ×6, first 2 shown]
	v_fma_f64 v[28:29], v[20:21], s[28:29], v[28:29]
	v_fma_f64 v[24:25], v[16:17], v[24:25], s[6:7]
	v_add_f64 v[32:33], -v[30:31], 1.0
	v_fma_f64 v[36:37], v[16:17], s[26:27], v[34:35]
	s_mov_b32 s8, 0x16c16967
	s_mov_b32 s24, 0x796cde01
	;; [unrolled: 1-line block ×4, first 2 shown]
	v_fma_f64 v[28:29], v[20:21], v[28:29], s[44:45]
	v_fma_f64 v[24:25], v[16:17], v[24:25], s[8:9]
	v_add_f64 v[26:27], v[32:33], -v[26:27]
	v_fma_f64 v[32:33], v[16:17], v[36:37], s[24:25]
	v_mul_f64 v[36:37], v[8:9], v[8:9]
	s_mov_b32 s4, 0x55555555
	s_mov_b32 s40, 0x19e83e5c
	;; [unrolled: 1-line block ×3, first 2 shown]
	v_fma_f64 v[28:29], v[20:21], v[28:29], s[42:43]
	s_mov_b32 s42, 0x14761f6e
	s_mov_b32 s43, 0x3f2a01a0
	s_mov_b32 s41, 0xbf2a01a0
	s_mov_b32 s28, 0x11110bb3
	v_mul_f64 v[48:49], v[16:17], v[16:17]
	v_fma_f64 v[24:25], v[16:17], v[24:25], s[4:5]
	v_fma_f64 v[26:27], v[4:5], -v[6:7], v[26:27]
	v_fma_f64 v[28:29], v[20:21], v[28:29], s[42:43]
	s_mov_b32 s42, 0x1852b7b0
	s_mov_b32 s43, 0x3f56c16c
	v_fma_f64 v[32:33], v[16:17], v[32:33], s[40:41]
	v_fma_f64 v[34:35], v[36:37], s[26:27], v[34:35]
	s_mov_b32 s29, 0x3f811111
	s_mov_b32 s44, 0x11122322
	;; [unrolled: 1-line block ×3, first 2 shown]
	v_fma_f64 v[28:29], v[20:21], v[28:29], s[42:43]
	v_mul_f64 v[38:39], v[6:7], 0.5
	v_mul_f64 v[50:51], v[36:37], 0.5
	v_fma_f64 v[24:25], v[48:49], v[24:25], v[26:27]
	v_mul_f64 v[26:27], v[4:5], -v[16:17]
	v_fma_f64 v[32:33], v[16:17], v[32:33], s[28:29]
	v_fma_f64 v[22:23], v[36:37], s[22:23], v[22:23]
	;; [unrolled: 1-line block ×4, first 2 shown]
	s_mov_b32 s22, 0x555502a1
	s_mov_b32 s23, s5
	v_add_f64 v[48:49], -v[50:51], 1.0
	s_movk_i32 s26, 0x1f8
	v_fma_f64 v[32:33], v[26:27], v[32:33], v[38:39]
	v_fma_f64 v[22:23], v[36:37], v[22:23], s[20:21]
	;; [unrolled: 1-line block ×4, first 2 shown]
	s_mov_b32 s20, 0x55555511
	s_mov_b32 s21, 0x3fc55555
	v_add_f64 v[38:39], -v[48:49], 1.0
	v_and_b32_e32 v0, 1, v12
	v_fma_f64 v[6:7], v[16:17], v[32:33], -v[6:7]
	v_mul_f64 v[16:17], v[10:11], 0.5
	v_fma_f64 v[22:23], v[36:37], v[22:23], s[6:7]
	v_fma_f64 v[28:29], v[20:21], v[28:29], s[20:21]
	v_mul_f64 v[32:33], v[8:9], -v[36:37]
	v_fma_f64 v[34:35], v[36:37], v[34:35], s[28:29]
	s_mov_b32 s6, 11
	s_mov_b32 s7, 0x3fe00000
	v_add_f64 v[38:39], v[38:39], -v[50:51]
	s_mov_b32 s20, 0
	v_fma_f64 v[22:23], v[36:37], v[22:23], s[8:9]
	v_fma_f64 v[28:29], v[20:21], v[28:29], s[6:7]
	s_mov_b32 s7, 0xbfc55555
	v_fma_f64 v[16:17], v[32:33], v[34:35], v[16:17]
	s_mov_b32 s6, s4
	v_mul_f64 v[34:35], v[36:37], v[36:37]
	v_fma_f64 v[38:39], v[8:9], -v[10:11], v[38:39]
	v_fma_f64 v[6:7], v[26:27], s[6:7], v[6:7]
	v_fma_f64 v[22:23], v[36:37], v[22:23], s[4:5]
	v_fma_f64 v[28:29], v[20:21], v[28:29], 1.0
	v_cvt_i32_f64_e32 v27, v[18:19]
	v_fma_f64 v[10:11], v[36:37], v[16:17], -v[10:11]
	s_mov_b32 s8, 0
	s_mov_b32 s9, 0x40900000
	;; [unrolled: 1-line block ×3, first 2 shown]
	v_add_f64 v[4:5], v[4:5], -v[6:7]
	v_fma_f64 v[18:19], v[34:35], v[22:23], v[38:39]
	v_fma_f64 v[16:17], v[20:21], v[28:29], 1.0
	v_add_f64 v[20:21], v[30:31], v[24:25]
	v_fma_f64 v[10:11], v[32:33], s[6:7], v[10:11]
	v_cmp_class_f64_e64 s[4:5], v[2:3], s26
	v_cmp_nlt_f64_e64 s[6:7], s[8:9], v[14:15]
	v_cmp_ngt_f64_e64 s[8:9], s[20:21], v[14:15]
	v_lshlrev_b32_e32 v12, 30, v12
	v_cmp_eq_u32_e32 vcc, 0, v0
	v_ldexp_f64 v[6:7], v[16:17], v27
	v_add_f64 v[16:17], v[48:49], v[18:19]
	v_add_f64 v[8:9], v[8:9], -v[10:11]
	v_xor_b32_e32 v2, 0x80000000, v5
	v_mov_b32_e32 v26, 0x7ff00000
	v_and_b32_e32 v12, 0x80000000, v12
	v_cndmask_b32_e32 v0, v4, v20, vcc
	v_cndmask_b32_e32 v2, v2, v21, vcc
	v_mov_b32_e32 v50, 0x7ff80000
	v_cndmask_b32_e64 v7, v26, v7, s[6:7]
	v_cndmask_b32_e64 v4, 0, v0, s[4:5]
	v_xor_b32_e32 v0, v2, v12
	v_cndmask_b32_e64 v5, v50, v0, s[4:5]
	v_cndmask_b32_e64 v0, 0, v7, s[8:9]
	v_and_b32_e32 v2, 0xfffff, v0
	v_or_b32_e32 v7, 0x7fe00000, v2
	s_and_b64 vcc, s[8:9], s[6:7]
	v_and_b32_e32 v2, 1, v13
	v_cndmask_b32_e32 v6, 0, v6, vcc
	v_cmp_eq_u32_e32 vcc, 0, v2
	v_cndmask_b32_e32 v2, v16, v8, vcc
	v_cndmask_b32_e32 v8, v17, v9, vcc
	v_lshlrev_b32_e32 v9, 30, v13
	v_xor_b32_e32 v3, v9, v3
	v_and_b32_e32 v3, 0x80000000, v3
	v_xor_b32_e32 v3, v8, v3
	v_cndmask_b32_e64 v2, 0, v2, s[4:5]
	v_cndmask_b32_e64 v3, v50, v3, s[4:5]
	v_mul_f64 v[2:3], v[6:7], v[2:3]
	v_lshrrev_b32_e32 v0, 20, v0
	v_add_u32_e32 v0, 0xffffff08, v0
	v_mul_f64 v[4:5], v[6:7], v[4:5]
	v_lshrrev_b16_e32 v6, 15, v0
	v_add_u16_e32 v6, v0, v6
	v_ashrrev_i16_e32 v6, 1, v6
	v_bfe_i32 v8, v6, 0, 16
	v_mov_b32_e32 v9, 0x3ff00000
	v_lshl_add_u32 v7, v8, 20, v9
	v_mov_b32_e32 v6, 0
	v_mul_f64 v[2:3], v[2:3], v[6:7]
	v_sub_u32_e32 v0, v0, v8
	v_mul_f64 v[4:5], v[4:5], v[6:7]
	v_lshl_add_u32 v8, v0, 20, v9
	v_mov_b32_e32 v7, v6
	s_brev_b32 s4, -2
	v_mul_f64 v[2:3], v[2:3], v[7:8]
	v_mul_f64 v[4:5], v[4:5], v[7:8]
	v_bfi_b32 v7, s4, v9, v1
	v_mul_f64 v[6:7], v[6:7], v[2:3]
.LBB79_60:
	s_or_b64 exec, exec, s[18:19]
                                        ; implicit-def: $vgpr0_vgpr1
                                        ; implicit-def: $vgpr2_vgpr3
.LBB79_61:
	s_andn2_saveexec_b64 s[8:9], s[16:17]
	s_cbranch_execz .LBB79_71
; %bb.62:
	s_mov_b32 s4, 0
	s_mov_b32 s5, 0x41d00000
	v_cmp_nlt_f64_e64 s[6:7], |v[2:3]|, s[4:5]
                                        ; implicit-def: $vgpr12
                                        ; implicit-def: $vgpr4_vgpr5
                                        ; implicit-def: $vgpr6_vgpr7
	s_and_saveexec_b64 s[4:5], s[6:7]
	s_xor_b64 s[16:17], exec, s[4:5]
	s_cbranch_execz .LBB79_64
; %bb.63:
	v_trig_preop_f64 v[4:5], |v[2:3]|, 0
	s_mov_b32 s4, 0
	s_mov_b32 s5, 0x7b000000
	s_movk_i32 s18, 0xff80
	v_ldexp_f64 v[8:9], |v[2:3]|, s18
	v_cmp_ge_f64_e64 vcc, |v[2:3]|, s[4:5]
	v_trig_preop_f64 v[6:7], |v[2:3]|, 1
	v_and_b32_e32 v10, 0x7fffffff, v3
	v_trig_preop_f64 v[16:17], |v[2:3]|, 2
	s_mov_b32 s4, 0
	s_mov_b32 s5, 0x7ff00000
	v_mov_b32_e32 v27, 0x40100000
	v_mov_b32_e32 v26, 0
	v_cndmask_b32_e32 v9, v10, v9, vcc
	v_cndmask_b32_e32 v8, v2, v8, vcc
	s_mov_b32 s18, 0x33145c07
	v_mul_f64 v[10:11], v[4:5], v[8:9]
	s_mov_b32 s19, 0x3c91a626
	v_mul_f64 v[12:13], v[6:7], v[8:9]
	v_mul_f64 v[22:23], v[16:17], v[8:9]
	v_fma_f64 v[4:5], v[4:5], v[8:9], -v[10:11]
	v_fma_f64 v[6:7], v[6:7], v[8:9], -v[12:13]
	;; [unrolled: 1-line block ×3, first 2 shown]
	v_add_f64 v[14:15], v[12:13], v[4:5]
	v_add_f64 v[18:19], v[14:15], -v[12:13]
	v_add_f64 v[24:25], v[10:11], v[14:15]
	v_add_f64 v[20:21], v[14:15], -v[18:19]
	v_add_f64 v[4:5], v[4:5], -v[18:19]
	v_add_f64 v[18:19], v[22:23], v[6:7]
	v_add_f64 v[10:11], v[24:25], -v[10:11]
	v_add_f64 v[12:13], v[12:13], -v[20:21]
	v_ldexp_f64 v[20:21], v[24:25], -2
	v_add_f64 v[28:29], v[18:19], -v[22:23]
	v_add_f64 v[10:11], v[14:15], -v[10:11]
	v_add_f64 v[4:5], v[4:5], v[12:13]
	v_fract_f64_e32 v[12:13], v[20:21]
	v_cmp_neq_f64_e64 vcc, |v[20:21]|, s[4:5]
	v_add_f64 v[6:7], v[6:7], -v[28:29]
	v_add_f64 v[14:15], v[18:19], v[4:5]
	v_ldexp_f64 v[12:13], v[12:13], 2
	v_add_f64 v[20:21], v[10:11], v[14:15]
	v_cndmask_b32_e32 v13, 0, v13, vcc
	v_cndmask_b32_e32 v12, 0, v12, vcc
	v_add_f64 v[30:31], v[14:15], -v[18:19]
	v_add_f64 v[24:25], v[20:21], v[12:13]
	v_add_f64 v[10:11], v[20:21], -v[10:11]
	v_add_f64 v[32:33], v[14:15], -v[30:31]
	;; [unrolled: 1-line block ×3, first 2 shown]
	v_cmp_gt_f64_e32 vcc, 0, v[24:25]
	v_add_f64 v[24:25], v[18:19], -v[28:29]
	v_add_f64 v[10:11], v[14:15], -v[10:11]
	;; [unrolled: 1-line block ×3, first 2 shown]
	v_cndmask_b32_e32 v27, 0, v27, vcc
	v_add_f64 v[12:13], v[12:13], v[26:27]
	v_add_f64 v[24:25], v[22:23], -v[24:25]
	v_add_f64 v[4:5], v[4:5], v[18:19]
	v_add_f64 v[34:35], v[20:21], v[12:13]
	;; [unrolled: 1-line block ×3, first 2 shown]
	v_cvt_i32_f64_e32 v29, v[34:35]
	v_add_f64 v[4:5], v[6:7], v[4:5]
	v_cvt_f64_i32_e32 v[27:28], v29
	v_add_f64 v[12:13], v[12:13], -v[27:28]
	v_add_f64 v[4:5], v[8:9], v[4:5]
	v_add_f64 v[6:7], v[20:21], v[12:13]
	;; [unrolled: 1-line block ×3, first 2 shown]
	v_mov_b32_e32 v10, 0x3ff00000
	v_add_f64 v[8:9], v[6:7], -v[12:13]
	v_cmp_le_f64_e32 vcc, 0.5, v[6:7]
	v_add_f64 v[8:9], v[20:21], -v[8:9]
	v_cndmask_b32_e32 v27, 0, v10, vcc
	v_add_f64 v[6:7], v[6:7], -v[26:27]
	v_addc_co_u32_e64 v12, s[4:5], 0, v29, vcc
	s_mov_b32 s4, 0x54442d18
	s_mov_b32 s5, 0x3ff921fb
	v_add_f64 v[4:5], v[4:5], v[8:9]
	v_add_f64 v[8:9], v[6:7], v[4:5]
	v_mul_f64 v[10:11], v[8:9], s[4:5]
	v_add_f64 v[6:7], v[8:9], -v[6:7]
	v_fma_f64 v[13:14], v[8:9], s[4:5], -v[10:11]
	v_add_f64 v[4:5], v[4:5], -v[6:7]
	v_fma_f64 v[6:7], v[8:9], s[18:19], v[13:14]
	v_fma_f64 v[6:7], v[4:5], s[4:5], v[6:7]
	v_add_f64 v[4:5], v[10:11], v[6:7]
	v_add_f64 v[8:9], v[4:5], -v[10:11]
	v_add_f64 v[6:7], v[6:7], -v[8:9]
	s_andn2_saveexec_b64 s[4:5], s[16:17]
	s_cbranch_execz .LBB79_66
	s_branch .LBB79_65
.LBB79_64:
	s_andn2_saveexec_b64 s[4:5], s[16:17]
	s_cbranch_execz .LBB79_66
.LBB79_65:
	s_mov_b32 s16, 0x6dc9c883
	s_mov_b32 s17, 0x3fe45f30
	v_mul_f64 v[4:5], |v[2:3]|, s[16:17]
	s_mov_b32 s16, 0x54442d18
	s_mov_b32 s17, 0xbff921fb
	;; [unrolled: 1-line block ×4, first 2 shown]
	v_rndne_f64_e32 v[8:9], v[4:5]
	v_fma_f64 v[4:5], v[8:9], s[16:17], |v[2:3]|
	v_mul_f64 v[6:7], v[8:9], s[18:19]
	s_mov_b32 s16, 0x252049c0
	s_mov_b32 s17, 0xb97b839a
	v_fma_f64 v[14:15], v[8:9], s[18:19], v[4:5]
	v_add_f64 v[10:11], v[4:5], v[6:7]
	s_mov_b32 s19, 0x3c91a626
	v_add_f64 v[12:13], v[4:5], -v[10:11]
	v_add_f64 v[10:11], v[10:11], -v[14:15]
	v_add_f64 v[4:5], v[12:13], v[6:7]
	v_fma_f64 v[6:7], v[8:9], s[18:19], v[6:7]
	v_cvt_i32_f64_e32 v12, v[8:9]
	v_add_f64 v[4:5], v[10:11], v[4:5]
	v_add_f64 v[4:5], v[4:5], -v[6:7]
	v_fma_f64 v[6:7], v[8:9], s[16:17], v[4:5]
	v_add_f64 v[4:5], v[14:15], v[6:7]
	v_add_f64 v[10:11], v[4:5], -v[14:15]
	v_add_f64 v[6:7], v[6:7], -v[10:11]
.LBB79_66:
	s_or_b64 exec, exec, s[4:5]
                                        ; implicit-def: $vgpr13
                                        ; implicit-def: $vgpr8_vgpr9
                                        ; implicit-def: $vgpr10_vgpr11
	s_and_saveexec_b64 s[4:5], s[6:7]
	s_xor_b64 s[6:7], exec, s[4:5]
	s_cbranch_execz .LBB79_68
; %bb.67:
	v_trig_preop_f64 v[8:9], |v[2:3]|, 0
	s_mov_b32 s4, 0
	s_mov_b32 s5, 0x7b000000
	s_movk_i32 s16, 0xff80
	v_ldexp_f64 v[13:14], |v[2:3]|, s16
	v_cmp_ge_f64_e64 vcc, |v[2:3]|, s[4:5]
	v_trig_preop_f64 v[10:11], |v[2:3]|, 1
	v_and_b32_e32 v15, 0x7fffffff, v3
	v_trig_preop_f64 v[21:22], |v[2:3]|, 2
	s_mov_b32 s4, 0
	s_mov_b32 s5, 0x7ff00000
	v_mov_b32_e32 v32, 0x40100000
	v_mov_b32_e32 v31, 0
	v_cndmask_b32_e32 v14, v15, v14, vcc
	v_cndmask_b32_e32 v13, v2, v13, vcc
	s_mov_b32 s16, 0x33145c07
	v_mul_f64 v[15:16], v[8:9], v[13:14]
	s_mov_b32 s17, 0x3c91a626
	v_mul_f64 v[17:18], v[10:11], v[13:14]
	v_mul_f64 v[27:28], v[21:22], v[13:14]
	v_fma_f64 v[8:9], v[8:9], v[13:14], -v[15:16]
	v_fma_f64 v[10:11], v[10:11], v[13:14], -v[17:18]
	;; [unrolled: 1-line block ×3, first 2 shown]
	v_add_f64 v[19:20], v[17:18], v[8:9]
	v_add_f64 v[23:24], v[19:20], -v[17:18]
	v_add_f64 v[29:30], v[15:16], v[19:20]
	v_add_f64 v[25:26], v[19:20], -v[23:24]
	v_add_f64 v[8:9], v[8:9], -v[23:24]
	v_add_f64 v[23:24], v[27:28], v[10:11]
	v_add_f64 v[15:16], v[29:30], -v[15:16]
	v_add_f64 v[17:18], v[17:18], -v[25:26]
	v_ldexp_f64 v[25:26], v[29:30], -2
	v_add_f64 v[33:34], v[23:24], -v[27:28]
	v_add_f64 v[15:16], v[19:20], -v[15:16]
	v_add_f64 v[8:9], v[8:9], v[17:18]
	v_fract_f64_e32 v[17:18], v[25:26]
	v_cmp_neq_f64_e64 vcc, |v[25:26]|, s[4:5]
	v_add_f64 v[10:11], v[10:11], -v[33:34]
	v_add_f64 v[19:20], v[23:24], v[8:9]
	v_ldexp_f64 v[17:18], v[17:18], 2
	v_add_f64 v[25:26], v[15:16], v[19:20]
	v_cndmask_b32_e32 v18, 0, v18, vcc
	v_cndmask_b32_e32 v17, 0, v17, vcc
	v_add_f64 v[35:36], v[19:20], -v[23:24]
	v_add_f64 v[29:30], v[25:26], v[17:18]
	v_add_f64 v[15:16], v[25:26], -v[15:16]
	v_add_f64 v[37:38], v[19:20], -v[35:36]
	;; [unrolled: 1-line block ×3, first 2 shown]
	v_cmp_gt_f64_e32 vcc, 0, v[29:30]
	v_add_f64 v[29:30], v[23:24], -v[33:34]
	v_add_f64 v[15:16], v[19:20], -v[15:16]
	;; [unrolled: 1-line block ×3, first 2 shown]
	v_cndmask_b32_e32 v32, 0, v32, vcc
	v_add_f64 v[17:18], v[17:18], v[31:32]
	v_add_f64 v[29:30], v[27:28], -v[29:30]
	v_add_f64 v[8:9], v[8:9], v[23:24]
	v_add_f64 v[48:49], v[25:26], v[17:18]
	;; [unrolled: 1-line block ×3, first 2 shown]
	v_cvt_i32_f64_e32 v34, v[48:49]
	v_add_f64 v[8:9], v[10:11], v[8:9]
	v_cvt_f64_i32_e32 v[32:33], v34
	v_add_f64 v[17:18], v[17:18], -v[32:33]
	v_add_f64 v[8:9], v[13:14], v[8:9]
	v_add_f64 v[10:11], v[25:26], v[17:18]
	v_add_f64 v[8:9], v[15:16], v[8:9]
	v_mov_b32_e32 v16, 0x3ff00000
	v_add_f64 v[13:14], v[10:11], -v[17:18]
	v_cmp_le_f64_e32 vcc, 0.5, v[10:11]
	v_add_f64 v[14:15], v[25:26], -v[13:14]
	v_cndmask_b32_e32 v32, 0, v16, vcc
	v_add_f64 v[10:11], v[10:11], -v[31:32]
	v_addc_co_u32_e64 v13, s[4:5], 0, v34, vcc
	s_mov_b32 s4, 0x54442d18
	s_mov_b32 s5, 0x3ff921fb
	v_add_f64 v[8:9], v[8:9], v[14:15]
	v_add_f64 v[14:15], v[10:11], v[8:9]
	v_mul_f64 v[16:17], v[14:15], s[4:5]
	v_add_f64 v[10:11], v[14:15], -v[10:11]
	v_fma_f64 v[18:19], v[14:15], s[4:5], -v[16:17]
	v_add_f64 v[8:9], v[8:9], -v[10:11]
	v_fma_f64 v[10:11], v[14:15], s[16:17], v[18:19]
	v_fma_f64 v[10:11], v[8:9], s[4:5], v[10:11]
	v_add_f64 v[8:9], v[16:17], v[10:11]
	v_add_f64 v[14:15], v[8:9], -v[16:17]
	v_add_f64 v[10:11], v[10:11], -v[14:15]
	s_andn2_saveexec_b64 s[4:5], s[6:7]
	s_cbranch_execnz .LBB79_69
	s_branch .LBB79_70
.LBB79_68:
	s_andn2_saveexec_b64 s[4:5], s[6:7]
	s_cbranch_execz .LBB79_70
.LBB79_69:
	s_mov_b32 s6, 0x6dc9c883
	s_mov_b32 s7, 0x3fe45f30
	v_mul_f64 v[8:9], |v[2:3]|, s[6:7]
	s_mov_b32 s6, 0x54442d18
	s_mov_b32 s7, 0xbff921fb
	;; [unrolled: 1-line block ×4, first 2 shown]
	v_rndne_f64_e32 v[13:14], v[8:9]
	v_fma_f64 v[8:9], v[13:14], s[6:7], |v[2:3]|
	v_mul_f64 v[10:11], v[13:14], s[16:17]
	s_mov_b32 s6, 0x252049c0
	s_mov_b32 s7, 0xb97b839a
	v_fma_f64 v[19:20], v[13:14], s[16:17], v[8:9]
	v_add_f64 v[15:16], v[8:9], v[10:11]
	s_mov_b32 s17, 0x3c91a626
	v_add_f64 v[17:18], v[8:9], -v[15:16]
	v_add_f64 v[15:16], v[15:16], -v[19:20]
	v_add_f64 v[8:9], v[17:18], v[10:11]
	v_fma_f64 v[10:11], v[13:14], s[16:17], v[10:11]
	v_add_f64 v[8:9], v[15:16], v[8:9]
	v_add_f64 v[8:9], v[8:9], -v[10:11]
	v_fma_f64 v[10:11], v[13:14], s[6:7], v[8:9]
	v_cvt_i32_f64_e32 v13, v[13:14]
	v_add_f64 v[8:9], v[19:20], v[10:11]
	v_add_f64 v[15:16], v[8:9], -v[19:20]
	v_add_f64 v[10:11], v[10:11], -v[15:16]
.LBB79_70:
	s_or_b64 exec, exec, s[4:5]
	s_mov_b32 s4, 0x652b82fe
	s_mov_b32 s5, 0x3ff71547
	v_mul_f64 v[14:15], |v[0:1]|, s[4:5]
	s_mov_b32 s4, 0xfefa39ef
	s_mov_b32 s5, 0xbfe62e42
	;; [unrolled: 1-line block ×5, first 2 shown]
	v_mov_b32_e32 v16, 0xfca7ab0c
	v_mov_b32_e32 v17, 0x3e928af3
	v_rndne_f64_e32 v[14:15], v[14:15]
	s_mov_b32 s23, 0x3e5ade15
	s_mov_b32 s42, 0x623fde64
	;; [unrolled: 1-line block ×5, first 2 shown]
	v_mul_f64 v[20:21], v[4:5], v[4:5]
	s_mov_b32 s28, 0x14761f6e
	v_fma_f64 v[18:19], v[14:15], s[4:5], |v[0:1]|
	s_mov_b32 s44, 0x9037ab78
	s_mov_b32 s46, 0xb42fdfa7
	s_mov_b32 s29, 0x3f2a01a0
	s_mov_b32 s45, 0x3e21eeb6
	s_mov_b32 s26, 0x46cc5e42
	s_mov_b32 s47, 0xbe5ae600
	v_mov_b32_e32 v22, s44
	v_fma_f64 v[18:19], v[14:15], s[16:17], v[18:19]
	v_mov_b32_e32 v28, s46
	s_mov_b32 s27, 0xbda907db
	v_mov_b32_e32 v23, s45
	v_mov_b32_e32 v29, s47
	v_mul_f64 v[24:25], v[20:21], 0.5
	v_fma_f64 v[26:27], v[20:21], s[26:27], v[22:23]
	s_mov_b32 s20, 0x1852b7b0
	v_fma_f64 v[16:17], v[18:19], s[22:23], v[16:17]
	s_mov_b32 s21, 0x3f56c16c
	s_mov_b32 s24, 0xa17f65f6
	;; [unrolled: 1-line block ×5, first 2 shown]
	v_add_f64 v[32:33], -v[24:25], 1.0
	v_fma_f64 v[26:27], v[20:21], v[26:27], s[24:25]
	v_fma_f64 v[16:17], v[18:19], v[16:17], s[42:43]
	s_mov_b32 s42, 0xf9a43bb8
	s_mov_b32 s43, 0x3de5e0b2
	v_fma_f64 v[30:31], v[20:21], s[42:43], v[28:29]
	v_mul_f64 v[34:35], v[8:9], v[8:9]
	s_mov_b32 s7, 0x3f811111
	s_mov_b32 s6, 0x11122322
	s_mov_b32 s22, 0x19f4ec90
	v_fma_f64 v[16:17], v[18:19], v[16:17], s[40:41]
	s_mov_b32 s23, 0x3efa01a0
	v_add_f64 v[36:37], -v[32:33], 1.0
	v_fma_f64 v[30:31], v[20:21], v[30:31], s[44:45]
	v_fma_f64 v[26:27], v[20:21], v[26:27], s[22:23]
	;; [unrolled: 1-line block ×3, first 2 shown]
	s_mov_b32 s5, 0x3fa55555
	s_mov_b32 s4, 0x555502a1
	v_fma_f64 v[16:17], v[18:19], v[16:17], s[28:29]
	s_mov_b32 s28, 0x19e83e5c
	s_mov_b32 s29, 0xbf2a01a0
	v_fma_f64 v[30:31], v[20:21], v[30:31], s[28:29]
	s_mov_b32 s40, 0x16c16967
	s_mov_b32 s41, 0xbf56c16c
	v_mul_f64 v[38:39], v[6:7], 0.5
	v_mul_f64 v[50:51], v[4:5], -v[20:21]
	v_fma_f64 v[16:17], v[18:19], v[16:17], s[20:21]
	v_add_f64 v[24:25], v[36:37], -v[24:25]
	v_fma_f64 v[26:27], v[20:21], v[26:27], s[40:41]
	v_mul_f64 v[36:37], v[34:35], 0.5
	v_fma_f64 v[22:23], v[34:35], s[26:27], v[22:23]
	v_fma_f64 v[28:29], v[34:35], v[28:29], s[44:45]
	s_mov_b32 s18, 0x55555511
	s_mov_b32 s19, 0x3fc55555
	v_fma_f64 v[16:17], v[18:19], v[16:17], s[6:7]
	s_mov_b32 s6, 0x11110bb3
	v_fma_f64 v[30:31], v[20:21], v[30:31], s[6:7]
	v_mul_f64 v[48:49], v[20:21], v[20:21]
	v_fma_f64 v[24:25], v[4:5], -v[6:7], v[24:25]
	v_fma_f64 v[22:23], v[34:35], v[22:23], s[24:25]
	v_fma_f64 v[28:29], v[34:35], v[28:29], s[28:29]
	s_mov_b32 s16, 11
	v_fma_f64 v[16:17], v[18:19], v[16:17], s[4:5]
	s_mov_b32 s4, 0x55555555
	v_fma_f64 v[26:27], v[20:21], v[26:27], s[4:5]
	v_fma_f64 v[30:31], v[50:51], v[30:31], v[38:39]
	v_add_f64 v[38:39], -v[36:37], 1.0
	s_mov_b32 s17, 0x3fe00000
	v_fma_f64 v[22:23], v[34:35], v[22:23], s[22:23]
	v_fma_f64 v[28:29], v[34:35], v[28:29], s[6:7]
	;; [unrolled: 1-line block ×3, first 2 shown]
	s_mov_b32 s7, 0xbfc55555
	v_fma_f64 v[24:25], v[48:49], v[26:27], v[24:25]
	v_fma_f64 v[6:7], v[20:21], v[30:31], -v[6:7]
	v_add_f64 v[26:27], -v[38:39], 1.0
	v_mul_f64 v[20:21], v[10:11], 0.5
	v_mul_f64 v[30:31], v[8:9], -v[34:35]
	v_fma_f64 v[22:23], v[34:35], v[22:23], s[40:41]
	v_fma_f64 v[16:17], v[18:19], v[16:17], s[16:17]
	s_mov_b32 s6, s4
	s_mov_b32 s20, 0
	v_fma_f64 v[6:7], v[50:51], s[6:7], v[6:7]
	v_add_f64 v[26:27], v[26:27], -v[36:37]
	v_mul_f64 v[36:37], v[34:35], v[34:35]
	v_fma_f64 v[20:21], v[30:31], v[28:29], v[20:21]
	v_fma_f64 v[22:23], v[34:35], v[22:23], s[4:5]
	v_fma_f64 v[16:17], v[18:19], v[16:17], 1.0
	s_mov_b32 s21, 0x40900000
	s_movk_i32 s4, 0x1f8
	v_add_f64 v[4:5], v[4:5], -v[6:7]
	v_fma_f64 v[26:27], v[8:9], -v[10:11], v[26:27]
	v_cmp_class_f64_e64 s[4:5], v[2:3], s4
	v_fma_f64 v[10:11], v[34:35], v[20:21], -v[10:11]
	v_cvt_i32_f64_e32 v20, v[14:15]
	v_fma_f64 v[16:17], v[18:19], v[16:17], 1.0
	v_add_f64 v[18:19], v[32:33], v[24:25]
	v_and_b32_e32 v49, 1, v12
	v_lshlrev_b32_e32 v12, 30, v12
	v_fma_f64 v[14:15], v[36:37], v[22:23], v[26:27]
	v_cmp_eq_u32_e32 vcc, 0, v49
	v_fma_f64 v[10:11], v[30:31], s[6:7], v[10:11]
	v_cmp_ngt_f64_e64 s[6:7], |v[0:1]|, s[20:21]
	v_ldexp_f64 v[6:7], v[16:17], v20
	v_xor_b32_e32 v0, 0x80000000, v5
	v_and_b32_e32 v12, 0x80000000, v12
	v_cndmask_b32_e32 v0, v0, v19, vcc
	v_add_f64 v[14:15], v[38:39], v[14:15]
	v_mov_b32_e32 v48, 0x7ff00000
	v_add_f64 v[8:9], v[8:9], -v[10:11]
	v_mov_b32_e32 v28, 0x7ff80000
	v_mul_f64 v[6:7], v[6:7], 0.5
	v_and_b32_e32 v16, 1, v13
	v_cndmask_b32_e32 v4, v4, v18, vcc
	v_xor_b32_e32 v0, v0, v12
	v_lshlrev_b32_e32 v2, 30, v13
	s_brev_b32 s16, -2
	v_cndmask_b32_e64 v4, 0, v4, s[4:5]
	v_cndmask_b32_e64 v5, v28, v0, s[4:5]
	;; [unrolled: 1-line block ×4, first 2 shown]
	v_cmp_eq_u32_e32 vcc, 0, v16
	v_xor_b32_e32 v2, v2, v3
	v_mul_f64 v[4:5], v[6:7], v[4:5]
	v_bfi_b32 v7, s16, v7, v1
	v_cndmask_b32_e32 v1, v15, v9, vcc
	v_and_b32_e32 v2, 0x80000000, v2
	v_cndmask_b32_e32 v0, v14, v8, vcc
	v_xor_b32_e32 v1, v1, v2
	v_cndmask_b32_e64 v0, 0, v0, s[4:5]
	v_cndmask_b32_e64 v1, v28, v1, s[4:5]
	v_mul_f64 v[6:7], v[6:7], v[0:1]
.LBB79_71:
	s_or_b64 exec, exec, s[8:9]
                                        ; implicit-def: $vgpr0_vgpr1
                                        ; implicit-def: $vgpr2_vgpr3
.LBB79_72:
	s_andn2_saveexec_b64 s[16:17], s[10:11]
	s_cbranch_execz .LBB79_82
; %bb.73:
	v_trig_preop_f64 v[16:17], |v[2:3]|, 0
	v_trig_preop_f64 v[14:15], |v[2:3]|, 1
	;; [unrolled: 1-line block ×3, first 2 shown]
	s_mov_b32 s4, 0
	s_mov_b32 s5, 0x41d00000
	v_cmp_nlt_f64_e64 s[6:7], |v[2:3]|, s[4:5]
                                        ; implicit-def: $vgpr28
                                        ; implicit-def: $vgpr4_vgpr5
                                        ; implicit-def: $vgpr8_vgpr9
	s_and_saveexec_b64 s[4:5], s[6:7]
	s_xor_b64 s[8:9], exec, s[4:5]
	s_cbranch_execz .LBB79_75
; %bb.74:
	s_mov_b32 s4, 0
	s_mov_b32 s5, 0x7b000000
	s_movk_i32 s10, 0xff80
	v_ldexp_f64 v[4:5], |v[2:3]|, s10
	v_cmp_ge_f64_e64 vcc, |v[2:3]|, s[4:5]
	v_and_b32_e32 v6, 0x7fffffff, v3
	s_mov_b32 s4, 0
	s_mov_b32 s5, 0x7ff00000
	v_mov_b32_e32 v31, 0x40100000
	v_mov_b32_e32 v30, 0
	s_mov_b32 s10, 0x33145c07
	s_mov_b32 s11, 0x3c91a626
	v_cndmask_b32_e32 v5, v6, v5, vcc
	v_cndmask_b32_e32 v4, v2, v4, vcc
	v_mul_f64 v[6:7], v[16:17], v[4:5]
	v_mul_f64 v[8:9], v[14:15], v[4:5]
	;; [unrolled: 1-line block ×3, first 2 shown]
	v_fma_f64 v[10:11], v[16:17], v[4:5], -v[6:7]
	v_fma_f64 v[26:27], v[14:15], v[4:5], -v[8:9]
	;; [unrolled: 1-line block ×3, first 2 shown]
	v_add_f64 v[18:19], v[8:9], v[10:11]
	v_add_f64 v[20:21], v[18:19], -v[8:9]
	v_add_f64 v[28:29], v[6:7], v[18:19]
	v_add_f64 v[22:23], v[18:19], -v[20:21]
	v_add_f64 v[10:11], v[10:11], -v[20:21]
	v_add_f64 v[20:21], v[24:25], v[26:27]
	v_add_f64 v[6:7], v[28:29], -v[6:7]
	v_add_f64 v[8:9], v[8:9], -v[22:23]
	v_ldexp_f64 v[22:23], v[28:29], -2
	v_add_f64 v[32:33], v[20:21], -v[24:25]
	v_add_f64 v[6:7], v[18:19], -v[6:7]
	v_add_f64 v[8:9], v[10:11], v[8:9]
	v_fract_f64_e32 v[10:11], v[22:23]
	v_cmp_neq_f64_e64 vcc, |v[22:23]|, s[4:5]
	v_add_f64 v[26:27], v[26:27], -v[32:33]
	v_add_f64 v[18:19], v[20:21], v[8:9]
	v_ldexp_f64 v[10:11], v[10:11], 2
	v_add_f64 v[22:23], v[6:7], v[18:19]
	v_cndmask_b32_e32 v11, 0, v11, vcc
	v_cndmask_b32_e32 v10, 0, v10, vcc
	v_add_f64 v[34:35], v[18:19], -v[20:21]
	v_add_f64 v[28:29], v[22:23], v[10:11]
	v_add_f64 v[6:7], v[22:23], -v[6:7]
	v_add_f64 v[36:37], v[18:19], -v[34:35]
	;; [unrolled: 1-line block ×3, first 2 shown]
	v_cmp_gt_f64_e32 vcc, 0, v[28:29]
	v_add_f64 v[28:29], v[20:21], -v[32:33]
	v_add_f64 v[6:7], v[18:19], -v[6:7]
	;; [unrolled: 1-line block ×3, first 2 shown]
	v_cndmask_b32_e32 v31, 0, v31, vcc
	v_add_f64 v[10:11], v[10:11], v[30:31]
	v_add_f64 v[28:29], v[24:25], -v[28:29]
	v_add_f64 v[8:9], v[8:9], v[20:21]
	v_add_f64 v[38:39], v[22:23], v[10:11]
	v_add_f64 v[26:27], v[26:27], v[28:29]
	v_cvt_i32_f64_e32 v33, v[38:39]
	v_add_f64 v[8:9], v[26:27], v[8:9]
	v_cvt_f64_i32_e32 v[31:32], v33
	v_add_f64 v[10:11], v[10:11], -v[31:32]
	v_add_f64 v[4:5], v[4:5], v[8:9]
	v_add_f64 v[20:21], v[22:23], v[10:11]
	;; [unrolled: 1-line block ×3, first 2 shown]
	v_add_f64 v[8:9], v[20:21], -v[10:11]
	v_cmp_le_f64_e32 vcc, 0.5, v[20:21]
	v_add_f64 v[6:7], v[22:23], -v[8:9]
	v_mov_b32_e32 v8, 0x3ff00000
	v_cndmask_b32_e32 v31, 0, v8, vcc
	v_addc_co_u32_e64 v28, s[4:5], 0, v33, vcc
	s_mov_b32 s4, 0x54442d18
	s_mov_b32 s5, 0x3ff921fb
	v_add_f64 v[4:5], v[4:5], v[6:7]
	v_add_f64 v[6:7], v[20:21], -v[30:31]
	v_add_f64 v[8:9], v[6:7], v[4:5]
	v_mul_f64 v[10:11], v[8:9], s[4:5]
	v_add_f64 v[6:7], v[8:9], -v[6:7]
	v_fma_f64 v[18:19], v[8:9], s[4:5], -v[10:11]
	v_add_f64 v[4:5], v[4:5], -v[6:7]
	v_fma_f64 v[6:7], v[8:9], s[10:11], v[18:19]
	v_fma_f64 v[6:7], v[4:5], s[4:5], v[6:7]
	v_add_f64 v[4:5], v[10:11], v[6:7]
	v_add_f64 v[8:9], v[4:5], -v[10:11]
	v_add_f64 v[8:9], v[6:7], -v[8:9]
	s_andn2_saveexec_b64 s[4:5], s[8:9]
	s_cbranch_execz .LBB79_77
	s_branch .LBB79_76
.LBB79_75:
	s_andn2_saveexec_b64 s[4:5], s[8:9]
	s_cbranch_execz .LBB79_77
.LBB79_76:
	s_mov_b32 s8, 0x6dc9c883
	s_mov_b32 s9, 0x3fe45f30
	v_mul_f64 v[4:5], |v[2:3]|, s[8:9]
	s_mov_b32 s8, 0x54442d18
	s_mov_b32 s9, 0xbff921fb
	;; [unrolled: 1-line block ×4, first 2 shown]
	v_rndne_f64_e32 v[6:7], v[4:5]
	v_fma_f64 v[4:5], v[6:7], s[8:9], |v[2:3]|
	v_mul_f64 v[8:9], v[6:7], s[10:11]
	s_mov_b32 s8, 0x252049c0
	s_mov_b32 s9, 0xb97b839a
	v_cvt_i32_f64_e32 v28, v[6:7]
	v_fma_f64 v[20:21], v[6:7], s[10:11], v[4:5]
	v_add_f64 v[10:11], v[4:5], v[8:9]
	s_mov_b32 s11, 0x3c91a626
	v_add_f64 v[18:19], v[4:5], -v[10:11]
	v_add_f64 v[10:11], v[10:11], -v[20:21]
	v_add_f64 v[4:5], v[18:19], v[8:9]
	v_fma_f64 v[8:9], v[6:7], s[10:11], v[8:9]
	v_add_f64 v[4:5], v[10:11], v[4:5]
	v_add_f64 v[4:5], v[4:5], -v[8:9]
	v_fma_f64 v[8:9], v[6:7], s[8:9], v[4:5]
	v_add_f64 v[4:5], v[20:21], v[8:9]
	v_add_f64 v[10:11], v[4:5], -v[20:21]
	v_add_f64 v[8:9], v[8:9], -v[10:11]
.LBB79_77:
	s_or_b64 exec, exec, s[4:5]
                                        ; implicit-def: $vgpr29
                                        ; implicit-def: $vgpr6_vgpr7
                                        ; implicit-def: $vgpr10_vgpr11
	s_and_saveexec_b64 s[4:5], s[6:7]
	s_xor_b64 s[6:7], exec, s[4:5]
	s_cbranch_execz .LBB79_79
; %bb.78:
	s_mov_b32 s4, 0
	s_mov_b32 s5, 0x7b000000
	s_movk_i32 s8, 0xff80
	v_ldexp_f64 v[6:7], |v[2:3]|, s8
	v_cmp_ge_f64_e64 vcc, |v[2:3]|, s[4:5]
	v_and_b32_e32 v10, 0x7fffffff, v3
	s_mov_b32 s4, 0
	s_mov_b32 s5, 0x7ff00000
	v_mov_b32_e32 v32, 0x40100000
	v_mov_b32_e32 v31, 0
	s_mov_b32 s8, 0x33145c07
	s_mov_b32 s9, 0x3c91a626
	v_cndmask_b32_e32 v7, v10, v7, vcc
	v_cndmask_b32_e32 v6, v2, v6, vcc
	v_mul_f64 v[10:11], v[16:17], v[6:7]
	v_mul_f64 v[18:19], v[14:15], v[6:7]
	;; [unrolled: 1-line block ×3, first 2 shown]
	v_fma_f64 v[16:17], v[16:17], v[6:7], -v[10:11]
	v_fma_f64 v[14:15], v[14:15], v[6:7], -v[18:19]
	;; [unrolled: 1-line block ×3, first 2 shown]
	v_add_f64 v[20:21], v[18:19], v[16:17]
	v_add_f64 v[22:23], v[20:21], -v[18:19]
	v_add_f64 v[29:30], v[10:11], v[20:21]
	v_add_f64 v[24:25], v[20:21], -v[22:23]
	v_add_f64 v[16:17], v[16:17], -v[22:23]
	v_add_f64 v[22:23], v[26:27], v[14:15]
	v_add_f64 v[10:11], v[29:30], -v[10:11]
	v_add_f64 v[18:19], v[18:19], -v[24:25]
	v_ldexp_f64 v[24:25], v[29:30], -2
	v_add_f64 v[33:34], v[22:23], -v[26:27]
	v_add_f64 v[10:11], v[20:21], -v[10:11]
	v_add_f64 v[16:17], v[16:17], v[18:19]
	v_fract_f64_e32 v[18:19], v[24:25]
	v_cmp_neq_f64_e64 vcc, |v[24:25]|, s[4:5]
	v_add_f64 v[14:15], v[14:15], -v[33:34]
	v_add_f64 v[20:21], v[22:23], v[16:17]
	v_ldexp_f64 v[18:19], v[18:19], 2
	v_add_f64 v[24:25], v[10:11], v[20:21]
	v_cndmask_b32_e32 v19, 0, v19, vcc
	v_cndmask_b32_e32 v18, 0, v18, vcc
	v_add_f64 v[35:36], v[20:21], -v[22:23]
	v_add_f64 v[29:30], v[24:25], v[18:19]
	v_add_f64 v[10:11], v[24:25], -v[10:11]
	v_add_f64 v[37:38], v[20:21], -v[35:36]
	;; [unrolled: 1-line block ×3, first 2 shown]
	v_cmp_gt_f64_e32 vcc, 0, v[29:30]
	v_add_f64 v[29:30], v[22:23], -v[33:34]
	v_add_f64 v[10:11], v[20:21], -v[10:11]
	;; [unrolled: 1-line block ×3, first 2 shown]
	v_cndmask_b32_e32 v32, 0, v32, vcc
	v_add_f64 v[18:19], v[18:19], v[31:32]
	v_add_f64 v[29:30], v[26:27], -v[29:30]
	v_add_f64 v[16:17], v[16:17], v[22:23]
	v_add_f64 v[48:49], v[24:25], v[18:19]
	;; [unrolled: 1-line block ×3, first 2 shown]
	v_cvt_i32_f64_e32 v34, v[48:49]
	v_add_f64 v[12:13], v[14:15], v[16:17]
	v_cvt_f64_i32_e32 v[32:33], v34
	v_add_f64 v[18:19], v[18:19], -v[32:33]
	v_add_f64 v[6:7], v[6:7], v[12:13]
	v_add_f64 v[14:15], v[24:25], v[18:19]
	;; [unrolled: 1-line block ×3, first 2 shown]
	v_add_f64 v[12:13], v[14:15], -v[18:19]
	v_cmp_le_f64_e32 vcc, 0.5, v[14:15]
	v_add_f64 v[10:11], v[24:25], -v[12:13]
	v_mov_b32_e32 v12, 0x3ff00000
	v_cndmask_b32_e32 v32, 0, v12, vcc
	v_addc_co_u32_e64 v29, s[4:5], 0, v34, vcc
	s_mov_b32 s4, 0x54442d18
	s_mov_b32 s5, 0x3ff921fb
	v_add_f64 v[6:7], v[6:7], v[10:11]
	v_add_f64 v[10:11], v[14:15], -v[31:32]
	v_add_f64 v[12:13], v[10:11], v[6:7]
	v_mul_f64 v[14:15], v[12:13], s[4:5]
	v_add_f64 v[10:11], v[12:13], -v[10:11]
	v_fma_f64 v[16:17], v[12:13], s[4:5], -v[14:15]
	v_add_f64 v[6:7], v[6:7], -v[10:11]
	v_fma_f64 v[10:11], v[12:13], s[8:9], v[16:17]
	v_fma_f64 v[10:11], v[6:7], s[4:5], v[10:11]
	v_add_f64 v[6:7], v[14:15], v[10:11]
	v_add_f64 v[12:13], v[6:7], -v[14:15]
	v_add_f64 v[10:11], v[10:11], -v[12:13]
	s_andn2_saveexec_b64 s[4:5], s[6:7]
	s_cbranch_execnz .LBB79_80
	s_branch .LBB79_81
.LBB79_79:
	s_andn2_saveexec_b64 s[4:5], s[6:7]
	s_cbranch_execz .LBB79_81
.LBB79_80:
	s_mov_b32 s6, 0x6dc9c883
	s_mov_b32 s7, 0x3fe45f30
	v_mul_f64 v[6:7], |v[2:3]|, s[6:7]
	s_mov_b32 s6, 0x54442d18
	s_mov_b32 s7, 0xbff921fb
	s_mov_b32 s9, 0xbc91a626
	s_mov_b32 s8, 0x33145c00
	v_rndne_f64_e32 v[12:13], v[6:7]
	v_fma_f64 v[6:7], v[12:13], s[6:7], |v[2:3]|
	v_mul_f64 v[10:11], v[12:13], s[8:9]
	s_mov_b32 s6, 0x252049c0
	s_mov_b32 s7, 0xb97b839a
	v_cvt_i32_f64_e32 v29, v[12:13]
	v_fma_f64 v[18:19], v[12:13], s[8:9], v[6:7]
	v_add_f64 v[14:15], v[6:7], v[10:11]
	s_mov_b32 s9, 0x3c91a626
	v_add_f64 v[16:17], v[6:7], -v[14:15]
	v_add_f64 v[14:15], v[14:15], -v[18:19]
	v_add_f64 v[6:7], v[16:17], v[10:11]
	v_fma_f64 v[10:11], v[12:13], s[8:9], v[10:11]
	v_add_f64 v[6:7], v[14:15], v[6:7]
	v_add_f64 v[6:7], v[6:7], -v[10:11]
	v_fma_f64 v[10:11], v[12:13], s[6:7], v[6:7]
	v_add_f64 v[6:7], v[18:19], v[10:11]
	v_add_f64 v[14:15], v[6:7], -v[18:19]
	v_add_f64 v[10:11], v[10:11], -v[14:15]
.LBB79_81:
	s_or_b64 exec, exec, s[4:5]
	s_mov_b32 s5, 0xbfe62e42
	s_mov_b32 s4, 0xfefa39ef
	v_add_f64 v[12:13], |v[0:1]|, s[4:5]
	s_mov_b32 s7, 0x3fe62e42
	s_mov_b32 s6, s4
	;; [unrolled: 1-line block ×7, first 2 shown]
	v_add_f64 v[14:15], v[12:13], -|v[0:1]|
	s_mov_b32 s24, 0x19f4ec90
	s_mov_b32 s25, 0x3efa01a0
	;; [unrolled: 1-line block ×7, first 2 shown]
	v_add_f64 v[16:17], v[14:15], -v[12:13]
	v_add_f64 v[14:15], v[14:15], s[6:7]
	s_mov_b32 s6, 0x3b39803f
	s_mov_b32 s7, 0xbc7abc9e
	;; [unrolled: 1-line block ×5, first 2 shown]
	v_mul_f64 v[38:39], v[8:9], 0.5
	v_add_f64 v[16:17], |v[0:1]|, v[16:17]
	v_add_f64 v[14:15], v[16:17], -v[14:15]
	v_add_f64 v[14:15], v[14:15], s[6:7]
	s_mov_b32 s6, 0x652b82fe
	s_mov_b32 s7, 0x3ff71547
	v_add_f64 v[16:17], v[12:13], v[14:15]
	v_mul_f64 v[18:19], v[16:17], s[6:7]
	v_add_f64 v[20:21], v[12:13], -v[16:17]
	s_mov_b32 s6, 0x14761f6e
	s_mov_b32 s7, 0x3f2a01a0
	v_rndne_f64_e32 v[12:13], v[18:19]
	v_add_f64 v[14:15], v[14:15], v[20:21]
	v_fma_f64 v[16:17], v[12:13], s[4:5], v[16:17]
	s_mov_b32 s4, 0xf278e000
	s_mov_b32 s5, 0xbd53de6a
	v_mul_f64 v[18:19], v[12:13], s[4:5]
	s_mov_b32 s4, 0xf97b57a0
	s_mov_b32 s5, 0xbac9cc01
	v_add_f64 v[20:21], v[14:15], v[16:17]
	v_add_f64 v[22:23], v[20:21], v[18:19]
	v_add_f64 v[16:17], v[16:17], -v[20:21]
	v_add_f64 v[20:21], v[20:21], -v[22:23]
	v_add_f64 v[14:15], v[14:15], v[16:17]
	v_add_f64 v[16:17], v[20:21], v[18:19]
	v_mul_f64 v[18:19], v[12:13], s[4:5]
	s_mov_b32 s4, 0x6a5dcb37
	s_mov_b32 s5, 0x3e5ade15
	v_add_f64 v[14:15], v[14:15], v[16:17]
	v_add_f64 v[20:21], v[22:23], v[14:15]
	;; [unrolled: 1-line block ×3, first 2 shown]
	v_add_f64 v[24:25], v[22:23], -v[20:21]
	v_mul_f64 v[22:23], v[4:5], v[4:5]
	v_add_f64 v[20:21], v[20:21], -v[16:17]
	v_add_f64 v[24:25], v[14:15], v[24:25]
	v_mul_f64 v[26:27], v[22:23], 0.5
	v_add_f64 v[18:19], v[20:21], v[18:19]
	v_mov_b32_e32 v20, 0xfca7ab0c
	v_add_f64 v[14:15], -v[26:27], 1.0
	v_mov_b32_e32 v21, 0x3e928af3
	v_add_f64 v[30:31], v[24:25], v[18:19]
	v_add_f64 v[18:19], -v[14:15], 1.0
	v_add_f64 v[18:19], v[18:19], -v[26:27]
	v_add_f64 v[26:27], v[16:17], v[30:31]
	v_fma_f64 v[18:19], v[4:5], -v[8:9], v[18:19]
	v_fma_f64 v[20:21], v[26:27], s[4:5], v[20:21]
	s_mov_b32 s4, 0x623fde64
	s_mov_b32 s5, 0x3ec71dee
	v_add_f64 v[16:17], v[16:17], -v[26:27]
	v_fma_f64 v[20:21], v[26:27], v[20:21], s[4:5]
	s_mov_b32 s4, 0x7c89e6b0
	s_mov_b32 s5, 0x3efa0199
	v_add_f64 v[16:17], v[30:31], v[16:17]
	v_mul_f64 v[30:31], v[26:27], v[26:27]
	v_fma_f64 v[20:21], v[26:27], v[20:21], s[4:5]
	s_mov_b32 s4, 0x9037ab78
	s_mov_b32 s5, 0x3e21eeb6
	v_mov_b32_e32 v25, s5
	v_mov_b32_e32 v24, s4
	v_fma_f64 v[32:33], v[22:23], s[20:21], v[24:25]
	s_mov_b32 s4, 0x1852b7b0
	s_mov_b32 s5, 0x3f56c16c
	v_fma_f64 v[20:21], v[26:27], v[20:21], s[6:7]
	s_mov_b32 s7, 0x3f811111
	s_mov_b32 s6, 0x11122322
	v_fma_f64 v[32:33], v[22:23], v[32:33], s[22:23]
	v_fma_f64 v[20:21], v[26:27], v[20:21], s[4:5]
	s_mov_b32 s5, 0x3fa55555
	s_mov_b32 s4, 0x555502a1
	v_fma_f64 v[32:33], v[22:23], v[32:33], s[24:25]
	v_fma_f64 v[20:21], v[26:27], v[20:21], s[6:7]
	s_mov_b32 s6, 0x11110bb3
	v_fma_f64 v[32:33], v[22:23], v[32:33], s[26:27]
	v_fma_f64 v[34:35], v[26:27], v[20:21], s[4:5]
	s_mov_b32 s4, 0x55555555
	v_fma_f64 v[20:21], v[22:23], v[32:33], s[4:5]
	v_mul_f64 v[32:33], v[22:23], v[22:23]
	v_fma_f64 v[18:19], v[32:33], v[20:21], v[18:19]
	v_mov_b32_e32 v33, s19
	v_mov_b32_e32 v32, s18
	v_fma_f64 v[20:21], v[22:23], s[8:9], v[32:33]
	s_mov_b32 s18, 0x19e83e5c
	s_mov_b32 s19, 0xbf2a01a0
	v_fma_f64 v[20:21], v[22:23], v[20:21], s[10:11]
	v_fma_f64 v[20:21], v[22:23], v[20:21], s[18:19]
	;; [unrolled: 1-line block ×3, first 2 shown]
	v_mul_f64 v[20:21], v[4:5], -v[22:23]
	v_fma_f64 v[36:37], v[20:21], v[36:37], v[38:39]
	v_fma_f64 v[8:9], v[22:23], v[36:37], -v[8:9]
	v_mul_f64 v[36:37], v[6:7], v[6:7]
	v_mul_f64 v[38:39], v[36:37], 0.5
	v_fma_f64 v[24:25], v[36:37], s[20:21], v[24:25]
	s_mov_b32 s20, 0x55555511
	s_mov_b32 s21, 0x3fc55555
	v_fma_f64 v[34:35], v[26:27], v[34:35], s[20:21]
	s_mov_b32 s20, 11
	s_mov_b32 s21, 0x3fe00000
	v_fma_f64 v[32:33], v[36:37], s[8:9], v[32:33]
	v_add_f64 v[22:23], -v[38:39], 1.0
	v_fma_f64 v[24:25], v[36:37], v[24:25], s[22:23]
	v_fma_f64 v[34:35], v[26:27], v[34:35], s[20:21]
	v_fma_f64 v[32:33], v[36:37], v[32:33], s[10:11]
	v_add_f64 v[48:49], -v[22:23], 1.0
	v_fma_f64 v[24:25], v[36:37], v[24:25], s[24:25]
	s_mov_b32 s10, 0
	s_mov_b32 s11, 0x3e400000
	v_cmp_lt_f64_e64 s[10:11], |v[0:1]|, s[10:11]
	v_fma_f64 v[32:33], v[36:37], v[32:33], s[18:19]
	v_add_f64 v[38:39], v[48:49], -v[38:39]
	v_fma_f64 v[24:25], v[36:37], v[24:25], s[26:27]
	v_mul_f64 v[48:49], v[36:37], v[36:37]
	s_brev_b32 s18, -2
	v_fma_f64 v[32:33], v[36:37], v[32:33], s[6:7]
	v_fma_f64 v[38:39], v[6:7], -v[10:11], v[38:39]
	v_fma_f64 v[24:25], v[36:37], v[24:25], s[4:5]
	s_movk_i32 s5, 0x1f8
	v_cmp_class_f64_e64 vcc, v[2:3], s5
	s_mov_b32 s5, 0xbfc55555
	v_fma_f64 v[8:9], v[20:21], s[4:5], v[8:9]
	s_mov_b32 s6, 0x8fb9f87e
	s_mov_b32 s7, 0x408633ce
	v_cmp_ge_f64_e64 s[6:7], |v[0:1]|, s[6:7]
	v_fma_f64 v[24:25], v[48:49], v[24:25], v[38:39]
	v_fma_f64 v[38:39], v[26:27], v[26:27], -v[30:31]
	v_add_f64 v[48:49], v[16:17], v[16:17]
	v_add_f64 v[4:5], v[4:5], -v[8:9]
	v_fma_f64 v[38:39], v[26:27], v[48:49], v[38:39]
	v_add_f64 v[48:49], v[30:31], v[38:39]
	v_add_f64 v[30:31], v[48:49], -v[30:31]
	v_add_f64 v[30:31], v[38:39], -v[30:31]
	v_mul_f64 v[38:39], v[48:49], v[34:35]
	v_fma_f64 v[48:49], v[48:49], v[34:35], -v[38:39]
	v_fma_f64 v[30:31], v[30:31], v[34:35], v[48:49]
	v_mul_f64 v[34:35], v[10:11], 0.5
	v_mul_f64 v[48:49], v[6:7], -v[36:37]
	v_fma_f64 v[32:33], v[48:49], v[32:33], v[34:35]
	v_fma_f64 v[10:11], v[36:37], v[32:33], -v[10:11]
	v_add_f64 v[32:33], v[38:39], v[30:31]
	v_fma_f64 v[10:11], v[48:49], s[4:5], v[10:11]
	v_add_f64 v[34:35], v[32:33], -v[38:39]
	v_add_f64 v[6:7], v[6:7], -v[10:11]
	;; [unrolled: 1-line block ×3, first 2 shown]
	v_add_f64 v[34:35], v[26:27], v[32:33]
	v_add_f64 v[16:17], v[16:17], v[30:31]
	v_add_f64 v[26:27], v[34:35], -v[26:27]
	v_add_f64 v[26:27], v[32:33], -v[26:27]
	v_add_f64 v[16:17], v[16:17], v[26:27]
	v_add_f64 v[26:27], v[34:35], v[16:17]
	v_add_f64 v[30:31], v[26:27], -v[34:35]
	v_cvt_i32_f64_e32 v34, v[12:13]
	v_add_f64 v[16:17], v[16:17], -v[30:31]
	v_add_f64 v[30:31], v[26:27], 1.0
	v_add_f64 v[32:33], v[30:31], -1.0
	v_add_f64 v[26:27], v[26:27], -v[32:33]
	v_add_f64 v[16:17], v[16:17], v[26:27]
	v_add_f64 v[12:13], v[30:31], v[16:17]
	v_add_f64 v[26:27], v[12:13], -v[30:31]
	v_ldexp_f64 v[12:13], v[12:13], v34
	v_add_f64 v[16:17], v[16:17], -v[26:27]
	v_rcp_f64_e32 v[30:31], v[12:13]
	v_ldexp_f64 v[16:17], v[16:17], v34
	v_fma_f64 v[32:33], -v[12:13], v[30:31], 1.0
	v_fma_f64 v[30:31], v[32:33], v[30:31], v[30:31]
	v_fma_f64 v[26:27], -v[12:13], v[30:31], 1.0
	v_fma_f64 v[26:27], v[26:27], v[30:31], v[30:31]
	v_mul_f64 v[30:31], v[12:13], v[26:27]
	v_fma_f64 v[32:33], v[26:27], v[12:13], -v[30:31]
	v_fma_f64 v[32:33], v[26:27], v[16:17], v[32:33]
	v_add_f64 v[34:35], v[30:31], v[32:33]
	v_add_f64 v[30:31], v[34:35], -v[30:31]
	v_add_f64 v[30:31], v[30:31], -v[32:33]
	v_add_f64 v[32:33], -v[34:35], 1.0
	v_add_f64 v[36:37], -v[32:33], 1.0
	v_add_f64 v[34:35], v[36:37], -v[34:35]
	v_add_f64 v[30:31], v[30:31], v[34:35]
	v_add_f64 v[34:35], v[32:33], v[30:31]
	v_add_f64 v[32:33], v[32:33], -v[34:35]
	v_add_f64 v[30:31], v[30:31], v[32:33]
	v_mul_f64 v[32:33], v[26:27], v[34:35]
	v_mul_f64 v[36:37], v[12:13], v[32:33]
	v_fma_f64 v[38:39], v[32:33], v[12:13], -v[36:37]
	v_fma_f64 v[38:39], v[32:33], v[16:17], v[38:39]
	v_add_f64 v[50:51], v[36:37], v[38:39]
	v_add_f64 v[52:53], v[34:35], -v[50:51]
	v_add_f64 v[36:37], v[50:51], -v[36:37]
	;; [unrolled: 1-line block ×5, first 2 shown]
	v_add_f64 v[30:31], v[30:31], v[34:35]
	v_add_f64 v[34:35], v[26:27], v[32:33]
	;; [unrolled: 1-line block ×3, first 2 shown]
	v_add_f64 v[36:37], v[34:35], -v[26:27]
	v_add_f64 v[30:31], v[52:53], v[30:31]
	v_add_f64 v[32:33], v[32:33], -v[36:37]
	v_mul_f64 v[26:27], v[26:27], v[30:31]
	v_lshlrev_b32_e32 v30, 30, v29
	v_xor_b32_e32 v30, v30, v3
	v_add_f64 v[2:3], v[14:15], v[18:19]
	v_add_f64 v[14:15], v[22:23], v[24:25]
	;; [unrolled: 1-line block ×4, first 2 shown]
	v_ldexp_f64 v[20:21], v[18:19], -2
	v_add_f64 v[18:19], v[18:19], -v[34:35]
	v_add_f64 v[22:23], v[12:13], -v[20:21]
	v_add_f64 v[8:9], v[12:13], v[20:21]
	v_add_f64 v[18:19], v[26:27], -v[18:19]
	v_and_b32_e32 v27, 1, v29
	v_cmp_eq_u32_e64 s[8:9], 0, v27
	v_cndmask_b32_e64 v14, v14, v6, s[8:9]
	v_cndmask_b32_e64 v15, v15, v7, s[8:9]
	v_and_b32_e32 v26, 0x7fffffff, v1
	v_add_f64 v[24:25], v[12:13], -v[22:23]
	v_add_f64 v[12:13], v[8:9], -v[12:13]
	v_ldexp_f64 v[18:19], v[18:19], -2
	v_add_f64 v[10:11], v[24:25], -v[20:21]
	v_add_f64 v[12:13], v[20:21], -v[12:13]
	v_and_b32_e32 v20, 1, v28
	v_cmp_eq_u32_e64 s[4:5], 0, v20
	v_cndmask_b32_e64 v2, v4, v2, s[4:5]
	v_lshlrev_b32_e32 v21, 30, v28
	v_and_b32_e32 v21, 0x80000000, v21
	v_mov_b32_e32 v24, 0x7ff00000
	v_add_f64 v[10:11], v[16:17], v[10:11]
	v_add_f64 v[16:17], v[16:17], v[18:19]
	v_mov_b32_e32 v25, 0x7ff80000
	v_cndmask_b32_e32 v2, 0, v2, vcc
	v_add_f64 v[10:11], v[10:11], -v[18:19]
	v_add_f64 v[12:13], v[16:17], v[12:13]
	v_xor_b32_e32 v17, 0x80000000, v5
	v_cndmask_b32_e64 v3, v17, v3, s[4:5]
	v_xor_b32_e32 v3, v3, v21
	v_cndmask_b32_e32 v3, v25, v3, vcc
	v_and_b32_e32 v16, 0x80000000, v30
	v_add_f64 v[6:7], v[22:23], v[10:11]
	v_add_f64 v[4:5], v[8:9], v[12:13]
	v_xor_b32_e32 v9, v15, v16
	v_cndmask_b32_e32 v8, 0, v14, vcc
	v_cndmask_b32_e32 v9, v25, v9, vcc
	v_cndmask_b32_e64 v5, v5, v24, s[6:7]
	v_cndmask_b32_e64 v4, v4, 0, s[6:7]
	v_mul_f64 v[4:5], v[4:5], v[2:3]
	v_cndmask_b32_e64 v2, v6, 0, s[6:7]
	v_cndmask_b32_e64 v3, v7, v24, s[6:7]
	;; [unrolled: 1-line block ×4, first 2 shown]
	v_bfi_b32 v1, s18, v2, v1
	v_mul_f64 v[6:7], v[0:1], v[8:9]
.LBB79_82:
	s_or_b64 exec, exec, s[16:17]
                                        ; implicit-def: $vgpr0_vgpr1
                                        ; implicit-def: $vgpr2_vgpr3
.LBB79_83:
	s_andn2_saveexec_b64 s[4:5], s[14:15]
	s_cbranch_execz .LBB79_85
; %bb.84:
	s_mov_b32 s7, 0xbfe62e42
	s_mov_b32 s6, 0xfefa39ef
	v_add_f64 v[4:5], |v[0:1]|, s[6:7]
	s_mov_b32 s9, 0x3fe62e42
	s_mov_b32 s8, s6
	;; [unrolled: 1-line block ×3, first 2 shown]
	v_add_f64 v[6:7], v[4:5], -|v[0:1]|
	v_add_f64 v[8:9], v[6:7], -v[4:5]
	v_add_f64 v[6:7], v[6:7], s[8:9]
	s_mov_b32 s8, 0x3b39803f
	s_mov_b32 s9, 0xbc7abc9e
	v_add_f64 v[8:9], |v[0:1]|, v[8:9]
	v_add_f64 v[6:7], v[8:9], -v[6:7]
	v_add_f64 v[6:7], v[6:7], s[8:9]
	s_mov_b32 s8, 0x652b82fe
	s_mov_b32 s9, 0x3ff71547
	v_add_f64 v[8:9], v[4:5], v[6:7]
	v_mul_f64 v[10:11], v[8:9], s[8:9]
	v_add_f64 v[4:5], v[4:5], -v[8:9]
	v_rndne_f64_e32 v[10:11], v[10:11]
	v_add_f64 v[4:5], v[6:7], v[4:5]
	v_fma_f64 v[6:7], v[10:11], s[6:7], v[8:9]
	s_mov_b32 s6, 0xf278e000
	s_mov_b32 s7, 0xbd53de6a
	v_mul_f64 v[8:9], v[10:11], s[6:7]
	s_mov_b32 s6, 0xf97b57a0
	s_mov_b32 s7, 0xbac9cc01
	v_add_f64 v[12:13], v[4:5], v[6:7]
	v_add_f64 v[14:15], v[12:13], v[8:9]
	v_add_f64 v[6:7], v[6:7], -v[12:13]
	v_add_f64 v[12:13], v[12:13], -v[14:15]
	v_add_f64 v[4:5], v[4:5], v[6:7]
	v_add_f64 v[6:7], v[12:13], v[8:9]
	;; [unrolled: 1-line block ×3, first 2 shown]
	v_mul_f64 v[6:7], v[10:11], s[6:7]
	s_mov_b32 s6, 0x6a5dcb37
	s_mov_b32 s7, 0x3e5ade15
	v_add_f64 v[8:9], v[14:15], v[4:5]
	v_add_f64 v[12:13], v[8:9], v[6:7]
	v_add_f64 v[14:15], v[14:15], -v[8:9]
	v_add_f64 v[8:9], v[8:9], -v[12:13]
	v_add_f64 v[4:5], v[4:5], v[14:15]
	v_add_f64 v[6:7], v[8:9], v[6:7]
	v_mov_b32_e32 v8, 0xfca7ab0c
	v_mov_b32_e32 v9, 0x3e928af3
	v_add_f64 v[4:5], v[4:5], v[6:7]
	v_add_f64 v[6:7], v[12:13], v[4:5]
	v_fma_f64 v[8:9], v[6:7], s[6:7], v[8:9]
	s_mov_b32 s6, 0x623fde64
	s_mov_b32 s7, 0x3ec71dee
	v_add_f64 v[12:13], v[12:13], -v[6:7]
	v_mul_f64 v[14:15], v[6:7], v[6:7]
	v_fma_f64 v[8:9], v[6:7], v[8:9], s[6:7]
	s_mov_b32 s6, 0x7c89e6b0
	s_mov_b32 s7, 0x3efa0199
	v_add_f64 v[4:5], v[4:5], v[12:13]
	v_fma_f64 v[12:13], v[6:7], v[6:7], -v[14:15]
	v_fma_f64 v[8:9], v[6:7], v[8:9], s[6:7]
	s_mov_b32 s6, 0x14761f6e
	s_mov_b32 s7, 0x3f2a01a0
	v_add_f64 v[16:17], v[4:5], v[4:5]
	v_fma_f64 v[8:9], v[6:7], v[8:9], s[6:7]
	s_mov_b32 s6, 0x1852b7b0
	s_mov_b32 s7, 0x3f56c16c
	v_fma_f64 v[12:13], v[6:7], v[16:17], v[12:13]
	v_fma_f64 v[8:9], v[6:7], v[8:9], s[6:7]
	s_mov_b32 s6, 0x11122322
	s_mov_b32 s7, 0x3f811111
	v_add_f64 v[16:17], v[14:15], v[12:13]
	v_fma_f64 v[8:9], v[6:7], v[8:9], s[6:7]
	s_mov_b32 s6, 0x555502a1
	s_mov_b32 s7, 0x3fa55555
	v_add_f64 v[14:15], v[16:17], -v[14:15]
	v_fma_f64 v[8:9], v[6:7], v[8:9], s[6:7]
	s_mov_b32 s6, 0x55555511
	s_mov_b32 s7, 0x3fc55555
	v_add_f64 v[12:13], v[12:13], -v[14:15]
	v_fma_f64 v[8:9], v[6:7], v[8:9], s[6:7]
	s_mov_b32 s6, 11
	s_mov_b32 s7, 0x3fe00000
	v_fma_f64 v[8:9], v[6:7], v[8:9], s[6:7]
	s_mov_b32 s6, 0x8fb9f87e
	s_mov_b32 s7, 0x408633ce
	v_cmp_nge_f64_e64 vcc, |v[0:1]|, s[6:7]
	v_mul_f64 v[18:19], v[16:17], v[8:9]
	v_fma_f64 v[14:15], v[16:17], v[8:9], -v[18:19]
	v_fma_f64 v[8:9], v[12:13], v[8:9], v[14:15]
	v_add_f64 v[12:13], v[18:19], v[8:9]
	v_add_f64 v[14:15], v[6:7], v[12:13]
	v_add_f64 v[16:17], v[12:13], -v[18:19]
	v_add_f64 v[6:7], v[14:15], -v[6:7]
	;; [unrolled: 1-line block ×3, first 2 shown]
	v_cvt_i32_f64_e32 v16, v[10:11]
	v_add_f64 v[6:7], v[12:13], -v[6:7]
	v_add_f64 v[4:5], v[4:5], v[8:9]
	v_add_f64 v[4:5], v[4:5], v[6:7]
	;; [unrolled: 1-line block ×3, first 2 shown]
	v_add_f64 v[8:9], v[6:7], 1.0
	v_add_f64 v[12:13], v[6:7], -v[14:15]
	v_add_f64 v[14:15], v[8:9], -1.0
	v_add_f64 v[4:5], v[4:5], -v[12:13]
	v_add_f64 v[6:7], v[6:7], -v[14:15]
	v_add_f64 v[4:5], v[4:5], v[6:7]
	v_add_f64 v[6:7], v[8:9], v[4:5]
	v_ldexp_f64 v[10:11], v[6:7], v16
	v_add_f64 v[6:7], v[6:7], -v[8:9]
	v_rcp_f64_e32 v[12:13], v[10:11]
	v_add_f64 v[4:5], v[4:5], -v[6:7]
	v_ldexp_f64 v[4:5], v[4:5], v16
	v_fma_f64 v[14:15], -v[10:11], v[12:13], 1.0
	v_fma_f64 v[12:13], v[14:15], v[12:13], v[12:13]
	v_fma_f64 v[14:15], -v[10:11], v[12:13], 1.0
	v_fma_f64 v[8:9], v[14:15], v[12:13], v[12:13]
	v_mul_f64 v[6:7], v[10:11], v[8:9]
	v_fma_f64 v[12:13], v[8:9], v[10:11], -v[6:7]
	v_fma_f64 v[12:13], v[8:9], v[4:5], v[12:13]
	v_add_f64 v[14:15], v[6:7], v[12:13]
	v_add_f64 v[16:17], -v[14:15], 1.0
	v_add_f64 v[6:7], v[14:15], -v[6:7]
	v_add_f64 v[18:19], -v[16:17], 1.0
	v_add_f64 v[6:7], v[6:7], -v[12:13]
	v_add_f64 v[12:13], v[18:19], -v[14:15]
	v_add_f64 v[6:7], v[6:7], v[12:13]
	v_add_f64 v[12:13], v[16:17], v[6:7]
	v_mul_f64 v[14:15], v[8:9], v[12:13]
	v_add_f64 v[16:17], v[16:17], -v[12:13]
	v_mul_f64 v[18:19], v[10:11], v[14:15]
	v_add_f64 v[6:7], v[6:7], v[16:17]
	v_fma_f64 v[20:21], v[14:15], v[10:11], -v[18:19]
	v_fma_f64 v[20:21], v[14:15], v[4:5], v[20:21]
	v_add_f64 v[22:23], v[18:19], v[20:21]
	v_add_f64 v[24:25], v[12:13], -v[22:23]
	v_add_f64 v[16:17], v[22:23], -v[18:19]
	;; [unrolled: 1-line block ×5, first 2 shown]
	v_add_f64 v[6:7], v[6:7], v[12:13]
	v_add_f64 v[12:13], v[8:9], v[14:15]
	;; [unrolled: 1-line block ×3, first 2 shown]
	v_add_f64 v[16:17], v[12:13], -v[8:9]
	v_add_f64 v[6:7], v[24:25], v[6:7]
	v_add_f64 v[14:15], v[14:15], -v[16:17]
	v_mul_f64 v[6:7], v[8:9], v[6:7]
	v_add_f64 v[6:7], v[14:15], v[6:7]
	v_add_f64 v[8:9], v[12:13], v[6:7]
	v_ldexp_f64 v[14:15], v[8:9], -2
	v_add_f64 v[8:9], v[8:9], -v[12:13]
	v_add_f64 v[12:13], v[10:11], v[14:15]
	v_add_f64 v[6:7], v[6:7], -v[8:9]
	v_add_f64 v[8:9], v[12:13], -v[10:11]
	v_ldexp_f64 v[6:7], v[6:7], -2
	v_add_f64 v[8:9], v[14:15], -v[8:9]
	v_add_f64 v[4:5], v[4:5], v[6:7]
	v_mul_f64 v[6:7], v[0:1], v[2:3]
	v_add_f64 v[4:5], v[4:5], v[8:9]
	v_mov_b32_e32 v8, 0x7ff00000
	v_add_f64 v[4:5], v[12:13], v[4:5]
	v_cndmask_b32_e32 v5, v8, v5, vcc
	v_cndmask_b32_e32 v4, 0, v4, vcc
.LBB79_85:
	s_or_b64 exec, exec, s[4:5]
.LBB79_86:
	s_or_b64 exec, exec, s[12:13]
	v_mov_b32_e32 v0, v4
	v_mov_b32_e32 v1, v5
	;; [unrolled: 1-line block ×4, first 2 shown]
	s_setpc_b64 s[30:31]
.Lfunc_end79:
	.size	_ZN6thrust23THRUST_200600_302600_NS6detail7complex5ccoshERKNS0_7complexIdEE, .Lfunc_end79-_ZN6thrust23THRUST_200600_302600_NS6detail7complex5ccoshERKNS0_7complexIdEE
                                        ; -- End function
	.set .L_ZN6thrust23THRUST_200600_302600_NS6detail7complex5ccoshERKNS0_7complexIdEE.num_vgpr, 54
	.set .L_ZN6thrust23THRUST_200600_302600_NS6detail7complex5ccoshERKNS0_7complexIdEE.num_agpr, 0
	.set .L_ZN6thrust23THRUST_200600_302600_NS6detail7complex5ccoshERKNS0_7complexIdEE.numbered_sgpr, 48
	.set .L_ZN6thrust23THRUST_200600_302600_NS6detail7complex5ccoshERKNS0_7complexIdEE.num_named_barrier, 0
	.set .L_ZN6thrust23THRUST_200600_302600_NS6detail7complex5ccoshERKNS0_7complexIdEE.private_seg_size, 0
	.set .L_ZN6thrust23THRUST_200600_302600_NS6detail7complex5ccoshERKNS0_7complexIdEE.uses_vcc, 1
	.set .L_ZN6thrust23THRUST_200600_302600_NS6detail7complex5ccoshERKNS0_7complexIdEE.uses_flat_scratch, 0
	.set .L_ZN6thrust23THRUST_200600_302600_NS6detail7complex5ccoshERKNS0_7complexIdEE.has_dyn_sized_stack, 0
	.set .L_ZN6thrust23THRUST_200600_302600_NS6detail7complex5ccoshERKNS0_7complexIdEE.has_recursion, 0
	.set .L_ZN6thrust23THRUST_200600_302600_NS6detail7complex5ccoshERKNS0_7complexIdEE.has_indirect_call, 0
	.section	.AMDGPU.csdata,"",@progbits
; Function info:
; codeLenInByte = 16576
; TotalNumSgprs: 52
; NumVgprs: 54
; ScratchSize: 0
; MemoryBound: 0
	.section	.text._ZN2at6native12_GLOBAL__N_125multi_tensor_apply_kernelINS1_18TensorListMetadataILi2EEENS1_14UnaryOpFunctorIN3c107complexIdEELi2ELi1ELi1EEEJNS0_4CoshIS8_EEEEEvT_T0_DpT1_,"axG",@progbits,_ZN2at6native12_GLOBAL__N_125multi_tensor_apply_kernelINS1_18TensorListMetadataILi2EEENS1_14UnaryOpFunctorIN3c107complexIdEELi2ELi1ELi1EEEJNS0_4CoshIS8_EEEEEvT_T0_DpT1_,comdat
	.globl	_ZN2at6native12_GLOBAL__N_125multi_tensor_apply_kernelINS1_18TensorListMetadataILi2EEENS1_14UnaryOpFunctorIN3c107complexIdEELi2ELi1ELi1EEEJNS0_4CoshIS8_EEEEEvT_T0_DpT1_ ; -- Begin function _ZN2at6native12_GLOBAL__N_125multi_tensor_apply_kernelINS1_18TensorListMetadataILi2EEENS1_14UnaryOpFunctorIN3c107complexIdEELi2ELi1ELi1EEEJNS0_4CoshIS8_EEEEEvT_T0_DpT1_
	.p2align	8
	.type	_ZN2at6native12_GLOBAL__N_125multi_tensor_apply_kernelINS1_18TensorListMetadataILi2EEENS1_14UnaryOpFunctorIN3c107complexIdEELi2ELi1ELi1EEEJNS0_4CoshIS8_EEEEEvT_T0_DpT1_,@function
_ZN2at6native12_GLOBAL__N_125multi_tensor_apply_kernelINS1_18TensorListMetadataILi2EEENS1_14UnaryOpFunctorIN3c107complexIdEELi2ELi1ELi1EEEJNS0_4CoshIS8_EEEEEvT_T0_DpT1_: ; @_ZN2at6native12_GLOBAL__N_125multi_tensor_apply_kernelINS1_18TensorListMetadataILi2EEENS1_14UnaryOpFunctorIN3c107complexIdEELi2ELi1ELi1EEEJNS0_4CoshIS8_EEEEEvT_T0_DpT1_
; %bb.0:
	v_mov_b32_e32 v58, v0
	v_mov_b32_e32 v0, s6
	global_load_ubyte v0, v0, s[4:5] offset:1536
	s_add_u32 s0, s0, s7
	s_addc_u32 s1, s1, 0
	s_mov_b64 s[34:35], s[4:5]
	s_add_u32 s4, s34, s6
	s_mul_hi_u32 s9, s6, 3
	s_mul_i32 s6, s6, 3
	s_addc_u32 s10, s35, 0
	s_add_u32 s8, s4, s6
	s_addc_u32 s9, s10, s9
	s_load_dword s8, s[8:9], 0x740
	s_mov_b32 s5, 0
	s_mov_b32 s7, s5
	;; [unrolled: 1-line block ×3, first 2 shown]
	s_waitcnt lgkmcnt(0)
	s_ashr_i32 s9, s8, 31
	s_lshl_b64 s[16:17], s[8:9], 20
	s_waitcnt vmcnt(0)
	v_readfirstlane_b32 s4, v0
	s_lshl_b32 s4, s4, 3
	s_load_dwordx2 s[10:11], s[34:35], s4 offset:0x0
	s_load_dwordx2 s[12:13], s[34:35], s4 offset:0x400
	;; [unrolled: 1-line block ×3, first 2 shown]
	s_waitcnt lgkmcnt(0)
	s_add_u32 s48, s10, s16
	s_addc_u32 s49, s11, s17
	s_and_b32 s4, s48, 63
	s_add_u32 s50, s14, s16
	s_addc_u32 s51, s15, s17
	s_lshl_b64 s[8:9], s[8:9], 16
	s_and_b32 s6, s50, 63
	s_sub_u32 s36, s12, s8
	s_subb_u32 s37, s13, s9
	s_and_b32 s8, s12, 3
	s_mov_b32 s9, s5
	s_or_b64 s[6:7], s[6:7], s[8:9]
	s_or_b64 s[4:5], s[6:7], s[4:5]
	s_cmp_eq_u64 s[4:5], 0
	s_mov_b64 s[4:5], -1
	s_cbranch_scc0 .LBB80_5
; %bb.1:
	v_mov_b32_e32 v0, 0x10000
	v_mov_b32_e32 v1, 0
	v_cmp_lt_i64_e32 vcc, s[36:37], v[0:1]
	v_mov_b32_e32 v1, 0
	s_and_b64 s[4:5], vcc, exec
	s_cselect_b32 s39, s37, 0
	s_cselect_b32 s38, s36, 0x10000
	v_lshlrev_b32_e32 v0, 2, v58
	v_cmp_gt_i64_e32 vcc, s[38:39], v[0:1]
	s_and_saveexec_b64 s[52:53], vcc
	s_cbranch_execz .LBB80_4
; %bb.2:
	s_load_dword s4, s[34:35], 0xc5c
	v_mov_b32_e32 v59, v1
	v_mov_b32_e32 v64, v59
	v_lshlrev_b32_e32 v65, 6, v58
	s_mov_b64 s[54:55], 0
	s_waitcnt lgkmcnt(0)
	s_and_b32 s33, s4, 0xffff
	s_mov_b64 s[56:57], s[48:49]
	s_lshl_b32 s60, s33, 6
	s_mov_b64 s[58:59], s[50:51]
	v_mov_b32_e32 v63, v58
.LBB80_3:                               ; =>This Inner Loop Header: Depth=1
	v_mov_b32_e32 v0, s57
	v_add_co_u32_e32 v4, vcc, s56, v65
	v_addc_co_u32_e32 v5, vcc, 0, v0, vcc
	global_load_dwordx4 v[0:3], v[4:5], off
	global_load_dwordx4 v[40:43], v[4:5], off offset:16
	global_load_dwordx4 v[44:47], v[4:5], off offset:48
	;; [unrolled: 1-line block ×3, first 2 shown]
	s_getpc_b64 s[62:63]
	s_add_u32 s62, s62, _ZN6thrust23THRUST_200600_302600_NS6detail7complex5ccoshERKNS0_7complexIdEE@rel32@lo+4
	s_addc_u32 s63, s63, _ZN6thrust23THRUST_200600_302600_NS6detail7complex5ccoshERKNS0_7complexIdEE@rel32@hi+12
	s_swappc_b64 s[30:31], s[62:63]
	v_mov_b32_e32 v59, v0
	v_mov_b32_e32 v60, v1
	v_mov_b32_e32 v61, v2
	v_mov_b32_e32 v62, v3
	v_mov_b32_e32 v0, v40
	v_mov_b32_e32 v1, v41
	v_mov_b32_e32 v2, v42
	v_mov_b32_e32 v3, v43
	s_swappc_b64 s[30:31], s[62:63]
	v_mov_b32_e32 v40, v0
	v_mov_b32_e32 v41, v1
	v_mov_b32_e32 v42, v2
	v_mov_b32_e32 v43, v3
	v_mov_b32_e32 v0, v54
	v_mov_b32_e32 v1, v55
	v_mov_b32_e32 v2, v56
	v_mov_b32_e32 v3, v57
	;; [unrolled: 9-line block ×3, first 2 shown]
	s_swappc_b64 s[30:31], s[62:63]
	v_add_co_u32_e32 v63, vcc, s33, v63
	v_addc_co_u32_e32 v64, vcc, 0, v64, vcc
	v_mov_b32_e32 v5, s59
	v_add_co_u32_e32 v4, vcc, s58, v65
	v_lshlrev_b64 v[6:7], 2, v[63:64]
	s_add_u32 s58, s58, s60
	v_addc_co_u32_e32 v5, vcc, 0, v5, vcc
	s_addc_u32 s59, s59, 0
	s_add_u32 s56, s56, s60
	v_cmp_le_i64_e32 vcc, s[38:39], v[6:7]
	s_addc_u32 s57, s57, 0
	s_or_b64 s[54:55], vcc, s[54:55]
	global_store_dwordx4 v[4:5], v[59:62], off
	global_store_dwordx4 v[4:5], v[40:43], off offset:16
	global_store_dwordx4 v[4:5], v[54:57], off offset:32
	;; [unrolled: 1-line block ×3, first 2 shown]
	s_andn2_b64 exec, exec, s[54:55]
	s_cbranch_execnz .LBB80_3
.LBB80_4:
	s_or_b64 exec, exec, s[52:53]
	s_mov_b64 s[4:5], 0
.LBB80_5:
	s_andn2_b64 vcc, exec, s[4:5]
	s_cbranch_vccnz .LBB80_25
; %bb.6:
	v_cmp_lt_i64_e64 s[4:5], s[36:37], 1
	s_and_b64 vcc, exec, s[4:5]
	s_cbranch_vccnz .LBB80_25
; %bb.7:
	v_mov_b32_e32 v0, 0x10000
	s_load_dword s6, s[34:35], 0xc5c
	v_mov_b32_e32 v1, 0
	v_cmp_lt_i64_e32 vcc, s[36:37], v[0:1]
	s_mov_b64 s[56:57], 0
	s_and_b64 s[4:5], vcc, exec
	v_cmp_lt_u64_e32 vcc, s[36:37], v[0:1]
	s_cselect_b32 s53, s37, 0
	s_cselect_b32 s52, s36, 0x10000
	s_waitcnt lgkmcnt(0)
	s_and_b32 s33, s6, 0xffff
	s_and_b64 s[4:5], vcc, exec
	s_cselect_b32 s55, s37, 0
	s_cselect_b32 s54, s36, 0x10000
	s_lshl_b32 s60, s33, 1
	s_mul_i32 s61, s33, 3
	s_lshl_b32 s62, s33, 2
	s_branch .LBB80_9
.LBB80_8:                               ;   in Loop: Header=BB80_9 Depth=1
	s_or_b64 exec, exec, s[36:37]
	s_add_u32 s56, s56, s62
	s_waitcnt vmcnt(0)
	v_mov_b32_e32 v0, s52
	s_addc_u32 s57, s57, 0
	v_mov_b32_e32 v1, s53
	v_cmp_ge_i64_e32 vcc, s[56:57], v[0:1]
	s_cbranch_vccnz .LBB80_25
.LBB80_9:                               ; =>This Inner Loop Header: Depth=1
	v_mov_b32_e32 v0, s57
	v_add_co_u32_e32 v65, vcc, s56, v58
	v_addc_co_u32_e32 v66, vcc, 0, v0, vcc
	v_cmp_gt_u64_e32 vcc, s[54:55], v[65:66]
	v_mov_b32_e32 v46, 0
	v_mov_b32_e32 v2, 0
	;; [unrolled: 1-line block ×6, first 2 shown]
	s_and_saveexec_b64 s[6:7], vcc
	s_cbranch_execz .LBB80_11
; %bb.10:                               ;   in Loop: Header=BB80_9 Depth=1
	v_lshlrev_b64 v[0:1], 4, v[65:66]
	v_mov_b32_e32 v2, s49
	v_add_co_u32_e64 v0, s[4:5], s48, v0
	v_addc_co_u32_e64 v1, s[4:5], v2, v1, s[4:5]
	global_load_dwordx4 v[0:3], v[0:1], off
.LBB80_11:                              ;   in Loop: Header=BB80_9 Depth=1
	s_or_b64 exec, exec, s[6:7]
	v_add_co_u32_e64 v63, s[4:5], s33, v65
	v_addc_co_u32_e64 v64, s[4:5], 0, v66, s[4:5]
	v_cmp_gt_u64_e64 s[38:39], s[54:55], v[63:64]
	v_mov_b32_e32 v44, 0
	v_mov_b32_e32 v45, 0
	s_and_saveexec_b64 s[6:7], s[38:39]
	s_cbranch_execz .LBB80_13
; %bb.12:                               ;   in Loop: Header=BB80_9 Depth=1
	v_lshlrev_b64 v[4:5], 4, v[63:64]
	v_mov_b32_e32 v6, s49
	v_add_co_u32_e64 v4, s[4:5], s48, v4
	v_addc_co_u32_e64 v5, s[4:5], v6, v5, s[4:5]
	global_load_dwordx4 v[44:47], v[4:5], off
.LBB80_13:                              ;   in Loop: Header=BB80_9 Depth=1
	s_or_b64 exec, exec, s[6:7]
	v_add_co_u32_e64 v61, s[4:5], s60, v65
	v_addc_co_u32_e64 v62, s[4:5], 0, v66, s[4:5]
	v_cmp_gt_u64_e64 s[36:37], s[54:55], v[61:62]
	v_mov_b32_e32 v42, 0
	v_mov_b32_e32 v56, 0
	v_mov_b32_e32 v54, 0
	v_mov_b32_e32 v43, 0
	v_mov_b32_e32 v57, 0
	v_mov_b32_e32 v55, 0
	s_and_saveexec_b64 s[6:7], s[36:37]
	s_cbranch_execz .LBB80_15
; %bb.14:                               ;   in Loop: Header=BB80_9 Depth=1
	v_lshlrev_b64 v[4:5], 4, v[61:62]
	v_mov_b32_e32 v6, s49
	v_add_co_u32_e64 v4, s[4:5], s48, v4
	v_addc_co_u32_e64 v5, s[4:5], v6, v5, s[4:5]
	global_load_dwordx4 v[54:57], v[4:5], off
.LBB80_15:                              ;   in Loop: Header=BB80_9 Depth=1
	s_or_b64 exec, exec, s[6:7]
	v_add_co_u32_e64 v59, s[4:5], s61, v65
	v_addc_co_u32_e64 v60, s[4:5], 0, v66, s[4:5]
	v_cmp_gt_u64_e64 s[34:35], s[54:55], v[59:60]
	v_mov_b32_e32 v40, 0
	v_mov_b32_e32 v41, 0
	s_and_saveexec_b64 s[6:7], s[34:35]
	s_cbranch_execnz .LBB80_20
; %bb.16:                               ;   in Loop: Header=BB80_9 Depth=1
	s_or_b64 exec, exec, s[6:7]
	s_and_saveexec_b64 s[58:59], vcc
	s_cbranch_execnz .LBB80_21
.LBB80_17:                              ;   in Loop: Header=BB80_9 Depth=1
	s_or_b64 exec, exec, s[58:59]
	s_and_saveexec_b64 s[58:59], s[38:39]
	s_cbranch_execnz .LBB80_22
.LBB80_18:                              ;   in Loop: Header=BB80_9 Depth=1
	s_or_b64 exec, exec, s[58:59]
	s_and_saveexec_b64 s[38:39], s[36:37]
	s_cbranch_execnz .LBB80_23
.LBB80_19:                              ;   in Loop: Header=BB80_9 Depth=1
	s_or_b64 exec, exec, s[38:39]
	s_and_saveexec_b64 s[36:37], s[34:35]
	s_cbranch_execz .LBB80_8
	s_branch .LBB80_24
.LBB80_20:                              ;   in Loop: Header=BB80_9 Depth=1
	v_lshlrev_b64 v[4:5], 4, v[59:60]
	v_mov_b32_e32 v6, s49
	v_add_co_u32_e64 v4, s[4:5], s48, v4
	v_addc_co_u32_e64 v5, s[4:5], v6, v5, s[4:5]
	global_load_dwordx4 v[40:43], v[4:5], off
	s_or_b64 exec, exec, s[6:7]
	s_and_saveexec_b64 s[58:59], vcc
	s_cbranch_execz .LBB80_17
.LBB80_21:                              ;   in Loop: Header=BB80_9 Depth=1
	s_getpc_b64 s[4:5]
	s_add_u32 s4, s4, _ZN6thrust23THRUST_200600_302600_NS6detail7complex5ccoshERKNS0_7complexIdEE@rel32@lo+4
	s_addc_u32 s5, s5, _ZN6thrust23THRUST_200600_302600_NS6detail7complex5ccoshERKNS0_7complexIdEE@rel32@hi+12
	s_swappc_b64 s[30:31], s[4:5]
	v_lshlrev_b64 v[4:5], 4, v[65:66]
	v_mov_b32_e32 v6, s51
	v_add_co_u32_e32 v4, vcc, s50, v4
	v_addc_co_u32_e32 v5, vcc, v6, v5, vcc
	global_store_dwordx4 v[4:5], v[0:3], off
	s_or_b64 exec, exec, s[58:59]
	s_and_saveexec_b64 s[58:59], s[38:39]
	s_cbranch_execz .LBB80_18
.LBB80_22:                              ;   in Loop: Header=BB80_9 Depth=1
	s_getpc_b64 s[4:5]
	s_add_u32 s4, s4, _ZN6thrust23THRUST_200600_302600_NS6detail7complex5ccoshERKNS0_7complexIdEE@rel32@lo+4
	s_addc_u32 s5, s5, _ZN6thrust23THRUST_200600_302600_NS6detail7complex5ccoshERKNS0_7complexIdEE@rel32@hi+12
	s_waitcnt vmcnt(0)
	v_mov_b32_e32 v0, v44
	v_mov_b32_e32 v1, v45
	v_mov_b32_e32 v2, v46
	v_mov_b32_e32 v3, v47
	s_swappc_b64 s[30:31], s[4:5]
	v_lshlrev_b64 v[4:5], 4, v[63:64]
	v_mov_b32_e32 v6, s51
	v_add_co_u32_e32 v4, vcc, s50, v4
	v_addc_co_u32_e32 v5, vcc, v6, v5, vcc
	global_store_dwordx4 v[4:5], v[0:3], off
	s_or_b64 exec, exec, s[58:59]
	s_and_saveexec_b64 s[38:39], s[36:37]
	s_cbranch_execz .LBB80_19
.LBB80_23:                              ;   in Loop: Header=BB80_9 Depth=1
	s_getpc_b64 s[4:5]
	s_add_u32 s4, s4, _ZN6thrust23THRUST_200600_302600_NS6detail7complex5ccoshERKNS0_7complexIdEE@rel32@lo+4
	s_addc_u32 s5, s5, _ZN6thrust23THRUST_200600_302600_NS6detail7complex5ccoshERKNS0_7complexIdEE@rel32@hi+12
	s_waitcnt vmcnt(0)
	v_mov_b32_e32 v0, v54
	v_mov_b32_e32 v1, v55
	;; [unrolled: 1-line block ×4, first 2 shown]
	s_swappc_b64 s[30:31], s[4:5]
	v_lshlrev_b64 v[4:5], 4, v[61:62]
	v_mov_b32_e32 v6, s51
	v_add_co_u32_e32 v4, vcc, s50, v4
	v_addc_co_u32_e32 v5, vcc, v6, v5, vcc
	global_store_dwordx4 v[4:5], v[0:3], off
	s_or_b64 exec, exec, s[38:39]
	s_and_saveexec_b64 s[36:37], s[34:35]
	s_cbranch_execz .LBB80_8
.LBB80_24:                              ;   in Loop: Header=BB80_9 Depth=1
	s_getpc_b64 s[4:5]
	s_add_u32 s4, s4, _ZN6thrust23THRUST_200600_302600_NS6detail7complex5ccoshERKNS0_7complexIdEE@rel32@lo+4
	s_addc_u32 s5, s5, _ZN6thrust23THRUST_200600_302600_NS6detail7complex5ccoshERKNS0_7complexIdEE@rel32@hi+12
	s_waitcnt vmcnt(0)
	v_mov_b32_e32 v0, v40
	v_mov_b32_e32 v1, v41
	;; [unrolled: 1-line block ×4, first 2 shown]
	s_swappc_b64 s[30:31], s[4:5]
	v_lshlrev_b64 v[4:5], 4, v[59:60]
	v_mov_b32_e32 v6, s51
	v_add_co_u32_e32 v4, vcc, s50, v4
	v_addc_co_u32_e32 v5, vcc, v6, v5, vcc
	global_store_dwordx4 v[4:5], v[0:3], off
	s_branch .LBB80_8
.LBB80_25:
	s_endpgm
	.section	.rodata,"a",@progbits
	.p2align	6, 0x0
	.amdhsa_kernel _ZN2at6native12_GLOBAL__N_125multi_tensor_apply_kernelINS1_18TensorListMetadataILi2EEENS1_14UnaryOpFunctorIN3c107complexIdEELi2ELi1ELi1EEEJNS0_4CoshIS8_EEEEEvT_T0_DpT1_
		.amdhsa_group_segment_fixed_size 0
		.amdhsa_private_segment_fixed_size 0
		.amdhsa_kernarg_size 3408
		.amdhsa_user_sgpr_count 6
		.amdhsa_user_sgpr_private_segment_buffer 1
		.amdhsa_user_sgpr_dispatch_ptr 0
		.amdhsa_user_sgpr_queue_ptr 0
		.amdhsa_user_sgpr_kernarg_segment_ptr 1
		.amdhsa_user_sgpr_dispatch_id 0
		.amdhsa_user_sgpr_flat_scratch_init 0
		.amdhsa_user_sgpr_private_segment_size 0
		.amdhsa_uses_dynamic_stack 0
		.amdhsa_system_sgpr_private_segment_wavefront_offset 0
		.amdhsa_system_sgpr_workgroup_id_x 1
		.amdhsa_system_sgpr_workgroup_id_y 0
		.amdhsa_system_sgpr_workgroup_id_z 0
		.amdhsa_system_sgpr_workgroup_info 0
		.amdhsa_system_vgpr_workitem_id 0
		.amdhsa_next_free_vgpr 67
		.amdhsa_next_free_sgpr 64
		.amdhsa_reserve_vcc 1
		.amdhsa_reserve_flat_scratch 0
		.amdhsa_float_round_mode_32 0
		.amdhsa_float_round_mode_16_64 0
		.amdhsa_float_denorm_mode_32 3
		.amdhsa_float_denorm_mode_16_64 3
		.amdhsa_dx10_clamp 1
		.amdhsa_ieee_mode 1
		.amdhsa_fp16_overflow 0
		.amdhsa_exception_fp_ieee_invalid_op 0
		.amdhsa_exception_fp_denorm_src 0
		.amdhsa_exception_fp_ieee_div_zero 0
		.amdhsa_exception_fp_ieee_overflow 0
		.amdhsa_exception_fp_ieee_underflow 0
		.amdhsa_exception_fp_ieee_inexact 0
		.amdhsa_exception_int_div_zero 0
	.end_amdhsa_kernel
	.section	.text._ZN2at6native12_GLOBAL__N_125multi_tensor_apply_kernelINS1_18TensorListMetadataILi2EEENS1_14UnaryOpFunctorIN3c107complexIdEELi2ELi1ELi1EEEJNS0_4CoshIS8_EEEEEvT_T0_DpT1_,"axG",@progbits,_ZN2at6native12_GLOBAL__N_125multi_tensor_apply_kernelINS1_18TensorListMetadataILi2EEENS1_14UnaryOpFunctorIN3c107complexIdEELi2ELi1ELi1EEEJNS0_4CoshIS8_EEEEEvT_T0_DpT1_,comdat
.Lfunc_end80:
	.size	_ZN2at6native12_GLOBAL__N_125multi_tensor_apply_kernelINS1_18TensorListMetadataILi2EEENS1_14UnaryOpFunctorIN3c107complexIdEELi2ELi1ELi1EEEJNS0_4CoshIS8_EEEEEvT_T0_DpT1_, .Lfunc_end80-_ZN2at6native12_GLOBAL__N_125multi_tensor_apply_kernelINS1_18TensorListMetadataILi2EEENS1_14UnaryOpFunctorIN3c107complexIdEELi2ELi1ELi1EEEJNS0_4CoshIS8_EEEEEvT_T0_DpT1_
                                        ; -- End function
	.set _ZN2at6native12_GLOBAL__N_125multi_tensor_apply_kernelINS1_18TensorListMetadataILi2EEENS1_14UnaryOpFunctorIN3c107complexIdEELi2ELi1ELi1EEEJNS0_4CoshIS8_EEEEEvT_T0_DpT1_.num_vgpr, max(67, .L_ZN6thrust23THRUST_200600_302600_NS6detail7complex5ccoshERKNS0_7complexIdEE.num_vgpr)
	.set _ZN2at6native12_GLOBAL__N_125multi_tensor_apply_kernelINS1_18TensorListMetadataILi2EEENS1_14UnaryOpFunctorIN3c107complexIdEELi2ELi1ELi1EEEJNS0_4CoshIS8_EEEEEvT_T0_DpT1_.num_agpr, max(0, .L_ZN6thrust23THRUST_200600_302600_NS6detail7complex5ccoshERKNS0_7complexIdEE.num_agpr)
	.set _ZN2at6native12_GLOBAL__N_125multi_tensor_apply_kernelINS1_18TensorListMetadataILi2EEENS1_14UnaryOpFunctorIN3c107complexIdEELi2ELi1ELi1EEEJNS0_4CoshIS8_EEEEEvT_T0_DpT1_.numbered_sgpr, max(64, .L_ZN6thrust23THRUST_200600_302600_NS6detail7complex5ccoshERKNS0_7complexIdEE.numbered_sgpr)
	.set _ZN2at6native12_GLOBAL__N_125multi_tensor_apply_kernelINS1_18TensorListMetadataILi2EEENS1_14UnaryOpFunctorIN3c107complexIdEELi2ELi1ELi1EEEJNS0_4CoshIS8_EEEEEvT_T0_DpT1_.num_named_barrier, max(0, .L_ZN6thrust23THRUST_200600_302600_NS6detail7complex5ccoshERKNS0_7complexIdEE.num_named_barrier)
	.set _ZN2at6native12_GLOBAL__N_125multi_tensor_apply_kernelINS1_18TensorListMetadataILi2EEENS1_14UnaryOpFunctorIN3c107complexIdEELi2ELi1ELi1EEEJNS0_4CoshIS8_EEEEEvT_T0_DpT1_.private_seg_size, 0+max(.L_ZN6thrust23THRUST_200600_302600_NS6detail7complex5ccoshERKNS0_7complexIdEE.private_seg_size)
	.set _ZN2at6native12_GLOBAL__N_125multi_tensor_apply_kernelINS1_18TensorListMetadataILi2EEENS1_14UnaryOpFunctorIN3c107complexIdEELi2ELi1ELi1EEEJNS0_4CoshIS8_EEEEEvT_T0_DpT1_.uses_vcc, or(1, .L_ZN6thrust23THRUST_200600_302600_NS6detail7complex5ccoshERKNS0_7complexIdEE.uses_vcc)
	.set _ZN2at6native12_GLOBAL__N_125multi_tensor_apply_kernelINS1_18TensorListMetadataILi2EEENS1_14UnaryOpFunctorIN3c107complexIdEELi2ELi1ELi1EEEJNS0_4CoshIS8_EEEEEvT_T0_DpT1_.uses_flat_scratch, or(0, .L_ZN6thrust23THRUST_200600_302600_NS6detail7complex5ccoshERKNS0_7complexIdEE.uses_flat_scratch)
	.set _ZN2at6native12_GLOBAL__N_125multi_tensor_apply_kernelINS1_18TensorListMetadataILi2EEENS1_14UnaryOpFunctorIN3c107complexIdEELi2ELi1ELi1EEEJNS0_4CoshIS8_EEEEEvT_T0_DpT1_.has_dyn_sized_stack, or(0, .L_ZN6thrust23THRUST_200600_302600_NS6detail7complex5ccoshERKNS0_7complexIdEE.has_dyn_sized_stack)
	.set _ZN2at6native12_GLOBAL__N_125multi_tensor_apply_kernelINS1_18TensorListMetadataILi2EEENS1_14UnaryOpFunctorIN3c107complexIdEELi2ELi1ELi1EEEJNS0_4CoshIS8_EEEEEvT_T0_DpT1_.has_recursion, or(0, .L_ZN6thrust23THRUST_200600_302600_NS6detail7complex5ccoshERKNS0_7complexIdEE.has_recursion)
	.set _ZN2at6native12_GLOBAL__N_125multi_tensor_apply_kernelINS1_18TensorListMetadataILi2EEENS1_14UnaryOpFunctorIN3c107complexIdEELi2ELi1ELi1EEEJNS0_4CoshIS8_EEEEEvT_T0_DpT1_.has_indirect_call, or(0, .L_ZN6thrust23THRUST_200600_302600_NS6detail7complex5ccoshERKNS0_7complexIdEE.has_indirect_call)
	.section	.AMDGPU.csdata,"",@progbits
; Kernel info:
; codeLenInByte = 1432
; TotalNumSgprs: 68
; NumVgprs: 67
; ScratchSize: 0
; MemoryBound: 1
; FloatMode: 240
; IeeeMode: 1
; LDSByteSize: 0 bytes/workgroup (compile time only)
; SGPRBlocks: 8
; VGPRBlocks: 16
; NumSGPRsForWavesPerEU: 68
; NumVGPRsForWavesPerEU: 67
; Occupancy: 3
; WaveLimiterHint : 0
; COMPUTE_PGM_RSRC2:SCRATCH_EN: 0
; COMPUTE_PGM_RSRC2:USER_SGPR: 6
; COMPUTE_PGM_RSRC2:TRAP_HANDLER: 0
; COMPUTE_PGM_RSRC2:TGID_X_EN: 1
; COMPUTE_PGM_RSRC2:TGID_Y_EN: 0
; COMPUTE_PGM_RSRC2:TGID_Z_EN: 0
; COMPUTE_PGM_RSRC2:TIDIG_COMP_CNT: 0
	.text
	.p2align	2                               ; -- Begin function _ZN6thrust23THRUST_200600_302600_NS6detail7complex6ccoshfERKNS0_7complexIfEE
	.type	_ZN6thrust23THRUST_200600_302600_NS6detail7complex6ccoshfERKNS0_7complexIfEE,@function
_ZN6thrust23THRUST_200600_302600_NS6detail7complex6ccoshfERKNS0_7complexIfEE: ; @_ZN6thrust23THRUST_200600_302600_NS6detail7complex6ccoshfERKNS0_7complexIfEE
; %bb.0:
	s_waitcnt vmcnt(0) expcnt(0) lgkmcnt(0)
	v_and_b32_e32 v5, 0x7fffffff, v0
	v_and_b32_e32 v4, 0x7fffffff, v1
	s_mov_b32 s10, 0x7f800000
	v_max_u32_e32 v2, v5, v4
	s_mov_b32 s6, 0x7f7fffff
	v_cmp_gt_u32_e64 s[4:5], s10, v5
	v_cmp_lt_u32_e32 vcc, s6, v2
                                        ; implicit-def: $vgpr3
                                        ; implicit-def: $vgpr2
	s_and_saveexec_b64 s[8:9], vcc
	s_xor_b64 s[14:15], exec, s[8:9]
	s_cbranch_execz .LBB81_10
; %bb.1:
	v_cmp_ne_u32_e64 s[8:9], 0, v5
	v_cmp_gt_u32_e32 vcc, s10, v4
	v_cmp_lt_u32_e64 s[6:7], s6, v4
	s_or_b64 s[8:9], s[8:9], vcc
                                        ; implicit-def: $vgpr3
                                        ; implicit-def: $vgpr2
	s_and_saveexec_b64 s[10:11], s[8:9]
	s_xor_b64 s[16:17], exec, s[10:11]
	s_cbranch_execz .LBB81_81
; %bb.2:
	s_mov_b32 s12, 0x7f800000
	v_cmp_ne_u32_e64 s[10:11], 0, v4
	s_mov_b32 s8, 0x7f7fffff
	v_cmp_gt_u32_e64 s[12:13], s12, v5
	v_cmp_lt_u32_e64 s[8:9], s8, v5
	s_or_b64 s[10:11], s[10:11], s[12:13]
                                        ; implicit-def: $vgpr3
                                        ; implicit-def: $vgpr2
	s_and_saveexec_b64 s[12:13], s[10:11]
	s_xor_b64 s[10:11], exec, s[12:13]
	s_cbranch_execz .LBB81_74
; %bb.3:
	s_and_b64 s[4:5], s[4:5], s[6:7]
	s_xor_b64 s[4:5], s[4:5], -1
                                        ; implicit-def: $vgpr3
                                        ; implicit-def: $vgpr2
	s_and_saveexec_b64 s[6:7], s[4:5]
	s_xor_b64 s[12:13], exec, s[6:7]
	s_cbranch_execz .LBB81_71
; %bb.4:
	v_and_b32_e32 v2, 0x7fffff, v0
	v_cmp_ne_u32_e64 s[4:5], 0, v2
	s_xor_b64 s[6:7], s[8:9], -1
	s_or_b64 s[4:5], s[6:7], s[4:5]
	v_mul_f32_e32 v2, v0, v0
                                        ; implicit-def: $vgpr3
	s_and_saveexec_b64 s[6:7], s[4:5]
	s_xor_b64 s[4:5], exec, s[6:7]
; %bb.5:
	v_sub_f32_e32 v1, v1, v1
	v_add_f32_e32 v0, v0, v0
	v_mul_f32_e32 v2, v2, v1
	v_mul_f32_e32 v3, v0, v1
                                        ; implicit-def: $vgpr1
                                        ; implicit-def: $vgpr0
                                        ; implicit-def: $vgpr4
; %bb.6:
	s_andn2_saveexec_b64 s[18:19], s[4:5]
	s_cbranch_execz .LBB81_70
; %bb.7:
                                        ; implicit-def: $vgpr3
	s_and_saveexec_b64 s[4:5], vcc
	s_xor_b64 s[20:21], exec, s[4:5]
	s_cbranch_execz .LBB81_67
; %bb.8:
	s_brev_b32 s4, 18
	v_cmp_nlt_f32_e64 s[22:23], |v1|, s4
                                        ; implicit-def: $vgpr3
                                        ; implicit-def: $vgpr5
	s_and_saveexec_b64 s[4:5], s[22:23]
	s_xor_b64 s[24:25], exec, s[4:5]
	s_cbranch_execz .LBB81_60
; %bb.9:
	v_and_b32_e32 v3, 0x7fffff, v4
	v_or_b32_e32 v3, 0x800000, v3
	s_mov_b32 s4, 0xfe5163ab
	v_mad_u64_u32 v[5:6], s[4:5], v3, s4, 0
	v_mov_b32_e32 v7, 0
	s_mov_b32 s4, 0x3c439041
	v_mad_u64_u32 v[8:9], s[4:5], v3, s4, v[6:7]
	s_mov_b32 s4, 0xdb629599
	v_not_b32_e32 v13, 63
	v_mov_b32_e32 v6, v9
	v_mad_u64_u32 v[9:10], s[4:5], v3, s4, v[6:7]
	s_mov_b32 s4, 0xf534ddc0
	v_not_b32_e32 v15, 31
	v_mov_b32_e32 v6, v10
	v_mad_u64_u32 v[10:11], s[4:5], v3, s4, v[6:7]
	v_lshrrev_b32_e32 v6, 23, v4
	v_add_u32_e32 v14, 0xffffff88, v6
	v_mov_b32_e32 v6, v11
	s_mov_b32 s4, 0xfc2757d1
	v_mad_u64_u32 v[11:12], s[4:5], v3, s4, v[6:7]
	v_cmp_lt_u32_e32 vcc, 63, v14
	v_cndmask_b32_e32 v6, 0, v13, vcc
	v_add_u32_e32 v14, v6, v14
	v_mov_b32_e32 v6, v12
	s_mov_b32 s4, 0x4e441529
	v_mad_u64_u32 v[12:13], s[4:5], v3, s4, v[6:7]
	v_cmp_lt_u32_e64 s[4:5], 31, v14
	v_cndmask_b32_e64 v6, 0, v15, s[4:5]
	v_add_u32_e32 v14, v6, v14
	v_mov_b32_e32 v6, v13
	s_mov_b32 s6, 0xa2f9836e
	v_mad_u64_u32 v[6:7], s[6:7], v3, s6, v[6:7]
	v_cmp_lt_u32_e64 s[6:7], 31, v14
	v_cndmask_b32_e64 v3, 0, v15, s[6:7]
	v_cndmask_b32_e32 v13, v12, v10, vcc
	v_cndmask_b32_e32 v6, v6, v11, vcc
	;; [unrolled: 1-line block ×3, first 2 shown]
	v_add_u32_e32 v3, v3, v14
	v_cndmask_b32_e64 v14, v6, v13, s[4:5]
	v_cndmask_b32_e64 v6, v7, v6, s[4:5]
	v_cndmask_b32_e32 v7, v11, v9, vcc
	v_cndmask_b32_e64 v11, v13, v7, s[4:5]
	v_cndmask_b32_e64 v6, v6, v14, s[6:7]
	;; [unrolled: 1-line block ×3, first 2 shown]
	v_sub_u32_e32 v13, 32, v3
	v_alignbit_b32 v14, v6, v12, v13
	v_cmp_eq_u32_e64 s[8:9], 0, v3
	v_cndmask_b32_e64 v3, v14, v6, s[8:9]
	v_cndmask_b32_e32 v6, v10, v8, vcc
	v_cndmask_b32_e64 v7, v7, v6, s[4:5]
	v_cndmask_b32_e64 v8, v11, v7, s[6:7]
	v_alignbit_b32 v10, v12, v8, v13
	v_cndmask_b32_e32 v5, v9, v5, vcc
	v_cndmask_b32_e64 v10, v10, v12, s[8:9]
	v_bfe_u32 v14, v3, 29, 1
	v_cndmask_b32_e64 v5, v6, v5, s[4:5]
	v_alignbit_b32 v11, v3, v10, 30
	v_sub_u32_e32 v15, 0, v14
	v_cndmask_b32_e64 v5, v7, v5, s[6:7]
	v_xor_b32_e32 v11, v11, v15
	v_alignbit_b32 v6, v8, v5, v13
	v_cndmask_b32_e64 v6, v6, v8, s[8:9]
	v_ffbh_u32_e32 v8, v11
	v_alignbit_b32 v7, v10, v6, 30
	v_min_u32_e32 v8, 32, v8
	v_alignbit_b32 v5, v6, v5, 30
	v_xor_b32_e32 v7, v7, v15
	v_sub_u32_e32 v9, 31, v8
	v_xor_b32_e32 v5, v5, v15
	v_alignbit_b32 v10, v11, v7, v9
	v_alignbit_b32 v5, v7, v5, v9
	;; [unrolled: 1-line block ×3, first 2 shown]
	v_ffbh_u32_e32 v7, v6
	v_min_u32_e32 v7, 32, v7
	v_lshrrev_b32_e32 v12, 29, v3
	v_not_b32_e32 v9, v7
	v_alignbit_b32 v5, v6, v5, v9
	v_lshlrev_b32_e32 v6, 31, v12
	v_or_b32_e32 v9, 0x33000000, v6
	v_add_lshl_u32 v7, v7, v8, 23
	v_lshrrev_b32_e32 v5, 9, v5
	v_sub_u32_e32 v7, v9, v7
	v_or_b32_e32 v6, 0.5, v6
	v_lshlrev_b32_e32 v8, 23, v8
	v_or_b32_e32 v5, v7, v5
	v_lshrrev_b32_e32 v7, 9, v10
	v_sub_u32_e32 v6, v6, v8
	v_or_b32_e32 v6, v7, v6
	s_mov_b32 s4, 0x3fc90fda
	v_mul_f32_e32 v7, 0x3fc90fda, v6
	v_fma_f32 v8, v6, s4, -v7
	v_fmac_f32_e32 v8, 0x33a22168, v6
	v_fmac_f32_e32 v8, 0x3fc90fda, v5
	v_lshrrev_b32_e32 v3, 30, v3
	v_add_f32_e32 v5, v7, v8
	v_add_u32_e32 v3, v14, v3
	s_andn2_saveexec_b64 s[4:5], s[24:25]
	s_cbranch_execz .LBB81_62
	s_branch .LBB81_61
.LBB81_10:
	s_andn2_saveexec_b64 s[10:11], s[14:15]
	s_cbranch_execz .LBB81_84
.LBB81_11:
	v_cmp_ne_u32_e32 vcc, 0, v4
                                        ; implicit-def: $vgpr3
                                        ; implicit-def: $vgpr2
	s_and_saveexec_b64 s[4:5], vcc
	s_xor_b64 s[12:13], exec, s[4:5]
	s_cbranch_execz .LBB81_57
; %bb.12:
	s_mov_b32 s4, 0x410fffff
	v_cmp_lt_u32_e32 vcc, s4, v5
                                        ; implicit-def: $vgpr3
                                        ; implicit-def: $vgpr2
	s_and_saveexec_b64 s[4:5], vcc
	s_xor_b64 s[14:15], exec, s[4:5]
	s_cbranch_execz .LBB81_46
; %bb.13:
	s_mov_b32 s4, 0x42b17217
	v_cmp_lt_u32_e32 vcc, s4, v5
	;; [unrolled: 8-line block ×3, first 2 shown]
                                        ; implicit-def: $vgpr3
                                        ; implicit-def: $vgpr2
	s_and_saveexec_b64 s[4:5], vcc
	s_xor_b64 s[18:19], exec, s[4:5]
	s_cbranch_execz .LBB81_24
; %bb.15:
	s_brev_b32 s4, 18
	v_cmp_nlt_f32_e64 s[20:21], |v1|, s4
                                        ; implicit-def: $vgpr2
                                        ; implicit-def: $vgpr3
	s_and_saveexec_b64 s[4:5], s[20:21]
	s_xor_b64 s[22:23], exec, s[4:5]
	s_cbranch_execz .LBB81_17
; %bb.16:
	v_and_b32_e32 v2, 0x7fffff, v4
	v_or_b32_e32 v13, 0x800000, v2
	s_mov_b32 s4, 0xfe5163ab
	v_mad_u64_u32 v[2:3], s[4:5], v13, s4, 0
	v_mov_b32_e32 v6, 0
	s_mov_b32 s4, 0x3c439041
	v_mov_b32_e32 v5, v3
	v_mad_u64_u32 v[7:8], s[4:5], v13, s4, v[5:6]
	s_mov_b32 s4, 0xdb629599
	v_lshrrev_b32_e32 v3, 23, v4
	v_mov_b32_e32 v5, v8
	v_mad_u64_u32 v[8:9], s[4:5], v13, s4, v[5:6]
	s_mov_b32 s4, 0xf534ddc0
	v_add_u32_e32 v3, 0xffffff88, v3
	v_mov_b32_e32 v5, v9
	v_mad_u64_u32 v[9:10], s[4:5], v13, s4, v[5:6]
	s_mov_b32 s4, 0xfc2757d1
	v_not_b32_e32 v12, 63
	v_mov_b32_e32 v5, v10
	v_mad_u64_u32 v[10:11], s[4:5], v13, s4, v[5:6]
	v_cmp_lt_u32_e32 vcc, 63, v3
	v_cndmask_b32_e32 v5, 0, v12, vcc
	v_add_u32_e32 v3, v5, v3
	v_mov_b32_e32 v5, v11
	s_mov_b32 s4, 0x4e441529
	v_mad_u64_u32 v[11:12], s[4:5], v13, s4, v[5:6]
	v_not_b32_e32 v14, 31
	v_cmp_lt_u32_e64 s[4:5], 31, v3
	v_cndmask_b32_e64 v5, 0, v14, s[4:5]
	v_add_u32_e32 v3, v5, v3
	v_mov_b32_e32 v5, v12
	s_mov_b32 s6, 0xa2f9836e
	v_mad_u64_u32 v[5:6], s[6:7], v13, s6, v[5:6]
	v_cmp_lt_u32_e64 s[6:7], 31, v3
	v_cndmask_b32_e64 v12, 0, v14, s[6:7]
	v_add_u32_e32 v3, v12, v3
	v_cndmask_b32_e32 v12, v11, v9, vcc
	v_cndmask_b32_e32 v5, v5, v10, vcc
	;; [unrolled: 1-line block ×3, first 2 shown]
	v_cndmask_b32_e64 v13, v5, v12, s[4:5]
	v_cndmask_b32_e64 v5, v6, v5, s[4:5]
	v_cndmask_b32_e32 v6, v10, v8, vcc
	v_cndmask_b32_e64 v10, v12, v6, s[4:5]
	v_sub_u32_e32 v12, 32, v3
	v_cmp_eq_u32_e64 s[8:9], 0, v3
	v_cndmask_b32_e32 v3, v9, v7, vcc
	v_cndmask_b32_e64 v5, v5, v13, s[6:7]
	v_cndmask_b32_e64 v11, v13, v10, s[6:7]
	;; [unrolled: 1-line block ×3, first 2 shown]
	v_alignbit_b32 v13, v5, v11, v12
	v_cndmask_b32_e64 v7, v10, v6, s[6:7]
	v_cndmask_b32_e64 v5, v13, v5, s[8:9]
	v_alignbit_b32 v9, v11, v7, v12
	v_cndmask_b32_e32 v2, v8, v2, vcc
	v_cndmask_b32_e64 v9, v9, v11, s[8:9]
	v_bfe_u32 v13, v5, 29, 1
	v_cndmask_b32_e64 v2, v3, v2, s[4:5]
	v_alignbit_b32 v10, v5, v9, 30
	v_sub_u32_e32 v14, 0, v13
	v_cndmask_b32_e64 v2, v6, v2, s[6:7]
	v_xor_b32_e32 v10, v10, v14
	v_alignbit_b32 v3, v7, v2, v12
	v_cndmask_b32_e64 v3, v3, v7, s[8:9]
	v_ffbh_u32_e32 v7, v10
	v_alignbit_b32 v6, v9, v3, 30
	v_min_u32_e32 v7, 32, v7
	v_alignbit_b32 v2, v3, v2, 30
	v_xor_b32_e32 v6, v6, v14
	v_sub_u32_e32 v8, 31, v7
	v_xor_b32_e32 v2, v2, v14
	v_alignbit_b32 v9, v10, v6, v8
	v_alignbit_b32 v2, v6, v2, v8
	;; [unrolled: 1-line block ×3, first 2 shown]
	v_ffbh_u32_e32 v6, v3
	v_min_u32_e32 v6, 32, v6
	v_lshrrev_b32_e32 v11, 29, v5
	v_not_b32_e32 v8, v6
	v_alignbit_b32 v2, v3, v2, v8
	v_lshlrev_b32_e32 v3, 31, v11
	v_or_b32_e32 v8, 0x33000000, v3
	v_add_lshl_u32 v6, v6, v7, 23
	v_lshrrev_b32_e32 v2, 9, v2
	v_sub_u32_e32 v6, v8, v6
	v_or_b32_e32 v3, 0.5, v3
	v_lshlrev_b32_e32 v7, 23, v7
	v_or_b32_e32 v2, v6, v2
	v_lshrrev_b32_e32 v6, 9, v9
	v_sub_u32_e32 v3, v3, v7
	v_or_b32_e32 v3, v6, v3
	s_mov_b32 s4, 0x3fc90fda
	v_mul_f32_e32 v6, 0x3fc90fda, v3
	v_fma_f32 v7, v3, s4, -v6
	v_fmac_f32_e32 v7, 0x33a22168, v3
	v_fmac_f32_e32 v7, 0x3fc90fda, v2
	v_lshrrev_b32_e32 v2, 30, v5
	v_add_f32_e32 v3, v6, v7
	v_add_u32_e32 v2, v13, v2
	s_andn2_saveexec_b64 s[4:5], s[22:23]
	s_cbranch_execz .LBB81_19
	s_branch .LBB81_18
.LBB81_17:
	s_andn2_saveexec_b64 s[4:5], s[22:23]
	s_cbranch_execz .LBB81_19
.LBB81_18:
	s_mov_b32 s6, 0x3f22f983
	v_mul_f32_e64 v2, |v1|, s6
	v_rndne_f32_e32 v5, v2
	s_mov_b32 s6, 0xbfc90fda
	v_cvt_i32_f32_e32 v2, v5
	v_fma_f32 v3, v5, s6, |v1|
	v_fmac_f32_e32 v3, 0xb3a22168, v5
	v_fmac_f32_e32 v3, 0xa7c234c4, v5
.LBB81_19:
	s_or_b64 exec, exec, s[4:5]
                                        ; implicit-def: $vgpr5
                                        ; implicit-def: $vgpr6
	s_and_saveexec_b64 s[4:5], s[20:21]
	s_xor_b64 s[20:21], exec, s[4:5]
	s_cbranch_execz .LBB81_21
; %bb.20:
	v_and_b32_e32 v5, 0x7fffff, v4
	v_or_b32_e32 v14, 0x800000, v5
	s_mov_b32 s4, 0xfe5163ab
	v_mad_u64_u32 v[5:6], s[4:5], v14, s4, 0
	v_mov_b32_e32 v7, 0
	s_mov_b32 s4, 0x3c439041
	v_mad_u64_u32 v[8:9], s[4:5], v14, s4, v[6:7]
	s_mov_b32 s4, 0xdb629599
	v_not_b32_e32 v13, 63
	v_mov_b32_e32 v6, v9
	v_mad_u64_u32 v[9:10], s[4:5], v14, s4, v[6:7]
	s_mov_b32 s4, 0xf534ddc0
	v_not_b32_e32 v16, 31
	v_mov_b32_e32 v6, v10
	v_mad_u64_u32 v[10:11], s[4:5], v14, s4, v[6:7]
	v_lshrrev_b32_e32 v6, 23, v4
	v_add_u32_e32 v15, 0xffffff88, v6
	v_mov_b32_e32 v6, v11
	s_mov_b32 s4, 0xfc2757d1
	v_mad_u64_u32 v[11:12], s[4:5], v14, s4, v[6:7]
	v_cmp_lt_u32_e32 vcc, 63, v15
	v_cndmask_b32_e32 v6, 0, v13, vcc
	v_add_u32_e32 v15, v6, v15
	v_mov_b32_e32 v6, v12
	s_mov_b32 s4, 0x4e441529
	v_mad_u64_u32 v[12:13], s[4:5], v14, s4, v[6:7]
	v_cmp_lt_u32_e64 s[4:5], 31, v15
	v_cndmask_b32_e64 v6, 0, v16, s[4:5]
	v_add_u32_e32 v15, v6, v15
	v_mov_b32_e32 v6, v13
	s_mov_b32 s6, 0xa2f9836e
	v_mad_u64_u32 v[6:7], s[6:7], v14, s6, v[6:7]
	v_cmp_lt_u32_e64 s[6:7], 31, v15
	v_cndmask_b32_e64 v13, 0, v16, s[6:7]
	v_cndmask_b32_e32 v14, v12, v10, vcc
	v_cndmask_b32_e32 v6, v6, v11, vcc
	;; [unrolled: 1-line block ×3, first 2 shown]
	v_add_u32_e32 v13, v13, v15
	v_cndmask_b32_e64 v15, v6, v14, s[4:5]
	v_cndmask_b32_e64 v6, v7, v6, s[4:5]
	v_cndmask_b32_e32 v7, v11, v9, vcc
	v_cndmask_b32_e64 v11, v14, v7, s[4:5]
	v_cndmask_b32_e64 v6, v6, v15, s[6:7]
	;; [unrolled: 1-line block ×3, first 2 shown]
	v_sub_u32_e32 v14, 32, v13
	v_alignbit_b32 v15, v6, v12, v14
	v_cmp_eq_u32_e64 s[8:9], 0, v13
	v_cndmask_b32_e64 v13, v15, v6, s[8:9]
	v_cndmask_b32_e32 v6, v10, v8, vcc
	v_cndmask_b32_e64 v7, v7, v6, s[4:5]
	v_cndmask_b32_e64 v8, v11, v7, s[6:7]
	v_alignbit_b32 v10, v12, v8, v14
	v_cndmask_b32_e32 v5, v9, v5, vcc
	v_cndmask_b32_e64 v10, v10, v12, s[8:9]
	v_bfe_u32 v15, v13, 29, 1
	v_cndmask_b32_e64 v5, v6, v5, s[4:5]
	v_alignbit_b32 v11, v13, v10, 30
	v_sub_u32_e32 v16, 0, v15
	v_cndmask_b32_e64 v5, v7, v5, s[6:7]
	v_xor_b32_e32 v11, v11, v16
	v_alignbit_b32 v6, v8, v5, v14
	v_cndmask_b32_e64 v6, v6, v8, s[8:9]
	v_ffbh_u32_e32 v8, v11
	v_alignbit_b32 v7, v10, v6, 30
	v_min_u32_e32 v8, 32, v8
	v_alignbit_b32 v5, v6, v5, 30
	v_xor_b32_e32 v7, v7, v16
	v_sub_u32_e32 v9, 31, v8
	v_xor_b32_e32 v5, v5, v16
	v_alignbit_b32 v10, v11, v7, v9
	v_alignbit_b32 v5, v7, v5, v9
	;; [unrolled: 1-line block ×3, first 2 shown]
	v_ffbh_u32_e32 v7, v6
	v_min_u32_e32 v7, 32, v7
	v_lshrrev_b32_e32 v12, 29, v13
	v_not_b32_e32 v9, v7
	v_alignbit_b32 v5, v6, v5, v9
	v_lshlrev_b32_e32 v6, 31, v12
	v_or_b32_e32 v9, 0x33000000, v6
	v_add_lshl_u32 v7, v7, v8, 23
	v_lshrrev_b32_e32 v5, 9, v5
	v_sub_u32_e32 v7, v9, v7
	v_or_b32_e32 v6, 0.5, v6
	v_lshlrev_b32_e32 v8, 23, v8
	v_or_b32_e32 v5, v7, v5
	v_lshrrev_b32_e32 v7, 9, v10
	v_sub_u32_e32 v6, v6, v8
	v_or_b32_e32 v6, v7, v6
	s_mov_b32 s4, 0x3fc90fda
	v_mul_f32_e32 v7, 0x3fc90fda, v6
	v_fma_f32 v8, v6, s4, -v7
	v_fmac_f32_e32 v8, 0x33a22168, v6
	v_fmac_f32_e32 v8, 0x3fc90fda, v5
	v_lshrrev_b32_e32 v5, 30, v13
	v_add_f32_e32 v6, v7, v8
	v_add_u32_e32 v5, v15, v5
	s_andn2_saveexec_b64 s[4:5], s[20:21]
	s_cbranch_execnz .LBB81_22
	s_branch .LBB81_23
.LBB81_21:
	s_andn2_saveexec_b64 s[4:5], s[20:21]
	s_cbranch_execz .LBB81_23
.LBB81_22:
	s_mov_b32 s6, 0x3f22f983
	v_mul_f32_e64 v5, |v1|, s6
	v_rndne_f32_e32 v7, v5
	s_mov_b32 s6, 0xbfc90fda
	v_cvt_i32_f32_e32 v5, v7
	v_fma_f32 v6, v7, s6, |v1|
	v_fmac_f32_e32 v6, 0xb3a22168, v7
	v_fmac_f32_e32 v6, 0xa7c234c4, v7
.LBB81_23:
	s_or_b64 exec, exec, s[4:5]
	v_mul_f32_e32 v8, v3, v3
	v_mov_b32_e32 v12, 0xbab64f3b
	v_mov_b32_e32 v10, 0x3c0881c4
	v_fmac_f32_e32 v12, 0x37d75334, v8
	v_mov_b32_e32 v13, 0x3d2aabf7
	v_fmac_f32_e32 v10, 0xb94c1982, v8
	v_mov_b32_e32 v11, 0xbe2aaa9d
	v_fma_f32 v12, v8, v12, v13
	v_mov_b32_e32 v14, 0xbf000004
	v_fma_f32 v10, v8, v10, v11
	v_fma_f32 v12, v8, v12, v14
	v_mul_f32_e32 v10, v8, v10
	v_fma_f32 v8, v8, v12, 1.0
	v_and_b32_e32 v12, 1, v2
	v_fmac_f32_e32 v3, v3, v10
	v_cmp_eq_u32_e32 vcc, 0, v12
	v_lshlrev_b32_e32 v2, 30, v2
	v_cndmask_b32_e64 v3, -v3, v8, vcc
	v_and_b32_e32 v2, 0x80000000, v2
	s_movk_i32 s4, 0x1f8
	v_mul_f32_e32 v0, 0x7f000000, v0
	v_xor_b32_e32 v2, v2, v3
	v_mov_b32_e32 v3, 0x7fc00000
	v_cmp_class_f32_e64 vcc, v1, s4
	v_mul_f32_e32 v7, v0, v0
	v_cndmask_b32_e32 v2, v3, v2, vcc
	v_mov_b32_e32 v9, 0x3c0881c4
	v_mul_f32_e32 v2, v7, v2
	v_mul_f32_e32 v7, v6, v6
	v_mov_b32_e32 v10, 0xbab64f3b
	v_fmac_f32_e32 v9, 0xb94c1982, v7
	v_fmac_f32_e32 v11, v7, v9
	v_fmac_f32_e32 v10, 0x37d75334, v7
	v_mul_f32_e32 v8, v7, v11
	v_fmac_f32_e32 v13, v7, v10
	v_fmac_f32_e32 v6, v6, v8
	;; [unrolled: 1-line block ×3, first 2 shown]
	v_and_b32_e32 v8, 1, v5
	s_brev_b32 s6, 1
	v_fma_f32 v7, v7, v14, 1.0
	v_cmp_eq_u32_e64 s[4:5], 0, v8
	v_lshlrev_b32_e32 v5, 30, v5
	v_cndmask_b32_e64 v6, v7, v6, s[4:5]
	v_and_or_b32 v4, v5, s6, v4
	v_xor_b32_e32 v4, v4, v6
	v_xor_b32_e32 v1, v4, v1
	v_cndmask_b32_e32 v1, v3, v1, vcc
	v_mul_f32_e32 v3, v0, v1
                                        ; implicit-def: $vgpr1
                                        ; implicit-def: $vgpr0
                                        ; implicit-def: $vgpr4
.LBB81_24:
	s_andn2_saveexec_b64 s[18:19], s[18:19]
	s_cbranch_execz .LBB81_34
; %bb.25:
	s_brev_b32 s4, 18
	v_cmp_nlt_f32_e64 s[20:21], |v1|, s4
                                        ; implicit-def: $vgpr3
                                        ; implicit-def: $vgpr2
	s_and_saveexec_b64 s[4:5], s[20:21]
	s_xor_b64 s[22:23], exec, s[4:5]
	s_cbranch_execz .LBB81_27
; %bb.26:
	v_and_b32_e32 v2, 0x7fffff, v4
	v_or_b32_e32 v13, 0x800000, v2
	s_mov_b32 s4, 0xfe5163ab
	v_mad_u64_u32 v[2:3], s[4:5], v13, s4, 0
	v_mov_b32_e32 v6, 0
	s_mov_b32 s4, 0x3c439041
	v_mov_b32_e32 v5, v3
	v_mad_u64_u32 v[7:8], s[4:5], v13, s4, v[5:6]
	s_mov_b32 s4, 0xdb629599
	v_lshrrev_b32_e32 v3, 23, v4
	v_mov_b32_e32 v5, v8
	v_mad_u64_u32 v[8:9], s[4:5], v13, s4, v[5:6]
	s_mov_b32 s4, 0xf534ddc0
	v_add_u32_e32 v3, 0xffffff88, v3
	v_mov_b32_e32 v5, v9
	v_mad_u64_u32 v[9:10], s[4:5], v13, s4, v[5:6]
	s_mov_b32 s4, 0xfc2757d1
	v_not_b32_e32 v12, 63
	v_mov_b32_e32 v5, v10
	v_mad_u64_u32 v[10:11], s[4:5], v13, s4, v[5:6]
	v_cmp_lt_u32_e32 vcc, 63, v3
	v_cndmask_b32_e32 v5, 0, v12, vcc
	v_add_u32_e32 v3, v5, v3
	v_mov_b32_e32 v5, v11
	s_mov_b32 s4, 0x4e441529
	v_mad_u64_u32 v[11:12], s[4:5], v13, s4, v[5:6]
	v_not_b32_e32 v14, 31
	v_cmp_lt_u32_e64 s[4:5], 31, v3
	v_cndmask_b32_e64 v5, 0, v14, s[4:5]
	v_add_u32_e32 v3, v5, v3
	v_mov_b32_e32 v5, v12
	s_mov_b32 s6, 0xa2f9836e
	v_mad_u64_u32 v[5:6], s[6:7], v13, s6, v[5:6]
	v_cmp_lt_u32_e64 s[6:7], 31, v3
	v_cndmask_b32_e64 v12, 0, v14, s[6:7]
	v_add_u32_e32 v3, v12, v3
	v_cndmask_b32_e32 v12, v11, v9, vcc
	v_cndmask_b32_e32 v5, v5, v10, vcc
	;; [unrolled: 1-line block ×3, first 2 shown]
	v_cndmask_b32_e64 v13, v5, v12, s[4:5]
	v_cndmask_b32_e64 v5, v6, v5, s[4:5]
	v_cndmask_b32_e32 v6, v10, v8, vcc
	v_cndmask_b32_e64 v10, v12, v6, s[4:5]
	v_cndmask_b32_e64 v5, v5, v13, s[6:7]
	;; [unrolled: 1-line block ×3, first 2 shown]
	v_sub_u32_e32 v12, 32, v3
	v_alignbit_b32 v13, v5, v11, v12
	v_cmp_eq_u32_e64 s[8:9], 0, v3
	v_cndmask_b32_e64 v3, v13, v5, s[8:9]
	v_cndmask_b32_e32 v5, v9, v7, vcc
	v_cndmask_b32_e64 v6, v6, v5, s[4:5]
	v_cndmask_b32_e64 v7, v10, v6, s[6:7]
	v_alignbit_b32 v9, v11, v7, v12
	v_cndmask_b32_e32 v2, v8, v2, vcc
	v_cndmask_b32_e64 v9, v9, v11, s[8:9]
	v_bfe_u32 v13, v3, 29, 1
	v_cndmask_b32_e64 v2, v5, v2, s[4:5]
	v_alignbit_b32 v10, v3, v9, 30
	v_sub_u32_e32 v14, 0, v13
	v_cndmask_b32_e64 v2, v6, v2, s[6:7]
	v_xor_b32_e32 v10, v10, v14
	v_alignbit_b32 v5, v7, v2, v12
	v_cndmask_b32_e64 v5, v5, v7, s[8:9]
	v_ffbh_u32_e32 v7, v10
	v_alignbit_b32 v6, v9, v5, 30
	v_min_u32_e32 v7, 32, v7
	v_alignbit_b32 v2, v5, v2, 30
	v_xor_b32_e32 v6, v6, v14
	v_sub_u32_e32 v8, 31, v7
	v_xor_b32_e32 v2, v2, v14
	v_alignbit_b32 v9, v10, v6, v8
	v_alignbit_b32 v2, v6, v2, v8
	;; [unrolled: 1-line block ×3, first 2 shown]
	v_ffbh_u32_e32 v6, v5
	v_min_u32_e32 v6, 32, v6
	v_lshrrev_b32_e32 v11, 29, v3
	v_not_b32_e32 v8, v6
	v_alignbit_b32 v2, v5, v2, v8
	v_lshlrev_b32_e32 v5, 31, v11
	v_or_b32_e32 v8, 0x33000000, v5
	v_add_lshl_u32 v6, v6, v7, 23
	v_lshrrev_b32_e32 v2, 9, v2
	v_sub_u32_e32 v6, v8, v6
	v_or_b32_e32 v5, 0.5, v5
	v_lshlrev_b32_e32 v7, 23, v7
	v_or_b32_e32 v2, v6, v2
	v_lshrrev_b32_e32 v6, 9, v9
	v_sub_u32_e32 v5, v5, v7
	v_or_b32_e32 v5, v6, v5
	s_mov_b32 s4, 0x3fc90fda
	v_mul_f32_e32 v6, 0x3fc90fda, v5
	v_fma_f32 v7, v5, s4, -v6
	v_fmac_f32_e32 v7, 0x33a22168, v5
	v_fmac_f32_e32 v7, 0x3fc90fda, v2
	v_lshrrev_b32_e32 v3, 30, v3
	v_add_f32_e32 v2, v6, v7
	v_add_u32_e32 v3, v13, v3
	s_andn2_saveexec_b64 s[4:5], s[22:23]
	s_cbranch_execz .LBB81_29
	s_branch .LBB81_28
.LBB81_27:
	s_andn2_saveexec_b64 s[4:5], s[22:23]
	s_cbranch_execz .LBB81_29
.LBB81_28:
	s_mov_b32 s6, 0x3f22f983
	v_mul_f32_e64 v2, |v1|, s6
	v_rndne_f32_e32 v5, v2
	s_mov_b32 s6, 0xbfc90fda
	v_cvt_i32_f32_e32 v3, v5
	v_fma_f32 v2, v5, s6, |v1|
	v_fmac_f32_e32 v2, 0xb3a22168, v5
	v_fmac_f32_e32 v2, 0xa7c234c4, v5
.LBB81_29:
	s_or_b64 exec, exec, s[4:5]
                                        ; implicit-def: $vgpr5
                                        ; implicit-def: $vgpr6
	s_and_saveexec_b64 s[4:5], s[20:21]
	s_xor_b64 s[20:21], exec, s[4:5]
	s_cbranch_execz .LBB81_31
; %bb.30:
	v_and_b32_e32 v5, 0x7fffff, v4
	v_or_b32_e32 v14, 0x800000, v5
	s_mov_b32 s4, 0xfe5163ab
	v_mad_u64_u32 v[5:6], s[4:5], v14, s4, 0
	v_mov_b32_e32 v7, 0
	s_mov_b32 s4, 0x3c439041
	v_mad_u64_u32 v[8:9], s[4:5], v14, s4, v[6:7]
	s_mov_b32 s4, 0xdb629599
	v_not_b32_e32 v13, 63
	v_mov_b32_e32 v6, v9
	v_mad_u64_u32 v[9:10], s[4:5], v14, s4, v[6:7]
	s_mov_b32 s4, 0xf534ddc0
	v_not_b32_e32 v16, 31
	v_mov_b32_e32 v6, v10
	v_mad_u64_u32 v[10:11], s[4:5], v14, s4, v[6:7]
	v_lshrrev_b32_e32 v6, 23, v4
	v_add_u32_e32 v15, 0xffffff88, v6
	v_mov_b32_e32 v6, v11
	s_mov_b32 s4, 0xfc2757d1
	v_mad_u64_u32 v[11:12], s[4:5], v14, s4, v[6:7]
	v_cmp_lt_u32_e32 vcc, 63, v15
	v_cndmask_b32_e32 v6, 0, v13, vcc
	v_add_u32_e32 v15, v6, v15
	v_mov_b32_e32 v6, v12
	s_mov_b32 s4, 0x4e441529
	v_mad_u64_u32 v[12:13], s[4:5], v14, s4, v[6:7]
	v_cmp_lt_u32_e64 s[4:5], 31, v15
	v_cndmask_b32_e64 v6, 0, v16, s[4:5]
	v_add_u32_e32 v15, v6, v15
	v_mov_b32_e32 v6, v13
	s_mov_b32 s6, 0xa2f9836e
	v_mad_u64_u32 v[6:7], s[6:7], v14, s6, v[6:7]
	v_cmp_lt_u32_e64 s[6:7], 31, v15
	v_cndmask_b32_e64 v13, 0, v16, s[6:7]
	v_cndmask_b32_e32 v14, v12, v10, vcc
	v_cndmask_b32_e32 v6, v6, v11, vcc
	;; [unrolled: 1-line block ×3, first 2 shown]
	v_add_u32_e32 v13, v13, v15
	v_cndmask_b32_e64 v15, v6, v14, s[4:5]
	v_cndmask_b32_e64 v6, v7, v6, s[4:5]
	v_cndmask_b32_e32 v7, v11, v9, vcc
	v_cndmask_b32_e64 v11, v14, v7, s[4:5]
	v_cndmask_b32_e64 v6, v6, v15, s[6:7]
	v_cndmask_b32_e64 v12, v15, v11, s[6:7]
	v_sub_u32_e32 v14, 32, v13
	v_alignbit_b32 v15, v6, v12, v14
	v_cmp_eq_u32_e64 s[8:9], 0, v13
	v_cndmask_b32_e64 v13, v15, v6, s[8:9]
	v_cndmask_b32_e32 v6, v10, v8, vcc
	v_cndmask_b32_e64 v7, v7, v6, s[4:5]
	v_cndmask_b32_e64 v8, v11, v7, s[6:7]
	v_alignbit_b32 v10, v12, v8, v14
	v_cndmask_b32_e32 v5, v9, v5, vcc
	v_cndmask_b32_e64 v10, v10, v12, s[8:9]
	v_bfe_u32 v15, v13, 29, 1
	v_cndmask_b32_e64 v5, v6, v5, s[4:5]
	v_alignbit_b32 v11, v13, v10, 30
	v_sub_u32_e32 v16, 0, v15
	v_cndmask_b32_e64 v5, v7, v5, s[6:7]
	v_xor_b32_e32 v11, v11, v16
	v_alignbit_b32 v6, v8, v5, v14
	v_cndmask_b32_e64 v6, v6, v8, s[8:9]
	v_ffbh_u32_e32 v8, v11
	v_alignbit_b32 v7, v10, v6, 30
	v_min_u32_e32 v8, 32, v8
	v_alignbit_b32 v5, v6, v5, 30
	v_xor_b32_e32 v7, v7, v16
	v_sub_u32_e32 v9, 31, v8
	v_xor_b32_e32 v5, v5, v16
	v_alignbit_b32 v10, v11, v7, v9
	v_alignbit_b32 v5, v7, v5, v9
	;; [unrolled: 1-line block ×3, first 2 shown]
	v_ffbh_u32_e32 v7, v6
	v_min_u32_e32 v7, 32, v7
	v_lshrrev_b32_e32 v12, 29, v13
	v_not_b32_e32 v9, v7
	v_alignbit_b32 v5, v6, v5, v9
	v_lshlrev_b32_e32 v6, 31, v12
	v_or_b32_e32 v9, 0x33000000, v6
	v_add_lshl_u32 v7, v7, v8, 23
	v_lshrrev_b32_e32 v5, 9, v5
	v_sub_u32_e32 v7, v9, v7
	v_or_b32_e32 v6, 0.5, v6
	v_lshlrev_b32_e32 v8, 23, v8
	v_or_b32_e32 v5, v7, v5
	v_lshrrev_b32_e32 v7, 9, v10
	v_sub_u32_e32 v6, v6, v8
	v_or_b32_e32 v6, v7, v6
	s_mov_b32 s4, 0x3fc90fda
	v_mul_f32_e32 v7, 0x3fc90fda, v6
	v_fma_f32 v8, v6, s4, -v7
	v_fmac_f32_e32 v8, 0x33a22168, v6
	v_fmac_f32_e32 v8, 0x3fc90fda, v5
	v_lshrrev_b32_e32 v5, 30, v13
	v_add_f32_e32 v6, v7, v8
	v_add_u32_e32 v5, v15, v5
	s_andn2_saveexec_b64 s[4:5], s[20:21]
	s_cbranch_execnz .LBB81_32
	s_branch .LBB81_33
.LBB81_31:
	s_andn2_saveexec_b64 s[4:5], s[20:21]
	s_cbranch_execz .LBB81_33
.LBB81_32:
	s_mov_b32 s6, 0x3f22f983
	v_mul_f32_e64 v5, |v1|, s6
	v_rndne_f32_e32 v7, v5
	s_mov_b32 s6, 0xbfc90fda
	v_cvt_i32_f32_e32 v5, v7
	v_fma_f32 v6, v7, s6, |v1|
	v_fmac_f32_e32 v6, 0xb3a22168, v7
	v_fmac_f32_e32 v6, 0xa7c234c4, v7
.LBB81_33:
	s_or_b64 exec, exec, s[4:5]
	v_mul_f32_e32 v8, v2, v2
	v_mov_b32_e32 v10, 0xbab64f3b
	v_fmac_f32_e32 v10, 0x37d75334, v8
	v_mov_b32_e32 v11, 0x3d2aabf7
	v_mov_b32_e32 v14, 0x3c0881c4
	v_fma_f32 v10, v8, v10, v11
	v_mov_b32_e32 v12, 0xbf000004
	v_fmac_f32_e32 v14, 0xb94c1982, v8
	v_mov_b32_e32 v15, 0xbe2aaa9d
	v_fma_f32 v10, v8, v10, v12
	v_fma_f32 v14, v8, v14, v15
	v_lshlrev_b32_e32 v7, 30, v3
	v_and_b32_e32 v3, 1, v3
	v_fma_f32 v10, v8, v10, 1.0
	v_mul_f32_e32 v8, v8, v14
	v_fmac_f32_e32 v2, v2, v8
	v_cmp_eq_u32_e32 vcc, 0, v3
	s_mov_b32 s5, 0xc322e3bc
	v_and_b32_e32 v7, 0x80000000, v7
	v_cndmask_b32_e64 v2, -v2, v10, vcc
	v_add_f32_e64 v3, |v0|, s5
	v_xor_b32_e32 v2, v7, v2
	s_mov_b32 s5, 0x3fb8aa3b
	v_mul_f32_e32 v7, 0x3fb8aa3b, v3
	v_fma_f32 v8, v3, s5, -v7
	v_rndne_f32_e32 v10, v7
	v_fmac_f32_e32 v8, 0x32a5705f, v3
	v_sub_f32_e32 v7, v7, v10
	v_add_f32_e32 v7, v7, v8
	v_exp_f32_e32 v7, v7
	v_cvt_i32_f32_e32 v8, v10
	s_movk_i32 s4, 0x1f8
	v_cmp_class_f32_e64 vcc, v1, s4
	s_mov_b32 s4, 0xc2ce8ed0
	v_ldexp_f32 v7, v7, v8
	v_cmp_ngt_f32_e64 s[4:5], s4, v3
	v_cndmask_b32_e64 v7, 0, v7, s[4:5]
	s_mov_b32 s4, 0x42b17218
	v_mov_b32_e32 v8, 0x7f800000
	v_cmp_nlt_f32_e64 s[4:5], s4, v3
	v_cndmask_b32_e64 v3, v8, v7, s[4:5]
	v_and_b32_e32 v7, 0x7fffff, v3
	v_lshrrev_b32_e32 v3, 23, v3
	v_subrev_u32_e32 v3, 20, v3
	v_lshrrev_b16_e32 v8, 15, v3
	v_add_u16_e32 v8, v3, v8
	v_ashrrev_i16_e32 v8, 1, v8
	v_bfe_i32 v8, v8, 0, 16
	v_mov_b32_e32 v9, 0xbab64f3b
	v_mov_b32_e32 v13, 0x3c0881c4
	v_lshl_add_u32 v14, v8, 23, 1.0
	v_sub_u32_e32 v3, v3, v8
	v_mul_f32_e32 v8, v6, v6
	v_fmac_f32_e32 v13, 0xb94c1982, v8
	v_fmac_f32_e32 v9, 0x37d75334, v8
	;; [unrolled: 1-line block ×4, first 2 shown]
	v_mul_f32_e32 v13, v8, v15
	v_fmac_f32_e32 v12, v8, v11
	v_and_b32_e32 v9, 1, v5
	s_brev_b32 s6, 1
	v_fmac_f32_e32 v6, v6, v13
	v_fma_f32 v8, v8, v12, 1.0
	v_cmp_eq_u32_e64 s[4:5], 0, v9
	v_lshlrev_b32_e32 v5, 30, v5
	v_cndmask_b32_e64 v6, v8, v6, s[4:5]
	v_and_or_b32 v4, v5, s6, v4
	v_xor_b32_e32 v4, v4, v6
	v_mov_b32_e32 v10, 0x7fc00000
	v_xor_b32_e32 v1, v4, v1
	v_or_b32_e32 v7, 0x7f000000, v7
	v_cndmask_b32_e32 v1, v10, v1, vcc
	v_cndmask_b32_e32 v2, v10, v2, vcc
	v_mul_f32_e32 v1, v1, v7
	v_mul_f32_e32 v2, v2, v7
	v_lshl_add_u32 v3, v3, 23, 1.0
	v_mul_f32_e32 v1, v1, v14
	s_brev_b32 s4, -2
	v_mul_f32_e32 v2, v2, v14
	v_mul_f32_e32 v1, v1, v3
	v_bfi_b32 v0, s4, 1.0, v0
	v_mul_f32_e32 v2, v2, v3
	v_mul_f32_e32 v3, v0, v1
.LBB81_34:
	s_or_b64 exec, exec, s[18:19]
                                        ; implicit-def: $vgpr0
                                        ; implicit-def: $vgpr1
                                        ; implicit-def: $vgpr4
.LBB81_35:
	s_andn2_saveexec_b64 s[16:17], s[16:17]
	s_cbranch_execz .LBB81_45
; %bb.36:
	s_brev_b32 s4, 18
	v_cmp_nlt_f32_e64 s[18:19], |v1|, s4
                                        ; implicit-def: $vgpr2
                                        ; implicit-def: $vgpr3
	s_and_saveexec_b64 s[4:5], s[18:19]
	s_xor_b64 s[20:21], exec, s[4:5]
	s_cbranch_execz .LBB81_38
; %bb.37:
	v_and_b32_e32 v2, 0x7fffff, v4
	v_or_b32_e32 v13, 0x800000, v2
	s_mov_b32 s4, 0xfe5163ab
	v_mad_u64_u32 v[2:3], s[4:5], v13, s4, 0
	v_mov_b32_e32 v6, 0
	s_mov_b32 s4, 0x3c439041
	v_mov_b32_e32 v5, v3
	v_mad_u64_u32 v[7:8], s[4:5], v13, s4, v[5:6]
	s_mov_b32 s4, 0xdb629599
	v_lshrrev_b32_e32 v3, 23, v4
	v_mov_b32_e32 v5, v8
	v_mad_u64_u32 v[8:9], s[4:5], v13, s4, v[5:6]
	s_mov_b32 s4, 0xf534ddc0
	v_add_u32_e32 v3, 0xffffff88, v3
	v_mov_b32_e32 v5, v9
	v_mad_u64_u32 v[9:10], s[4:5], v13, s4, v[5:6]
	s_mov_b32 s4, 0xfc2757d1
	v_not_b32_e32 v12, 63
	v_mov_b32_e32 v5, v10
	v_mad_u64_u32 v[10:11], s[4:5], v13, s4, v[5:6]
	v_cmp_lt_u32_e32 vcc, 63, v3
	v_cndmask_b32_e32 v5, 0, v12, vcc
	v_add_u32_e32 v3, v5, v3
	v_mov_b32_e32 v5, v11
	s_mov_b32 s4, 0x4e441529
	v_mad_u64_u32 v[11:12], s[4:5], v13, s4, v[5:6]
	v_not_b32_e32 v14, 31
	v_cmp_lt_u32_e64 s[4:5], 31, v3
	v_cndmask_b32_e64 v5, 0, v14, s[4:5]
	v_add_u32_e32 v3, v5, v3
	v_mov_b32_e32 v5, v12
	s_mov_b32 s6, 0xa2f9836e
	v_mad_u64_u32 v[5:6], s[6:7], v13, s6, v[5:6]
	v_cmp_lt_u32_e64 s[6:7], 31, v3
	v_cndmask_b32_e64 v12, 0, v14, s[6:7]
	v_add_u32_e32 v3, v12, v3
	v_cndmask_b32_e32 v12, v11, v9, vcc
	v_cndmask_b32_e32 v5, v5, v10, vcc
	;; [unrolled: 1-line block ×3, first 2 shown]
	v_cndmask_b32_e64 v13, v5, v12, s[4:5]
	v_cndmask_b32_e64 v5, v6, v5, s[4:5]
	v_cndmask_b32_e32 v6, v10, v8, vcc
	v_cndmask_b32_e64 v10, v12, v6, s[4:5]
	v_sub_u32_e32 v12, 32, v3
	v_cmp_eq_u32_e64 s[8:9], 0, v3
	v_cndmask_b32_e32 v3, v9, v7, vcc
	v_cndmask_b32_e64 v5, v5, v13, s[6:7]
	v_cndmask_b32_e64 v11, v13, v10, s[6:7]
	v_cndmask_b32_e64 v6, v6, v3, s[4:5]
	v_alignbit_b32 v13, v5, v11, v12
	v_cndmask_b32_e64 v7, v10, v6, s[6:7]
	v_cndmask_b32_e64 v5, v13, v5, s[8:9]
	v_alignbit_b32 v9, v11, v7, v12
	v_cndmask_b32_e32 v2, v8, v2, vcc
	v_cndmask_b32_e64 v9, v9, v11, s[8:9]
	v_bfe_u32 v13, v5, 29, 1
	v_cndmask_b32_e64 v2, v3, v2, s[4:5]
	v_alignbit_b32 v10, v5, v9, 30
	v_sub_u32_e32 v14, 0, v13
	v_cndmask_b32_e64 v2, v6, v2, s[6:7]
	v_xor_b32_e32 v10, v10, v14
	v_alignbit_b32 v3, v7, v2, v12
	v_cndmask_b32_e64 v3, v3, v7, s[8:9]
	v_ffbh_u32_e32 v7, v10
	v_alignbit_b32 v6, v9, v3, 30
	v_min_u32_e32 v7, 32, v7
	v_alignbit_b32 v2, v3, v2, 30
	v_xor_b32_e32 v6, v6, v14
	v_sub_u32_e32 v8, 31, v7
	v_xor_b32_e32 v2, v2, v14
	v_alignbit_b32 v9, v10, v6, v8
	v_alignbit_b32 v2, v6, v2, v8
	;; [unrolled: 1-line block ×3, first 2 shown]
	v_ffbh_u32_e32 v6, v3
	v_min_u32_e32 v6, 32, v6
	v_lshrrev_b32_e32 v11, 29, v5
	v_not_b32_e32 v8, v6
	v_alignbit_b32 v2, v3, v2, v8
	v_lshlrev_b32_e32 v3, 31, v11
	v_or_b32_e32 v8, 0x33000000, v3
	v_add_lshl_u32 v6, v6, v7, 23
	v_lshrrev_b32_e32 v2, 9, v2
	v_sub_u32_e32 v6, v8, v6
	v_or_b32_e32 v3, 0.5, v3
	v_lshlrev_b32_e32 v7, 23, v7
	v_or_b32_e32 v2, v6, v2
	v_lshrrev_b32_e32 v6, 9, v9
	v_sub_u32_e32 v3, v3, v7
	v_or_b32_e32 v3, v6, v3
	s_mov_b32 s4, 0x3fc90fda
	v_mul_f32_e32 v6, 0x3fc90fda, v3
	v_fma_f32 v7, v3, s4, -v6
	v_fmac_f32_e32 v7, 0x33a22168, v3
	v_fmac_f32_e32 v7, 0x3fc90fda, v2
	v_lshrrev_b32_e32 v2, 30, v5
	v_add_f32_e32 v3, v6, v7
	v_add_u32_e32 v2, v13, v2
	s_andn2_saveexec_b64 s[4:5], s[20:21]
	s_cbranch_execz .LBB81_40
	s_branch .LBB81_39
.LBB81_38:
	s_andn2_saveexec_b64 s[4:5], s[20:21]
	s_cbranch_execz .LBB81_40
.LBB81_39:
	s_mov_b32 s6, 0x3f22f983
	v_mul_f32_e64 v2, |v1|, s6
	v_rndne_f32_e32 v5, v2
	s_mov_b32 s6, 0xbfc90fda
	v_cvt_i32_f32_e32 v2, v5
	v_fma_f32 v3, v5, s6, |v1|
	v_fmac_f32_e32 v3, 0xb3a22168, v5
	v_fmac_f32_e32 v3, 0xa7c234c4, v5
.LBB81_40:
	s_or_b64 exec, exec, s[4:5]
                                        ; implicit-def: $vgpr5
                                        ; implicit-def: $vgpr6
	s_and_saveexec_b64 s[4:5], s[18:19]
	s_xor_b64 s[18:19], exec, s[4:5]
	s_cbranch_execz .LBB81_42
; %bb.41:
	v_and_b32_e32 v5, 0x7fffff, v4
	v_or_b32_e32 v14, 0x800000, v5
	s_mov_b32 s4, 0xfe5163ab
	v_mad_u64_u32 v[5:6], s[4:5], v14, s4, 0
	v_mov_b32_e32 v7, 0
	s_mov_b32 s4, 0x3c439041
	v_mad_u64_u32 v[8:9], s[4:5], v14, s4, v[6:7]
	s_mov_b32 s4, 0xdb629599
	v_not_b32_e32 v13, 63
	v_mov_b32_e32 v6, v9
	v_mad_u64_u32 v[9:10], s[4:5], v14, s4, v[6:7]
	s_mov_b32 s4, 0xf534ddc0
	v_not_b32_e32 v16, 31
	v_mov_b32_e32 v6, v10
	v_mad_u64_u32 v[10:11], s[4:5], v14, s4, v[6:7]
	v_lshrrev_b32_e32 v6, 23, v4
	v_add_u32_e32 v15, 0xffffff88, v6
	v_mov_b32_e32 v6, v11
	s_mov_b32 s4, 0xfc2757d1
	v_mad_u64_u32 v[11:12], s[4:5], v14, s4, v[6:7]
	v_cmp_lt_u32_e32 vcc, 63, v15
	v_cndmask_b32_e32 v6, 0, v13, vcc
	v_add_u32_e32 v15, v6, v15
	v_mov_b32_e32 v6, v12
	s_mov_b32 s4, 0x4e441529
	v_mad_u64_u32 v[12:13], s[4:5], v14, s4, v[6:7]
	v_cmp_lt_u32_e64 s[4:5], 31, v15
	v_cndmask_b32_e64 v6, 0, v16, s[4:5]
	v_add_u32_e32 v15, v6, v15
	v_mov_b32_e32 v6, v13
	s_mov_b32 s6, 0xa2f9836e
	v_mad_u64_u32 v[6:7], s[6:7], v14, s6, v[6:7]
	v_cmp_lt_u32_e64 s[6:7], 31, v15
	v_cndmask_b32_e64 v13, 0, v16, s[6:7]
	v_cndmask_b32_e32 v14, v12, v10, vcc
	v_cndmask_b32_e32 v6, v6, v11, vcc
	v_cndmask_b32_e32 v7, v7, v12, vcc
	v_add_u32_e32 v13, v13, v15
	v_cndmask_b32_e64 v15, v6, v14, s[4:5]
	v_cndmask_b32_e64 v6, v7, v6, s[4:5]
	v_cndmask_b32_e32 v7, v11, v9, vcc
	v_cndmask_b32_e64 v11, v14, v7, s[4:5]
	v_cndmask_b32_e64 v6, v6, v15, s[6:7]
	;; [unrolled: 1-line block ×3, first 2 shown]
	v_sub_u32_e32 v14, 32, v13
	v_alignbit_b32 v15, v6, v12, v14
	v_cmp_eq_u32_e64 s[8:9], 0, v13
	v_cndmask_b32_e64 v13, v15, v6, s[8:9]
	v_cndmask_b32_e32 v6, v10, v8, vcc
	v_cndmask_b32_e64 v7, v7, v6, s[4:5]
	v_cndmask_b32_e64 v8, v11, v7, s[6:7]
	v_alignbit_b32 v10, v12, v8, v14
	v_cndmask_b32_e32 v5, v9, v5, vcc
	v_cndmask_b32_e64 v10, v10, v12, s[8:9]
	v_bfe_u32 v15, v13, 29, 1
	v_cndmask_b32_e64 v5, v6, v5, s[4:5]
	v_alignbit_b32 v11, v13, v10, 30
	v_sub_u32_e32 v16, 0, v15
	v_cndmask_b32_e64 v5, v7, v5, s[6:7]
	v_xor_b32_e32 v11, v11, v16
	v_alignbit_b32 v6, v8, v5, v14
	v_cndmask_b32_e64 v6, v6, v8, s[8:9]
	v_ffbh_u32_e32 v8, v11
	v_alignbit_b32 v7, v10, v6, 30
	v_min_u32_e32 v8, 32, v8
	v_alignbit_b32 v5, v6, v5, 30
	v_xor_b32_e32 v7, v7, v16
	v_sub_u32_e32 v9, 31, v8
	v_xor_b32_e32 v5, v5, v16
	v_alignbit_b32 v10, v11, v7, v9
	v_alignbit_b32 v5, v7, v5, v9
	;; [unrolled: 1-line block ×3, first 2 shown]
	v_ffbh_u32_e32 v7, v6
	v_min_u32_e32 v7, 32, v7
	v_lshrrev_b32_e32 v12, 29, v13
	v_not_b32_e32 v9, v7
	v_alignbit_b32 v5, v6, v5, v9
	v_lshlrev_b32_e32 v6, 31, v12
	v_or_b32_e32 v9, 0x33000000, v6
	v_add_lshl_u32 v7, v7, v8, 23
	v_lshrrev_b32_e32 v5, 9, v5
	v_sub_u32_e32 v7, v9, v7
	v_or_b32_e32 v6, 0.5, v6
	v_lshlrev_b32_e32 v8, 23, v8
	v_or_b32_e32 v5, v7, v5
	v_lshrrev_b32_e32 v7, 9, v10
	v_sub_u32_e32 v6, v6, v8
	v_or_b32_e32 v6, v7, v6
	s_mov_b32 s4, 0x3fc90fda
	v_mul_f32_e32 v7, 0x3fc90fda, v6
	v_fma_f32 v8, v6, s4, -v7
	v_fmac_f32_e32 v8, 0x33a22168, v6
	v_fmac_f32_e32 v8, 0x3fc90fda, v5
	v_lshrrev_b32_e32 v5, 30, v13
	v_add_f32_e32 v6, v7, v8
	v_add_u32_e32 v5, v15, v5
	s_andn2_saveexec_b64 s[4:5], s[18:19]
	s_cbranch_execnz .LBB81_43
	s_branch .LBB81_44
.LBB81_42:
	s_andn2_saveexec_b64 s[4:5], s[18:19]
	s_cbranch_execz .LBB81_44
.LBB81_43:
	s_mov_b32 s6, 0x3f22f983
	v_mul_f32_e64 v5, |v1|, s6
	v_rndne_f32_e32 v7, v5
	s_mov_b32 s6, 0xbfc90fda
	v_cvt_i32_f32_e32 v5, v7
	v_fma_f32 v6, v7, s6, |v1|
	v_fmac_f32_e32 v6, 0xb3a22168, v7
	v_fmac_f32_e32 v6, 0xa7c234c4, v7
.LBB81_44:
	s_or_b64 exec, exec, s[4:5]
	s_mov_b32 s4, 0x3fb8aa3b
	v_mul_f32_e64 v7, |v0|, s4
	v_rndne_f32_e32 v8, v7
	v_sub_f32_e32 v9, v7, v8
	v_fma_f32 v7, |v0|, s4, -v7
	s_mov_b32 s4, 0x32a5705f
	v_fma_f32 v7, |v0|, s4, v7
	v_add_f32_e32 v7, v9, v7
	v_exp_f32_e32 v7, v7
	v_cvt_i32_f32_e32 v8, v8
	s_mov_b32 s4, 0xc2ce8ed0
	v_cmp_nlt_f32_e64 vcc, |v0|, s4
	s_mov_b32 s4, 0x42b17218
	v_ldexp_f32 v7, v7, v8
	v_cndmask_b32_e32 v7, 0, v7, vcc
	v_mov_b32_e32 v8, 0x7f800000
	v_cmp_ngt_f32_e64 vcc, |v0|, s4
	v_cndmask_b32_e32 v7, v8, v7, vcc
	v_mul_f32_e32 v8, v3, v3
	v_mov_b32_e32 v12, 0xbab64f3b
	v_mov_b32_e32 v10, 0x3c0881c4
	v_fmac_f32_e32 v12, 0x37d75334, v8
	v_mov_b32_e32 v13, 0x3d2aabf7
	v_fmac_f32_e32 v10, 0xb94c1982, v8
	v_mov_b32_e32 v11, 0xbe2aaa9d
	v_fma_f32 v12, v8, v12, v13
	v_mov_b32_e32 v14, 0xbf000004
	v_fma_f32 v10, v8, v10, v11
	v_fma_f32 v12, v8, v12, v14
	v_mul_f32_e32 v10, v8, v10
	v_fma_f32 v8, v8, v12, 1.0
	v_and_b32_e32 v12, 1, v2
	v_fmac_f32_e32 v3, v3, v10
	v_cmp_eq_u32_e32 vcc, 0, v12
	v_lshlrev_b32_e32 v2, 30, v2
	v_cndmask_b32_e64 v3, -v3, v8, vcc
	v_and_b32_e32 v2, 0x80000000, v2
	s_movk_i32 s4, 0x1f8
	v_xor_b32_e32 v2, v2, v3
	v_mov_b32_e32 v3, 0x7fc00000
	v_cmp_class_f32_e64 vcc, v1, s4
	v_mul_f32_e32 v7, 0.5, v7
	v_cndmask_b32_e32 v2, v3, v2, vcc
	s_brev_b32 s4, -2
	v_mov_b32_e32 v9, 0x3c0881c4
	v_mul_f32_e32 v2, v7, v2
	v_bfi_b32 v0, s4, v7, v0
	v_mul_f32_e32 v7, v6, v6
	v_mov_b32_e32 v10, 0xbab64f3b
	v_fmac_f32_e32 v9, 0xb94c1982, v7
	v_fmac_f32_e32 v11, v7, v9
	;; [unrolled: 1-line block ×3, first 2 shown]
	v_mul_f32_e32 v8, v7, v11
	v_fmac_f32_e32 v13, v7, v10
	v_fmac_f32_e32 v6, v6, v8
	;; [unrolled: 1-line block ×3, first 2 shown]
	v_and_b32_e32 v8, 1, v5
	s_brev_b32 s6, 1
	v_fma_f32 v7, v7, v14, 1.0
	v_cmp_eq_u32_e64 s[4:5], 0, v8
	v_lshlrev_b32_e32 v5, 30, v5
	v_cndmask_b32_e64 v6, v7, v6, s[4:5]
	v_and_or_b32 v4, v5, s6, v4
	v_xor_b32_e32 v4, v4, v6
	v_xor_b32_e32 v1, v4, v1
	v_cndmask_b32_e32 v1, v3, v1, vcc
	v_mul_f32_e32 v3, v0, v1
.LBB81_45:
	s_or_b64 exec, exec, s[16:17]
                                        ; implicit-def: $vgpr0
                                        ; implicit-def: $vgpr1
                                        ; implicit-def: $vgpr4
.LBB81_46:
	s_andn2_saveexec_b64 s[14:15], s[14:15]
	s_cbranch_execz .LBB81_56
; %bb.47:
	s_brev_b32 s4, 18
	v_cmp_nlt_f32_e64 s[16:17], |v1|, s4
	v_lshrrev_b32_e32 v7, 23, v4
                                        ; implicit-def: $vgpr2
                                        ; implicit-def: $vgpr3
	s_and_saveexec_b64 s[4:5], s[16:17]
	s_xor_b64 s[18:19], exec, s[4:5]
	s_cbranch_execz .LBB81_49
; %bb.48:
	v_and_b32_e32 v2, 0x7fffff, v4
	v_or_b32_e32 v14, 0x800000, v2
	s_mov_b32 s4, 0xfe5163ab
	v_mad_u64_u32 v[2:3], s[4:5], v14, s4, 0
	v_mov_b32_e32 v6, 0
	s_mov_b32 s4, 0x3c439041
	v_mov_b32_e32 v5, v3
	v_mad_u64_u32 v[8:9], s[4:5], v14, s4, v[5:6]
	s_mov_b32 s4, 0xdb629599
	v_add_u32_e32 v3, 0xffffff88, v7
	v_mov_b32_e32 v5, v9
	v_mad_u64_u32 v[9:10], s[4:5], v14, s4, v[5:6]
	s_mov_b32 s4, 0xf534ddc0
	v_not_b32_e32 v13, 63
	v_mov_b32_e32 v5, v10
	v_mad_u64_u32 v[10:11], s[4:5], v14, s4, v[5:6]
	s_mov_b32 s4, 0xfc2757d1
	v_cmp_lt_u32_e32 vcc, 63, v3
	v_mov_b32_e32 v5, v11
	v_mad_u64_u32 v[11:12], s[4:5], v14, s4, v[5:6]
	v_cndmask_b32_e32 v5, 0, v13, vcc
	v_add_u32_e32 v3, v5, v3
	v_mov_b32_e32 v5, v12
	s_mov_b32 s4, 0x4e441529
	v_mad_u64_u32 v[12:13], s[4:5], v14, s4, v[5:6]
	v_not_b32_e32 v15, 31
	v_cmp_lt_u32_e64 s[4:5], 31, v3
	v_cndmask_b32_e64 v5, 0, v15, s[4:5]
	v_add_u32_e32 v3, v5, v3
	v_mov_b32_e32 v5, v13
	s_mov_b32 s6, 0xa2f9836e
	v_mad_u64_u32 v[5:6], s[6:7], v14, s6, v[5:6]
	v_cmp_lt_u32_e64 s[6:7], 31, v3
	v_cndmask_b32_e64 v13, 0, v15, s[6:7]
	v_add_u32_e32 v3, v13, v3
	v_cndmask_b32_e32 v13, v12, v10, vcc
	v_cndmask_b32_e32 v5, v5, v11, vcc
	;; [unrolled: 1-line block ×3, first 2 shown]
	v_cndmask_b32_e64 v14, v5, v13, s[4:5]
	v_cndmask_b32_e64 v5, v6, v5, s[4:5]
	v_cndmask_b32_e32 v6, v11, v9, vcc
	v_cndmask_b32_e64 v11, v13, v6, s[4:5]
	v_sub_u32_e32 v13, 32, v3
	v_cmp_eq_u32_e64 s[8:9], 0, v3
	v_cndmask_b32_e32 v3, v10, v8, vcc
	v_cndmask_b32_e64 v5, v5, v14, s[6:7]
	v_cndmask_b32_e64 v12, v14, v11, s[6:7]
	;; [unrolled: 1-line block ×3, first 2 shown]
	v_alignbit_b32 v14, v5, v12, v13
	v_cndmask_b32_e64 v8, v11, v6, s[6:7]
	v_cndmask_b32_e64 v5, v14, v5, s[8:9]
	v_alignbit_b32 v10, v12, v8, v13
	v_cndmask_b32_e32 v2, v9, v2, vcc
	v_cndmask_b32_e64 v10, v10, v12, s[8:9]
	v_bfe_u32 v14, v5, 29, 1
	v_cndmask_b32_e64 v2, v3, v2, s[4:5]
	v_alignbit_b32 v11, v5, v10, 30
	v_sub_u32_e32 v15, 0, v14
	v_cndmask_b32_e64 v2, v6, v2, s[6:7]
	v_xor_b32_e32 v11, v11, v15
	v_alignbit_b32 v3, v8, v2, v13
	v_cndmask_b32_e64 v3, v3, v8, s[8:9]
	v_ffbh_u32_e32 v8, v11
	v_alignbit_b32 v6, v10, v3, 30
	v_min_u32_e32 v8, 32, v8
	v_alignbit_b32 v2, v3, v2, 30
	v_xor_b32_e32 v6, v6, v15
	v_sub_u32_e32 v9, 31, v8
	v_xor_b32_e32 v2, v2, v15
	v_alignbit_b32 v10, v11, v6, v9
	v_alignbit_b32 v2, v6, v2, v9
	v_alignbit_b32 v3, v10, v2, 9
	v_ffbh_u32_e32 v6, v3
	v_min_u32_e32 v6, 32, v6
	v_lshrrev_b32_e32 v12, 29, v5
	v_not_b32_e32 v9, v6
	v_alignbit_b32 v2, v3, v2, v9
	v_lshlrev_b32_e32 v3, 31, v12
	v_or_b32_e32 v9, 0x33000000, v3
	v_add_lshl_u32 v6, v6, v8, 23
	v_lshrrev_b32_e32 v2, 9, v2
	v_sub_u32_e32 v6, v9, v6
	v_or_b32_e32 v3, 0.5, v3
	v_lshlrev_b32_e32 v8, 23, v8
	v_or_b32_e32 v2, v6, v2
	v_lshrrev_b32_e32 v6, 9, v10
	v_sub_u32_e32 v3, v3, v8
	v_or_b32_e32 v3, v6, v3
	s_mov_b32 s4, 0x3fc90fda
	v_mul_f32_e32 v6, 0x3fc90fda, v3
	v_fma_f32 v8, v3, s4, -v6
	v_fmac_f32_e32 v8, 0x33a22168, v3
	v_fmac_f32_e32 v8, 0x3fc90fda, v2
	v_lshrrev_b32_e32 v2, 30, v5
	v_add_f32_e32 v3, v6, v8
	v_add_u32_e32 v2, v14, v2
	s_andn2_saveexec_b64 s[4:5], s[18:19]
	s_cbranch_execz .LBB81_51
	s_branch .LBB81_50
.LBB81_49:
	s_andn2_saveexec_b64 s[4:5], s[18:19]
	s_cbranch_execz .LBB81_51
.LBB81_50:
	s_mov_b32 s6, 0x3f22f983
	v_mul_f32_e64 v2, |v1|, s6
	v_rndne_f32_e32 v5, v2
	s_mov_b32 s6, 0xbfc90fda
	v_cvt_i32_f32_e32 v2, v5
	v_fma_f32 v3, v5, s6, |v1|
	v_fmac_f32_e32 v3, 0xb3a22168, v5
	v_fmac_f32_e32 v3, 0xa7c234c4, v5
.LBB81_51:
	s_or_b64 exec, exec, s[4:5]
                                        ; implicit-def: $vgpr5
                                        ; implicit-def: $vgpr6
	s_and_saveexec_b64 s[4:5], s[16:17]
	s_xor_b64 s[16:17], exec, s[4:5]
	s_cbranch_execz .LBB81_53
; %bb.52:
	v_and_b32_e32 v5, 0x7fffff, v4
	v_or_b32_e32 v14, 0x800000, v5
	s_mov_b32 s4, 0xfe5163ab
	v_mad_u64_u32 v[5:6], s[4:5], v14, s4, 0
	v_mov_b32_e32 v9, 0
	s_mov_b32 s4, 0x3c439041
	v_mov_b32_e32 v8, v6
	v_mad_u64_u32 v[10:11], s[4:5], v14, s4, v[8:9]
	s_mov_b32 s4, 0xdb629599
	v_add_u32_e32 v15, 0xffffff88, v7
	v_mov_b32_e32 v8, v11
	v_mad_u64_u32 v[11:12], s[4:5], v14, s4, v[8:9]
	s_mov_b32 s4, 0xf534ddc0
	v_not_b32_e32 v16, 63
	v_mov_b32_e32 v8, v12
	v_mad_u64_u32 v[12:13], s[4:5], v14, s4, v[8:9]
	s_mov_b32 s4, 0xfc2757d1
	v_cmp_lt_u32_e32 vcc, 63, v15
	v_mov_b32_e32 v8, v13
	v_mad_u64_u32 v[6:7], s[4:5], v14, s4, v[8:9]
	v_cndmask_b32_e32 v8, 0, v16, vcc
	v_add_u32_e32 v13, v8, v15
	v_mov_b32_e32 v8, v7
	s_mov_b32 s4, 0x4e441529
	v_mad_u64_u32 v[7:8], s[4:5], v14, s4, v[8:9]
	v_not_b32_e32 v15, 31
	v_cmp_lt_u32_e64 s[4:5], 31, v13
	s_mov_b32 s6, 0xa2f9836e
	v_cndmask_b32_e64 v16, 0, v15, s[4:5]
	v_mad_u64_u32 v[8:9], s[6:7], v14, s6, v[8:9]
	v_add_u32_e32 v13, v16, v13
	v_cmp_lt_u32_e64 s[6:7], 31, v13
	v_cndmask_b32_e64 v14, 0, v15, s[6:7]
	v_add_u32_e32 v13, v14, v13
	v_cndmask_b32_e32 v14, v7, v12, vcc
	v_cndmask_b32_e32 v8, v8, v6, vcc
	;; [unrolled: 1-line block ×4, first 2 shown]
	v_cndmask_b32_e64 v15, v8, v14, s[4:5]
	v_cndmask_b32_e64 v7, v7, v8, s[4:5]
	;; [unrolled: 1-line block ×3, first 2 shown]
	v_cndmask_b32_e32 v10, v12, v10, vcc
	v_cndmask_b32_e64 v7, v7, v15, s[6:7]
	v_cndmask_b32_e64 v9, v15, v8, s[6:7]
	v_sub_u32_e32 v14, 32, v13
	v_cndmask_b32_e64 v6, v6, v10, s[4:5]
	v_alignbit_b32 v15, v7, v9, v14
	v_cmp_eq_u32_e64 s[8:9], 0, v13
	v_cndmask_b32_e64 v8, v8, v6, s[6:7]
	v_cndmask_b32_e32 v5, v11, v5, vcc
	v_cndmask_b32_e64 v7, v15, v7, s[8:9]
	v_alignbit_b32 v12, v9, v8, v14
	v_cndmask_b32_e64 v5, v10, v5, s[4:5]
	v_cndmask_b32_e64 v9, v12, v9, s[8:9]
	v_bfe_u32 v15, v7, 29, 1
	v_cndmask_b32_e64 v5, v6, v5, s[6:7]
	v_alignbit_b32 v12, v7, v9, 30
	v_sub_u32_e32 v16, 0, v15
	v_alignbit_b32 v6, v8, v5, v14
	v_xor_b32_e32 v12, v12, v16
	v_cndmask_b32_e64 v6, v6, v8, s[8:9]
	v_alignbit_b32 v8, v9, v6, 30
	v_ffbh_u32_e32 v9, v12
	v_min_u32_e32 v9, 32, v9
	v_alignbit_b32 v5, v6, v5, 30
	v_xor_b32_e32 v8, v8, v16
	v_sub_u32_e32 v10, 31, v9
	v_xor_b32_e32 v5, v5, v16
	v_alignbit_b32 v11, v12, v8, v10
	v_alignbit_b32 v5, v8, v5, v10
	;; [unrolled: 1-line block ×3, first 2 shown]
	v_ffbh_u32_e32 v8, v6
	v_min_u32_e32 v8, 32, v8
	v_lshrrev_b32_e32 v13, 29, v7
	v_not_b32_e32 v10, v8
	v_alignbit_b32 v5, v6, v5, v10
	v_lshlrev_b32_e32 v6, 31, v13
	v_or_b32_e32 v10, 0x33000000, v6
	v_add_lshl_u32 v8, v8, v9, 23
	v_lshrrev_b32_e32 v5, 9, v5
	v_sub_u32_e32 v8, v10, v8
	v_or_b32_e32 v6, 0.5, v6
	v_lshlrev_b32_e32 v9, 23, v9
	v_or_b32_e32 v5, v8, v5
	v_lshrrev_b32_e32 v8, 9, v11
	v_sub_u32_e32 v6, v6, v9
	v_or_b32_e32 v6, v8, v6
	s_mov_b32 s4, 0x3fc90fda
	v_mul_f32_e32 v8, 0x3fc90fda, v6
	v_fma_f32 v9, v6, s4, -v8
	v_fmac_f32_e32 v9, 0x33a22168, v6
	v_fmac_f32_e32 v9, 0x3fc90fda, v5
	v_lshrrev_b32_e32 v5, 30, v7
	v_add_f32_e32 v6, v8, v9
	v_add_u32_e32 v5, v15, v5
	s_andn2_saveexec_b64 s[4:5], s[16:17]
	s_cbranch_execnz .LBB81_54
	s_branch .LBB81_55
.LBB81_53:
	s_andn2_saveexec_b64 s[4:5], s[16:17]
	s_cbranch_execz .LBB81_55
.LBB81_54:
	s_mov_b32 s6, 0x3f22f983
	v_mul_f32_e64 v5, |v1|, s6
	v_rndne_f32_e32 v7, v5
	s_mov_b32 s6, 0xbfc90fda
	v_cvt_i32_f32_e32 v5, v7
	v_fma_f32 v6, v7, s6, |v1|
	v_fmac_f32_e32 v6, 0xb3a22168, v7
	v_fmac_f32_e32 v6, 0xa7c234c4, v7
.LBB81_55:
	s_or_b64 exec, exec, s[4:5]
	s_mov_b32 s4, 0xbf317218
	v_add_f32_e64 v7, |v0|, s4
	v_sub_f32_e64 v8, v7, |v0|
	v_sub_f32_e32 v9, v8, v7
	v_add_f32_e64 v9, |v0|, v9
	v_add_f32_e32 v8, 0x3f317218, v8
	v_sub_f32_e32 v8, v9, v8
	v_add_f32_e32 v8, 0x3102e308, v8
	v_add_f32_e32 v9, v7, v8
	v_sub_f32_e32 v7, v7, v9
	v_add_f32_e32 v7, v8, v7
	v_mul_f32_e32 v8, 0x3fb8aa3b, v9
	v_rndne_f32_e32 v8, v8
	v_fmac_f32_e32 v9, 0xbf317200, v8
	v_add_f32_e32 v10, v7, v9
	v_sub_f32_e32 v9, v9, v10
	v_add_f32_e32 v7, v7, v9
	v_mul_f32_e32 v9, 0x35bfbc00, v8
	v_sub_f32_e32 v11, v10, v9
	v_sub_f32_e32 v10, v10, v11
	;; [unrolled: 1-line block ×3, first 2 shown]
	v_add_f32_e32 v7, v7, v9
	v_add_f32_e32 v9, v11, v7
	v_sub_f32_e32 v10, v11, v9
	v_add_f32_e32 v7, v7, v10
	v_mul_f32_e32 v10, 0x2ea39ef3, v8
	v_sub_f32_e32 v11, v9, v10
	v_sub_f32_e32 v9, v9, v11
	;; [unrolled: 1-line block ×3, first 2 shown]
	v_add_f32_e32 v7, v7, v9
	v_add_f32_e32 v9, v11, v7
	v_mov_b32_e32 v10, 0x3c091de6
	v_fmac_f32_e32 v10, 0x3ab42872, v9
	v_mov_b32_e32 v12, 0x3d2aadcc
	v_fmac_f32_e32 v12, v9, v10
	;; [unrolled: 2-line block ×4, first 2 shown]
	v_sub_f32_e32 v10, v11, v9
	v_add_f32_e32 v7, v7, v10
	v_mul_f32_e32 v11, v9, v9
	v_add_f32_e32 v10, v7, v7
	v_fma_f32 v13, v9, v9, -v11
	v_fmac_f32_e32 v13, v9, v10
	v_add_f32_e32 v10, v11, v13
	v_sub_f32_e32 v11, v10, v11
	v_sub_f32_e32 v11, v13, v11
	v_mul_f32_e32 v13, v12, v10
	v_fma_f32 v10, v10, v12, -v13
	v_fmac_f32_e32 v10, v11, v12
	v_add_f32_e32 v11, v13, v10
	v_sub_f32_e32 v12, v11, v13
	v_sub_f32_e32 v10, v10, v12
	v_add_f32_e32 v12, v9, v11
	v_sub_f32_e32 v9, v12, v9
	v_sub_f32_e32 v9, v11, v9
	v_add_f32_e32 v7, v7, v10
	v_add_f32_e32 v7, v7, v9
	;; [unrolled: 1-line block ×3, first 2 shown]
	v_sub_f32_e32 v10, v9, v12
	v_sub_f32_e32 v7, v7, v10
	v_add_f32_e32 v10, 1.0, v9
	v_add_f32_e32 v11, -1.0, v10
	v_cvt_i32_f32_e32 v8, v8
	v_sub_f32_e32 v9, v9, v11
	v_add_f32_e32 v7, v7, v9
	v_add_f32_e32 v9, v10, v7
	v_ldexp_f32 v11, v9, v8
	v_rcp_f32_e32 v12, v11
	v_sub_f32_e32 v9, v9, v10
	v_sub_f32_e32 v7, v7, v9
	v_ldexp_f32 v7, v7, v8
	v_mul_f32_e32 v8, v11, v12
	v_fma_f32 v9, v12, v11, -v8
	v_fmac_f32_e32 v9, v12, v7
	v_add_f32_e32 v10, v8, v9
	v_sub_f32_e32 v13, 1.0, v10
	v_sub_f32_e32 v14, 1.0, v13
	v_sub_f32_e32 v8, v10, v8
	v_sub_f32_e32 v14, v14, v10
	;; [unrolled: 1-line block ×3, first 2 shown]
	v_add_f32_e32 v8, v8, v14
	v_add_f32_e32 v9, v13, v8
	v_mul_f32_e32 v10, v12, v9
	v_mul_f32_e32 v14, v11, v10
	v_fma_f32 v15, v10, v11, -v14
	v_fmac_f32_e32 v15, v10, v7
	v_sub_f32_e32 v13, v13, v9
	v_add_f32_e32 v8, v8, v13
	v_add_f32_e32 v13, v14, v15
	v_sub_f32_e32 v16, v9, v13
	v_sub_f32_e32 v9, v9, v16
	;; [unrolled: 1-line block ×4, first 2 shown]
	v_add_f32_e32 v8, v8, v9
	v_sub_f32_e32 v9, v14, v15
	v_add_f32_e32 v8, v9, v8
	v_add_f32_e32 v8, v16, v8
	;; [unrolled: 1-line block ×3, first 2 shown]
	v_mul_f32_e32 v8, v12, v8
	v_sub_f32_e32 v12, v9, v12
	v_sub_f32_e32 v10, v10, v12
	v_add_f32_e32 v8, v10, v8
	v_add_f32_e32 v10, v9, v8
	v_sub_f32_e32 v9, v10, v9
	v_sub_f32_e32 v8, v8, v9
	v_ldexp_f32 v9, v10, -2
	v_add_f32_e32 v10, v11, v9
	v_ldexp_f32 v8, v8, -2
	v_sub_f32_e32 v12, v10, v11
	v_sub_f32_e32 v12, v9, v12
	v_add_f32_e32 v13, v7, v8
	v_add_f32_e32 v12, v13, v12
	v_mul_f32_e32 v13, v3, v3
	v_mov_b32_e32 v17, 0xbab64f3b
	v_mov_b32_e32 v15, 0x3c0881c4
	v_fmac_f32_e32 v17, 0x37d75334, v13
	v_mov_b32_e32 v18, 0x3d2aabf7
	v_fmac_f32_e32 v15, 0xb94c1982, v13
	v_mov_b32_e32 v16, 0xbe2aaa9d
	v_fma_f32 v17, v13, v17, v18
	v_mov_b32_e32 v19, 0xbf000004
	v_fma_f32 v15, v13, v15, v16
	v_fma_f32 v17, v13, v17, v19
	s_mov_b32 s4, 0x42b2d4fc
	v_mul_f32_e32 v15, v13, v15
	v_fma_f32 v13, v13, v17, 1.0
	v_and_b32_e32 v17, 1, v2
	v_cmp_gt_f32_e64 vcc, |v0|, s4
	v_fmac_f32_e32 v3, v3, v15
	v_cmp_eq_u32_e64 s[4:5], 0, v17
	v_lshlrev_b32_e32 v2, 30, v2
	v_cndmask_b32_e64 v3, -v3, v13, s[4:5]
	v_and_b32_e32 v2, 0x80000000, v2
	s_movk_i32 s4, 0x1f8
	v_add_f32_e32 v10, v10, v12
	v_mov_b32_e32 v12, 0x7f800000
	v_xor_b32_e32 v2, v2, v3
	v_mov_b32_e32 v3, 0x7fc00000
	v_cmp_class_f32_e64 s[4:5], v1, s4
	v_cndmask_b32_e32 v10, v10, v12, vcc
	v_cndmask_b32_e64 v2, v3, v2, s[4:5]
	v_mul_f32_e32 v2, v10, v2
	v_sub_f32_e32 v10, v11, v9
	v_sub_f32_e32 v11, v11, v10
	;; [unrolled: 1-line block ×3, first 2 shown]
	v_add_f32_e32 v7, v7, v9
	v_sub_f32_e32 v7, v7, v8
	v_add_f32_e32 v7, v10, v7
	s_mov_b32 s6, 0x39800000
	v_cndmask_b32_e32 v7, v7, v12, vcc
	v_cmp_lt_f32_e64 s[6:7], |v0|, s6
	v_cndmask_b32_e64 v7, v7, |v0|, s[6:7]
	s_brev_b32 s6, -2
	v_mov_b32_e32 v14, 0x3c0881c4
	v_bfi_b32 v0, s6, v7, v0
	v_mul_f32_e32 v7, v6, v6
	v_mov_b32_e32 v15, 0xbab64f3b
	v_fmac_f32_e32 v14, 0xb94c1982, v7
	v_fmac_f32_e32 v16, v7, v14
	;; [unrolled: 1-line block ×3, first 2 shown]
	v_mul_f32_e32 v8, v7, v16
	v_fmac_f32_e32 v18, v7, v15
	v_fmac_f32_e32 v6, v6, v8
	;; [unrolled: 1-line block ×3, first 2 shown]
	v_and_b32_e32 v8, 1, v5
	s_brev_b32 s8, 1
	v_fma_f32 v7, v7, v19, 1.0
	v_cmp_eq_u32_e32 vcc, 0, v8
	v_lshlrev_b32_e32 v5, 30, v5
	v_cndmask_b32_e32 v6, v7, v6, vcc
	v_and_or_b32 v4, v5, s8, v4
	v_xor_b32_e32 v4, v4, v6
	v_xor_b32_e32 v1, v4, v1
	v_cndmask_b32_e64 v1, v3, v1, s[4:5]
	v_mul_f32_e32 v3, v0, v1
.LBB81_56:
	s_or_b64 exec, exec, s[14:15]
                                        ; implicit-def: $vgpr0
                                        ; implicit-def: $vgpr1
.LBB81_57:
	s_andn2_saveexec_b64 s[4:5], s[12:13]
	s_cbranch_execz .LBB81_59
; %bb.58:
	s_mov_b32 s6, 0xbf317218
	v_add_f32_e64 v2, |v0|, s6
	v_sub_f32_e64 v3, v2, |v0|
	v_sub_f32_e32 v4, v3, v2
	v_add_f32_e64 v4, |v0|, v4
	v_add_f32_e32 v3, 0x3f317218, v3
	v_sub_f32_e32 v3, v4, v3
	v_add_f32_e32 v3, 0x3102e308, v3
	v_add_f32_e32 v4, v2, v3
	v_sub_f32_e32 v2, v2, v4
	v_add_f32_e32 v2, v3, v2
	v_mul_f32_e32 v3, 0x3fb8aa3b, v4
	v_rndne_f32_e32 v3, v3
	v_fmac_f32_e32 v4, 0xbf317200, v3
	v_add_f32_e32 v5, v2, v4
	v_sub_f32_e32 v4, v4, v5
	v_add_f32_e32 v2, v2, v4
	v_mul_f32_e32 v4, 0x35bfbc00, v3
	v_sub_f32_e32 v6, v5, v4
	v_sub_f32_e32 v5, v5, v6
	v_sub_f32_e32 v4, v5, v4
	v_add_f32_e32 v2, v2, v4
	v_add_f32_e32 v4, v6, v2
	v_sub_f32_e32 v5, v6, v4
	v_add_f32_e32 v2, v2, v5
	v_mul_f32_e32 v5, 0x2ea39ef3, v3
	v_sub_f32_e32 v6, v4, v5
	v_sub_f32_e32 v4, v4, v6
	;; [unrolled: 1-line block ×3, first 2 shown]
	v_add_f32_e32 v2, v2, v4
	v_add_f32_e32 v4, v6, v2
	v_mov_b32_e32 v5, 0x3c091de6
	v_fmac_f32_e32 v5, 0x3ab42872, v4
	v_mov_b32_e32 v7, 0x3d2aadcc
	v_fmac_f32_e32 v7, v4, v5
	;; [unrolled: 2-line block ×4, first 2 shown]
	v_sub_f32_e32 v5, v6, v4
	v_add_f32_e32 v2, v2, v5
	v_mul_f32_e32 v6, v4, v4
	v_add_f32_e32 v5, v2, v2
	v_fma_f32 v8, v4, v4, -v6
	v_fmac_f32_e32 v8, v4, v5
	v_add_f32_e32 v5, v6, v8
	v_sub_f32_e32 v6, v5, v6
	v_sub_f32_e32 v6, v8, v6
	v_mul_f32_e32 v8, v7, v5
	v_fma_f32 v5, v5, v7, -v8
	v_fmac_f32_e32 v5, v6, v7
	v_add_f32_e32 v6, v8, v5
	v_sub_f32_e32 v7, v6, v8
	v_sub_f32_e32 v5, v5, v7
	v_add_f32_e32 v7, v4, v6
	v_sub_f32_e32 v4, v7, v4
	v_sub_f32_e32 v4, v6, v4
	v_add_f32_e32 v2, v2, v5
	v_add_f32_e32 v2, v2, v4
	;; [unrolled: 1-line block ×3, first 2 shown]
	v_sub_f32_e32 v5, v4, v7
	v_sub_f32_e32 v2, v2, v5
	v_add_f32_e32 v5, 1.0, v4
	v_add_f32_e32 v6, -1.0, v5
	v_cvt_i32_f32_e32 v3, v3
	v_sub_f32_e32 v4, v4, v6
	v_add_f32_e32 v2, v2, v4
	v_add_f32_e32 v4, v5, v2
	v_ldexp_f32 v6, v4, v3
	v_rcp_f32_e32 v7, v6
	v_sub_f32_e32 v4, v4, v5
	v_sub_f32_e32 v2, v2, v4
	v_ldexp_f32 v2, v2, v3
	v_mul_f32_e32 v3, v6, v7
	v_fma_f32 v4, v7, v6, -v3
	v_fmac_f32_e32 v4, v7, v2
	v_add_f32_e32 v5, v3, v4
	v_sub_f32_e32 v8, 1.0, v5
	v_sub_f32_e32 v9, 1.0, v8
	v_sub_f32_e32 v3, v5, v3
	v_sub_f32_e32 v9, v9, v5
	;; [unrolled: 1-line block ×3, first 2 shown]
	v_add_f32_e32 v3, v3, v9
	v_add_f32_e32 v4, v8, v3
	v_mul_f32_e32 v5, v7, v4
	v_mul_f32_e32 v9, v6, v5
	v_fma_f32 v10, v5, v6, -v9
	v_fmac_f32_e32 v10, v5, v2
	v_sub_f32_e32 v8, v8, v4
	v_add_f32_e32 v3, v3, v8
	v_add_f32_e32 v8, v9, v10
	v_sub_f32_e32 v11, v4, v8
	v_sub_f32_e32 v4, v4, v11
	;; [unrolled: 1-line block ×4, first 2 shown]
	v_add_f32_e32 v3, v3, v4
	v_sub_f32_e32 v4, v9, v10
	v_add_f32_e32 v3, v4, v3
	v_add_f32_e32 v3, v11, v3
	v_add_f32_e32 v4, v7, v5
	v_mul_f32_e32 v3, v7, v3
	v_sub_f32_e32 v7, v4, v7
	v_sub_f32_e32 v5, v5, v7
	v_add_f32_e32 v3, v5, v3
	v_add_f32_e32 v5, v4, v3
	v_sub_f32_e32 v4, v5, v4
	v_sub_f32_e32 v3, v3, v4
	v_ldexp_f32 v4, v5, -2
	v_add_f32_e32 v5, v6, v4
	v_ldexp_f32 v3, v3, -2
	v_sub_f32_e32 v6, v5, v6
	v_sub_f32_e32 v4, v4, v6
	v_add_f32_e32 v2, v2, v3
	v_add_f32_e32 v2, v2, v4
	s_mov_b32 s6, 0x42b2d4fc
	v_add_f32_e32 v2, v5, v2
	v_mov_b32_e32 v3, 0x7f800000
	v_cmp_ngt_f32_e64 vcc, |v0|, s6
	v_cndmask_b32_e32 v2, v3, v2, vcc
	v_mul_f32_e32 v3, v0, v1
.LBB81_59:
	s_or_b64 exec, exec, s[4:5]
	s_or_b64 exec, exec, s[10:11]
	v_mov_b32_e32 v0, v2
	v_mov_b32_e32 v1, v3
	s_setpc_b64 s[30:31]
.LBB81_60:
	s_andn2_saveexec_b64 s[4:5], s[24:25]
	s_cbranch_execz .LBB81_62
.LBB81_61:
	s_mov_b32 s6, 0x3f22f983
	v_mul_f32_e64 v3, |v1|, s6
	v_rndne_f32_e32 v6, v3
	s_mov_b32 s6, 0xbfc90fda
	v_cvt_i32_f32_e32 v3, v6
	v_fma_f32 v5, v6, s6, |v1|
	v_fmac_f32_e32 v5, 0xb3a22168, v6
	v_fmac_f32_e32 v5, 0xa7c234c4, v6
.LBB81_62:
	s_or_b64 exec, exec, s[4:5]
                                        ; implicit-def: $vgpr6
                                        ; implicit-def: $vgpr7
	s_and_saveexec_b64 s[4:5], s[22:23]
	s_xor_b64 s[22:23], exec, s[4:5]
	s_cbranch_execz .LBB81_64
; %bb.63:
	v_and_b32_e32 v6, 0x7fffff, v4
	v_or_b32_e32 v15, 0x800000, v6
	s_mov_b32 s4, 0xfe5163ab
	v_mad_u64_u32 v[6:7], s[4:5], v15, s4, 0
	v_mov_b32_e32 v8, 0
	s_mov_b32 s4, 0x3c439041
	v_mad_u64_u32 v[9:10], s[4:5], v15, s4, v[7:8]
	s_mov_b32 s4, 0xdb629599
	v_not_b32_e32 v14, 63
	v_mov_b32_e32 v7, v10
	v_mad_u64_u32 v[10:11], s[4:5], v15, s4, v[7:8]
	s_mov_b32 s4, 0xf534ddc0
	v_not_b32_e32 v17, 31
	v_mov_b32_e32 v7, v11
	v_mad_u64_u32 v[11:12], s[4:5], v15, s4, v[7:8]
	v_lshrrev_b32_e32 v7, 23, v4
	v_add_u32_e32 v16, 0xffffff88, v7
	v_mov_b32_e32 v7, v12
	s_mov_b32 s4, 0xfc2757d1
	v_mad_u64_u32 v[12:13], s[4:5], v15, s4, v[7:8]
	v_cmp_lt_u32_e32 vcc, 63, v16
	v_cndmask_b32_e32 v7, 0, v14, vcc
	v_add_u32_e32 v16, v7, v16
	v_mov_b32_e32 v7, v13
	s_mov_b32 s4, 0x4e441529
	v_mad_u64_u32 v[13:14], s[4:5], v15, s4, v[7:8]
	v_cmp_lt_u32_e64 s[4:5], 31, v16
	v_cndmask_b32_e64 v7, 0, v17, s[4:5]
	v_add_u32_e32 v16, v7, v16
	v_mov_b32_e32 v7, v14
	s_mov_b32 s6, 0xa2f9836e
	v_mad_u64_u32 v[7:8], s[6:7], v15, s6, v[7:8]
	v_cmp_lt_u32_e64 s[6:7], 31, v16
	v_cndmask_b32_e64 v14, 0, v17, s[6:7]
	v_cndmask_b32_e32 v15, v13, v11, vcc
	v_cndmask_b32_e32 v7, v7, v12, vcc
	;; [unrolled: 1-line block ×3, first 2 shown]
	v_add_u32_e32 v14, v14, v16
	v_cndmask_b32_e64 v16, v7, v15, s[4:5]
	v_cndmask_b32_e64 v7, v8, v7, s[4:5]
	v_cndmask_b32_e32 v8, v12, v10, vcc
	v_cndmask_b32_e64 v12, v15, v8, s[4:5]
	v_cndmask_b32_e64 v7, v7, v16, s[6:7]
	;; [unrolled: 1-line block ×3, first 2 shown]
	v_sub_u32_e32 v15, 32, v14
	v_alignbit_b32 v16, v7, v13, v15
	v_cmp_eq_u32_e64 s[8:9], 0, v14
	v_cndmask_b32_e64 v14, v16, v7, s[8:9]
	v_cndmask_b32_e32 v7, v11, v9, vcc
	v_cndmask_b32_e64 v8, v8, v7, s[4:5]
	v_cndmask_b32_e64 v9, v12, v8, s[6:7]
	v_alignbit_b32 v11, v13, v9, v15
	v_cndmask_b32_e32 v6, v10, v6, vcc
	v_cndmask_b32_e64 v11, v11, v13, s[8:9]
	v_bfe_u32 v16, v14, 29, 1
	v_cndmask_b32_e64 v6, v7, v6, s[4:5]
	v_alignbit_b32 v12, v14, v11, 30
	v_sub_u32_e32 v17, 0, v16
	v_cndmask_b32_e64 v6, v8, v6, s[6:7]
	v_xor_b32_e32 v12, v12, v17
	v_alignbit_b32 v7, v9, v6, v15
	v_cndmask_b32_e64 v7, v7, v9, s[8:9]
	v_ffbh_u32_e32 v9, v12
	v_alignbit_b32 v8, v11, v7, 30
	v_min_u32_e32 v9, 32, v9
	v_alignbit_b32 v6, v7, v6, 30
	v_xor_b32_e32 v8, v8, v17
	v_sub_u32_e32 v10, 31, v9
	v_xor_b32_e32 v6, v6, v17
	v_alignbit_b32 v11, v12, v8, v10
	v_alignbit_b32 v6, v8, v6, v10
	;; [unrolled: 1-line block ×3, first 2 shown]
	v_ffbh_u32_e32 v8, v7
	v_min_u32_e32 v8, 32, v8
	v_lshrrev_b32_e32 v13, 29, v14
	v_not_b32_e32 v10, v8
	v_alignbit_b32 v6, v7, v6, v10
	v_lshlrev_b32_e32 v7, 31, v13
	v_or_b32_e32 v10, 0x33000000, v7
	v_add_lshl_u32 v8, v8, v9, 23
	v_lshrrev_b32_e32 v6, 9, v6
	v_sub_u32_e32 v8, v10, v8
	v_or_b32_e32 v7, 0.5, v7
	v_lshlrev_b32_e32 v9, 23, v9
	v_or_b32_e32 v6, v8, v6
	v_lshrrev_b32_e32 v8, 9, v11
	v_sub_u32_e32 v7, v7, v9
	v_or_b32_e32 v7, v8, v7
	s_mov_b32 s4, 0x3fc90fda
	v_mul_f32_e32 v8, 0x3fc90fda, v7
	v_fma_f32 v9, v7, s4, -v8
	v_fmac_f32_e32 v9, 0x33a22168, v7
	v_fmac_f32_e32 v9, 0x3fc90fda, v6
	v_lshrrev_b32_e32 v6, 30, v14
	v_add_f32_e32 v7, v8, v9
	v_add_u32_e32 v6, v16, v6
	s_andn2_saveexec_b64 s[4:5], s[22:23]
	s_cbranch_execnz .LBB81_65
	s_branch .LBB81_66
.LBB81_64:
	s_andn2_saveexec_b64 s[4:5], s[22:23]
	s_cbranch_execz .LBB81_66
.LBB81_65:
	s_mov_b32 s6, 0x3f22f983
	v_mul_f32_e64 v6, |v1|, s6
	v_rndne_f32_e32 v8, v6
	s_mov_b32 s6, 0xbfc90fda
	v_cvt_i32_f32_e32 v6, v8
	v_fma_f32 v7, v8, s6, |v1|
	v_fmac_f32_e32 v7, 0xb3a22168, v8
	v_fmac_f32_e32 v7, 0xa7c234c4, v8
.LBB81_66:
	s_or_b64 exec, exec, s[4:5]
	v_mul_f32_e32 v8, v5, v5
	v_mov_b32_e32 v12, 0xbab64f3b
	v_mov_b32_e32 v10, 0x3c0881c4
	v_fmac_f32_e32 v12, 0x37d75334, v8
	v_mov_b32_e32 v13, 0x3d2aabf7
	v_fmac_f32_e32 v10, 0xb94c1982, v8
	v_mov_b32_e32 v11, 0xbe2aaa9d
	v_fma_f32 v12, v8, v12, v13
	v_mov_b32_e32 v14, 0xbf000004
	v_fma_f32 v10, v8, v10, v11
	v_fma_f32 v12, v8, v12, v14
	v_mul_f32_e32 v10, v8, v10
	v_fma_f32 v8, v8, v12, 1.0
	v_and_b32_e32 v12, 1, v3
	v_fmac_f32_e32 v5, v5, v10
	v_cmp_eq_u32_e32 vcc, 0, v12
	v_lshlrev_b32_e32 v3, 30, v3
	v_cndmask_b32_e64 v5, -v5, v8, vcc
	v_and_b32_e32 v3, 0x80000000, v3
	s_movk_i32 s4, 0x1f8
	v_xor_b32_e32 v3, v3, v5
	v_mov_b32_e32 v5, 0x7fc00000
	v_cmp_class_f32_e64 vcc, v1, s4
	v_cndmask_b32_e32 v3, v5, v3, vcc
	v_mov_b32_e32 v9, 0x3c0881c4
	v_mul_f32_e32 v2, v2, v3
	v_mul_f32_e32 v3, v7, v7
	v_mov_b32_e32 v10, 0xbab64f3b
	v_fmac_f32_e32 v9, 0xb94c1982, v3
	v_fmac_f32_e32 v11, v3, v9
	;; [unrolled: 1-line block ×3, first 2 shown]
	v_mul_f32_e32 v8, v3, v11
	v_fmac_f32_e32 v13, v3, v10
	v_fmac_f32_e32 v7, v7, v8
	;; [unrolled: 1-line block ×3, first 2 shown]
	v_and_b32_e32 v8, 1, v6
	s_brev_b32 s6, 1
	v_fma_f32 v3, v3, v14, 1.0
	v_cmp_eq_u32_e64 s[4:5], 0, v8
	v_lshlrev_b32_e32 v6, 30, v6
	v_cndmask_b32_e64 v3, v3, v7, s[4:5]
	v_and_or_b32 v4, v6, s6, v4
	v_xor_b32_e32 v3, v4, v3
	v_xor_b32_e32 v1, v3, v1
	v_cndmask_b32_e32 v1, v5, v1, vcc
	v_mul_f32_e32 v3, v0, v1
                                        ; implicit-def: $vgpr1
                                        ; implicit-def: $vgpr0
.LBB81_67:
	s_andn2_saveexec_b64 s[4:5], s[20:21]
; %bb.68:
	v_sub_f32_e32 v1, v1, v1
	v_mul_f32_e32 v3, v0, v1
; %bb.69:
	s_or_b64 exec, exec, s[4:5]
.LBB81_70:
	s_or_b64 exec, exec, s[18:19]
                                        ; implicit-def: $vgpr1
                                        ; implicit-def: $vgpr0
.LBB81_71:
	s_andn2_saveexec_b64 s[4:5], s[12:13]
; %bb.72:
	v_sub_f32_e32 v2, v1, v1
	v_mul_f32_e32 v3, v0, v2
; %bb.73:
	s_or_b64 exec, exec, s[4:5]
                                        ; implicit-def: $vgpr0
                                        ; implicit-def: $vgpr1
.LBB81_74:
	s_andn2_saveexec_b64 s[4:5], s[10:11]
	s_cbranch_execz .LBB81_80
; %bb.75:
	v_and_b32_e32 v2, 0x7fffff, v0
	v_cmp_ne_u32_e32 vcc, 0, v2
                                        ; implicit-def: $vgpr3
	s_and_saveexec_b64 s[6:7], vcc
	s_xor_b64 s[6:7], exec, s[6:7]
; %bb.76:
	v_add_f32_e32 v2, v0, v0
	v_mul_f32_e32 v1, v2, v1
	s_brev_b32 s8, -2
	v_bfi_b32 v3, s8, 0, v1
                                        ; implicit-def: $vgpr1
; %bb.77:
	s_andn2_saveexec_b64 s[6:7], s[6:7]
; %bb.78:
	s_brev_b32 s8, -2
	v_bfi_b32 v2, s8, 0, v0
	v_mul_f32_e32 v3, v2, v1
; %bb.79:
	s_or_b64 exec, exec, s[6:7]
	v_mul_f32_e32 v2, v0, v0
.LBB81_80:
	s_or_b64 exec, exec, s[4:5]
                                        ; implicit-def: $vgpr1
                                        ; implicit-def: $vgpr0
.LBB81_81:
	s_andn2_saveexec_b64 s[4:5], s[16:17]
; %bb.82:
	v_sub_f32_e32 v2, v1, v1
	v_mul_f32_e32 v0, v0, v2
	s_brev_b32 s6, -2
	v_bfi_b32 v3, s6, 0, v0
; %bb.83:
	s_or_b64 exec, exec, s[4:5]
                                        ; implicit-def: $vgpr0
                                        ; implicit-def: $vgpr1
                                        ; implicit-def: $vgpr4
                                        ; implicit-def: $vgpr5
	s_andn2_saveexec_b64 s[10:11], s[14:15]
	s_cbranch_execnz .LBB81_11
.LBB81_84:
	s_or_b64 exec, exec, s[10:11]
	v_mov_b32_e32 v0, v2
	v_mov_b32_e32 v1, v3
	s_setpc_b64 s[30:31]
.Lfunc_end81:
	.size	_ZN6thrust23THRUST_200600_302600_NS6detail7complex6ccoshfERKNS0_7complexIfEE, .Lfunc_end81-_ZN6thrust23THRUST_200600_302600_NS6detail7complex6ccoshfERKNS0_7complexIfEE
                                        ; -- End function
	.set .L_ZN6thrust23THRUST_200600_302600_NS6detail7complex6ccoshfERKNS0_7complexIfEE.num_vgpr, 20
	.set .L_ZN6thrust23THRUST_200600_302600_NS6detail7complex6ccoshfERKNS0_7complexIfEE.num_agpr, 0
	.set .L_ZN6thrust23THRUST_200600_302600_NS6detail7complex6ccoshfERKNS0_7complexIfEE.numbered_sgpr, 32
	.set .L_ZN6thrust23THRUST_200600_302600_NS6detail7complex6ccoshfERKNS0_7complexIfEE.num_named_barrier, 0
	.set .L_ZN6thrust23THRUST_200600_302600_NS6detail7complex6ccoshfERKNS0_7complexIfEE.private_seg_size, 0
	.set .L_ZN6thrust23THRUST_200600_302600_NS6detail7complex6ccoshfERKNS0_7complexIfEE.uses_vcc, 1
	.set .L_ZN6thrust23THRUST_200600_302600_NS6detail7complex6ccoshfERKNS0_7complexIfEE.uses_flat_scratch, 0
	.set .L_ZN6thrust23THRUST_200600_302600_NS6detail7complex6ccoshfERKNS0_7complexIfEE.has_dyn_sized_stack, 0
	.set .L_ZN6thrust23THRUST_200600_302600_NS6detail7complex6ccoshfERKNS0_7complexIfEE.has_recursion, 0
	.set .L_ZN6thrust23THRUST_200600_302600_NS6detail7complex6ccoshfERKNS0_7complexIfEE.has_indirect_call, 0
	.section	.AMDGPU.csdata,"",@progbits
; Function info:
; codeLenInByte = 10472
; TotalNumSgprs: 36
; NumVgprs: 20
; ScratchSize: 0
; MemoryBound: 0
	.section	.text._ZN2at6native12_GLOBAL__N_125multi_tensor_apply_kernelINS1_18TensorListMetadataILi2EEENS1_14UnaryOpFunctorIN3c107complexIfEELi2ELi1ELi1EEEJNS0_4CoshIS8_EEEEEvT_T0_DpT1_,"axG",@progbits,_ZN2at6native12_GLOBAL__N_125multi_tensor_apply_kernelINS1_18TensorListMetadataILi2EEENS1_14UnaryOpFunctorIN3c107complexIfEELi2ELi1ELi1EEEJNS0_4CoshIS8_EEEEEvT_T0_DpT1_,comdat
	.globl	_ZN2at6native12_GLOBAL__N_125multi_tensor_apply_kernelINS1_18TensorListMetadataILi2EEENS1_14UnaryOpFunctorIN3c107complexIfEELi2ELi1ELi1EEEJNS0_4CoshIS8_EEEEEvT_T0_DpT1_ ; -- Begin function _ZN2at6native12_GLOBAL__N_125multi_tensor_apply_kernelINS1_18TensorListMetadataILi2EEENS1_14UnaryOpFunctorIN3c107complexIfEELi2ELi1ELi1EEEJNS0_4CoshIS8_EEEEEvT_T0_DpT1_
	.p2align	8
	.type	_ZN2at6native12_GLOBAL__N_125multi_tensor_apply_kernelINS1_18TensorListMetadataILi2EEENS1_14UnaryOpFunctorIN3c107complexIfEELi2ELi1ELi1EEEJNS0_4CoshIS8_EEEEEvT_T0_DpT1_,@function
_ZN2at6native12_GLOBAL__N_125multi_tensor_apply_kernelINS1_18TensorListMetadataILi2EEENS1_14UnaryOpFunctorIN3c107complexIfEELi2ELi1ELi1EEEJNS0_4CoshIS8_EEEEEvT_T0_DpT1_: ; @_ZN2at6native12_GLOBAL__N_125multi_tensor_apply_kernelINS1_18TensorListMetadataILi2EEENS1_14UnaryOpFunctorIN3c107complexIfEELi2ELi1ELi1EEEJNS0_4CoshIS8_EEEEEvT_T0_DpT1_
; %bb.0:
	v_mov_b32_e32 v20, v0
	v_mov_b32_e32 v0, s6
	global_load_ubyte v0, v0, s[4:5] offset:1536
	s_add_u32 s0, s0, s7
	s_addc_u32 s1, s1, 0
	s_mov_b64 s[26:27], s[4:5]
	s_add_u32 s4, s26, s6
	s_mul_hi_u32 s9, s6, 3
	s_mul_i32 s6, s6, 3
	s_addc_u32 s10, s27, 0
	s_add_u32 s8, s4, s6
	s_addc_u32 s9, s10, s9
	s_load_dword s8, s[8:9], 0x740
	s_mov_b32 s5, 0
	s_mov_b32 s7, s5
	;; [unrolled: 1-line block ×3, first 2 shown]
	s_waitcnt lgkmcnt(0)
	s_ashr_i32 s9, s8, 31
	s_lshl_b64 s[16:17], s[8:9], 19
	s_waitcnt vmcnt(0)
	v_readfirstlane_b32 s4, v0
	s_lshl_b32 s4, s4, 3
	s_load_dwordx2 s[10:11], s[26:27], s4 offset:0x0
	s_load_dwordx2 s[12:13], s[26:27], s4 offset:0x400
	;; [unrolled: 1-line block ×3, first 2 shown]
	s_waitcnt lgkmcnt(0)
	s_add_u32 s36, s10, s16
	s_addc_u32 s37, s11, s17
	s_and_b32 s4, s36, 31
	s_add_u32 s38, s14, s16
	s_addc_u32 s39, s15, s17
	s_lshl_b64 s[8:9], s[8:9], 16
	s_and_b32 s6, s38, 31
	s_sub_u32 s28, s12, s8
	s_subb_u32 s29, s13, s9
	s_and_b32 s8, s12, 3
	s_mov_b32 s9, s5
	s_or_b64 s[6:7], s[6:7], s[8:9]
	s_or_b64 s[4:5], s[6:7], s[4:5]
	s_cmp_eq_u64 s[4:5], 0
	s_mov_b64 s[4:5], -1
	s_cbranch_scc0 .LBB82_5
; %bb.1:
	v_mov_b32_e32 v0, 0x10000
	v_mov_b32_e32 v1, 0
	v_cmp_lt_i64_e32 vcc, s[28:29], v[0:1]
	v_mov_b32_e32 v1, 0
	s_and_b64 s[4:5], vcc, exec
	s_cselect_b32 s35, s29, 0
	s_cselect_b32 s34, s28, 0x10000
	v_lshlrev_b32_e32 v0, 2, v20
	v_cmp_gt_i64_e32 vcc, s[34:35], v[0:1]
	s_and_saveexec_b64 s[40:41], vcc
	s_cbranch_execz .LBB82_4
; %bb.2:
	s_load_dword s4, s[26:27], 0xc5c
	v_mov_b32_e32 v21, v1
	v_mov_b32_e32 v30, v21
	v_lshlrev_b32_e32 v31, 5, v20
	s_mov_b64 s[42:43], 0
	s_waitcnt lgkmcnt(0)
	s_and_b32 s33, s4, 0xffff
	s_mov_b64 s[44:45], s[36:37]
	s_lshl_b32 s48, s33, 5
	s_mov_b64 s[46:47], s[38:39]
	v_mov_b32_e32 v29, v20
.LBB82_3:                               ; =>This Inner Loop Header: Depth=1
	v_mov_b32_e32 v1, s45
	v_add_co_u32_e32 v0, vcc, s44, v31
	v_addc_co_u32_e32 v1, vcc, 0, v1, vcc
	global_load_dwordx4 v[21:24], v[0:1], off
	global_load_dwordx4 v[25:28], v[0:1], off offset:16
	s_getpc_b64 s[50:51]
	s_add_u32 s50, s50, _ZN6thrust23THRUST_200600_302600_NS6detail7complex6ccoshfERKNS0_7complexIfEE@rel32@lo+4
	s_addc_u32 s51, s51, _ZN6thrust23THRUST_200600_302600_NS6detail7complex6ccoshfERKNS0_7complexIfEE@rel32@hi+12
	s_waitcnt vmcnt(1)
	v_mov_b32_e32 v0, v21
	v_mov_b32_e32 v1, v22
	s_swappc_b64 s[30:31], s[50:51]
	v_mov_b32_e32 v21, v0
	v_mov_b32_e32 v22, v1
	v_mov_b32_e32 v0, v23
	v_mov_b32_e32 v1, v24
	s_swappc_b64 s[30:31], s[50:51]
	v_mov_b32_e32 v23, v0
	v_mov_b32_e32 v24, v1
	;; [unrolled: 5-line block ×3, first 2 shown]
	v_mov_b32_e32 v0, v27
	v_mov_b32_e32 v1, v28
	s_swappc_b64 s[30:31], s[50:51]
	v_add_co_u32_e32 v29, vcc, s33, v29
	v_addc_co_u32_e32 v30, vcc, 0, v30, vcc
	v_mov_b32_e32 v27, v0
	v_mov_b32_e32 v28, v1
	;; [unrolled: 1-line block ×3, first 2 shown]
	v_add_co_u32_e32 v0, vcc, s46, v31
	v_lshlrev_b64 v[2:3], 2, v[29:30]
	s_add_u32 s46, s46, s48
	v_addc_co_u32_e32 v1, vcc, 0, v1, vcc
	s_addc_u32 s47, s47, 0
	s_add_u32 s44, s44, s48
	v_cmp_le_i64_e32 vcc, s[34:35], v[2:3]
	s_addc_u32 s45, s45, 0
	s_or_b64 s[42:43], vcc, s[42:43]
	global_store_dwordx4 v[0:1], v[21:24], off
	global_store_dwordx4 v[0:1], v[25:28], off offset:16
	s_andn2_b64 exec, exec, s[42:43]
	s_cbranch_execnz .LBB82_3
.LBB82_4:
	s_or_b64 exec, exec, s[40:41]
	s_mov_b64 s[4:5], 0
.LBB82_5:
	s_andn2_b64 vcc, exec, s[4:5]
	s_cbranch_vccnz .LBB82_25
; %bb.6:
	v_cmp_lt_i64_e64 s[4:5], s[28:29], 1
	s_and_b64 vcc, exec, s[4:5]
	s_cbranch_vccnz .LBB82_25
; %bb.7:
	v_mov_b32_e32 v0, 0x10000
	s_load_dword s6, s[26:27], 0xc5c
	v_mov_b32_e32 v1, 0
	v_cmp_lt_i64_e32 vcc, s[28:29], v[0:1]
	s_mov_b64 s[44:45], 0
	s_and_b64 s[4:5], vcc, exec
	v_cmp_lt_u64_e32 vcc, s[28:29], v[0:1]
	s_cselect_b32 s41, s29, 0
	s_cselect_b32 s40, s28, 0x10000
	s_waitcnt lgkmcnt(0)
	s_and_b32 s33, s6, 0xffff
	s_and_b64 s[4:5], vcc, exec
	s_cselect_b32 s43, s29, 0
	s_cselect_b32 s42, s28, 0x10000
	s_lshl_b32 s48, s33, 1
	s_mul_i32 s49, s33, 3
	s_lshl_b32 s50, s33, 2
	s_branch .LBB82_9
.LBB82_8:                               ;   in Loop: Header=BB82_9 Depth=1
	s_or_b64 exec, exec, s[26:27]
	s_add_u32 s44, s44, s50
	s_waitcnt vmcnt(0)
	v_mov_b32_e32 v0, s40
	s_addc_u32 s45, s45, 0
	v_mov_b32_e32 v1, s41
	v_cmp_ge_i64_e32 vcc, s[44:45], v[0:1]
	s_cbranch_vccnz .LBB82_25
.LBB82_9:                               ; =>This Inner Loop Header: Depth=1
	v_mov_b32_e32 v0, s45
	v_add_co_u32_e32 v27, vcc, s44, v20
	v_addc_co_u32_e32 v28, vcc, 0, v0, vcc
	v_cmp_gt_u64_e32 vcc, s[42:43], v[27:28]
	v_mov_b32_e32 v1, 0
	v_mov_b32_e32 v0, 0
	s_and_saveexec_b64 s[6:7], vcc
	s_cbranch_execz .LBB82_11
; %bb.10:                               ;   in Loop: Header=BB82_9 Depth=1
	v_lshlrev_b64 v[0:1], 3, v[27:28]
	v_mov_b32_e32 v2, s37
	v_add_co_u32_e64 v0, s[4:5], s36, v0
	v_addc_co_u32_e64 v1, s[4:5], v2, v1, s[4:5]
	global_load_dwordx2 v[0:1], v[0:1], off
.LBB82_11:                              ;   in Loop: Header=BB82_9 Depth=1
	s_or_b64 exec, exec, s[6:7]
	v_add_co_u32_e64 v29, s[4:5], s33, v27
	v_addc_co_u32_e64 v30, s[4:5], 0, v28, s[4:5]
	v_cmp_gt_u64_e64 s[26:27], s[42:43], v[29:30]
	v_mov_b32_e32 v22, 0
	v_mov_b32_e32 v24, 0
	;; [unrolled: 1-line block ×3, first 2 shown]
	s_and_saveexec_b64 s[6:7], s[26:27]
	s_cbranch_execz .LBB82_13
; %bb.12:                               ;   in Loop: Header=BB82_9 Depth=1
	v_lshlrev_b64 v[2:3], 3, v[29:30]
	v_mov_b32_e32 v4, s37
	v_add_co_u32_e64 v2, s[4:5], s36, v2
	v_addc_co_u32_e64 v3, s[4:5], v4, v3, s[4:5]
	global_load_dwordx2 v[23:24], v[2:3], off
.LBB82_13:                              ;   in Loop: Header=BB82_9 Depth=1
	s_or_b64 exec, exec, s[6:7]
	v_add_co_u32_e64 v31, s[4:5], s48, v27
	v_addc_co_u32_e64 v32, s[4:5], 0, v28, s[4:5]
	v_cmp_gt_u64_e64 s[28:29], s[42:43], v[31:32]
	v_mov_b32_e32 v21, 0
	s_and_saveexec_b64 s[6:7], s[28:29]
	s_cbranch_execz .LBB82_15
; %bb.14:                               ;   in Loop: Header=BB82_9 Depth=1
	v_lshlrev_b64 v[2:3], 3, v[31:32]
	v_mov_b32_e32 v4, s37
	v_add_co_u32_e64 v2, s[4:5], s36, v2
	v_addc_co_u32_e64 v3, s[4:5], v4, v3, s[4:5]
	global_load_dwordx2 v[21:22], v[2:3], off
.LBB82_15:                              ;   in Loop: Header=BB82_9 Depth=1
	s_or_b64 exec, exec, s[6:7]
	v_add_co_u32_e64 v33, s[4:5], s49, v27
	v_addc_co_u32_e64 v34, s[4:5], 0, v28, s[4:5]
	v_cmp_gt_u64_e64 s[34:35], s[42:43], v[33:34]
	v_mov_b32_e32 v26, 0
	v_mov_b32_e32 v25, 0
	s_and_saveexec_b64 s[6:7], s[34:35]
	s_cbranch_execnz .LBB82_20
; %bb.16:                               ;   in Loop: Header=BB82_9 Depth=1
	s_or_b64 exec, exec, s[6:7]
	s_and_saveexec_b64 s[46:47], vcc
	s_cbranch_execnz .LBB82_21
.LBB82_17:                              ;   in Loop: Header=BB82_9 Depth=1
	s_or_b64 exec, exec, s[46:47]
	s_and_saveexec_b64 s[46:47], s[26:27]
	s_cbranch_execnz .LBB82_22
.LBB82_18:                              ;   in Loop: Header=BB82_9 Depth=1
	s_or_b64 exec, exec, s[46:47]
	s_and_saveexec_b64 s[26:27], s[28:29]
	s_cbranch_execnz .LBB82_23
.LBB82_19:                              ;   in Loop: Header=BB82_9 Depth=1
	s_or_b64 exec, exec, s[26:27]
	s_and_saveexec_b64 s[26:27], s[34:35]
	s_cbranch_execz .LBB82_8
	s_branch .LBB82_24
.LBB82_20:                              ;   in Loop: Header=BB82_9 Depth=1
	v_lshlrev_b64 v[2:3], 3, v[33:34]
	v_mov_b32_e32 v4, s37
	v_add_co_u32_e64 v2, s[4:5], s36, v2
	v_addc_co_u32_e64 v3, s[4:5], v4, v3, s[4:5]
	global_load_dwordx2 v[25:26], v[2:3], off
	s_or_b64 exec, exec, s[6:7]
	s_and_saveexec_b64 s[46:47], vcc
	s_cbranch_execz .LBB82_17
.LBB82_21:                              ;   in Loop: Header=BB82_9 Depth=1
	s_getpc_b64 s[4:5]
	s_add_u32 s4, s4, _ZN6thrust23THRUST_200600_302600_NS6detail7complex6ccoshfERKNS0_7complexIfEE@rel32@lo+4
	s_addc_u32 s5, s5, _ZN6thrust23THRUST_200600_302600_NS6detail7complex6ccoshfERKNS0_7complexIfEE@rel32@hi+12
	s_swappc_b64 s[30:31], s[4:5]
	v_lshlrev_b64 v[2:3], 3, v[27:28]
	v_mov_b32_e32 v4, s39
	v_add_co_u32_e32 v2, vcc, s38, v2
	v_addc_co_u32_e32 v3, vcc, v4, v3, vcc
	global_store_dwordx2 v[2:3], v[0:1], off
	s_or_b64 exec, exec, s[46:47]
	s_and_saveexec_b64 s[46:47], s[26:27]
	s_cbranch_execz .LBB82_18
.LBB82_22:                              ;   in Loop: Header=BB82_9 Depth=1
	s_getpc_b64 s[4:5]
	s_add_u32 s4, s4, _ZN6thrust23THRUST_200600_302600_NS6detail7complex6ccoshfERKNS0_7complexIfEE@rel32@lo+4
	s_addc_u32 s5, s5, _ZN6thrust23THRUST_200600_302600_NS6detail7complex6ccoshfERKNS0_7complexIfEE@rel32@hi+12
	s_waitcnt vmcnt(0)
	v_mov_b32_e32 v0, v23
	v_mov_b32_e32 v1, v24
	s_swappc_b64 s[30:31], s[4:5]
	v_lshlrev_b64 v[2:3], 3, v[29:30]
	v_mov_b32_e32 v4, s39
	v_add_co_u32_e32 v2, vcc, s38, v2
	v_addc_co_u32_e32 v3, vcc, v4, v3, vcc
	global_store_dwordx2 v[2:3], v[0:1], off
	s_or_b64 exec, exec, s[46:47]
	s_and_saveexec_b64 s[26:27], s[28:29]
	s_cbranch_execz .LBB82_19
.LBB82_23:                              ;   in Loop: Header=BB82_9 Depth=1
	s_getpc_b64 s[4:5]
	s_add_u32 s4, s4, _ZN6thrust23THRUST_200600_302600_NS6detail7complex6ccoshfERKNS0_7complexIfEE@rel32@lo+4
	s_addc_u32 s5, s5, _ZN6thrust23THRUST_200600_302600_NS6detail7complex6ccoshfERKNS0_7complexIfEE@rel32@hi+12
	s_waitcnt vmcnt(0)
	v_mov_b32_e32 v0, v21
	v_mov_b32_e32 v1, v22
	s_swappc_b64 s[30:31], s[4:5]
	v_lshlrev_b64 v[2:3], 3, v[31:32]
	v_mov_b32_e32 v4, s39
	v_add_co_u32_e32 v2, vcc, s38, v2
	v_addc_co_u32_e32 v3, vcc, v4, v3, vcc
	global_store_dwordx2 v[2:3], v[0:1], off
	s_or_b64 exec, exec, s[26:27]
	s_and_saveexec_b64 s[26:27], s[34:35]
	s_cbranch_execz .LBB82_8
.LBB82_24:                              ;   in Loop: Header=BB82_9 Depth=1
	s_getpc_b64 s[4:5]
	s_add_u32 s4, s4, _ZN6thrust23THRUST_200600_302600_NS6detail7complex6ccoshfERKNS0_7complexIfEE@rel32@lo+4
	s_addc_u32 s5, s5, _ZN6thrust23THRUST_200600_302600_NS6detail7complex6ccoshfERKNS0_7complexIfEE@rel32@hi+12
	s_waitcnt vmcnt(0)
	v_mov_b32_e32 v0, v25
	v_mov_b32_e32 v1, v26
	s_swappc_b64 s[30:31], s[4:5]
	v_lshlrev_b64 v[2:3], 3, v[33:34]
	v_mov_b32_e32 v4, s39
	v_add_co_u32_e32 v2, vcc, s38, v2
	v_addc_co_u32_e32 v3, vcc, v4, v3, vcc
	global_store_dwordx2 v[2:3], v[0:1], off
	s_branch .LBB82_8
.LBB82_25:
	s_endpgm
	.section	.rodata,"a",@progbits
	.p2align	6, 0x0
	.amdhsa_kernel _ZN2at6native12_GLOBAL__N_125multi_tensor_apply_kernelINS1_18TensorListMetadataILi2EEENS1_14UnaryOpFunctorIN3c107complexIfEELi2ELi1ELi1EEEJNS0_4CoshIS8_EEEEEvT_T0_DpT1_
		.amdhsa_group_segment_fixed_size 0
		.amdhsa_private_segment_fixed_size 0
		.amdhsa_kernarg_size 3408
		.amdhsa_user_sgpr_count 6
		.amdhsa_user_sgpr_private_segment_buffer 1
		.amdhsa_user_sgpr_dispatch_ptr 0
		.amdhsa_user_sgpr_queue_ptr 0
		.amdhsa_user_sgpr_kernarg_segment_ptr 1
		.amdhsa_user_sgpr_dispatch_id 0
		.amdhsa_user_sgpr_flat_scratch_init 0
		.amdhsa_user_sgpr_private_segment_size 0
		.amdhsa_uses_dynamic_stack 0
		.amdhsa_system_sgpr_private_segment_wavefront_offset 0
		.amdhsa_system_sgpr_workgroup_id_x 1
		.amdhsa_system_sgpr_workgroup_id_y 0
		.amdhsa_system_sgpr_workgroup_id_z 0
		.amdhsa_system_sgpr_workgroup_info 0
		.amdhsa_system_vgpr_workitem_id 0
		.amdhsa_next_free_vgpr 35
		.amdhsa_next_free_sgpr 52
		.amdhsa_reserve_vcc 1
		.amdhsa_reserve_flat_scratch 0
		.amdhsa_float_round_mode_32 0
		.amdhsa_float_round_mode_16_64 0
		.amdhsa_float_denorm_mode_32 3
		.amdhsa_float_denorm_mode_16_64 3
		.amdhsa_dx10_clamp 1
		.amdhsa_ieee_mode 1
		.amdhsa_fp16_overflow 0
		.amdhsa_exception_fp_ieee_invalid_op 0
		.amdhsa_exception_fp_denorm_src 0
		.amdhsa_exception_fp_ieee_div_zero 0
		.amdhsa_exception_fp_ieee_overflow 0
		.amdhsa_exception_fp_ieee_underflow 0
		.amdhsa_exception_fp_ieee_inexact 0
		.amdhsa_exception_int_div_zero 0
	.end_amdhsa_kernel
	.section	.text._ZN2at6native12_GLOBAL__N_125multi_tensor_apply_kernelINS1_18TensorListMetadataILi2EEENS1_14UnaryOpFunctorIN3c107complexIfEELi2ELi1ELi1EEEJNS0_4CoshIS8_EEEEEvT_T0_DpT1_,"axG",@progbits,_ZN2at6native12_GLOBAL__N_125multi_tensor_apply_kernelINS1_18TensorListMetadataILi2EEENS1_14UnaryOpFunctorIN3c107complexIfEELi2ELi1ELi1EEEJNS0_4CoshIS8_EEEEEvT_T0_DpT1_,comdat
.Lfunc_end82:
	.size	_ZN2at6native12_GLOBAL__N_125multi_tensor_apply_kernelINS1_18TensorListMetadataILi2EEENS1_14UnaryOpFunctorIN3c107complexIfEELi2ELi1ELi1EEEJNS0_4CoshIS8_EEEEEvT_T0_DpT1_, .Lfunc_end82-_ZN2at6native12_GLOBAL__N_125multi_tensor_apply_kernelINS1_18TensorListMetadataILi2EEENS1_14UnaryOpFunctorIN3c107complexIfEELi2ELi1ELi1EEEJNS0_4CoshIS8_EEEEEvT_T0_DpT1_
                                        ; -- End function
	.set _ZN2at6native12_GLOBAL__N_125multi_tensor_apply_kernelINS1_18TensorListMetadataILi2EEENS1_14UnaryOpFunctorIN3c107complexIfEELi2ELi1ELi1EEEJNS0_4CoshIS8_EEEEEvT_T0_DpT1_.num_vgpr, max(35, .L_ZN6thrust23THRUST_200600_302600_NS6detail7complex6ccoshfERKNS0_7complexIfEE.num_vgpr)
	.set _ZN2at6native12_GLOBAL__N_125multi_tensor_apply_kernelINS1_18TensorListMetadataILi2EEENS1_14UnaryOpFunctorIN3c107complexIfEELi2ELi1ELi1EEEJNS0_4CoshIS8_EEEEEvT_T0_DpT1_.num_agpr, max(0, .L_ZN6thrust23THRUST_200600_302600_NS6detail7complex6ccoshfERKNS0_7complexIfEE.num_agpr)
	.set _ZN2at6native12_GLOBAL__N_125multi_tensor_apply_kernelINS1_18TensorListMetadataILi2EEENS1_14UnaryOpFunctorIN3c107complexIfEELi2ELi1ELi1EEEJNS0_4CoshIS8_EEEEEvT_T0_DpT1_.numbered_sgpr, max(52, .L_ZN6thrust23THRUST_200600_302600_NS6detail7complex6ccoshfERKNS0_7complexIfEE.numbered_sgpr)
	.set _ZN2at6native12_GLOBAL__N_125multi_tensor_apply_kernelINS1_18TensorListMetadataILi2EEENS1_14UnaryOpFunctorIN3c107complexIfEELi2ELi1ELi1EEEJNS0_4CoshIS8_EEEEEvT_T0_DpT1_.num_named_barrier, max(0, .L_ZN6thrust23THRUST_200600_302600_NS6detail7complex6ccoshfERKNS0_7complexIfEE.num_named_barrier)
	.set _ZN2at6native12_GLOBAL__N_125multi_tensor_apply_kernelINS1_18TensorListMetadataILi2EEENS1_14UnaryOpFunctorIN3c107complexIfEELi2ELi1ELi1EEEJNS0_4CoshIS8_EEEEEvT_T0_DpT1_.private_seg_size, 0+max(.L_ZN6thrust23THRUST_200600_302600_NS6detail7complex6ccoshfERKNS0_7complexIfEE.private_seg_size)
	.set _ZN2at6native12_GLOBAL__N_125multi_tensor_apply_kernelINS1_18TensorListMetadataILi2EEENS1_14UnaryOpFunctorIN3c107complexIfEELi2ELi1ELi1EEEJNS0_4CoshIS8_EEEEEvT_T0_DpT1_.uses_vcc, or(1, .L_ZN6thrust23THRUST_200600_302600_NS6detail7complex6ccoshfERKNS0_7complexIfEE.uses_vcc)
	.set _ZN2at6native12_GLOBAL__N_125multi_tensor_apply_kernelINS1_18TensorListMetadataILi2EEENS1_14UnaryOpFunctorIN3c107complexIfEELi2ELi1ELi1EEEJNS0_4CoshIS8_EEEEEvT_T0_DpT1_.uses_flat_scratch, or(0, .L_ZN6thrust23THRUST_200600_302600_NS6detail7complex6ccoshfERKNS0_7complexIfEE.uses_flat_scratch)
	.set _ZN2at6native12_GLOBAL__N_125multi_tensor_apply_kernelINS1_18TensorListMetadataILi2EEENS1_14UnaryOpFunctorIN3c107complexIfEELi2ELi1ELi1EEEJNS0_4CoshIS8_EEEEEvT_T0_DpT1_.has_dyn_sized_stack, or(0, .L_ZN6thrust23THRUST_200600_302600_NS6detail7complex6ccoshfERKNS0_7complexIfEE.has_dyn_sized_stack)
	.set _ZN2at6native12_GLOBAL__N_125multi_tensor_apply_kernelINS1_18TensorListMetadataILi2EEENS1_14UnaryOpFunctorIN3c107complexIfEELi2ELi1ELi1EEEJNS0_4CoshIS8_EEEEEvT_T0_DpT1_.has_recursion, or(0, .L_ZN6thrust23THRUST_200600_302600_NS6detail7complex6ccoshfERKNS0_7complexIfEE.has_recursion)
	.set _ZN2at6native12_GLOBAL__N_125multi_tensor_apply_kernelINS1_18TensorListMetadataILi2EEENS1_14UnaryOpFunctorIN3c107complexIfEELi2ELi1ELi1EEEJNS0_4CoshIS8_EEEEEvT_T0_DpT1_.has_indirect_call, or(0, .L_ZN6thrust23THRUST_200600_302600_NS6detail7complex6ccoshfERKNS0_7complexIfEE.has_indirect_call)
	.section	.AMDGPU.csdata,"",@progbits
; Kernel info:
; codeLenInByte = 1316
; TotalNumSgprs: 56
; NumVgprs: 35
; ScratchSize: 0
; MemoryBound: 0
; FloatMode: 240
; IeeeMode: 1
; LDSByteSize: 0 bytes/workgroup (compile time only)
; SGPRBlocks: 6
; VGPRBlocks: 8
; NumSGPRsForWavesPerEU: 56
; NumVGPRsForWavesPerEU: 35
; Occupancy: 7
; WaveLimiterHint : 0
; COMPUTE_PGM_RSRC2:SCRATCH_EN: 0
; COMPUTE_PGM_RSRC2:USER_SGPR: 6
; COMPUTE_PGM_RSRC2:TRAP_HANDLER: 0
; COMPUTE_PGM_RSRC2:TGID_X_EN: 1
; COMPUTE_PGM_RSRC2:TGID_Y_EN: 0
; COMPUTE_PGM_RSRC2:TGID_Z_EN: 0
; COMPUTE_PGM_RSRC2:TIDIG_COMP_CNT: 0
	.section	.text._ZN2at6native12_GLOBAL__N_125multi_tensor_apply_kernelINS1_18TensorListMetadataILi2EEENS1_14UnaryOpFunctorIN3c104HalfELi2ELi1ELi1EEEJNS0_4CoshIfEEEEEvT_T0_DpT1_,"axG",@progbits,_ZN2at6native12_GLOBAL__N_125multi_tensor_apply_kernelINS1_18TensorListMetadataILi2EEENS1_14UnaryOpFunctorIN3c104HalfELi2ELi1ELi1EEEJNS0_4CoshIfEEEEEvT_T0_DpT1_,comdat
	.globl	_ZN2at6native12_GLOBAL__N_125multi_tensor_apply_kernelINS1_18TensorListMetadataILi2EEENS1_14UnaryOpFunctorIN3c104HalfELi2ELi1ELi1EEEJNS0_4CoshIfEEEEEvT_T0_DpT1_ ; -- Begin function _ZN2at6native12_GLOBAL__N_125multi_tensor_apply_kernelINS1_18TensorListMetadataILi2EEENS1_14UnaryOpFunctorIN3c104HalfELi2ELi1ELi1EEEJNS0_4CoshIfEEEEEvT_T0_DpT1_
	.p2align	8
	.type	_ZN2at6native12_GLOBAL__N_125multi_tensor_apply_kernelINS1_18TensorListMetadataILi2EEENS1_14UnaryOpFunctorIN3c104HalfELi2ELi1ELi1EEEJNS0_4CoshIfEEEEEvT_T0_DpT1_,@function
_ZN2at6native12_GLOBAL__N_125multi_tensor_apply_kernelINS1_18TensorListMetadataILi2EEENS1_14UnaryOpFunctorIN3c104HalfELi2ELi1ELi1EEEJNS0_4CoshIfEEEEEvT_T0_DpT1_: ; @_ZN2at6native12_GLOBAL__N_125multi_tensor_apply_kernelINS1_18TensorListMetadataILi2EEENS1_14UnaryOpFunctorIN3c104HalfELi2ELi1ELi1EEEJNS0_4CoshIfEEEEEvT_T0_DpT1_
; %bb.0:
	v_mov_b32_e32 v1, s6
	global_load_ubyte v1, v1, s[4:5] offset:1536
	s_add_u32 s0, s4, s6
	s_mul_hi_u32 s1, s6, 3
	s_mul_i32 s6, s6, 3
	s_addc_u32 s2, s5, 0
	s_add_u32 s0, s0, s6
	s_addc_u32 s1, s2, s1
	s_load_dword s6, s[0:1], 0x740
	s_mov_b32 s11, 0
	s_mov_b32 s13, s11
	s_waitcnt vmcnt(0)
	v_readfirstlane_b32 s0, v1
	s_lshl_b32 s7, s0, 3
	s_load_dwordx2 s[14:15], s[4:5], s7 offset:0x400
	s_load_dwordx2 s[2:3], s[4:5], s7 offset:0x0
	;; [unrolled: 1-line block ×3, first 2 shown]
	s_waitcnt lgkmcnt(0)
	s_ashr_i32 s7, s6, 31
	s_lshl_b64 s[8:9], s[6:7], 17
	s_lshl_b64 s[6:7], s[6:7], 16
	s_add_u32 s10, s2, s8
	s_and_b32 s12, s0, 7
	s_and_b32 s10, s10, 7
	s_sub_u32 s6, s14, s6
	s_subb_u32 s7, s15, s7
	s_and_b32 s14, s14, 3
	s_mov_b32 s15, s11
	s_or_b64 s[12:13], s[12:13], s[14:15]
	s_or_b64 s[10:11], s[12:13], s[10:11]
	s_cmp_eq_u64 s[10:11], 0
	s_mov_b64 s[10:11], -1
	s_cbranch_scc0 .LBB83_5
; %bb.1:
	v_mov_b32_e32 v1, 0x10000
	v_mov_b32_e32 v2, 0
	v_cmp_lt_i64_e32 vcc, s[6:7], v[1:2]
	v_mov_b32_e32 v2, 0
	s_and_b64 s[10:11], vcc, exec
	s_cselect_b32 s11, s7, 0
	s_cselect_b32 s10, s6, 0x10000
	v_lshlrev_b32_e32 v1, 2, v0
	v_cmp_gt_i64_e32 vcc, s[10:11], v[1:2]
	s_and_saveexec_b64 s[12:13], vcc
	s_cbranch_execz .LBB83_4
; %bb.2:
	s_load_dword s14, s[4:5], 0xc5c
	v_mov_b32_e32 v1, v2
	v_lshlrev_b32_e32 v2, 3, v0
	v_mov_b32_e32 v3, s9
	v_add_co_u32_e32 v5, vcc, s8, v2
	s_waitcnt lgkmcnt(0)
	s_and_b32 s16, s14, 0xffff
	v_mov_b32_e32 v2, v1
	v_addc_co_u32_e32 v6, vcc, 0, v3, vcc
	s_lshl_b32 s17, s16, 3
	s_mov_b64 s[14:15], 0
	v_mov_b32_e32 v7, s3
	v_mov_b32_e32 v8, 0x3d2aadcc
	v_mov_b32_e32 v9, 0x3e2aaa47
	v_mov_b32_e32 v10, 0x3efffffc
	s_mov_b32 s18, 0x42b2d4fc
	v_mov_b32_e32 v11, 0x7f800000
	v_mov_b32_e32 v12, s1
	;; [unrolled: 1-line block ×3, first 2 shown]
.LBB83_3:                               ; =>This Inner Loop Header: Depth=1
	v_add_co_u32_e32 v3, vcc, s2, v5
	v_addc_co_u32_e32 v4, vcc, v7, v6, vcc
	global_load_dwordx2 v[3:4], v[3:4], off
	s_waitcnt vmcnt(0)
	v_cvt_f32_f16_e64 v13, |v3|
	v_cvt_f32_f16_sdwa v3, |v3| dst_sel:DWORD dst_unused:UNUSED_PAD src0_sel:WORD_1
	v_add_f32_e32 v14, 0xbf317218, v13
	v_sub_f32_e32 v15, v14, v13
	v_sub_f32_e32 v16, v15, v14
	v_add_f32_e32 v16, v16, v13
	v_add_f32_e32 v15, 0x3f317218, v15
	v_sub_f32_e32 v15, v16, v15
	v_add_f32_e32 v15, 0x3102e308, v15
	v_add_f32_e32 v16, v14, v15
	v_sub_f32_e32 v14, v14, v16
	v_add_f32_e32 v14, v15, v14
	v_mul_f32_e32 v15, 0x3fb8aa3b, v16
	v_rndne_f32_e32 v15, v15
	v_fmac_f32_e32 v16, 0xbf317200, v15
	v_add_f32_e32 v17, v14, v16
	v_sub_f32_e32 v16, v16, v17
	v_add_f32_e32 v14, v14, v16
	v_mul_f32_e32 v16, 0x35bfbc00, v15
	v_sub_f32_e32 v18, v17, v16
	v_sub_f32_e32 v17, v17, v18
	;; [unrolled: 1-line block ×3, first 2 shown]
	v_add_f32_e32 v14, v14, v16
	v_add_f32_e32 v16, v18, v14
	v_sub_f32_e32 v17, v18, v16
	v_add_f32_e32 v14, v14, v17
	v_mul_f32_e32 v17, 0x2ea39ef3, v15
	v_sub_f32_e32 v18, v16, v17
	v_sub_f32_e32 v16, v16, v18
	;; [unrolled: 1-line block ×3, first 2 shown]
	v_add_f32_e32 v14, v14, v16
	v_add_f32_e32 v16, v18, v14
	v_sub_f32_e32 v18, v18, v16
	v_mov_b32_e32 v17, 0x3c091de6
	v_add_f32_e32 v14, v14, v18
	v_mul_f32_e32 v19, v16, v16
	v_fmac_f32_e32 v17, 0x3ab42872, v16
	v_add_f32_e32 v18, v14, v14
	v_fma_f32 v20, v16, v16, -v19
	v_fma_f32 v17, v16, v17, v8
	v_fmac_f32_e32 v20, v16, v18
	v_fma_f32 v17, v16, v17, v9
	v_add_f32_e32 v18, v19, v20
	v_fma_f32 v17, v16, v17, v10
	v_sub_f32_e32 v19, v18, v19
	v_sub_f32_e32 v19, v20, v19
	v_mul_f32_e32 v20, v17, v18
	v_fma_f32 v18, v18, v17, -v20
	v_fmac_f32_e32 v18, v19, v17
	v_add_f32_e32 v17, v20, v18
	v_sub_f32_e32 v19, v17, v20
	v_sub_f32_e32 v18, v18, v19
	v_add_f32_e32 v19, v16, v17
	v_sub_f32_e32 v16, v19, v16
	v_sub_f32_e32 v16, v17, v16
	v_add_f32_e32 v14, v14, v18
	v_add_f32_e32 v14, v14, v16
	;; [unrolled: 1-line block ×3, first 2 shown]
	v_sub_f32_e32 v17, v16, v19
	v_sub_f32_e32 v14, v14, v17
	v_add_f32_e32 v17, 1.0, v16
	v_add_f32_e32 v18, -1.0, v17
	v_sub_f32_e32 v16, v16, v18
	v_cvt_i32_f32_e32 v15, v15
	v_add_f32_e32 v14, v14, v16
	v_add_f32_e32 v16, v17, v14
	v_sub_f32_e32 v17, v16, v17
	v_sub_f32_e32 v14, v14, v17
	v_ldexp_f32 v16, v16, v15
	v_ldexp_f32 v14, v14, v15
	v_rcp_f32_e32 v15, v16
	v_cmp_nlt_f32_e32 vcc, s18, v13
	v_mul_f32_e32 v17, v16, v15
	v_fma_f32 v18, v15, v16, -v17
	v_fmac_f32_e32 v18, v15, v14
	v_add_f32_e32 v19, v17, v18
	v_sub_f32_e32 v20, 1.0, v19
	v_sub_f32_e32 v21, 1.0, v20
	v_sub_f32_e32 v17, v19, v17
	v_sub_f32_e32 v21, v21, v19
	;; [unrolled: 1-line block ×3, first 2 shown]
	v_add_f32_e32 v17, v17, v21
	v_add_f32_e32 v18, v20, v17
	v_mul_f32_e32 v19, v15, v18
	v_mul_f32_e32 v21, v16, v19
	v_fma_f32 v22, v19, v16, -v21
	v_fmac_f32_e32 v22, v19, v14
	v_sub_f32_e32 v20, v20, v18
	v_add_f32_e32 v17, v17, v20
	v_add_f32_e32 v20, v21, v22
	v_sub_f32_e32 v23, v18, v20
	v_sub_f32_e32 v18, v18, v23
	v_sub_f32_e32 v21, v20, v21
	v_sub_f32_e32 v18, v18, v20
	v_add_f32_e32 v17, v17, v18
	v_sub_f32_e32 v18, v21, v22
	v_add_f32_e32 v17, v18, v17
	v_add_f32_e32 v17, v23, v17
	;; [unrolled: 1-line block ×3, first 2 shown]
	v_mul_f32_e32 v17, v15, v17
	v_sub_f32_e32 v15, v18, v15
	v_sub_f32_e32 v15, v19, v15
	v_add_f32_e32 v15, v15, v17
	v_add_f32_e32 v17, v18, v15
	v_sub_f32_e32 v18, v17, v18
	v_ldexp_f32 v17, v17, -2
	v_sub_f32_e32 v15, v15, v18
	v_add_f32_e32 v18, v16, v17
	v_ldexp_f32 v15, v15, -2
	v_sub_f32_e32 v16, v18, v16
	v_sub_f32_e32 v16, v17, v16
	v_add_f32_e32 v14, v14, v15
	v_add_f32_e32 v14, v14, v16
	;; [unrolled: 1-line block ×3, first 2 shown]
	v_cndmask_b32_e32 v13, v11, v14, vcc
	v_add_f32_e32 v14, 0xbf317218, v3
	v_sub_f32_e32 v15, v14, v3
	v_sub_f32_e32 v16, v15, v14
	v_add_f32_e32 v16, v16, v3
	v_add_f32_e32 v15, 0x3f317218, v15
	v_sub_f32_e32 v15, v16, v15
	v_add_f32_e32 v15, 0x3102e308, v15
	v_add_f32_e32 v16, v14, v15
	v_sub_f32_e32 v14, v14, v16
	v_add_f32_e32 v15, v15, v14
	v_mul_f32_e32 v14, 0x3fb8aa3b, v16
	v_rndne_f32_e32 v14, v14
	v_fmac_f32_e32 v16, 0xbf317200, v14
	v_add_f32_e32 v17, v15, v16
	v_sub_f32_e32 v16, v16, v17
	v_add_f32_e32 v15, v15, v16
	v_mul_f32_e32 v16, 0x35bfbc00, v14
	v_sub_f32_e32 v18, v17, v16
	v_sub_f32_e32 v17, v17, v18
	;; [unrolled: 1-line block ×3, first 2 shown]
	v_add_f32_e32 v15, v15, v16
	v_add_f32_e32 v17, v18, v15
	v_sub_f32_e32 v16, v18, v17
	v_mul_f32_e32 v18, 0x2ea39ef3, v14
	v_add_f32_e32 v15, v15, v16
	v_sub_f32_e32 v16, v17, v18
	v_sub_f32_e32 v17, v17, v16
	;; [unrolled: 1-line block ×3, first 2 shown]
	v_add_f32_e32 v17, v15, v17
	v_add_f32_e32 v15, v16, v17
	v_sub_f32_e32 v16, v16, v15
	v_mov_b32_e32 v18, 0x3c091de6
	v_add_f32_e32 v16, v17, v16
	v_mul_f32_e32 v19, v15, v15
	v_fmac_f32_e32 v18, 0x3ab42872, v15
	v_add_f32_e32 v17, v16, v16
	v_fma_f32 v20, v15, v15, -v19
	v_fma_f32 v18, v15, v18, v8
	v_fmac_f32_e32 v20, v15, v17
	v_fma_f32 v18, v15, v18, v9
	v_add_f32_e32 v17, v19, v20
	v_fma_f32 v18, v15, v18, v10
	v_sub_f32_e32 v19, v17, v19
	v_sub_f32_e32 v19, v20, v19
	v_mul_f32_e32 v20, v18, v17
	v_fma_f32 v17, v17, v18, -v20
	v_fmac_f32_e32 v17, v19, v18
	v_add_f32_e32 v18, v20, v17
	v_sub_f32_e32 v19, v18, v20
	v_sub_f32_e32 v17, v17, v19
	v_add_f32_e32 v19, v15, v18
	v_sub_f32_e32 v15, v19, v15
	v_sub_f32_e32 v15, v18, v15
	v_add_f32_e32 v16, v16, v17
	v_add_f32_e32 v15, v16, v15
	;; [unrolled: 1-line block ×3, first 2 shown]
	v_sub_f32_e32 v17, v16, v19
	v_sub_f32_e32 v15, v15, v17
	v_add_f32_e32 v17, 1.0, v16
	v_add_f32_e32 v18, -1.0, v17
	v_sub_f32_e32 v16, v16, v18
	v_cvt_i32_f32_e32 v14, v14
	v_add_f32_e32 v15, v15, v16
	v_add_f32_e32 v16, v17, v15
	v_sub_f32_e32 v17, v16, v17
	v_sub_f32_e32 v15, v15, v17
	v_ldexp_f32 v16, v16, v14
	v_ldexp_f32 v14, v15, v14
	v_rcp_f32_e32 v15, v16
	v_cmp_nlt_f32_e32 vcc, s18, v3
	v_cvt_f16_f32_e32 v13, v13
	v_mul_f32_e32 v17, v16, v15
	v_fma_f32 v18, v15, v16, -v17
	v_fmac_f32_e32 v18, v15, v14
	v_add_f32_e32 v19, v17, v18
	v_sub_f32_e32 v20, 1.0, v19
	v_sub_f32_e32 v21, 1.0, v20
	v_sub_f32_e32 v17, v19, v17
	v_sub_f32_e32 v21, v21, v19
	;; [unrolled: 1-line block ×3, first 2 shown]
	v_add_f32_e32 v17, v17, v21
	v_add_f32_e32 v18, v20, v17
	v_mul_f32_e32 v19, v15, v18
	v_mul_f32_e32 v21, v16, v19
	v_fma_f32 v22, v19, v16, -v21
	v_fmac_f32_e32 v22, v19, v14
	v_sub_f32_e32 v20, v20, v18
	v_add_f32_e32 v17, v17, v20
	v_add_f32_e32 v20, v21, v22
	v_sub_f32_e32 v23, v18, v20
	v_sub_f32_e32 v18, v18, v23
	;; [unrolled: 1-line block ×4, first 2 shown]
	v_add_f32_e32 v17, v17, v18
	v_sub_f32_e32 v18, v21, v22
	v_add_f32_e32 v17, v18, v17
	v_add_f32_e32 v17, v23, v17
	v_add_f32_e32 v18, v15, v19
	v_mul_f32_e32 v17, v15, v17
	v_sub_f32_e32 v15, v18, v15
	v_sub_f32_e32 v15, v19, v15
	v_add_f32_e32 v15, v15, v17
	v_add_f32_e32 v17, v18, v15
	v_sub_f32_e32 v18, v17, v18
	v_ldexp_f32 v17, v17, -2
	v_sub_f32_e32 v15, v15, v18
	v_add_f32_e32 v18, v16, v17
	v_ldexp_f32 v15, v15, -2
	v_sub_f32_e32 v16, v18, v16
	v_sub_f32_e32 v16, v17, v16
	v_add_f32_e32 v14, v14, v15
	v_add_f32_e32 v14, v14, v16
	;; [unrolled: 1-line block ×3, first 2 shown]
	v_cndmask_b32_e32 v3, v11, v14, vcc
	v_cvt_f32_f16_e64 v14, |v4|
	v_cvt_f32_f16_sdwa v4, |v4| dst_sel:DWORD dst_unused:UNUSED_PAD src0_sel:WORD_1
	v_cvt_f16_f32_e32 v3, v3
	v_add_f32_e32 v15, 0xbf317218, v14
	v_sub_f32_e32 v16, v15, v14
	v_sub_f32_e32 v17, v16, v15
	v_add_f32_e32 v17, v17, v14
	v_add_f32_e32 v16, 0x3f317218, v16
	v_sub_f32_e32 v16, v17, v16
	v_add_f32_e32 v16, 0x3102e308, v16
	v_add_f32_e32 v17, v15, v16
	v_sub_f32_e32 v15, v15, v17
	v_add_f32_e32 v15, v16, v15
	v_mul_f32_e32 v16, 0x3fb8aa3b, v17
	v_rndne_f32_e32 v16, v16
	v_fmac_f32_e32 v17, 0xbf317200, v16
	v_add_f32_e32 v18, v15, v17
	v_sub_f32_e32 v17, v17, v18
	v_add_f32_e32 v15, v15, v17
	v_mul_f32_e32 v17, 0x35bfbc00, v16
	v_sub_f32_e32 v19, v18, v17
	v_sub_f32_e32 v18, v18, v19
	v_sub_f32_e32 v17, v18, v17
	v_add_f32_e32 v15, v15, v17
	v_add_f32_e32 v17, v19, v15
	v_sub_f32_e32 v18, v19, v17
	v_add_f32_e32 v15, v15, v18
	v_mul_f32_e32 v18, 0x2ea39ef3, v16
	v_sub_f32_e32 v19, v17, v18
	v_sub_f32_e32 v17, v17, v19
	;; [unrolled: 1-line block ×3, first 2 shown]
	v_add_f32_e32 v15, v15, v17
	v_add_f32_e32 v17, v19, v15
	v_sub_f32_e32 v19, v19, v17
	v_mov_b32_e32 v18, 0x3c091de6
	v_add_f32_e32 v15, v15, v19
	v_mul_f32_e32 v20, v17, v17
	v_fmac_f32_e32 v18, 0x3ab42872, v17
	v_add_f32_e32 v19, v15, v15
	v_fma_f32 v21, v17, v17, -v20
	v_fma_f32 v18, v17, v18, v8
	v_fmac_f32_e32 v21, v17, v19
	v_fma_f32 v18, v17, v18, v9
	v_add_f32_e32 v19, v20, v21
	v_fma_f32 v18, v17, v18, v10
	v_sub_f32_e32 v20, v19, v20
	v_sub_f32_e32 v20, v21, v20
	v_mul_f32_e32 v21, v18, v19
	v_fma_f32 v19, v19, v18, -v21
	v_fmac_f32_e32 v19, v20, v18
	v_add_f32_e32 v18, v21, v19
	v_sub_f32_e32 v20, v18, v21
	v_sub_f32_e32 v19, v19, v20
	v_add_f32_e32 v20, v17, v18
	v_sub_f32_e32 v17, v20, v17
	v_sub_f32_e32 v17, v18, v17
	v_add_f32_e32 v15, v15, v19
	v_add_f32_e32 v15, v15, v17
	;; [unrolled: 1-line block ×3, first 2 shown]
	v_sub_f32_e32 v18, v17, v20
	v_sub_f32_e32 v15, v15, v18
	v_add_f32_e32 v18, 1.0, v17
	v_add_f32_e32 v19, -1.0, v18
	v_sub_f32_e32 v17, v17, v19
	v_cvt_i32_f32_e32 v16, v16
	v_add_f32_e32 v15, v15, v17
	v_add_f32_e32 v17, v18, v15
	v_sub_f32_e32 v18, v17, v18
	v_sub_f32_e32 v15, v15, v18
	v_ldexp_f32 v17, v17, v16
	v_ldexp_f32 v15, v15, v16
	v_rcp_f32_e32 v16, v17
	v_cmp_nlt_f32_e32 vcc, s18, v14
	v_pack_b32_f16 v3, v13, v3
	v_mul_f32_e32 v18, v17, v16
	v_fma_f32 v19, v16, v17, -v18
	v_fmac_f32_e32 v19, v16, v15
	v_add_f32_e32 v20, v18, v19
	v_sub_f32_e32 v21, 1.0, v20
	v_sub_f32_e32 v22, 1.0, v21
	v_sub_f32_e32 v18, v20, v18
	v_sub_f32_e32 v22, v22, v20
	;; [unrolled: 1-line block ×3, first 2 shown]
	v_add_f32_e32 v18, v18, v22
	v_add_f32_e32 v19, v21, v18
	v_mul_f32_e32 v20, v16, v19
	v_mul_f32_e32 v22, v17, v20
	v_fma_f32 v23, v20, v17, -v22
	v_fmac_f32_e32 v23, v20, v15
	v_sub_f32_e32 v21, v21, v19
	v_add_f32_e32 v18, v18, v21
	v_add_f32_e32 v21, v22, v23
	v_sub_f32_e32 v24, v19, v21
	v_sub_f32_e32 v19, v19, v24
	;; [unrolled: 1-line block ×4, first 2 shown]
	v_add_f32_e32 v18, v18, v19
	v_sub_f32_e32 v19, v22, v23
	v_add_f32_e32 v18, v19, v18
	v_add_f32_e32 v18, v24, v18
	;; [unrolled: 1-line block ×3, first 2 shown]
	v_mul_f32_e32 v18, v16, v18
	v_sub_f32_e32 v16, v19, v16
	v_sub_f32_e32 v16, v20, v16
	v_add_f32_e32 v16, v16, v18
	v_add_f32_e32 v18, v19, v16
	v_sub_f32_e32 v19, v18, v19
	v_ldexp_f32 v18, v18, -2
	v_sub_f32_e32 v16, v16, v19
	v_add_f32_e32 v19, v17, v18
	v_ldexp_f32 v16, v16, -2
	v_sub_f32_e32 v17, v19, v17
	v_sub_f32_e32 v17, v18, v17
	v_add_f32_e32 v15, v15, v16
	v_add_f32_e32 v15, v15, v17
	v_add_f32_e32 v15, v19, v15
	v_cndmask_b32_e32 v14, v11, v15, vcc
	v_add_f32_e32 v15, 0xbf317218, v4
	v_sub_f32_e32 v16, v15, v4
	v_sub_f32_e32 v17, v16, v15
	v_add_f32_e32 v17, v17, v4
	v_add_f32_e32 v16, 0x3f317218, v16
	v_sub_f32_e32 v16, v17, v16
	v_add_f32_e32 v16, 0x3102e308, v16
	v_add_f32_e32 v17, v15, v16
	v_sub_f32_e32 v15, v15, v17
	v_add_f32_e32 v16, v16, v15
	v_mul_f32_e32 v15, 0x3fb8aa3b, v17
	v_rndne_f32_e32 v15, v15
	v_fmac_f32_e32 v17, 0xbf317200, v15
	v_add_f32_e32 v18, v16, v17
	v_sub_f32_e32 v17, v17, v18
	v_add_f32_e32 v16, v16, v17
	v_mul_f32_e32 v17, 0x35bfbc00, v15
	v_sub_f32_e32 v19, v18, v17
	v_sub_f32_e32 v18, v18, v19
	;; [unrolled: 1-line block ×3, first 2 shown]
	v_add_f32_e32 v16, v16, v17
	v_add_f32_e32 v17, v19, v16
	v_sub_f32_e32 v18, v19, v17
	v_add_f32_e32 v16, v16, v18
	v_mul_f32_e32 v18, 0x2ea39ef3, v15
	v_sub_f32_e32 v19, v17, v18
	v_sub_f32_e32 v17, v17, v19
	;; [unrolled: 1-line block ×3, first 2 shown]
	v_add_f32_e32 v16, v16, v17
	v_add_f32_e32 v17, v19, v16
	v_sub_f32_e32 v19, v19, v17
	v_mov_b32_e32 v18, 0x3c091de6
	v_add_f32_e32 v16, v16, v19
	v_mul_f32_e32 v20, v17, v17
	v_fmac_f32_e32 v18, 0x3ab42872, v17
	v_add_f32_e32 v19, v16, v16
	v_fma_f32 v21, v17, v17, -v20
	v_fma_f32 v18, v17, v18, v8
	v_fmac_f32_e32 v21, v17, v19
	v_fma_f32 v18, v17, v18, v9
	v_add_f32_e32 v19, v20, v21
	v_fma_f32 v18, v17, v18, v10
	v_sub_f32_e32 v20, v19, v20
	v_sub_f32_e32 v20, v21, v20
	v_mul_f32_e32 v21, v18, v19
	v_fma_f32 v19, v19, v18, -v21
	v_fmac_f32_e32 v19, v20, v18
	v_add_f32_e32 v18, v21, v19
	v_sub_f32_e32 v20, v18, v21
	v_sub_f32_e32 v19, v19, v20
	v_add_f32_e32 v20, v17, v18
	v_sub_f32_e32 v17, v20, v17
	v_sub_f32_e32 v17, v18, v17
	v_add_f32_e32 v16, v16, v19
	v_add_f32_e32 v16, v16, v17
	;; [unrolled: 1-line block ×3, first 2 shown]
	v_sub_f32_e32 v18, v17, v20
	v_sub_f32_e32 v16, v16, v18
	v_add_f32_e32 v18, 1.0, v17
	v_add_f32_e32 v19, -1.0, v18
	v_sub_f32_e32 v17, v17, v19
	v_cvt_i32_f32_e32 v15, v15
	v_add_f32_e32 v17, v16, v17
	v_add_f32_e32 v16, v18, v17
	v_sub_f32_e32 v18, v16, v18
	v_sub_f32_e32 v17, v17, v18
	v_ldexp_f32 v16, v16, v15
	v_ldexp_f32 v15, v17, v15
	v_rcp_f32_e32 v17, v16
	v_cmp_nlt_f32_e32 vcc, s18, v4
	v_cvt_f16_f32_e32 v14, v14
	v_mul_f32_e32 v18, v16, v17
	v_fma_f32 v19, v17, v16, -v18
	v_fmac_f32_e32 v19, v17, v15
	v_add_f32_e32 v20, v18, v19
	v_sub_f32_e32 v21, 1.0, v20
	v_sub_f32_e32 v22, 1.0, v21
	v_sub_f32_e32 v18, v20, v18
	v_sub_f32_e32 v22, v22, v20
	;; [unrolled: 1-line block ×3, first 2 shown]
	v_add_f32_e32 v18, v18, v22
	v_add_f32_e32 v19, v21, v18
	v_mul_f32_e32 v20, v17, v19
	v_mul_f32_e32 v22, v16, v20
	v_fma_f32 v23, v20, v16, -v22
	v_fmac_f32_e32 v23, v20, v15
	v_sub_f32_e32 v21, v21, v19
	v_add_f32_e32 v18, v18, v21
	v_add_f32_e32 v21, v22, v23
	v_sub_f32_e32 v24, v19, v21
	v_sub_f32_e32 v19, v19, v24
	;; [unrolled: 1-line block ×4, first 2 shown]
	v_add_f32_e32 v18, v18, v19
	v_sub_f32_e32 v19, v22, v23
	v_add_f32_e32 v18, v19, v18
	v_add_f32_e32 v18, v24, v18
	;; [unrolled: 1-line block ×3, first 2 shown]
	v_mul_f32_e32 v18, v17, v18
	v_sub_f32_e32 v17, v19, v17
	v_sub_f32_e32 v17, v20, v17
	v_add_f32_e32 v17, v17, v18
	v_add_f32_e32 v18, v19, v17
	v_sub_f32_e32 v19, v18, v19
	v_ldexp_f32 v18, v18, -2
	v_sub_f32_e32 v17, v17, v19
	v_add_f32_e32 v19, v16, v18
	v_ldexp_f32 v17, v17, -2
	v_sub_f32_e32 v16, v19, v16
	v_sub_f32_e32 v16, v18, v16
	v_add_f32_e32 v15, v15, v17
	v_add_f32_e32 v15, v15, v16
	;; [unrolled: 1-line block ×3, first 2 shown]
	v_cndmask_b32_e32 v4, v11, v15, vcc
	v_cvt_f16_f32_e32 v4, v4
	v_add_co_u32_e32 v15, vcc, s0, v5
	v_addc_co_u32_e32 v16, vcc, v12, v6, vcc
	v_add_co_u32_e32 v1, vcc, s16, v1
	v_pack_b32_f16 v4, v14, v4
	v_addc_co_u32_e32 v2, vcc, 0, v2, vcc
	global_store_dwordx2 v[15:16], v[3:4], off
	v_lshlrev_b64 v[3:4], 2, v[1:2]
	v_add_co_u32_e32 v5, vcc, s17, v5
	v_addc_co_u32_e32 v6, vcc, 0, v6, vcc
	v_cmp_le_i64_e32 vcc, s[10:11], v[3:4]
	s_or_b64 s[14:15], vcc, s[14:15]
	s_andn2_b64 exec, exec, s[14:15]
	s_cbranch_execnz .LBB83_3
.LBB83_4:
	s_or_b64 exec, exec, s[12:13]
	s_mov_b64 s[10:11], 0
.LBB83_5:
	s_andn2_b64 vcc, exec, s[10:11]
	s_cbranch_vccnz .LBB83_25
; %bb.6:
	v_cmp_lt_i64_e64 s[10:11], s[6:7], 1
	s_and_b64 vcc, exec, s[10:11]
	s_cbranch_vccnz .LBB83_25
; %bb.7:
	v_mov_b32_e32 v1, 0x10000
	s_load_dword s12, s[4:5], 0xc5c
	v_mov_b32_e32 v2, 0
	v_cmp_lt_i64_e32 vcc, s[6:7], v[1:2]
	v_mov_b32_e32 v10, 0
	s_and_b64 s[4:5], vcc, exec
	v_cmp_lt_u64_e32 vcc, s[6:7], v[1:2]
	s_cselect_b32 s11, s7, 0
	s_cselect_b32 s10, s6, 0x10000
	s_waitcnt lgkmcnt(0)
	s_and_b32 s14, s12, 0xffff
	v_lshlrev_b32_e32 v9, 1, v0
	s_and_b64 s[4:5], vcc, exec
	v_mov_b32_e32 v2, s3
	v_add_co_u32_e32 v1, vcc, s2, v9
	v_mad_u64_u32 v[7:8], s[4:5], s14, 6, v[9:10]
	v_addc_co_u32_e32 v2, vcc, 0, v2, vcc
	v_mov_b32_e32 v4, s1
	v_add_co_u32_e32 v3, vcc, s0, v9
	v_addc_co_u32_e32 v4, vcc, 0, v4, vcc
	v_mov_b32_e32 v6, s3
	v_add_co_u32_e32 v5, vcc, s2, v7
	;; [unrolled: 3-line block ×3, first 2 shown]
	s_cselect_b32 s13, s7, 0
	s_cselect_b32 s12, s6, 0x10000
	s_lshl_b32 s18, s14, 2
	v_addc_co_u32_e32 v8, vcc, v10, v8, vcc
	v_add_co_u32_e32 v11, vcc, s18, v9
	v_addc_co_u32_e64 v12, s[4:5], 0, 0, vcc
	v_mov_b32_e32 v10, s3
	v_add_co_u32_e32 v9, vcc, s2, v11
	v_addc_co_u32_e32 v10, vcc, v10, v12, vcc
	v_mov_b32_e32 v13, s1
	v_add_co_u32_e32 v11, vcc, s0, v11
	v_addc_co_u32_e32 v12, vcc, v13, v12, vcc
	v_add_co_u32_e32 v13, vcc, s14, v0
	v_lshlrev_b32_e32 v17, 1, v13
	v_addc_co_u32_e64 v14, s[4:5], 0, 0, vcc
	v_mov_b32_e32 v16, s3
	v_add_co_u32_e32 v15, vcc, s2, v17
	v_addc_co_u32_e32 v16, vcc, 0, v16, vcc
	v_mov_b32_e32 v18, s1
	v_add_co_u32_e32 v17, vcc, s0, v17
	s_mul_i32 s7, s14, 3
	v_addc_co_u32_e32 v18, vcc, 0, v18, vcc
	s_lshl_b32 s6, s14, 1
	v_add_co_u32_e32 v19, vcc, s7, v0
	v_addc_co_u32_e64 v20, s[0:1], 0, 0, vcc
	v_add_co_u32_e32 v21, vcc, s6, v0
	s_lshl_b32 s19, s14, 3
	s_mov_b64 s[14:15], 0
	s_mov_b32 s20, 0x42b2d4fc
	v_addc_co_u32_e64 v22, s[0:1], 0, 0, vcc
	v_mov_b32_e32 v23, 0x3d2aadcc
	v_mov_b32_e32 v24, 0x3e2aaa47
	;; [unrolled: 1-line block ×4, first 2 shown]
	s_branch .LBB83_9
.LBB83_8:                               ;   in Loop: Header=BB83_9 Depth=1
	s_or_b64 exec, exec, s[0:1]
	v_add_co_u32_e32 v1, vcc, s19, v1
	v_addc_co_u32_e32 v2, vcc, 0, v2, vcc
	v_add_co_u32_e32 v3, vcc, s19, v3
	v_addc_co_u32_e32 v4, vcc, 0, v4, vcc
	;; [unrolled: 2-line block ×6, first 2 shown]
	s_add_u32 s14, s14, s18
	v_add_co_u32_e32 v15, vcc, s19, v15
	v_mov_b32_e32 v28, s11
	s_addc_u32 s15, s15, 0
	v_addc_co_u32_e32 v16, vcc, 0, v16, vcc
	v_mov_b32_e32 v27, s10
	v_cmp_ge_i64_e32 vcc, s[14:15], v[27:28]
	v_add_co_u32_e64 v17, s[0:1], s19, v17
	v_addc_co_u32_e64 v18, s[0:1], 0, v18, s[0:1]
	s_cbranch_vccnz .LBB83_25
.LBB83_9:                               ; =>This Inner Loop Header: Depth=1
	v_mov_b32_e32 v28, s15
	v_add_co_u32_e32 v27, vcc, s14, v0
	v_addc_co_u32_e32 v28, vcc, 0, v28, vcc
	v_cmp_gt_u64_e64 s[4:5], s[12:13], v[27:28]
	v_mov_b32_e32 v30, 0
	s_and_saveexec_b64 s[0:1], s[4:5]
	s_cbranch_execz .LBB83_11
; %bb.10:                               ;   in Loop: Header=BB83_9 Depth=1
	v_mov_b32_e32 v28, s9
	v_add_co_u32_e32 v27, vcc, s8, v1
	v_addc_co_u32_e32 v28, vcc, v2, v28, vcc
	global_load_ushort v27, v[27:28], off
	s_waitcnt vmcnt(0)
	v_cvt_f32_f16_e64 v30, |v27|
.LBB83_11:                              ;   in Loop: Header=BB83_9 Depth=1
	s_or_b64 exec, exec, s[0:1]
	v_mov_b32_e32 v28, s15
	v_add_co_u32_e32 v27, vcc, s14, v13
	v_addc_co_u32_e32 v28, vcc, v14, v28, vcc
	v_cmp_gt_u64_e64 s[2:3], s[12:13], v[27:28]
	v_mov_b32_e32 v28, 0
	v_mov_b32_e32 v29, 0
	s_and_saveexec_b64 s[0:1], s[2:3]
	s_cbranch_execz .LBB83_13
; %bb.12:                               ;   in Loop: Header=BB83_9 Depth=1
	v_mov_b32_e32 v27, s9
	v_add_co_u32_e32 v31, vcc, s8, v15
	v_addc_co_u32_e32 v32, vcc, v16, v27, vcc
	global_load_ushort v27, v[31:32], off
	s_waitcnt vmcnt(0)
	v_cvt_f32_f16_e64 v29, |v27|
.LBB83_13:                              ;   in Loop: Header=BB83_9 Depth=1
	s_or_b64 exec, exec, s[0:1]
	v_mov_b32_e32 v27, s15
	v_add_co_u32_e32 v31, vcc, s14, v21
	v_addc_co_u32_e32 v32, vcc, v22, v27, vcc
	v_cmp_gt_u64_e64 s[0:1], s[12:13], v[31:32]
	s_and_saveexec_b64 s[6:7], s[0:1]
	s_cbranch_execz .LBB83_15
; %bb.14:                               ;   in Loop: Header=BB83_9 Depth=1
	v_mov_b32_e32 v28, s9
	v_add_co_u32_e32 v27, vcc, s8, v9
	v_addc_co_u32_e32 v28, vcc, v10, v28, vcc
	global_load_ushort v27, v[27:28], off
	s_waitcnt vmcnt(0)
	v_cvt_f32_f16_e64 v28, |v27|
.LBB83_15:                              ;   in Loop: Header=BB83_9 Depth=1
	s_or_b64 exec, exec, s[6:7]
	v_mov_b32_e32 v27, s15
	v_add_co_u32_e32 v31, vcc, s14, v19
	v_addc_co_u32_e32 v32, vcc, v20, v27, vcc
	v_cmp_gt_u64_e32 vcc, s[12:13], v[31:32]
	v_mov_b32_e32 v27, 0
	s_and_saveexec_b64 s[16:17], vcc
	s_cbranch_execnz .LBB83_20
; %bb.16:                               ;   in Loop: Header=BB83_9 Depth=1
	s_or_b64 exec, exec, s[16:17]
	s_and_saveexec_b64 s[6:7], s[4:5]
	s_cbranch_execnz .LBB83_21
.LBB83_17:                              ;   in Loop: Header=BB83_9 Depth=1
	s_or_b64 exec, exec, s[6:7]
	s_and_saveexec_b64 s[4:5], s[2:3]
	s_cbranch_execnz .LBB83_22
.LBB83_18:                              ;   in Loop: Header=BB83_9 Depth=1
	s_or_b64 exec, exec, s[4:5]
	s_and_saveexec_b64 s[2:3], s[0:1]
	s_cbranch_execnz .LBB83_23
.LBB83_19:                              ;   in Loop: Header=BB83_9 Depth=1
	s_or_b64 exec, exec, s[2:3]
	s_and_saveexec_b64 s[0:1], vcc
	s_cbranch_execz .LBB83_8
	s_branch .LBB83_24
.LBB83_20:                              ;   in Loop: Header=BB83_9 Depth=1
	v_mov_b32_e32 v27, s9
	v_add_co_u32_e64 v31, s[6:7], s8, v5
	v_addc_co_u32_e64 v32, s[6:7], v6, v27, s[6:7]
	global_load_ushort v27, v[31:32], off
	s_waitcnt vmcnt(0)
	v_cvt_f32_f16_e64 v27, |v27|
	s_or_b64 exec, exec, s[16:17]
	s_and_saveexec_b64 s[6:7], s[4:5]
	s_cbranch_execz .LBB83_17
.LBB83_21:                              ;   in Loop: Header=BB83_9 Depth=1
	v_add_f32_e32 v31, 0xbf317218, v30
	v_sub_f32_e32 v32, v31, v30
	v_sub_f32_e32 v33, v32, v31
	v_add_f32_e32 v33, v30, v33
	v_add_f32_e32 v32, 0x3f317218, v32
	v_sub_f32_e32 v32, v33, v32
	v_add_f32_e32 v32, 0x3102e308, v32
	v_add_f32_e32 v33, v31, v32
	v_sub_f32_e32 v31, v31, v33
	v_add_f32_e32 v31, v32, v31
	v_mul_f32_e32 v32, 0x3fb8aa3b, v33
	v_rndne_f32_e32 v32, v32
	v_fmac_f32_e32 v33, 0xbf317200, v32
	v_add_f32_e32 v34, v31, v33
	v_mul_f32_e32 v35, 0x35bfbc00, v32
	v_sub_f32_e32 v36, v34, v35
	v_sub_f32_e32 v33, v33, v34
	v_add_f32_e32 v31, v31, v33
	v_sub_f32_e32 v33, v34, v36
	v_sub_f32_e32 v33, v33, v35
	v_add_f32_e32 v31, v31, v33
	v_add_f32_e32 v33, v36, v31
	v_mul_f32_e32 v34, 0x2ea39ef3, v32
	v_sub_f32_e32 v35, v33, v34
	v_sub_f32_e32 v36, v36, v33
	;; [unrolled: 1-line block ×3, first 2 shown]
	v_add_f32_e32 v31, v31, v36
	v_sub_f32_e32 v33, v33, v34
	v_add_f32_e32 v31, v31, v33
	v_add_f32_e32 v33, v35, v31
	v_mov_b32_e32 v34, 0x3c091de6
	v_sub_f32_e32 v35, v35, v33
	v_fmac_f32_e32 v34, 0x3ab42872, v33
	v_mul_f32_e32 v36, v33, v33
	v_add_f32_e32 v31, v31, v35
	v_fma_f32 v34, v33, v34, v23
	v_add_f32_e32 v35, v31, v31
	v_fma_f32 v37, v33, v33, -v36
	v_fma_f32 v34, v33, v34, v24
	v_fmac_f32_e32 v37, v33, v35
	v_fma_f32 v34, v33, v34, v25
	v_add_f32_e32 v35, v36, v37
	v_mul_f32_e32 v38, v34, v35
	v_sub_f32_e32 v36, v35, v36
	v_sub_f32_e32 v36, v37, v36
	v_fma_f32 v35, v35, v34, -v38
	v_fmac_f32_e32 v35, v36, v34
	v_add_f32_e32 v34, v38, v35
	v_add_f32_e32 v36, v33, v34
	v_sub_f32_e32 v37, v34, v38
	v_sub_f32_e32 v35, v35, v37
	;; [unrolled: 1-line block ×3, first 2 shown]
	v_add_f32_e32 v31, v31, v35
	v_sub_f32_e32 v33, v34, v33
	v_add_f32_e32 v31, v31, v33
	v_add_f32_e32 v33, v36, v31
	v_add_f32_e32 v34, 1.0, v33
	v_sub_f32_e32 v35, v33, v36
	v_sub_f32_e32 v31, v31, v35
	v_add_f32_e32 v35, -1.0, v34
	v_cvt_i32_f32_e32 v32, v32
	v_sub_f32_e32 v33, v33, v35
	v_add_f32_e32 v31, v31, v33
	v_add_f32_e32 v33, v34, v31
	v_ldexp_f32 v35, v33, v32
	v_rcp_f32_e32 v36, v35
	v_sub_f32_e32 v33, v33, v34
	v_sub_f32_e32 v31, v31, v33
	v_ldexp_f32 v31, v31, v32
	v_mul_f32_e32 v37, v35, v36
	v_fma_f32 v32, v36, v35, -v37
	v_fmac_f32_e32 v32, v36, v31
	v_add_f32_e32 v33, v37, v32
	v_sub_f32_e32 v34, 1.0, v33
	v_sub_f32_e32 v37, v33, v37
	v_sub_f32_e32 v32, v37, v32
	v_sub_f32_e32 v37, 1.0, v34
	v_sub_f32_e32 v33, v37, v33
	v_add_f32_e32 v32, v32, v33
	v_add_f32_e32 v33, v34, v32
	v_mul_f32_e32 v37, v36, v33
	v_mul_f32_e32 v40, v35, v37
	v_add_f32_e32 v38, v36, v37
	v_fma_f32 v41, v37, v35, -v40
	v_sub_f32_e32 v39, v38, v36
	v_fmac_f32_e32 v41, v37, v31
	v_sub_f32_e32 v39, v37, v39
	v_add_f32_e32 v37, v40, v41
	v_sub_f32_e32 v42, v33, v37
	v_sub_f32_e32 v34, v34, v33
	;; [unrolled: 1-line block ×4, first 2 shown]
	v_add_f32_e32 v32, v32, v34
	v_sub_f32_e32 v33, v33, v37
	v_sub_f32_e32 v40, v40, v41
	v_add_f32_e32 v32, v32, v33
	v_add_f32_e32 v32, v40, v32
	;; [unrolled: 1-line block ×3, first 2 shown]
	v_mul_f32_e32 v32, v36, v32
	v_add_f32_e32 v32, v39, v32
	v_add_f32_e32 v33, v38, v32
	v_ldexp_f32 v34, v33, -2
	v_sub_f32_e32 v33, v33, v38
	v_sub_f32_e32 v32, v32, v33
	v_add_f32_e32 v36, v35, v34
	v_ldexp_f32 v32, v32, -2
	v_add_f32_e32 v31, v31, v32
	v_sub_f32_e32 v32, v36, v35
	v_sub_f32_e32 v32, v34, v32
	v_add_f32_e32 v31, v31, v32
	v_add_f32_e32 v31, v36, v31
	v_cmp_nlt_f32_e64 s[4:5], s20, v30
	v_cndmask_b32_e64 v30, v26, v31, s[4:5]
	v_cvt_f16_f32_e32 v32, v30
	v_mov_b32_e32 v31, s9
	v_add_co_u32_e64 v30, s[4:5], s8, v3
	v_addc_co_u32_e64 v31, s[4:5], v4, v31, s[4:5]
	global_store_short v[30:31], v32, off
	s_or_b64 exec, exec, s[6:7]
	s_and_saveexec_b64 s[4:5], s[2:3]
	s_cbranch_execz .LBB83_18
.LBB83_22:                              ;   in Loop: Header=BB83_9 Depth=1
	v_add_f32_e32 v30, 0xbf317218, v29
	v_sub_f32_e32 v31, v30, v29
	v_sub_f32_e32 v32, v31, v30
	v_add_f32_e32 v32, v29, v32
	v_add_f32_e32 v31, 0x3f317218, v31
	v_sub_f32_e32 v31, v32, v31
	v_add_f32_e32 v31, 0x3102e308, v31
	v_add_f32_e32 v32, v30, v31
	v_sub_f32_e32 v30, v30, v32
	v_add_f32_e32 v30, v31, v30
	v_mul_f32_e32 v31, 0x3fb8aa3b, v32
	v_rndne_f32_e32 v31, v31
	v_fmac_f32_e32 v32, 0xbf317200, v31
	v_add_f32_e32 v33, v30, v32
	v_sub_f32_e32 v32, v32, v33
	v_add_f32_e32 v30, v30, v32
	v_mul_f32_e32 v32, 0x35bfbc00, v31
	v_sub_f32_e32 v34, v33, v32
	v_sub_f32_e32 v33, v33, v34
	;; [unrolled: 1-line block ×3, first 2 shown]
	v_add_f32_e32 v30, v30, v32
	v_add_f32_e32 v32, v34, v30
	v_sub_f32_e32 v33, v34, v32
	v_add_f32_e32 v30, v30, v33
	v_mul_f32_e32 v33, 0x2ea39ef3, v31
	v_sub_f32_e32 v34, v32, v33
	v_sub_f32_e32 v32, v32, v34
	;; [unrolled: 1-line block ×3, first 2 shown]
	v_add_f32_e32 v30, v30, v32
	v_add_f32_e32 v32, v34, v30
	v_sub_f32_e32 v34, v34, v32
	v_mov_b32_e32 v33, 0x3c091de6
	v_add_f32_e32 v30, v30, v34
	v_mul_f32_e32 v35, v32, v32
	v_fmac_f32_e32 v33, 0x3ab42872, v32
	v_add_f32_e32 v34, v30, v30
	v_fma_f32 v36, v32, v32, -v35
	v_fma_f32 v33, v32, v33, v23
	v_fmac_f32_e32 v36, v32, v34
	v_fma_f32 v33, v32, v33, v24
	v_add_f32_e32 v34, v35, v36
	v_fma_f32 v33, v32, v33, v25
	v_sub_f32_e32 v35, v34, v35
	v_sub_f32_e32 v35, v36, v35
	v_mul_f32_e32 v36, v33, v34
	v_fma_f32 v34, v34, v33, -v36
	v_fmac_f32_e32 v34, v35, v33
	v_add_f32_e32 v33, v36, v34
	v_sub_f32_e32 v35, v33, v36
	v_sub_f32_e32 v34, v34, v35
	v_add_f32_e32 v35, v32, v33
	v_sub_f32_e32 v32, v35, v32
	v_sub_f32_e32 v32, v33, v32
	v_add_f32_e32 v30, v30, v34
	v_add_f32_e32 v30, v30, v32
	;; [unrolled: 1-line block ×3, first 2 shown]
	v_sub_f32_e32 v33, v32, v35
	v_sub_f32_e32 v30, v30, v33
	v_add_f32_e32 v33, 1.0, v32
	v_add_f32_e32 v34, -1.0, v33
	v_cvt_i32_f32_e32 v31, v31
	v_sub_f32_e32 v32, v32, v34
	v_add_f32_e32 v30, v30, v32
	v_add_f32_e32 v32, v33, v30
	v_ldexp_f32 v34, v32, v31
	v_rcp_f32_e32 v35, v34
	v_sub_f32_e32 v32, v32, v33
	v_sub_f32_e32 v30, v30, v32
	v_ldexp_f32 v30, v30, v31
	v_mul_f32_e32 v31, v34, v35
	v_fma_f32 v32, v35, v34, -v31
	v_fmac_f32_e32 v32, v35, v30
	v_add_f32_e32 v33, v31, v32
	v_sub_f32_e32 v36, 1.0, v33
	v_sub_f32_e32 v37, 1.0, v36
	v_sub_f32_e32 v31, v33, v31
	v_sub_f32_e32 v37, v37, v33
	;; [unrolled: 1-line block ×3, first 2 shown]
	v_add_f32_e32 v31, v31, v37
	v_add_f32_e32 v32, v36, v31
	v_mul_f32_e32 v33, v35, v32
	v_mul_f32_e32 v37, v34, v33
	v_fma_f32 v38, v33, v34, -v37
	v_fmac_f32_e32 v38, v33, v30
	v_sub_f32_e32 v36, v36, v32
	v_add_f32_e32 v31, v31, v36
	v_add_f32_e32 v36, v37, v38
	v_sub_f32_e32 v39, v32, v36
	v_sub_f32_e32 v32, v32, v39
	v_sub_f32_e32 v37, v36, v37
	v_sub_f32_e32 v32, v32, v36
	v_add_f32_e32 v31, v31, v32
	v_sub_f32_e32 v32, v37, v38
	v_add_f32_e32 v31, v32, v31
	v_add_f32_e32 v31, v39, v31
	;; [unrolled: 1-line block ×3, first 2 shown]
	v_mul_f32_e32 v31, v35, v31
	v_sub_f32_e32 v35, v32, v35
	v_sub_f32_e32 v33, v33, v35
	v_add_f32_e32 v31, v33, v31
	v_add_f32_e32 v33, v32, v31
	v_sub_f32_e32 v32, v33, v32
	v_sub_f32_e32 v31, v31, v32
	v_ldexp_f32 v32, v33, -2
	v_add_f32_e32 v33, v34, v32
	v_ldexp_f32 v31, v31, -2
	v_sub_f32_e32 v34, v33, v34
	v_sub_f32_e32 v32, v32, v34
	v_add_f32_e32 v30, v30, v31
	v_add_f32_e32 v30, v30, v32
	;; [unrolled: 1-line block ×3, first 2 shown]
	v_cmp_nlt_f32_e64 s[2:3], s20, v29
	v_cndmask_b32_e64 v29, v26, v30, s[2:3]
	v_cvt_f16_f32_e32 v31, v29
	v_mov_b32_e32 v30, s9
	v_add_co_u32_e64 v29, s[2:3], s8, v17
	v_addc_co_u32_e64 v30, s[2:3], v18, v30, s[2:3]
	global_store_short v[29:30], v31, off
	s_or_b64 exec, exec, s[4:5]
	s_and_saveexec_b64 s[2:3], s[0:1]
	s_cbranch_execz .LBB83_19
.LBB83_23:                              ;   in Loop: Header=BB83_9 Depth=1
	v_add_f32_e32 v29, 0xbf317218, v28
	v_sub_f32_e32 v30, v29, v28
	v_sub_f32_e32 v31, v30, v29
	v_add_f32_e32 v31, v28, v31
	v_add_f32_e32 v30, 0x3f317218, v30
	v_sub_f32_e32 v30, v31, v30
	v_add_f32_e32 v30, 0x3102e308, v30
	v_add_f32_e32 v31, v29, v30
	v_sub_f32_e32 v29, v29, v31
	v_add_f32_e32 v29, v30, v29
	v_mul_f32_e32 v30, 0x3fb8aa3b, v31
	v_rndne_f32_e32 v30, v30
	v_fmac_f32_e32 v31, 0xbf317200, v30
	v_add_f32_e32 v32, v29, v31
	v_sub_f32_e32 v31, v31, v32
	v_add_f32_e32 v29, v29, v31
	v_mul_f32_e32 v31, 0x35bfbc00, v30
	v_sub_f32_e32 v33, v32, v31
	v_sub_f32_e32 v32, v32, v33
	;; [unrolled: 1-line block ×3, first 2 shown]
	v_add_f32_e32 v29, v29, v31
	v_add_f32_e32 v31, v33, v29
	v_sub_f32_e32 v32, v33, v31
	v_add_f32_e32 v29, v29, v32
	v_mul_f32_e32 v32, 0x2ea39ef3, v30
	v_sub_f32_e32 v33, v31, v32
	v_sub_f32_e32 v31, v31, v33
	;; [unrolled: 1-line block ×3, first 2 shown]
	v_add_f32_e32 v29, v29, v31
	v_add_f32_e32 v31, v33, v29
	v_sub_f32_e32 v33, v33, v31
	v_mov_b32_e32 v32, 0x3c091de6
	v_add_f32_e32 v29, v29, v33
	v_mul_f32_e32 v34, v31, v31
	v_fmac_f32_e32 v32, 0x3ab42872, v31
	v_add_f32_e32 v33, v29, v29
	v_fma_f32 v35, v31, v31, -v34
	v_fma_f32 v32, v31, v32, v23
	v_fmac_f32_e32 v35, v31, v33
	v_fma_f32 v32, v31, v32, v24
	v_add_f32_e32 v33, v34, v35
	v_fma_f32 v32, v31, v32, v25
	v_sub_f32_e32 v34, v33, v34
	v_sub_f32_e32 v34, v35, v34
	v_mul_f32_e32 v35, v32, v33
	v_fma_f32 v33, v33, v32, -v35
	v_fmac_f32_e32 v33, v34, v32
	v_add_f32_e32 v32, v35, v33
	v_sub_f32_e32 v34, v32, v35
	v_sub_f32_e32 v33, v33, v34
	v_add_f32_e32 v34, v31, v32
	v_sub_f32_e32 v31, v34, v31
	v_sub_f32_e32 v31, v32, v31
	v_add_f32_e32 v29, v29, v33
	v_add_f32_e32 v29, v29, v31
	;; [unrolled: 1-line block ×3, first 2 shown]
	v_sub_f32_e32 v32, v31, v34
	v_sub_f32_e32 v29, v29, v32
	v_add_f32_e32 v32, 1.0, v31
	v_add_f32_e32 v33, -1.0, v32
	v_cvt_i32_f32_e32 v30, v30
	v_sub_f32_e32 v31, v31, v33
	v_add_f32_e32 v29, v29, v31
	v_add_f32_e32 v31, v32, v29
	v_ldexp_f32 v33, v31, v30
	v_rcp_f32_e32 v34, v33
	v_sub_f32_e32 v31, v31, v32
	v_sub_f32_e32 v29, v29, v31
	v_ldexp_f32 v29, v29, v30
	v_mul_f32_e32 v30, v33, v34
	v_fma_f32 v31, v34, v33, -v30
	v_fmac_f32_e32 v31, v34, v29
	v_add_f32_e32 v32, v30, v31
	v_sub_f32_e32 v35, 1.0, v32
	v_sub_f32_e32 v36, 1.0, v35
	v_sub_f32_e32 v30, v32, v30
	v_sub_f32_e32 v36, v36, v32
	;; [unrolled: 1-line block ×3, first 2 shown]
	v_add_f32_e32 v30, v30, v36
	v_add_f32_e32 v31, v35, v30
	v_mul_f32_e32 v32, v34, v31
	v_mul_f32_e32 v36, v33, v32
	v_fma_f32 v37, v32, v33, -v36
	v_fmac_f32_e32 v37, v32, v29
	v_sub_f32_e32 v35, v35, v31
	v_add_f32_e32 v30, v30, v35
	v_add_f32_e32 v35, v36, v37
	v_sub_f32_e32 v38, v31, v35
	v_sub_f32_e32 v31, v31, v38
	;; [unrolled: 1-line block ×4, first 2 shown]
	v_add_f32_e32 v30, v30, v31
	v_sub_f32_e32 v31, v36, v37
	v_add_f32_e32 v30, v31, v30
	v_add_f32_e32 v30, v38, v30
	;; [unrolled: 1-line block ×3, first 2 shown]
	v_mul_f32_e32 v30, v34, v30
	v_sub_f32_e32 v34, v31, v34
	v_sub_f32_e32 v32, v32, v34
	v_add_f32_e32 v30, v32, v30
	v_add_f32_e32 v32, v31, v30
	v_sub_f32_e32 v31, v32, v31
	v_sub_f32_e32 v30, v30, v31
	v_ldexp_f32 v31, v32, -2
	v_add_f32_e32 v32, v33, v31
	v_ldexp_f32 v30, v30, -2
	v_sub_f32_e32 v33, v32, v33
	v_sub_f32_e32 v31, v31, v33
	v_add_f32_e32 v29, v29, v30
	v_add_f32_e32 v29, v29, v31
	;; [unrolled: 1-line block ×3, first 2 shown]
	v_cmp_nlt_f32_e64 s[0:1], s20, v28
	v_cndmask_b32_e64 v28, v26, v29, s[0:1]
	v_cvt_f16_f32_e32 v30, v28
	v_mov_b32_e32 v29, s9
	v_add_co_u32_e64 v28, s[0:1], s8, v11
	v_addc_co_u32_e64 v29, s[0:1], v12, v29, s[0:1]
	global_store_short v[28:29], v30, off
	s_or_b64 exec, exec, s[2:3]
	s_and_saveexec_b64 s[0:1], vcc
	s_cbranch_execz .LBB83_8
.LBB83_24:                              ;   in Loop: Header=BB83_9 Depth=1
	v_add_f32_e32 v28, 0xbf317218, v27
	v_sub_f32_e32 v29, v28, v27
	v_sub_f32_e32 v30, v29, v28
	v_add_f32_e32 v30, v27, v30
	v_add_f32_e32 v29, 0x3f317218, v29
	v_sub_f32_e32 v29, v30, v29
	v_add_f32_e32 v29, 0x3102e308, v29
	v_add_f32_e32 v30, v28, v29
	v_sub_f32_e32 v28, v28, v30
	v_add_f32_e32 v28, v29, v28
	v_mul_f32_e32 v29, 0x3fb8aa3b, v30
	v_rndne_f32_e32 v29, v29
	v_fmac_f32_e32 v30, 0xbf317200, v29
	v_add_f32_e32 v31, v28, v30
	v_sub_f32_e32 v30, v30, v31
	v_add_f32_e32 v28, v28, v30
	v_mul_f32_e32 v30, 0x35bfbc00, v29
	v_sub_f32_e32 v32, v31, v30
	v_sub_f32_e32 v31, v31, v32
	;; [unrolled: 1-line block ×3, first 2 shown]
	v_add_f32_e32 v28, v28, v30
	v_add_f32_e32 v30, v32, v28
	v_sub_f32_e32 v31, v32, v30
	v_add_f32_e32 v28, v28, v31
	v_mul_f32_e32 v31, 0x2ea39ef3, v29
	v_sub_f32_e32 v32, v30, v31
	v_sub_f32_e32 v30, v30, v32
	;; [unrolled: 1-line block ×3, first 2 shown]
	v_add_f32_e32 v28, v28, v30
	v_add_f32_e32 v30, v32, v28
	v_sub_f32_e32 v32, v32, v30
	v_mov_b32_e32 v31, 0x3c091de6
	v_add_f32_e32 v28, v28, v32
	v_mul_f32_e32 v33, v30, v30
	v_fmac_f32_e32 v31, 0x3ab42872, v30
	v_add_f32_e32 v32, v28, v28
	v_fma_f32 v34, v30, v30, -v33
	v_fma_f32 v31, v30, v31, v23
	v_fmac_f32_e32 v34, v30, v32
	v_fma_f32 v31, v30, v31, v24
	v_add_f32_e32 v32, v33, v34
	v_fma_f32 v31, v30, v31, v25
	v_sub_f32_e32 v33, v32, v33
	v_sub_f32_e32 v33, v34, v33
	v_mul_f32_e32 v34, v31, v32
	v_fma_f32 v32, v32, v31, -v34
	v_fmac_f32_e32 v32, v33, v31
	v_add_f32_e32 v31, v34, v32
	v_sub_f32_e32 v33, v31, v34
	v_sub_f32_e32 v32, v32, v33
	v_add_f32_e32 v33, v30, v31
	v_sub_f32_e32 v30, v33, v30
	v_sub_f32_e32 v30, v31, v30
	v_add_f32_e32 v28, v28, v32
	v_add_f32_e32 v28, v28, v30
	;; [unrolled: 1-line block ×3, first 2 shown]
	v_sub_f32_e32 v31, v30, v33
	v_sub_f32_e32 v28, v28, v31
	v_add_f32_e32 v31, 1.0, v30
	v_add_f32_e32 v32, -1.0, v31
	v_cvt_i32_f32_e32 v29, v29
	v_sub_f32_e32 v30, v30, v32
	v_add_f32_e32 v28, v28, v30
	v_add_f32_e32 v30, v31, v28
	v_ldexp_f32 v32, v30, v29
	v_rcp_f32_e32 v33, v32
	v_sub_f32_e32 v30, v30, v31
	v_sub_f32_e32 v28, v28, v30
	v_ldexp_f32 v28, v28, v29
	v_mul_f32_e32 v29, v32, v33
	v_fma_f32 v30, v33, v32, -v29
	v_fmac_f32_e32 v30, v33, v28
	v_add_f32_e32 v31, v29, v30
	v_sub_f32_e32 v34, 1.0, v31
	v_sub_f32_e32 v35, 1.0, v34
	v_sub_f32_e32 v29, v31, v29
	v_sub_f32_e32 v35, v35, v31
	;; [unrolled: 1-line block ×3, first 2 shown]
	v_add_f32_e32 v29, v29, v35
	v_add_f32_e32 v30, v34, v29
	v_mul_f32_e32 v31, v33, v30
	v_mul_f32_e32 v35, v32, v31
	v_fma_f32 v36, v31, v32, -v35
	v_fmac_f32_e32 v36, v31, v28
	v_sub_f32_e32 v34, v34, v30
	v_add_f32_e32 v29, v29, v34
	v_add_f32_e32 v34, v35, v36
	v_sub_f32_e32 v37, v30, v34
	v_sub_f32_e32 v30, v30, v37
	;; [unrolled: 1-line block ×4, first 2 shown]
	v_add_f32_e32 v29, v29, v30
	v_sub_f32_e32 v30, v35, v36
	v_add_f32_e32 v29, v30, v29
	v_add_f32_e32 v29, v37, v29
	;; [unrolled: 1-line block ×3, first 2 shown]
	v_mul_f32_e32 v29, v33, v29
	v_sub_f32_e32 v33, v30, v33
	v_sub_f32_e32 v31, v31, v33
	v_add_f32_e32 v29, v31, v29
	v_add_f32_e32 v31, v30, v29
	v_sub_f32_e32 v30, v31, v30
	v_sub_f32_e32 v29, v29, v30
	v_ldexp_f32 v30, v31, -2
	v_add_f32_e32 v31, v32, v30
	v_ldexp_f32 v29, v29, -2
	v_sub_f32_e32 v32, v31, v32
	v_sub_f32_e32 v30, v30, v32
	v_add_f32_e32 v28, v28, v29
	v_add_f32_e32 v28, v28, v30
	v_add_f32_e32 v28, v31, v28
	v_cmp_nlt_f32_e32 vcc, s20, v27
	v_cndmask_b32_e32 v27, v26, v28, vcc
	v_cvt_f16_f32_e32 v29, v27
	v_mov_b32_e32 v28, s9
	v_add_co_u32_e32 v27, vcc, s8, v7
	v_addc_co_u32_e32 v28, vcc, v8, v28, vcc
	global_store_short v[27:28], v29, off
	s_branch .LBB83_8
.LBB83_25:
	s_endpgm
	.section	.rodata,"a",@progbits
	.p2align	6, 0x0
	.amdhsa_kernel _ZN2at6native12_GLOBAL__N_125multi_tensor_apply_kernelINS1_18TensorListMetadataILi2EEENS1_14UnaryOpFunctorIN3c104HalfELi2ELi1ELi1EEEJNS0_4CoshIfEEEEEvT_T0_DpT1_
		.amdhsa_group_segment_fixed_size 0
		.amdhsa_private_segment_fixed_size 0
		.amdhsa_kernarg_size 3408
		.amdhsa_user_sgpr_count 6
		.amdhsa_user_sgpr_private_segment_buffer 1
		.amdhsa_user_sgpr_dispatch_ptr 0
		.amdhsa_user_sgpr_queue_ptr 0
		.amdhsa_user_sgpr_kernarg_segment_ptr 1
		.amdhsa_user_sgpr_dispatch_id 0
		.amdhsa_user_sgpr_flat_scratch_init 0
		.amdhsa_user_sgpr_private_segment_size 0
		.amdhsa_uses_dynamic_stack 0
		.amdhsa_system_sgpr_private_segment_wavefront_offset 0
		.amdhsa_system_sgpr_workgroup_id_x 1
		.amdhsa_system_sgpr_workgroup_id_y 0
		.amdhsa_system_sgpr_workgroup_id_z 0
		.amdhsa_system_sgpr_workgroup_info 0
		.amdhsa_system_vgpr_workitem_id 0
		.amdhsa_next_free_vgpr 43
		.amdhsa_next_free_sgpr 21
		.amdhsa_reserve_vcc 1
		.amdhsa_reserve_flat_scratch 0
		.amdhsa_float_round_mode_32 0
		.amdhsa_float_round_mode_16_64 0
		.amdhsa_float_denorm_mode_32 3
		.amdhsa_float_denorm_mode_16_64 3
		.amdhsa_dx10_clamp 1
		.amdhsa_ieee_mode 1
		.amdhsa_fp16_overflow 0
		.amdhsa_exception_fp_ieee_invalid_op 0
		.amdhsa_exception_fp_denorm_src 0
		.amdhsa_exception_fp_ieee_div_zero 0
		.amdhsa_exception_fp_ieee_overflow 0
		.amdhsa_exception_fp_ieee_underflow 0
		.amdhsa_exception_fp_ieee_inexact 0
		.amdhsa_exception_int_div_zero 0
	.end_amdhsa_kernel
	.section	.text._ZN2at6native12_GLOBAL__N_125multi_tensor_apply_kernelINS1_18TensorListMetadataILi2EEENS1_14UnaryOpFunctorIN3c104HalfELi2ELi1ELi1EEEJNS0_4CoshIfEEEEEvT_T0_DpT1_,"axG",@progbits,_ZN2at6native12_GLOBAL__N_125multi_tensor_apply_kernelINS1_18TensorListMetadataILi2EEENS1_14UnaryOpFunctorIN3c104HalfELi2ELi1ELi1EEEJNS0_4CoshIfEEEEEvT_T0_DpT1_,comdat
.Lfunc_end83:
	.size	_ZN2at6native12_GLOBAL__N_125multi_tensor_apply_kernelINS1_18TensorListMetadataILi2EEENS1_14UnaryOpFunctorIN3c104HalfELi2ELi1ELi1EEEJNS0_4CoshIfEEEEEvT_T0_DpT1_, .Lfunc_end83-_ZN2at6native12_GLOBAL__N_125multi_tensor_apply_kernelINS1_18TensorListMetadataILi2EEENS1_14UnaryOpFunctorIN3c104HalfELi2ELi1ELi1EEEJNS0_4CoshIfEEEEEvT_T0_DpT1_
                                        ; -- End function
	.set _ZN2at6native12_GLOBAL__N_125multi_tensor_apply_kernelINS1_18TensorListMetadataILi2EEENS1_14UnaryOpFunctorIN3c104HalfELi2ELi1ELi1EEEJNS0_4CoshIfEEEEEvT_T0_DpT1_.num_vgpr, 43
	.set _ZN2at6native12_GLOBAL__N_125multi_tensor_apply_kernelINS1_18TensorListMetadataILi2EEENS1_14UnaryOpFunctorIN3c104HalfELi2ELi1ELi1EEEJNS0_4CoshIfEEEEEvT_T0_DpT1_.num_agpr, 0
	.set _ZN2at6native12_GLOBAL__N_125multi_tensor_apply_kernelINS1_18TensorListMetadataILi2EEENS1_14UnaryOpFunctorIN3c104HalfELi2ELi1ELi1EEEJNS0_4CoshIfEEEEEvT_T0_DpT1_.numbered_sgpr, 21
	.set _ZN2at6native12_GLOBAL__N_125multi_tensor_apply_kernelINS1_18TensorListMetadataILi2EEENS1_14UnaryOpFunctorIN3c104HalfELi2ELi1ELi1EEEJNS0_4CoshIfEEEEEvT_T0_DpT1_.num_named_barrier, 0
	.set _ZN2at6native12_GLOBAL__N_125multi_tensor_apply_kernelINS1_18TensorListMetadataILi2EEENS1_14UnaryOpFunctorIN3c104HalfELi2ELi1ELi1EEEJNS0_4CoshIfEEEEEvT_T0_DpT1_.private_seg_size, 0
	.set _ZN2at6native12_GLOBAL__N_125multi_tensor_apply_kernelINS1_18TensorListMetadataILi2EEENS1_14UnaryOpFunctorIN3c104HalfELi2ELi1ELi1EEEJNS0_4CoshIfEEEEEvT_T0_DpT1_.uses_vcc, 1
	.set _ZN2at6native12_GLOBAL__N_125multi_tensor_apply_kernelINS1_18TensorListMetadataILi2EEENS1_14UnaryOpFunctorIN3c104HalfELi2ELi1ELi1EEEJNS0_4CoshIfEEEEEvT_T0_DpT1_.uses_flat_scratch, 0
	.set _ZN2at6native12_GLOBAL__N_125multi_tensor_apply_kernelINS1_18TensorListMetadataILi2EEENS1_14UnaryOpFunctorIN3c104HalfELi2ELi1ELi1EEEJNS0_4CoshIfEEEEEvT_T0_DpT1_.has_dyn_sized_stack, 0
	.set _ZN2at6native12_GLOBAL__N_125multi_tensor_apply_kernelINS1_18TensorListMetadataILi2EEENS1_14UnaryOpFunctorIN3c104HalfELi2ELi1ELi1EEEJNS0_4CoshIfEEEEEvT_T0_DpT1_.has_recursion, 0
	.set _ZN2at6native12_GLOBAL__N_125multi_tensor_apply_kernelINS1_18TensorListMetadataILi2EEENS1_14UnaryOpFunctorIN3c104HalfELi2ELi1ELi1EEEJNS0_4CoshIfEEEEEvT_T0_DpT1_.has_indirect_call, 0
	.section	.AMDGPU.csdata,"",@progbits
; Kernel info:
; codeLenInByte = 5660
; TotalNumSgprs: 25
; NumVgprs: 43
; ScratchSize: 0
; MemoryBound: 0
; FloatMode: 240
; IeeeMode: 1
; LDSByteSize: 0 bytes/workgroup (compile time only)
; SGPRBlocks: 3
; VGPRBlocks: 10
; NumSGPRsForWavesPerEU: 25
; NumVGPRsForWavesPerEU: 43
; Occupancy: 5
; WaveLimiterHint : 0
; COMPUTE_PGM_RSRC2:SCRATCH_EN: 0
; COMPUTE_PGM_RSRC2:USER_SGPR: 6
; COMPUTE_PGM_RSRC2:TRAP_HANDLER: 0
; COMPUTE_PGM_RSRC2:TGID_X_EN: 1
; COMPUTE_PGM_RSRC2:TGID_Y_EN: 0
; COMPUTE_PGM_RSRC2:TGID_Z_EN: 0
; COMPUTE_PGM_RSRC2:TIDIG_COMP_CNT: 0
	.section	.text._ZN2at6native12_GLOBAL__N_125multi_tensor_apply_kernelINS1_18TensorListMetadataILi2EEENS1_14UnaryOpFunctorIN3c108BFloat16ELi2ELi1ELi1EEEJNS0_4CoshIfEEEEEvT_T0_DpT1_,"axG",@progbits,_ZN2at6native12_GLOBAL__N_125multi_tensor_apply_kernelINS1_18TensorListMetadataILi2EEENS1_14UnaryOpFunctorIN3c108BFloat16ELi2ELi1ELi1EEEJNS0_4CoshIfEEEEEvT_T0_DpT1_,comdat
	.globl	_ZN2at6native12_GLOBAL__N_125multi_tensor_apply_kernelINS1_18TensorListMetadataILi2EEENS1_14UnaryOpFunctorIN3c108BFloat16ELi2ELi1ELi1EEEJNS0_4CoshIfEEEEEvT_T0_DpT1_ ; -- Begin function _ZN2at6native12_GLOBAL__N_125multi_tensor_apply_kernelINS1_18TensorListMetadataILi2EEENS1_14UnaryOpFunctorIN3c108BFloat16ELi2ELi1ELi1EEEJNS0_4CoshIfEEEEEvT_T0_DpT1_
	.p2align	8
	.type	_ZN2at6native12_GLOBAL__N_125multi_tensor_apply_kernelINS1_18TensorListMetadataILi2EEENS1_14UnaryOpFunctorIN3c108BFloat16ELi2ELi1ELi1EEEJNS0_4CoshIfEEEEEvT_T0_DpT1_,@function
_ZN2at6native12_GLOBAL__N_125multi_tensor_apply_kernelINS1_18TensorListMetadataILi2EEENS1_14UnaryOpFunctorIN3c108BFloat16ELi2ELi1ELi1EEEJNS0_4CoshIfEEEEEvT_T0_DpT1_: ; @_ZN2at6native12_GLOBAL__N_125multi_tensor_apply_kernelINS1_18TensorListMetadataILi2EEENS1_14UnaryOpFunctorIN3c108BFloat16ELi2ELi1ELi1EEEJNS0_4CoshIfEEEEEvT_T0_DpT1_
; %bb.0:
	v_mov_b32_e32 v1, s6
	global_load_ubyte v1, v1, s[4:5] offset:1536
	s_add_u32 s0, s4, s6
	s_mul_hi_u32 s1, s6, 3
	s_mul_i32 s6, s6, 3
	s_addc_u32 s2, s5, 0
	s_add_u32 s0, s0, s6
	s_addc_u32 s1, s2, s1
	s_load_dword s6, s[0:1], 0x740
	s_mov_b32 s11, 0
	s_mov_b32 s13, s11
	s_waitcnt vmcnt(0)
	v_readfirstlane_b32 s0, v1
	s_lshl_b32 s7, s0, 3
	s_load_dwordx2 s[14:15], s[4:5], s7 offset:0x400
	s_load_dwordx2 s[2:3], s[4:5], s7 offset:0x0
	;; [unrolled: 1-line block ×3, first 2 shown]
	s_waitcnt lgkmcnt(0)
	s_ashr_i32 s7, s6, 31
	s_lshl_b64 s[8:9], s[6:7], 17
	s_lshl_b64 s[6:7], s[6:7], 16
	s_add_u32 s10, s2, s8
	s_and_b32 s12, s0, 7
	s_and_b32 s10, s10, 7
	s_sub_u32 s6, s14, s6
	s_subb_u32 s7, s15, s7
	s_and_b32 s14, s14, 3
	s_mov_b32 s15, s11
	s_or_b64 s[12:13], s[12:13], s[14:15]
	s_or_b64 s[10:11], s[12:13], s[10:11]
	s_cmp_eq_u64 s[10:11], 0
	s_mov_b64 s[10:11], -1
	s_cbranch_scc0 .LBB84_5
; %bb.1:
	v_mov_b32_e32 v1, 0x10000
	v_mov_b32_e32 v2, 0
	v_cmp_lt_i64_e32 vcc, s[6:7], v[1:2]
	v_mov_b32_e32 v2, 0
	s_and_b64 s[10:11], vcc, exec
	s_cselect_b32 s11, s7, 0
	s_cselect_b32 s10, s6, 0x10000
	v_lshlrev_b32_e32 v1, 2, v0
	v_cmp_gt_i64_e32 vcc, s[10:11], v[1:2]
	s_and_saveexec_b64 s[12:13], vcc
	s_cbranch_execz .LBB84_4
; %bb.2:
	s_load_dword s14, s[4:5], 0xc5c
	v_mov_b32_e32 v1, v2
	v_lshlrev_b32_e32 v2, 3, v0
	v_mov_b32_e32 v3, s9
	v_add_co_u32_e32 v5, vcc, s8, v2
	s_waitcnt lgkmcnt(0)
	s_and_b32 s16, s14, 0xffff
	v_mov_b32_e32 v2, v1
	v_addc_co_u32_e32 v6, vcc, 0, v3, vcc
	s_lshl_b32 s17, s16, 3
	s_mov_b64 s[14:15], 0
	v_mov_b32_e32 v7, s3
	s_mov_b32 s18, 0xbf317218
	v_mov_b32_e32 v8, 0x3d2aadcc
	v_mov_b32_e32 v9, 0x3e2aaa47
	;; [unrolled: 1-line block ×3, first 2 shown]
	s_mov_b32 s19, 0x42b2d4fc
	v_mov_b32_e32 v11, 0x7f800000
	s_movk_i32 s20, 0x7fff
	v_mov_b32_e32 v12, s1
	v_mov_b32_e32 v13, 0x7fc00000
	;; [unrolled: 1-line block ×4, first 2 shown]
.LBB84_3:                               ; =>This Inner Loop Header: Depth=1
	v_add_co_u32_e32 v3, vcc, s2, v5
	v_addc_co_u32_e32 v4, vcc, v7, v6, vcc
	global_load_dwordx2 v[3:4], v[3:4], off
	s_waitcnt vmcnt(0)
	v_lshlrev_b32_e32 v15, 16, v3
	v_add_f32_e64 v16, |v15|, s18
	v_sub_f32_e64 v18, v16, |v15|
	v_sub_f32_e32 v19, v18, v16
	v_add_f32_e64 v19, |v15|, v19
	v_add_f32_e32 v18, 0x3f317218, v18
	v_sub_f32_e32 v18, v19, v18
	v_add_f32_e32 v18, 0x3102e308, v18
	v_add_f32_e32 v19, v16, v18
	v_sub_f32_e32 v16, v16, v19
	v_add_f32_e32 v16, v18, v16
	v_mul_f32_e32 v18, 0x3fb8aa3b, v19
	v_rndne_f32_e32 v18, v18
	v_fmac_f32_e32 v19, 0xbf317200, v18
	v_add_f32_e32 v20, v16, v19
	v_sub_f32_e32 v19, v19, v20
	v_add_f32_e32 v16, v16, v19
	v_mul_f32_e32 v19, 0x35bfbc00, v18
	v_sub_f32_e32 v21, v20, v19
	v_sub_f32_e32 v20, v20, v21
	;; [unrolled: 1-line block ×3, first 2 shown]
	v_add_f32_e32 v16, v16, v19
	v_add_f32_e32 v19, v21, v16
	v_sub_f32_e32 v20, v21, v19
	v_add_f32_e32 v16, v16, v20
	v_mul_f32_e32 v20, 0x2ea39ef3, v18
	v_sub_f32_e32 v21, v19, v20
	v_sub_f32_e32 v19, v19, v21
	;; [unrolled: 1-line block ×3, first 2 shown]
	v_add_f32_e32 v16, v16, v19
	v_add_f32_e32 v19, v21, v16
	v_sub_f32_e32 v21, v21, v19
	v_mov_b32_e32 v20, 0x3c091de6
	v_add_f32_e32 v16, v16, v21
	v_mul_f32_e32 v22, v19, v19
	v_fmac_f32_e32 v20, 0x3ab42872, v19
	v_add_f32_e32 v21, v16, v16
	v_fma_f32 v23, v19, v19, -v22
	v_fma_f32 v20, v19, v20, v8
	v_fmac_f32_e32 v23, v19, v21
	v_fma_f32 v20, v19, v20, v9
	v_add_f32_e32 v21, v22, v23
	v_fma_f32 v20, v19, v20, v10
	v_sub_f32_e32 v22, v21, v22
	v_sub_f32_e32 v22, v23, v22
	v_mul_f32_e32 v23, v20, v21
	v_fma_f32 v21, v21, v20, -v23
	v_fmac_f32_e32 v21, v22, v20
	v_add_f32_e32 v20, v23, v21
	v_sub_f32_e32 v22, v20, v23
	v_sub_f32_e32 v21, v21, v22
	v_add_f32_e32 v22, v19, v20
	v_sub_f32_e32 v19, v22, v19
	v_sub_f32_e32 v19, v20, v19
	v_add_f32_e32 v16, v16, v21
	v_add_f32_e32 v16, v16, v19
	;; [unrolled: 1-line block ×3, first 2 shown]
	v_sub_f32_e32 v20, v19, v22
	v_sub_f32_e32 v16, v16, v20
	v_add_f32_e32 v20, 1.0, v19
	v_add_f32_e32 v21, -1.0, v20
	v_sub_f32_e32 v19, v19, v21
	v_cvt_i32_f32_e32 v18, v18
	v_add_f32_e32 v16, v16, v19
	v_add_f32_e32 v19, v20, v16
	v_sub_f32_e32 v20, v19, v20
	v_sub_f32_e32 v16, v16, v20
	v_ldexp_f32 v19, v19, v18
	v_ldexp_f32 v16, v16, v18
	v_rcp_f32_e32 v18, v19
	v_and_b32_e32 v17, 0xffff0000, v3
	v_alignbit_b32 v3, v4, v3, 16
	v_and_b32_e32 v3, 0xffff0000, v3
	v_mul_f32_e32 v20, v19, v18
	v_fma_f32 v21, v18, v19, -v20
	v_fmac_f32_e32 v21, v18, v16
	v_add_f32_e32 v22, v20, v21
	v_sub_f32_e32 v23, 1.0, v22
	v_sub_f32_e32 v24, 1.0, v23
	v_sub_f32_e32 v20, v22, v20
	v_sub_f32_e32 v24, v24, v22
	;; [unrolled: 1-line block ×3, first 2 shown]
	v_add_f32_e32 v20, v20, v24
	v_add_f32_e32 v21, v23, v20
	v_mul_f32_e32 v22, v18, v21
	v_mul_f32_e32 v24, v19, v22
	v_fma_f32 v25, v22, v19, -v24
	v_fmac_f32_e32 v25, v22, v16
	v_sub_f32_e32 v23, v23, v21
	v_add_f32_e32 v20, v20, v23
	v_add_f32_e32 v23, v24, v25
	v_sub_f32_e32 v26, v21, v23
	v_sub_f32_e32 v21, v21, v26
	;; [unrolled: 1-line block ×4, first 2 shown]
	v_add_f32_e32 v20, v20, v21
	v_sub_f32_e32 v21, v24, v25
	v_add_f32_e32 v20, v21, v20
	v_add_f32_e32 v20, v26, v20
	;; [unrolled: 1-line block ×3, first 2 shown]
	v_mul_f32_e32 v20, v18, v20
	v_sub_f32_e32 v18, v21, v18
	v_sub_f32_e32 v18, v22, v18
	v_add_f32_e32 v18, v18, v20
	v_add_f32_e32 v20, v21, v18
	v_sub_f32_e32 v21, v20, v21
	v_ldexp_f32 v20, v20, -2
	v_sub_f32_e32 v18, v18, v21
	v_add_f32_e32 v21, v19, v20
	v_ldexp_f32 v18, v18, -2
	v_sub_f32_e32 v19, v21, v19
	v_sub_f32_e32 v19, v20, v19
	v_add_f32_e32 v16, v16, v18
	v_add_f32_e64 v18, |v17|, s18
	v_add_f32_e32 v16, v16, v19
	v_sub_f32_e64 v19, v18, |v17|
	v_sub_f32_e32 v20, v19, v18
	v_add_f32_e64 v20, |v17|, v20
	v_add_f32_e32 v19, 0x3f317218, v19
	v_sub_f32_e32 v19, v20, v19
	v_add_f32_e32 v19, 0x3102e308, v19
	v_add_f32_e32 v20, v18, v19
	v_sub_f32_e32 v18, v18, v20
	v_add_f32_e32 v18, v19, v18
	v_mul_f32_e32 v19, 0x3fb8aa3b, v20
	v_rndne_f32_e32 v19, v19
	v_fmac_f32_e32 v20, 0xbf317200, v19
	v_add_f32_e32 v16, v21, v16
	v_add_f32_e32 v21, v18, v20
	v_sub_f32_e32 v20, v20, v21
	v_add_f32_e32 v18, v18, v20
	v_mul_f32_e32 v20, 0x35bfbc00, v19
	v_sub_f32_e32 v22, v21, v20
	v_sub_f32_e32 v21, v21, v22
	;; [unrolled: 1-line block ×3, first 2 shown]
	v_add_f32_e32 v18, v18, v20
	v_add_f32_e32 v20, v22, v18
	v_sub_f32_e32 v21, v22, v20
	v_add_f32_e32 v18, v18, v21
	v_mul_f32_e32 v21, 0x2ea39ef3, v19
	v_sub_f32_e32 v22, v20, v21
	v_sub_f32_e32 v20, v20, v22
	;; [unrolled: 1-line block ×3, first 2 shown]
	v_add_f32_e32 v18, v18, v20
	v_add_f32_e32 v20, v22, v18
	v_sub_f32_e32 v22, v22, v20
	v_mov_b32_e32 v21, 0x3c091de6
	v_add_f32_e32 v18, v18, v22
	v_mul_f32_e32 v23, v20, v20
	v_fmac_f32_e32 v21, 0x3ab42872, v20
	v_add_f32_e32 v22, v18, v18
	v_fma_f32 v24, v20, v20, -v23
	v_fma_f32 v21, v20, v21, v8
	v_fmac_f32_e32 v24, v20, v22
	v_fma_f32 v21, v20, v21, v9
	v_add_f32_e32 v22, v23, v24
	v_fma_f32 v21, v20, v21, v10
	v_sub_f32_e32 v23, v22, v23
	v_sub_f32_e32 v23, v24, v23
	v_mul_f32_e32 v24, v21, v22
	v_fma_f32 v22, v22, v21, -v24
	v_fmac_f32_e32 v22, v23, v21
	v_add_f32_e32 v21, v24, v22
	v_sub_f32_e32 v23, v21, v24
	v_sub_f32_e32 v22, v22, v23
	v_add_f32_e32 v23, v20, v21
	v_sub_f32_e32 v20, v23, v20
	v_sub_f32_e32 v20, v21, v20
	v_add_f32_e32 v18, v18, v22
	v_add_f32_e32 v18, v18, v20
	;; [unrolled: 1-line block ×3, first 2 shown]
	v_sub_f32_e32 v21, v20, v23
	v_sub_f32_e32 v18, v18, v21
	v_add_f32_e32 v21, 1.0, v20
	v_add_f32_e32 v22, -1.0, v21
	v_sub_f32_e32 v20, v20, v22
	v_cvt_i32_f32_e32 v19, v19
	v_add_f32_e32 v18, v18, v20
	v_add_f32_e32 v20, v21, v18
	v_sub_f32_e32 v21, v20, v21
	v_sub_f32_e32 v18, v18, v21
	v_ldexp_f32 v20, v20, v19
	v_ldexp_f32 v18, v18, v19
	v_rcp_f32_e32 v19, v20
	v_cmp_ngt_f32_e64 vcc, |v15|, s19
	v_cndmask_b32_e32 v15, v11, v16, vcc
	v_cmp_ngt_f32_e64 vcc, |v17|, s19
	v_mul_f32_e32 v21, v20, v19
	v_fma_f32 v22, v19, v20, -v21
	v_fmac_f32_e32 v22, v19, v18
	v_add_f32_e32 v23, v21, v22
	v_sub_f32_e32 v24, 1.0, v23
	v_sub_f32_e32 v25, 1.0, v24
	v_sub_f32_e32 v21, v23, v21
	v_sub_f32_e32 v25, v25, v23
	;; [unrolled: 1-line block ×3, first 2 shown]
	v_add_f32_e32 v21, v21, v25
	v_add_f32_e32 v22, v24, v21
	v_mul_f32_e32 v23, v19, v22
	v_mul_f32_e32 v25, v20, v23
	v_fma_f32 v26, v23, v20, -v25
	v_fmac_f32_e32 v26, v23, v18
	v_sub_f32_e32 v24, v24, v22
	v_add_f32_e32 v21, v21, v24
	v_add_f32_e32 v24, v25, v26
	v_sub_f32_e32 v27, v22, v24
	v_sub_f32_e32 v22, v22, v27
	;; [unrolled: 1-line block ×4, first 2 shown]
	v_add_f32_e32 v21, v21, v22
	v_sub_f32_e32 v22, v25, v26
	v_add_f32_e32 v21, v22, v21
	v_add_f32_e32 v21, v27, v21
	;; [unrolled: 1-line block ×3, first 2 shown]
	v_mul_f32_e32 v21, v19, v21
	v_sub_f32_e32 v19, v22, v19
	v_sub_f32_e32 v19, v23, v19
	v_add_f32_e32 v19, v19, v21
	v_add_f32_e32 v21, v22, v19
	v_sub_f32_e32 v22, v21, v22
	v_ldexp_f32 v21, v21, -2
	v_sub_f32_e32 v19, v19, v22
	v_add_f32_e32 v22, v20, v21
	v_ldexp_f32 v19, v19, -2
	v_sub_f32_e32 v20, v22, v20
	v_sub_f32_e32 v20, v21, v20
	v_add_f32_e32 v18, v18, v19
	v_add_f32_e64 v19, |v3|, s18
	v_add_f32_e32 v18, v18, v20
	v_sub_f32_e64 v20, v19, |v3|
	v_sub_f32_e32 v21, v20, v19
	v_add_f32_e64 v21, |v3|, v21
	v_add_f32_e32 v20, 0x3f317218, v20
	v_sub_f32_e32 v20, v21, v20
	v_add_f32_e32 v20, 0x3102e308, v20
	v_add_f32_e32 v21, v19, v20
	v_sub_f32_e32 v19, v19, v21
	v_add_f32_e32 v19, v20, v19
	v_mul_f32_e32 v20, 0x3fb8aa3b, v21
	v_rndne_f32_e32 v20, v20
	v_fmac_f32_e32 v21, 0xbf317200, v20
	v_add_f32_e32 v18, v22, v18
	v_add_f32_e32 v22, v19, v21
	v_sub_f32_e32 v21, v21, v22
	v_add_f32_e32 v19, v19, v21
	v_mul_f32_e32 v21, 0x35bfbc00, v20
	v_sub_f32_e32 v23, v22, v21
	v_sub_f32_e32 v22, v22, v23
	;; [unrolled: 1-line block ×3, first 2 shown]
	v_add_f32_e32 v19, v19, v21
	v_add_f32_e32 v21, v23, v19
	v_sub_f32_e32 v22, v23, v21
	v_add_f32_e32 v19, v19, v22
	v_mul_f32_e32 v22, 0x2ea39ef3, v20
	v_sub_f32_e32 v23, v21, v22
	v_sub_f32_e32 v21, v21, v23
	;; [unrolled: 1-line block ×3, first 2 shown]
	v_add_f32_e32 v19, v19, v21
	v_add_f32_e32 v21, v23, v19
	v_sub_f32_e32 v23, v23, v21
	v_mov_b32_e32 v22, 0x3c091de6
	v_add_f32_e32 v19, v19, v23
	v_mul_f32_e32 v24, v21, v21
	v_fmac_f32_e32 v22, 0x3ab42872, v21
	v_add_f32_e32 v23, v19, v19
	v_fma_f32 v25, v21, v21, -v24
	v_fma_f32 v22, v21, v22, v8
	v_fmac_f32_e32 v25, v21, v23
	v_fma_f32 v22, v21, v22, v9
	v_add_f32_e32 v23, v24, v25
	v_fma_f32 v22, v21, v22, v10
	v_sub_f32_e32 v24, v23, v24
	v_sub_f32_e32 v24, v25, v24
	v_mul_f32_e32 v25, v22, v23
	v_fma_f32 v23, v23, v22, -v25
	v_fmac_f32_e32 v23, v24, v22
	v_add_f32_e32 v22, v25, v23
	v_sub_f32_e32 v24, v22, v25
	v_sub_f32_e32 v23, v23, v24
	v_add_f32_e32 v24, v21, v22
	v_sub_f32_e32 v21, v24, v21
	v_sub_f32_e32 v21, v22, v21
	v_add_f32_e32 v19, v19, v23
	v_add_f32_e32 v19, v19, v21
	;; [unrolled: 1-line block ×3, first 2 shown]
	v_sub_f32_e32 v22, v21, v24
	v_sub_f32_e32 v19, v19, v22
	v_add_f32_e32 v22, 1.0, v21
	v_add_f32_e32 v23, -1.0, v22
	v_sub_f32_e32 v21, v21, v23
	v_cvt_i32_f32_e32 v20, v20
	v_add_f32_e32 v19, v19, v21
	v_add_f32_e32 v21, v22, v19
	v_sub_f32_e32 v22, v21, v22
	v_sub_f32_e32 v19, v19, v22
	v_ldexp_f32 v21, v21, v20
	v_ldexp_f32 v19, v19, v20
	v_rcp_f32_e32 v20, v21
	v_cndmask_b32_e32 v17, v11, v18, vcc
	v_cmp_ngt_f32_e64 vcc, |v3|, s19
	v_bfe_u32 v18, v17, 16, 1
	v_mul_f32_e32 v22, v21, v20
	v_fma_f32 v23, v20, v21, -v22
	v_fmac_f32_e32 v23, v20, v19
	v_add_f32_e32 v24, v22, v23
	v_sub_f32_e32 v25, 1.0, v24
	v_sub_f32_e32 v26, 1.0, v25
	v_sub_f32_e32 v22, v24, v22
	v_sub_f32_e32 v26, v26, v24
	;; [unrolled: 1-line block ×3, first 2 shown]
	v_add_f32_e32 v22, v22, v26
	v_add_f32_e32 v23, v25, v22
	v_mul_f32_e32 v24, v20, v23
	v_mul_f32_e32 v26, v21, v24
	v_fma_f32 v27, v24, v21, -v26
	v_fmac_f32_e32 v27, v24, v19
	v_sub_f32_e32 v25, v25, v23
	v_add_f32_e32 v22, v22, v25
	v_add_f32_e32 v25, v26, v27
	v_sub_f32_e32 v28, v23, v25
	v_sub_f32_e32 v23, v23, v28
	;; [unrolled: 1-line block ×4, first 2 shown]
	v_add_f32_e32 v22, v22, v23
	v_sub_f32_e32 v23, v26, v27
	v_add_f32_e32 v22, v23, v22
	v_add_f32_e32 v22, v28, v22
	;; [unrolled: 1-line block ×3, first 2 shown]
	v_mul_f32_e32 v22, v20, v22
	v_sub_f32_e32 v20, v23, v20
	v_sub_f32_e32 v20, v24, v20
	v_add_f32_e32 v20, v20, v22
	v_add_f32_e32 v22, v23, v20
	v_sub_f32_e32 v23, v22, v23
	v_ldexp_f32 v22, v22, -2
	v_sub_f32_e32 v20, v20, v23
	v_add_f32_e32 v23, v21, v22
	v_ldexp_f32 v20, v20, -2
	v_sub_f32_e32 v21, v23, v21
	v_sub_f32_e32 v21, v22, v21
	v_add_f32_e32 v19, v19, v20
	v_add_f32_e32 v19, v19, v21
	;; [unrolled: 1-line block ×3, first 2 shown]
	v_cndmask_b32_e32 v19, v11, v19, vcc
	v_bfe_u32 v3, v19, 16, 1
	v_add3_u32 v3, v19, v3, s20
	v_lshrrev_b32_e32 v20, 16, v3
	v_and_b32_e32 v3, 0xffff0000, v4
	v_add_f32_e64 v4, |v3|, s18
	v_sub_f32_e64 v21, v4, |v3|
	v_sub_f32_e32 v22, v21, v4
	v_add_f32_e64 v22, |v3|, v22
	v_add_f32_e32 v21, 0x3f317218, v21
	v_sub_f32_e32 v21, v22, v21
	v_add_f32_e32 v21, 0x3102e308, v21
	v_add_f32_e32 v22, v4, v21
	v_sub_f32_e32 v4, v4, v22
	v_add_f32_e32 v4, v21, v4
	v_mul_f32_e32 v21, 0x3fb8aa3b, v22
	v_rndne_f32_e32 v21, v21
	v_fmac_f32_e32 v22, 0xbf317200, v21
	v_add_f32_e32 v23, v4, v22
	v_sub_f32_e32 v22, v22, v23
	v_add_f32_e32 v4, v4, v22
	v_mul_f32_e32 v22, 0x35bfbc00, v21
	v_sub_f32_e32 v24, v23, v22
	v_sub_f32_e32 v23, v23, v24
	;; [unrolled: 1-line block ×3, first 2 shown]
	v_add_f32_e32 v4, v4, v22
	v_add_f32_e32 v22, v24, v4
	v_sub_f32_e32 v23, v24, v22
	v_add_f32_e32 v4, v4, v23
	v_mul_f32_e32 v23, 0x2ea39ef3, v21
	v_sub_f32_e32 v24, v22, v23
	v_sub_f32_e32 v22, v22, v24
	;; [unrolled: 1-line block ×3, first 2 shown]
	v_add_f32_e32 v4, v4, v22
	v_add_f32_e32 v22, v24, v4
	v_sub_f32_e32 v24, v24, v22
	v_mov_b32_e32 v23, 0x3c091de6
	v_add_f32_e32 v4, v4, v24
	v_mul_f32_e32 v25, v22, v22
	v_fmac_f32_e32 v23, 0x3ab42872, v22
	v_add_f32_e32 v24, v4, v4
	v_fma_f32 v26, v22, v22, -v25
	v_fma_f32 v23, v22, v23, v8
	v_fmac_f32_e32 v26, v22, v24
	v_fma_f32 v23, v22, v23, v9
	v_add_f32_e32 v24, v25, v26
	v_fma_f32 v23, v22, v23, v10
	v_sub_f32_e32 v25, v24, v25
	v_sub_f32_e32 v25, v26, v25
	v_mul_f32_e32 v26, v23, v24
	v_fma_f32 v24, v24, v23, -v26
	v_fmac_f32_e32 v24, v25, v23
	v_add_f32_e32 v23, v26, v24
	v_sub_f32_e32 v25, v23, v26
	v_sub_f32_e32 v24, v24, v25
	v_add_f32_e32 v25, v22, v23
	v_sub_f32_e32 v22, v25, v22
	v_sub_f32_e32 v22, v23, v22
	v_add_f32_e32 v4, v4, v24
	v_add_f32_e32 v4, v4, v22
	;; [unrolled: 1-line block ×3, first 2 shown]
	v_sub_f32_e32 v23, v22, v25
	v_sub_f32_e32 v4, v4, v23
	v_add_f32_e32 v23, 1.0, v22
	v_add_f32_e32 v24, -1.0, v23
	v_sub_f32_e32 v22, v22, v24
	v_cvt_i32_f32_e32 v21, v21
	v_add_f32_e32 v4, v4, v22
	v_add_f32_e32 v22, v23, v4
	v_sub_f32_e32 v23, v22, v23
	v_sub_f32_e32 v4, v4, v23
	v_ldexp_f32 v22, v22, v21
	v_ldexp_f32 v4, v4, v21
	v_rcp_f32_e32 v21, v22
	v_cmp_ngt_f32_e64 vcc, |v3|, s19
	v_bfe_u32 v16, v15, 16, 1
	v_add3_u32 v18, v17, v18, s20
	v_mul_f32_e32 v23, v22, v21
	v_fma_f32 v24, v21, v22, -v23
	v_fmac_f32_e32 v24, v21, v4
	v_add_f32_e32 v25, v23, v24
	v_sub_f32_e32 v26, 1.0, v25
	v_sub_f32_e32 v27, 1.0, v26
	v_sub_f32_e32 v23, v25, v23
	v_sub_f32_e32 v27, v27, v25
	;; [unrolled: 1-line block ×3, first 2 shown]
	v_add_f32_e32 v23, v23, v27
	v_add_f32_e32 v24, v26, v23
	v_mul_f32_e32 v25, v21, v24
	v_mul_f32_e32 v27, v22, v25
	v_fma_f32 v28, v25, v22, -v27
	v_fmac_f32_e32 v28, v25, v4
	v_sub_f32_e32 v26, v26, v24
	v_add_f32_e32 v23, v23, v26
	v_add_f32_e32 v26, v27, v28
	v_sub_f32_e32 v29, v24, v26
	v_sub_f32_e32 v24, v24, v29
	;; [unrolled: 1-line block ×4, first 2 shown]
	v_add_f32_e32 v23, v23, v24
	v_sub_f32_e32 v24, v27, v28
	v_add_f32_e32 v23, v24, v23
	v_add_f32_e32 v23, v29, v23
	;; [unrolled: 1-line block ×3, first 2 shown]
	v_mul_f32_e32 v23, v21, v23
	v_sub_f32_e32 v21, v24, v21
	v_sub_f32_e32 v21, v25, v21
	v_add_f32_e32 v21, v21, v23
	v_add_f32_e32 v23, v24, v21
	v_sub_f32_e32 v24, v23, v24
	v_ldexp_f32 v23, v23, -2
	v_sub_f32_e32 v21, v21, v24
	v_add_f32_e32 v24, v22, v23
	v_ldexp_f32 v21, v21, -2
	v_sub_f32_e32 v22, v24, v22
	v_sub_f32_e32 v22, v23, v22
	v_add_f32_e32 v4, v4, v21
	v_add_f32_e32 v4, v4, v22
	;; [unrolled: 1-line block ×3, first 2 shown]
	v_cndmask_b32_e32 v21, v11, v4, vcc
	v_bfe_u32 v3, v21, 16, 1
	v_add3_u32 v22, v21, v3, s20
	v_add_co_u32_e32 v3, vcc, s0, v5
	v_addc_co_u32_e32 v4, vcc, v12, v6, vcc
	v_and_b32_e32 v22, 0xffff0000, v22
	v_cmp_o_f32_e32 vcc, v21, v21
	v_cndmask_b32_e32 v21, v13, v22, vcc
	v_cmp_o_f32_e32 vcc, v19, v19
	v_add3_u32 v16, v15, v16, s20
	v_and_b32_e32 v18, 0xffff0000, v18
	v_cndmask_b32_e32 v19, v14, v20, vcc
	v_cmp_o_f32_e32 vcc, v17, v17
	v_lshrrev_b32_e32 v16, 16, v16
	v_cndmask_b32_e32 v17, v13, v18, vcc
	v_cmp_o_f32_e32 vcc, v15, v15
	v_cndmask_b32_e32 v15, v14, v16, vcc
	v_or_b32_e32 v15, v15, v17
	v_add_co_u32_e32 v1, vcc, s16, v1
	v_or3_b32 v16, 0, v19, v21
	v_or3_b32 v15, v15, 0, 0
	v_addc_co_u32_e32 v2, vcc, 0, v2, vcc
	global_store_dwordx2 v[3:4], v[15:16], off
	v_lshlrev_b64 v[3:4], 2, v[1:2]
	v_add_co_u32_e32 v5, vcc, s17, v5
	v_addc_co_u32_e32 v6, vcc, 0, v6, vcc
	v_cmp_le_i64_e32 vcc, s[10:11], v[3:4]
	s_or_b64 s[14:15], vcc, s[14:15]
	s_andn2_b64 exec, exec, s[14:15]
	s_cbranch_execnz .LBB84_3
.LBB84_4:
	s_or_b64 exec, exec, s[12:13]
	s_mov_b64 s[10:11], 0
.LBB84_5:
	s_andn2_b64 vcc, exec, s[10:11]
	s_cbranch_vccnz .LBB84_25
; %bb.6:
	v_cmp_lt_i64_e64 s[10:11], s[6:7], 1
	s_and_b64 vcc, exec, s[10:11]
	s_cbranch_vccnz .LBB84_25
; %bb.7:
	v_mov_b32_e32 v1, 0x10000
	s_load_dword s12, s[4:5], 0xc5c
	v_mov_b32_e32 v2, 0
	v_cmp_lt_i64_e32 vcc, s[6:7], v[1:2]
	v_mov_b32_e32 v10, 0
	s_and_b64 s[4:5], vcc, exec
	v_cmp_lt_u64_e32 vcc, s[6:7], v[1:2]
	s_cselect_b32 s11, s7, 0
	s_cselect_b32 s10, s6, 0x10000
	s_waitcnt lgkmcnt(0)
	s_and_b32 s14, s12, 0xffff
	v_lshlrev_b32_e32 v9, 1, v0
	s_and_b64 s[4:5], vcc, exec
	v_mov_b32_e32 v2, s3
	v_add_co_u32_e32 v1, vcc, s2, v9
	v_mad_u64_u32 v[7:8], s[4:5], s14, 6, v[9:10]
	v_addc_co_u32_e32 v2, vcc, 0, v2, vcc
	v_mov_b32_e32 v4, s1
	v_add_co_u32_e32 v3, vcc, s0, v9
	v_addc_co_u32_e32 v4, vcc, 0, v4, vcc
	v_mov_b32_e32 v6, s3
	v_add_co_u32_e32 v5, vcc, s2, v7
	;; [unrolled: 3-line block ×3, first 2 shown]
	s_cselect_b32 s13, s7, 0
	s_cselect_b32 s12, s6, 0x10000
	s_lshl_b32 s18, s14, 2
	v_addc_co_u32_e32 v8, vcc, v10, v8, vcc
	v_add_co_u32_e32 v11, vcc, s18, v9
	v_addc_co_u32_e64 v12, s[4:5], 0, 0, vcc
	v_mov_b32_e32 v10, s3
	v_add_co_u32_e32 v9, vcc, s2, v11
	v_addc_co_u32_e32 v10, vcc, v10, v12, vcc
	v_mov_b32_e32 v13, s1
	v_add_co_u32_e32 v11, vcc, s0, v11
	v_addc_co_u32_e32 v12, vcc, v13, v12, vcc
	v_add_co_u32_e32 v13, vcc, s14, v0
	v_lshlrev_b32_e32 v17, 1, v13
	v_addc_co_u32_e64 v14, s[4:5], 0, 0, vcc
	v_mov_b32_e32 v16, s3
	v_add_co_u32_e32 v15, vcc, s2, v17
	v_addc_co_u32_e32 v16, vcc, 0, v16, vcc
	v_mov_b32_e32 v18, s1
	v_add_co_u32_e32 v17, vcc, s0, v17
	s_mul_i32 s7, s14, 3
	v_addc_co_u32_e32 v18, vcc, 0, v18, vcc
	s_lshl_b32 s6, s14, 1
	v_add_co_u32_e32 v19, vcc, s7, v0
	v_addc_co_u32_e64 v20, s[0:1], 0, 0, vcc
	v_add_co_u32_e32 v21, vcc, s6, v0
	s_lshl_b32 s19, s14, 3
	s_mov_b64 s[14:15], 0
	s_mov_b32 s20, 0x42b2d4fc
	s_movk_i32 s21, 0x7fff
	v_addc_co_u32_e64 v22, s[0:1], 0, 0, vcc
	v_mov_b32_e32 v23, 0x3d2aadcc
	v_mov_b32_e32 v24, 0x3e2aaa47
	;; [unrolled: 1-line block ×5, first 2 shown]
	s_branch .LBB84_9
.LBB84_8:                               ;   in Loop: Header=BB84_9 Depth=1
	s_or_b64 exec, exec, s[2:3]
	v_add_co_u32_e32 v1, vcc, s19, v1
	v_addc_co_u32_e32 v2, vcc, 0, v2, vcc
	v_add_co_u32_e32 v3, vcc, s19, v3
	v_addc_co_u32_e32 v4, vcc, 0, v4, vcc
	;; [unrolled: 2-line block ×6, first 2 shown]
	s_add_u32 s14, s14, s18
	v_add_co_u32_e32 v15, vcc, s19, v15
	v_mov_b32_e32 v29, s11
	s_addc_u32 s15, s15, 0
	v_addc_co_u32_e32 v16, vcc, 0, v16, vcc
	v_mov_b32_e32 v28, s10
	v_cmp_ge_i64_e32 vcc, s[14:15], v[28:29]
	v_add_co_u32_e64 v17, s[0:1], s19, v17
	v_addc_co_u32_e64 v18, s[0:1], 0, v18, s[0:1]
	s_cbranch_vccnz .LBB84_25
.LBB84_9:                               ; =>This Inner Loop Header: Depth=1
	v_mov_b32_e32 v29, s15
	v_add_co_u32_e32 v28, vcc, s14, v0
	v_addc_co_u32_e32 v29, vcc, 0, v29, vcc
	v_cmp_gt_u64_e32 vcc, s[12:13], v[28:29]
	v_mov_b32_e32 v31, 0
	s_and_saveexec_b64 s[2:3], vcc
	s_cbranch_execz .LBB84_11
; %bb.10:                               ;   in Loop: Header=BB84_9 Depth=1
	v_mov_b32_e32 v29, s9
	v_add_co_u32_e64 v28, s[0:1], s8, v1
	v_addc_co_u32_e64 v29, s[0:1], v2, v29, s[0:1]
	global_load_ushort v28, v[28:29], off
	s_waitcnt vmcnt(0)
	v_lshlrev_b32_e32 v28, 16, v28
	v_and_b32_e32 v31, 0x7fffffff, v28
.LBB84_11:                              ;   in Loop: Header=BB84_9 Depth=1
	s_or_b64 exec, exec, s[2:3]
	v_mov_b32_e32 v29, s15
	v_add_co_u32_e64 v28, s[0:1], s14, v13
	v_addc_co_u32_e64 v29, s[0:1], v14, v29, s[0:1]
	v_cmp_gt_u64_e64 s[4:5], s[12:13], v[28:29]
	v_mov_b32_e32 v29, 0
	v_mov_b32_e32 v30, 0
	s_and_saveexec_b64 s[2:3], s[4:5]
	s_cbranch_execz .LBB84_13
; %bb.12:                               ;   in Loop: Header=BB84_9 Depth=1
	v_mov_b32_e32 v28, s9
	v_add_co_u32_e64 v32, s[0:1], s8, v15
	v_addc_co_u32_e64 v33, s[0:1], v16, v28, s[0:1]
	global_load_ushort v28, v[32:33], off
	s_waitcnt vmcnt(0)
	v_lshlrev_b32_e32 v28, 16, v28
	v_and_b32_e32 v30, 0x7fffffff, v28
.LBB84_13:                              ;   in Loop: Header=BB84_9 Depth=1
	s_or_b64 exec, exec, s[2:3]
	v_mov_b32_e32 v28, s15
	v_add_co_u32_e64 v32, s[0:1], s14, v21
	v_addc_co_u32_e64 v33, s[0:1], v22, v28, s[0:1]
	v_cmp_gt_u64_e64 s[2:3], s[12:13], v[32:33]
	s_and_saveexec_b64 s[6:7], s[2:3]
	s_cbranch_execz .LBB84_15
; %bb.14:                               ;   in Loop: Header=BB84_9 Depth=1
	v_mov_b32_e32 v29, s9
	v_add_co_u32_e64 v28, s[0:1], s8, v9
	v_addc_co_u32_e64 v29, s[0:1], v10, v29, s[0:1]
	global_load_ushort v28, v[28:29], off
	s_waitcnt vmcnt(0)
	v_lshlrev_b32_e32 v28, 16, v28
	v_and_b32_e32 v29, 0x7fffffff, v28
.LBB84_15:                              ;   in Loop: Header=BB84_9 Depth=1
	s_or_b64 exec, exec, s[6:7]
	v_mov_b32_e32 v28, s15
	v_add_co_u32_e64 v32, s[0:1], s14, v19
	v_addc_co_u32_e64 v33, s[0:1], v20, v28, s[0:1]
	v_cmp_gt_u64_e64 s[0:1], s[12:13], v[32:33]
	v_mov_b32_e32 v28, 0
	s_and_saveexec_b64 s[16:17], s[0:1]
	s_cbranch_execnz .LBB84_20
; %bb.16:                               ;   in Loop: Header=BB84_9 Depth=1
	s_or_b64 exec, exec, s[16:17]
	s_and_saveexec_b64 s[6:7], vcc
	s_cbranch_execnz .LBB84_21
.LBB84_17:                              ;   in Loop: Header=BB84_9 Depth=1
	s_or_b64 exec, exec, s[6:7]
	s_and_saveexec_b64 s[6:7], s[4:5]
	s_cbranch_execnz .LBB84_22
.LBB84_18:                              ;   in Loop: Header=BB84_9 Depth=1
	s_or_b64 exec, exec, s[6:7]
	s_and_saveexec_b64 s[4:5], s[2:3]
	s_cbranch_execnz .LBB84_23
.LBB84_19:                              ;   in Loop: Header=BB84_9 Depth=1
	s_or_b64 exec, exec, s[4:5]
	s_and_saveexec_b64 s[2:3], s[0:1]
	s_cbranch_execz .LBB84_8
	s_branch .LBB84_24
.LBB84_20:                              ;   in Loop: Header=BB84_9 Depth=1
	v_mov_b32_e32 v28, s9
	v_add_co_u32_e64 v32, s[6:7], s8, v5
	v_addc_co_u32_e64 v33, s[6:7], v6, v28, s[6:7]
	global_load_ushort v28, v[32:33], off
	s_waitcnt vmcnt(0)
	v_lshlrev_b32_e32 v28, 16, v28
	v_and_b32_e32 v28, 0x7fffffff, v28
	s_or_b64 exec, exec, s[16:17]
	s_and_saveexec_b64 s[6:7], vcc
	s_cbranch_execz .LBB84_17
.LBB84_21:                              ;   in Loop: Header=BB84_9 Depth=1
	v_add_f32_e32 v32, 0xbf317218, v31
	v_sub_f32_e32 v33, v32, v31
	v_sub_f32_e32 v34, v33, v32
	v_add_f32_e32 v34, v31, v34
	v_add_f32_e32 v33, 0x3f317218, v33
	v_sub_f32_e32 v33, v34, v33
	v_add_f32_e32 v33, 0x3102e308, v33
	v_add_f32_e32 v34, v32, v33
	v_sub_f32_e32 v32, v32, v34
	v_add_f32_e32 v32, v33, v32
	v_mul_f32_e32 v33, 0x3fb8aa3b, v34
	v_rndne_f32_e32 v33, v33
	v_fmac_f32_e32 v34, 0xbf317200, v33
	v_add_f32_e32 v35, v32, v34
	v_mul_f32_e32 v36, 0x35bfbc00, v33
	v_sub_f32_e32 v37, v35, v36
	v_sub_f32_e32 v34, v34, v35
	v_add_f32_e32 v32, v32, v34
	v_sub_f32_e32 v34, v35, v37
	v_sub_f32_e32 v34, v34, v36
	v_add_f32_e32 v32, v32, v34
	v_add_f32_e32 v34, v37, v32
	v_mul_f32_e32 v35, 0x2ea39ef3, v33
	v_sub_f32_e32 v36, v34, v35
	v_sub_f32_e32 v37, v37, v34
	;; [unrolled: 1-line block ×3, first 2 shown]
	v_add_f32_e32 v32, v32, v37
	v_sub_f32_e32 v34, v34, v35
	v_add_f32_e32 v32, v32, v34
	v_add_f32_e32 v34, v36, v32
	v_mov_b32_e32 v35, 0x3c091de6
	v_sub_f32_e32 v36, v36, v34
	v_fmac_f32_e32 v35, 0x3ab42872, v34
	v_mul_f32_e32 v37, v34, v34
	v_add_f32_e32 v32, v32, v36
	v_fma_f32 v35, v34, v35, v23
	v_add_f32_e32 v36, v32, v32
	v_fma_f32 v38, v34, v34, -v37
	v_fma_f32 v35, v34, v35, v24
	v_fmac_f32_e32 v38, v34, v36
	v_fma_f32 v35, v34, v35, v25
	v_add_f32_e32 v36, v37, v38
	v_mul_f32_e32 v39, v35, v36
	v_sub_f32_e32 v37, v36, v37
	v_sub_f32_e32 v37, v38, v37
	v_fma_f32 v36, v36, v35, -v39
	v_fmac_f32_e32 v36, v37, v35
	v_add_f32_e32 v35, v39, v36
	v_add_f32_e32 v37, v34, v35
	v_sub_f32_e32 v38, v35, v39
	v_sub_f32_e32 v36, v36, v38
	;; [unrolled: 1-line block ×3, first 2 shown]
	v_add_f32_e32 v32, v32, v36
	v_sub_f32_e32 v34, v35, v34
	v_add_f32_e32 v32, v32, v34
	v_add_f32_e32 v34, v37, v32
	v_add_f32_e32 v35, 1.0, v34
	v_sub_f32_e32 v36, v34, v37
	v_sub_f32_e32 v32, v32, v36
	v_add_f32_e32 v36, -1.0, v35
	v_cvt_i32_f32_e32 v33, v33
	v_sub_f32_e32 v34, v34, v36
	v_add_f32_e32 v32, v32, v34
	v_add_f32_e32 v34, v35, v32
	v_ldexp_f32 v36, v34, v33
	v_rcp_f32_e32 v37, v36
	v_sub_f32_e32 v34, v34, v35
	v_sub_f32_e32 v32, v32, v34
	v_ldexp_f32 v32, v32, v33
	v_mul_f32_e32 v38, v36, v37
	v_fma_f32 v33, v37, v36, -v38
	v_fmac_f32_e32 v33, v37, v32
	v_add_f32_e32 v34, v38, v33
	v_sub_f32_e32 v35, 1.0, v34
	v_sub_f32_e32 v38, v34, v38
	v_sub_f32_e32 v33, v38, v33
	v_sub_f32_e32 v38, 1.0, v35
	v_sub_f32_e32 v34, v38, v34
	v_add_f32_e32 v33, v33, v34
	v_add_f32_e32 v34, v35, v33
	v_mul_f32_e32 v38, v37, v34
	v_mul_f32_e32 v41, v36, v38
	v_add_f32_e32 v39, v37, v38
	v_fma_f32 v42, v38, v36, -v41
	v_sub_f32_e32 v40, v39, v37
	v_fmac_f32_e32 v42, v38, v32
	v_sub_f32_e32 v40, v38, v40
	v_add_f32_e32 v38, v41, v42
	v_sub_f32_e32 v43, v34, v38
	v_sub_f32_e32 v35, v35, v34
	;; [unrolled: 1-line block ×4, first 2 shown]
	v_add_f32_e32 v33, v33, v35
	v_sub_f32_e32 v34, v34, v38
	v_sub_f32_e32 v41, v41, v42
	v_add_f32_e32 v33, v33, v34
	v_add_f32_e32 v33, v41, v33
	;; [unrolled: 1-line block ×3, first 2 shown]
	v_mul_f32_e32 v33, v37, v33
	v_add_f32_e32 v33, v40, v33
	v_add_f32_e32 v34, v39, v33
	v_ldexp_f32 v35, v34, -2
	v_sub_f32_e32 v34, v34, v39
	v_sub_f32_e32 v33, v33, v34
	v_add_f32_e32 v37, v36, v35
	v_ldexp_f32 v33, v33, -2
	v_add_f32_e32 v32, v32, v33
	v_sub_f32_e32 v33, v37, v36
	v_sub_f32_e32 v33, v35, v33
	v_add_f32_e32 v32, v32, v33
	v_add_f32_e32 v32, v37, v32
	v_cmp_nlt_f32_e32 vcc, s20, v31
	v_cndmask_b32_e32 v31, v26, v32, vcc
	v_bfe_u32 v32, v31, 16, 1
	v_add3_u32 v32, v31, v32, s21
	v_cmp_o_f32_e32 vcc, v31, v31
	v_cndmask_b32_sdwa v33, v27, v32, vcc dst_sel:DWORD dst_unused:UNUSED_PAD src0_sel:DWORD src1_sel:WORD_1
	v_mov_b32_e32 v32, s9
	v_add_co_u32_e32 v31, vcc, s8, v3
	v_addc_co_u32_e32 v32, vcc, v4, v32, vcc
	global_store_short v[31:32], v33, off
	s_or_b64 exec, exec, s[6:7]
	s_and_saveexec_b64 s[6:7], s[4:5]
	s_cbranch_execz .LBB84_18
.LBB84_22:                              ;   in Loop: Header=BB84_9 Depth=1
	v_add_f32_e32 v31, 0xbf317218, v30
	v_sub_f32_e32 v32, v31, v30
	v_sub_f32_e32 v33, v32, v31
	v_add_f32_e32 v33, v30, v33
	v_add_f32_e32 v32, 0x3f317218, v32
	v_sub_f32_e32 v32, v33, v32
	v_add_f32_e32 v32, 0x3102e308, v32
	v_add_f32_e32 v33, v31, v32
	v_sub_f32_e32 v31, v31, v33
	v_add_f32_e32 v31, v32, v31
	v_mul_f32_e32 v32, 0x3fb8aa3b, v33
	v_rndne_f32_e32 v32, v32
	v_fmac_f32_e32 v33, 0xbf317200, v32
	v_add_f32_e32 v34, v31, v33
	v_sub_f32_e32 v33, v33, v34
	v_add_f32_e32 v31, v31, v33
	v_mul_f32_e32 v33, 0x35bfbc00, v32
	v_sub_f32_e32 v35, v34, v33
	v_sub_f32_e32 v34, v34, v35
	;; [unrolled: 1-line block ×3, first 2 shown]
	v_add_f32_e32 v31, v31, v33
	v_add_f32_e32 v33, v35, v31
	v_sub_f32_e32 v34, v35, v33
	v_add_f32_e32 v31, v31, v34
	v_mul_f32_e32 v34, 0x2ea39ef3, v32
	v_sub_f32_e32 v35, v33, v34
	v_sub_f32_e32 v33, v33, v35
	;; [unrolled: 1-line block ×3, first 2 shown]
	v_add_f32_e32 v31, v31, v33
	v_add_f32_e32 v33, v35, v31
	v_sub_f32_e32 v35, v35, v33
	v_mov_b32_e32 v34, 0x3c091de6
	v_add_f32_e32 v31, v31, v35
	v_mul_f32_e32 v36, v33, v33
	v_fmac_f32_e32 v34, 0x3ab42872, v33
	v_add_f32_e32 v35, v31, v31
	v_fma_f32 v37, v33, v33, -v36
	v_fma_f32 v34, v33, v34, v23
	v_fmac_f32_e32 v37, v33, v35
	v_fma_f32 v34, v33, v34, v24
	v_add_f32_e32 v35, v36, v37
	v_fma_f32 v34, v33, v34, v25
	v_sub_f32_e32 v36, v35, v36
	v_sub_f32_e32 v36, v37, v36
	v_mul_f32_e32 v37, v34, v35
	v_fma_f32 v35, v35, v34, -v37
	v_fmac_f32_e32 v35, v36, v34
	v_add_f32_e32 v34, v37, v35
	v_sub_f32_e32 v36, v34, v37
	v_sub_f32_e32 v35, v35, v36
	v_add_f32_e32 v36, v33, v34
	v_sub_f32_e32 v33, v36, v33
	v_sub_f32_e32 v33, v34, v33
	v_add_f32_e32 v31, v31, v35
	v_add_f32_e32 v31, v31, v33
	;; [unrolled: 1-line block ×3, first 2 shown]
	v_sub_f32_e32 v34, v33, v36
	v_sub_f32_e32 v31, v31, v34
	v_add_f32_e32 v34, 1.0, v33
	v_add_f32_e32 v35, -1.0, v34
	v_cvt_i32_f32_e32 v32, v32
	v_sub_f32_e32 v33, v33, v35
	v_add_f32_e32 v31, v31, v33
	v_add_f32_e32 v33, v34, v31
	v_ldexp_f32 v35, v33, v32
	v_rcp_f32_e32 v36, v35
	v_sub_f32_e32 v33, v33, v34
	v_sub_f32_e32 v31, v31, v33
	v_ldexp_f32 v31, v31, v32
	v_mul_f32_e32 v32, v35, v36
	v_fma_f32 v33, v36, v35, -v32
	v_fmac_f32_e32 v33, v36, v31
	v_add_f32_e32 v34, v32, v33
	v_sub_f32_e32 v37, 1.0, v34
	v_sub_f32_e32 v38, 1.0, v37
	v_sub_f32_e32 v32, v34, v32
	v_sub_f32_e32 v38, v38, v34
	;; [unrolled: 1-line block ×3, first 2 shown]
	v_add_f32_e32 v32, v32, v38
	v_add_f32_e32 v33, v37, v32
	v_mul_f32_e32 v34, v36, v33
	v_mul_f32_e32 v38, v35, v34
	v_fma_f32 v39, v34, v35, -v38
	v_fmac_f32_e32 v39, v34, v31
	v_sub_f32_e32 v37, v37, v33
	v_add_f32_e32 v32, v32, v37
	v_add_f32_e32 v37, v38, v39
	v_sub_f32_e32 v40, v33, v37
	v_sub_f32_e32 v33, v33, v40
	;; [unrolled: 1-line block ×4, first 2 shown]
	v_add_f32_e32 v32, v32, v33
	v_sub_f32_e32 v33, v38, v39
	v_add_f32_e32 v32, v33, v32
	v_add_f32_e32 v32, v40, v32
	;; [unrolled: 1-line block ×3, first 2 shown]
	v_mul_f32_e32 v32, v36, v32
	v_sub_f32_e32 v36, v33, v36
	v_sub_f32_e32 v34, v34, v36
	v_add_f32_e32 v32, v34, v32
	v_add_f32_e32 v34, v33, v32
	v_sub_f32_e32 v33, v34, v33
	v_sub_f32_e32 v32, v32, v33
	v_ldexp_f32 v33, v34, -2
	v_add_f32_e32 v34, v35, v33
	v_ldexp_f32 v32, v32, -2
	v_sub_f32_e32 v35, v34, v35
	v_sub_f32_e32 v33, v33, v35
	v_add_f32_e32 v31, v31, v32
	v_add_f32_e32 v31, v31, v33
	;; [unrolled: 1-line block ×3, first 2 shown]
	v_cmp_nlt_f32_e32 vcc, s20, v30
	v_cndmask_b32_e32 v30, v26, v31, vcc
	v_bfe_u32 v31, v30, 16, 1
	v_add3_u32 v31, v30, v31, s21
	v_cmp_o_f32_e32 vcc, v30, v30
	v_cndmask_b32_sdwa v32, v27, v31, vcc dst_sel:DWORD dst_unused:UNUSED_PAD src0_sel:DWORD src1_sel:WORD_1
	v_mov_b32_e32 v31, s9
	v_add_co_u32_e32 v30, vcc, s8, v17
	v_addc_co_u32_e32 v31, vcc, v18, v31, vcc
	global_store_short v[30:31], v32, off
	s_or_b64 exec, exec, s[6:7]
	s_and_saveexec_b64 s[4:5], s[2:3]
	s_cbranch_execz .LBB84_19
.LBB84_23:                              ;   in Loop: Header=BB84_9 Depth=1
	v_add_f32_e32 v30, 0xbf317218, v29
	v_sub_f32_e32 v31, v30, v29
	v_sub_f32_e32 v32, v31, v30
	v_add_f32_e32 v32, v29, v32
	v_add_f32_e32 v31, 0x3f317218, v31
	v_sub_f32_e32 v31, v32, v31
	v_add_f32_e32 v31, 0x3102e308, v31
	v_add_f32_e32 v32, v30, v31
	v_sub_f32_e32 v30, v30, v32
	v_add_f32_e32 v30, v31, v30
	v_mul_f32_e32 v31, 0x3fb8aa3b, v32
	v_rndne_f32_e32 v31, v31
	v_fmac_f32_e32 v32, 0xbf317200, v31
	v_add_f32_e32 v33, v30, v32
	v_sub_f32_e32 v32, v32, v33
	v_add_f32_e32 v30, v30, v32
	v_mul_f32_e32 v32, 0x35bfbc00, v31
	v_sub_f32_e32 v34, v33, v32
	v_sub_f32_e32 v33, v33, v34
	;; [unrolled: 1-line block ×3, first 2 shown]
	v_add_f32_e32 v30, v30, v32
	v_add_f32_e32 v32, v34, v30
	v_sub_f32_e32 v33, v34, v32
	v_add_f32_e32 v30, v30, v33
	v_mul_f32_e32 v33, 0x2ea39ef3, v31
	v_sub_f32_e32 v34, v32, v33
	v_sub_f32_e32 v32, v32, v34
	;; [unrolled: 1-line block ×3, first 2 shown]
	v_add_f32_e32 v30, v30, v32
	v_add_f32_e32 v32, v34, v30
	v_sub_f32_e32 v34, v34, v32
	v_mov_b32_e32 v33, 0x3c091de6
	v_add_f32_e32 v30, v30, v34
	v_mul_f32_e32 v35, v32, v32
	v_fmac_f32_e32 v33, 0x3ab42872, v32
	v_add_f32_e32 v34, v30, v30
	v_fma_f32 v36, v32, v32, -v35
	v_fma_f32 v33, v32, v33, v23
	v_fmac_f32_e32 v36, v32, v34
	v_fma_f32 v33, v32, v33, v24
	v_add_f32_e32 v34, v35, v36
	v_fma_f32 v33, v32, v33, v25
	v_sub_f32_e32 v35, v34, v35
	v_sub_f32_e32 v35, v36, v35
	v_mul_f32_e32 v36, v33, v34
	v_fma_f32 v34, v34, v33, -v36
	v_fmac_f32_e32 v34, v35, v33
	v_add_f32_e32 v33, v36, v34
	v_sub_f32_e32 v35, v33, v36
	v_sub_f32_e32 v34, v34, v35
	v_add_f32_e32 v35, v32, v33
	v_sub_f32_e32 v32, v35, v32
	v_sub_f32_e32 v32, v33, v32
	v_add_f32_e32 v30, v30, v34
	v_add_f32_e32 v30, v30, v32
	v_add_f32_e32 v32, v35, v30
	v_sub_f32_e32 v33, v32, v35
	v_sub_f32_e32 v30, v30, v33
	v_add_f32_e32 v33, 1.0, v32
	v_add_f32_e32 v34, -1.0, v33
	v_cvt_i32_f32_e32 v31, v31
	v_sub_f32_e32 v32, v32, v34
	v_add_f32_e32 v30, v30, v32
	v_add_f32_e32 v32, v33, v30
	v_ldexp_f32 v34, v32, v31
	v_rcp_f32_e32 v35, v34
	v_sub_f32_e32 v32, v32, v33
	v_sub_f32_e32 v30, v30, v32
	v_ldexp_f32 v30, v30, v31
	v_mul_f32_e32 v31, v34, v35
	v_fma_f32 v32, v35, v34, -v31
	v_fmac_f32_e32 v32, v35, v30
	v_add_f32_e32 v33, v31, v32
	v_sub_f32_e32 v36, 1.0, v33
	v_sub_f32_e32 v37, 1.0, v36
	v_sub_f32_e32 v31, v33, v31
	v_sub_f32_e32 v37, v37, v33
	;; [unrolled: 1-line block ×3, first 2 shown]
	v_add_f32_e32 v31, v31, v37
	v_add_f32_e32 v32, v36, v31
	v_mul_f32_e32 v33, v35, v32
	v_mul_f32_e32 v37, v34, v33
	v_fma_f32 v38, v33, v34, -v37
	v_fmac_f32_e32 v38, v33, v30
	v_sub_f32_e32 v36, v36, v32
	v_add_f32_e32 v31, v31, v36
	v_add_f32_e32 v36, v37, v38
	v_sub_f32_e32 v39, v32, v36
	v_sub_f32_e32 v32, v32, v39
	;; [unrolled: 1-line block ×4, first 2 shown]
	v_add_f32_e32 v31, v31, v32
	v_sub_f32_e32 v32, v37, v38
	v_add_f32_e32 v31, v32, v31
	v_add_f32_e32 v31, v39, v31
	;; [unrolled: 1-line block ×3, first 2 shown]
	v_mul_f32_e32 v31, v35, v31
	v_sub_f32_e32 v35, v32, v35
	v_sub_f32_e32 v33, v33, v35
	v_add_f32_e32 v31, v33, v31
	v_add_f32_e32 v33, v32, v31
	v_sub_f32_e32 v32, v33, v32
	v_sub_f32_e32 v31, v31, v32
	v_ldexp_f32 v32, v33, -2
	v_add_f32_e32 v33, v34, v32
	v_ldexp_f32 v31, v31, -2
	v_sub_f32_e32 v34, v33, v34
	v_sub_f32_e32 v32, v32, v34
	v_add_f32_e32 v30, v30, v31
	v_add_f32_e32 v30, v30, v32
	v_add_f32_e32 v30, v33, v30
	v_cmp_nlt_f32_e32 vcc, s20, v29
	v_cndmask_b32_e32 v29, v26, v30, vcc
	v_bfe_u32 v30, v29, 16, 1
	v_add3_u32 v30, v29, v30, s21
	v_cmp_o_f32_e32 vcc, v29, v29
	v_cndmask_b32_sdwa v31, v27, v30, vcc dst_sel:DWORD dst_unused:UNUSED_PAD src0_sel:DWORD src1_sel:WORD_1
	v_mov_b32_e32 v30, s9
	v_add_co_u32_e32 v29, vcc, s8, v11
	v_addc_co_u32_e32 v30, vcc, v12, v30, vcc
	global_store_short v[29:30], v31, off
	s_or_b64 exec, exec, s[4:5]
	s_and_saveexec_b64 s[2:3], s[0:1]
	s_cbranch_execz .LBB84_8
.LBB84_24:                              ;   in Loop: Header=BB84_9 Depth=1
	v_add_f32_e32 v29, 0xbf317218, v28
	v_sub_f32_e32 v30, v29, v28
	v_sub_f32_e32 v31, v30, v29
	v_add_f32_e32 v31, v28, v31
	v_add_f32_e32 v30, 0x3f317218, v30
	v_sub_f32_e32 v30, v31, v30
	v_add_f32_e32 v30, 0x3102e308, v30
	v_add_f32_e32 v31, v29, v30
	v_sub_f32_e32 v29, v29, v31
	v_add_f32_e32 v29, v30, v29
	v_mul_f32_e32 v30, 0x3fb8aa3b, v31
	v_rndne_f32_e32 v30, v30
	v_fmac_f32_e32 v31, 0xbf317200, v30
	v_add_f32_e32 v32, v29, v31
	v_sub_f32_e32 v31, v31, v32
	v_add_f32_e32 v29, v29, v31
	v_mul_f32_e32 v31, 0x35bfbc00, v30
	v_sub_f32_e32 v33, v32, v31
	v_sub_f32_e32 v32, v32, v33
	;; [unrolled: 1-line block ×3, first 2 shown]
	v_add_f32_e32 v29, v29, v31
	v_add_f32_e32 v31, v33, v29
	v_sub_f32_e32 v32, v33, v31
	v_add_f32_e32 v29, v29, v32
	v_mul_f32_e32 v32, 0x2ea39ef3, v30
	v_sub_f32_e32 v33, v31, v32
	v_sub_f32_e32 v31, v31, v33
	;; [unrolled: 1-line block ×3, first 2 shown]
	v_add_f32_e32 v29, v29, v31
	v_add_f32_e32 v31, v33, v29
	v_sub_f32_e32 v33, v33, v31
	v_mov_b32_e32 v32, 0x3c091de6
	v_add_f32_e32 v29, v29, v33
	v_mul_f32_e32 v34, v31, v31
	v_fmac_f32_e32 v32, 0x3ab42872, v31
	v_add_f32_e32 v33, v29, v29
	v_fma_f32 v35, v31, v31, -v34
	v_fma_f32 v32, v31, v32, v23
	v_fmac_f32_e32 v35, v31, v33
	v_fma_f32 v32, v31, v32, v24
	v_add_f32_e32 v33, v34, v35
	v_fma_f32 v32, v31, v32, v25
	v_sub_f32_e32 v34, v33, v34
	v_sub_f32_e32 v34, v35, v34
	v_mul_f32_e32 v35, v32, v33
	v_fma_f32 v33, v33, v32, -v35
	v_fmac_f32_e32 v33, v34, v32
	v_add_f32_e32 v32, v35, v33
	v_sub_f32_e32 v34, v32, v35
	v_sub_f32_e32 v33, v33, v34
	v_add_f32_e32 v34, v31, v32
	v_sub_f32_e32 v31, v34, v31
	v_sub_f32_e32 v31, v32, v31
	v_add_f32_e32 v29, v29, v33
	v_add_f32_e32 v29, v29, v31
	;; [unrolled: 1-line block ×3, first 2 shown]
	v_sub_f32_e32 v32, v31, v34
	v_sub_f32_e32 v29, v29, v32
	v_add_f32_e32 v32, 1.0, v31
	v_add_f32_e32 v33, -1.0, v32
	v_cvt_i32_f32_e32 v30, v30
	v_sub_f32_e32 v31, v31, v33
	v_add_f32_e32 v29, v29, v31
	v_add_f32_e32 v31, v32, v29
	v_ldexp_f32 v33, v31, v30
	v_rcp_f32_e32 v34, v33
	v_sub_f32_e32 v31, v31, v32
	v_sub_f32_e32 v29, v29, v31
	v_ldexp_f32 v29, v29, v30
	v_mul_f32_e32 v30, v33, v34
	v_fma_f32 v31, v34, v33, -v30
	v_fmac_f32_e32 v31, v34, v29
	v_add_f32_e32 v32, v30, v31
	v_sub_f32_e32 v35, 1.0, v32
	v_sub_f32_e32 v36, 1.0, v35
	v_sub_f32_e32 v30, v32, v30
	v_sub_f32_e32 v36, v36, v32
	v_sub_f32_e32 v30, v30, v31
	v_add_f32_e32 v30, v30, v36
	v_add_f32_e32 v31, v35, v30
	v_mul_f32_e32 v32, v34, v31
	v_mul_f32_e32 v36, v33, v32
	v_fma_f32 v37, v32, v33, -v36
	v_fmac_f32_e32 v37, v32, v29
	v_sub_f32_e32 v35, v35, v31
	v_add_f32_e32 v30, v30, v35
	v_add_f32_e32 v35, v36, v37
	v_sub_f32_e32 v38, v31, v35
	v_sub_f32_e32 v31, v31, v38
	v_sub_f32_e32 v36, v35, v36
	v_sub_f32_e32 v31, v31, v35
	v_add_f32_e32 v30, v30, v31
	v_sub_f32_e32 v31, v36, v37
	v_add_f32_e32 v30, v31, v30
	v_add_f32_e32 v30, v38, v30
	;; [unrolled: 1-line block ×3, first 2 shown]
	v_mul_f32_e32 v30, v34, v30
	v_sub_f32_e32 v34, v31, v34
	v_sub_f32_e32 v32, v32, v34
	v_add_f32_e32 v30, v32, v30
	v_add_f32_e32 v32, v31, v30
	v_sub_f32_e32 v31, v32, v31
	v_sub_f32_e32 v30, v30, v31
	v_ldexp_f32 v31, v32, -2
	v_add_f32_e32 v32, v33, v31
	v_ldexp_f32 v30, v30, -2
	v_sub_f32_e32 v33, v32, v33
	v_sub_f32_e32 v31, v31, v33
	v_add_f32_e32 v29, v29, v30
	v_add_f32_e32 v29, v29, v31
	;; [unrolled: 1-line block ×3, first 2 shown]
	v_cmp_nlt_f32_e32 vcc, s20, v28
	v_cndmask_b32_e32 v28, v26, v29, vcc
	v_bfe_u32 v29, v28, 16, 1
	v_add3_u32 v29, v28, v29, s21
	v_cmp_o_f32_e32 vcc, v28, v28
	v_cndmask_b32_sdwa v30, v27, v29, vcc dst_sel:DWORD dst_unused:UNUSED_PAD src0_sel:DWORD src1_sel:WORD_1
	v_mov_b32_e32 v29, s9
	v_add_co_u32_e32 v28, vcc, s8, v7
	v_addc_co_u32_e32 v29, vcc, v8, v29, vcc
	global_store_short v[28:29], v30, off
	s_branch .LBB84_8
.LBB84_25:
	s_endpgm
	.section	.rodata,"a",@progbits
	.p2align	6, 0x0
	.amdhsa_kernel _ZN2at6native12_GLOBAL__N_125multi_tensor_apply_kernelINS1_18TensorListMetadataILi2EEENS1_14UnaryOpFunctorIN3c108BFloat16ELi2ELi1ELi1EEEJNS0_4CoshIfEEEEEvT_T0_DpT1_
		.amdhsa_group_segment_fixed_size 0
		.amdhsa_private_segment_fixed_size 0
		.amdhsa_kernarg_size 3408
		.amdhsa_user_sgpr_count 6
		.amdhsa_user_sgpr_private_segment_buffer 1
		.amdhsa_user_sgpr_dispatch_ptr 0
		.amdhsa_user_sgpr_queue_ptr 0
		.amdhsa_user_sgpr_kernarg_segment_ptr 1
		.amdhsa_user_sgpr_dispatch_id 0
		.amdhsa_user_sgpr_flat_scratch_init 0
		.amdhsa_user_sgpr_private_segment_size 0
		.amdhsa_uses_dynamic_stack 0
		.amdhsa_system_sgpr_private_segment_wavefront_offset 0
		.amdhsa_system_sgpr_workgroup_id_x 1
		.amdhsa_system_sgpr_workgroup_id_y 0
		.amdhsa_system_sgpr_workgroup_id_z 0
		.amdhsa_system_sgpr_workgroup_info 0
		.amdhsa_system_vgpr_workitem_id 0
		.amdhsa_next_free_vgpr 44
		.amdhsa_next_free_sgpr 22
		.amdhsa_reserve_vcc 1
		.amdhsa_reserve_flat_scratch 0
		.amdhsa_float_round_mode_32 0
		.amdhsa_float_round_mode_16_64 0
		.amdhsa_float_denorm_mode_32 3
		.amdhsa_float_denorm_mode_16_64 3
		.amdhsa_dx10_clamp 1
		.amdhsa_ieee_mode 1
		.amdhsa_fp16_overflow 0
		.amdhsa_exception_fp_ieee_invalid_op 0
		.amdhsa_exception_fp_denorm_src 0
		.amdhsa_exception_fp_ieee_div_zero 0
		.amdhsa_exception_fp_ieee_overflow 0
		.amdhsa_exception_fp_ieee_underflow 0
		.amdhsa_exception_fp_ieee_inexact 0
		.amdhsa_exception_int_div_zero 0
	.end_amdhsa_kernel
	.section	.text._ZN2at6native12_GLOBAL__N_125multi_tensor_apply_kernelINS1_18TensorListMetadataILi2EEENS1_14UnaryOpFunctorIN3c108BFloat16ELi2ELi1ELi1EEEJNS0_4CoshIfEEEEEvT_T0_DpT1_,"axG",@progbits,_ZN2at6native12_GLOBAL__N_125multi_tensor_apply_kernelINS1_18TensorListMetadataILi2EEENS1_14UnaryOpFunctorIN3c108BFloat16ELi2ELi1ELi1EEEJNS0_4CoshIfEEEEEvT_T0_DpT1_,comdat
.Lfunc_end84:
	.size	_ZN2at6native12_GLOBAL__N_125multi_tensor_apply_kernelINS1_18TensorListMetadataILi2EEENS1_14UnaryOpFunctorIN3c108BFloat16ELi2ELi1ELi1EEEJNS0_4CoshIfEEEEEvT_T0_DpT1_, .Lfunc_end84-_ZN2at6native12_GLOBAL__N_125multi_tensor_apply_kernelINS1_18TensorListMetadataILi2EEENS1_14UnaryOpFunctorIN3c108BFloat16ELi2ELi1ELi1EEEJNS0_4CoshIfEEEEEvT_T0_DpT1_
                                        ; -- End function
	.set _ZN2at6native12_GLOBAL__N_125multi_tensor_apply_kernelINS1_18TensorListMetadataILi2EEENS1_14UnaryOpFunctorIN3c108BFloat16ELi2ELi1ELi1EEEJNS0_4CoshIfEEEEEvT_T0_DpT1_.num_vgpr, 44
	.set _ZN2at6native12_GLOBAL__N_125multi_tensor_apply_kernelINS1_18TensorListMetadataILi2EEENS1_14UnaryOpFunctorIN3c108BFloat16ELi2ELi1ELi1EEEJNS0_4CoshIfEEEEEvT_T0_DpT1_.num_agpr, 0
	.set _ZN2at6native12_GLOBAL__N_125multi_tensor_apply_kernelINS1_18TensorListMetadataILi2EEENS1_14UnaryOpFunctorIN3c108BFloat16ELi2ELi1ELi1EEEJNS0_4CoshIfEEEEEvT_T0_DpT1_.numbered_sgpr, 22
	.set _ZN2at6native12_GLOBAL__N_125multi_tensor_apply_kernelINS1_18TensorListMetadataILi2EEENS1_14UnaryOpFunctorIN3c108BFloat16ELi2ELi1ELi1EEEJNS0_4CoshIfEEEEEvT_T0_DpT1_.num_named_barrier, 0
	.set _ZN2at6native12_GLOBAL__N_125multi_tensor_apply_kernelINS1_18TensorListMetadataILi2EEENS1_14UnaryOpFunctorIN3c108BFloat16ELi2ELi1ELi1EEEJNS0_4CoshIfEEEEEvT_T0_DpT1_.private_seg_size, 0
	.set _ZN2at6native12_GLOBAL__N_125multi_tensor_apply_kernelINS1_18TensorListMetadataILi2EEENS1_14UnaryOpFunctorIN3c108BFloat16ELi2ELi1ELi1EEEJNS0_4CoshIfEEEEEvT_T0_DpT1_.uses_vcc, 1
	.set _ZN2at6native12_GLOBAL__N_125multi_tensor_apply_kernelINS1_18TensorListMetadataILi2EEENS1_14UnaryOpFunctorIN3c108BFloat16ELi2ELi1ELi1EEEJNS0_4CoshIfEEEEEvT_T0_DpT1_.uses_flat_scratch, 0
	.set _ZN2at6native12_GLOBAL__N_125multi_tensor_apply_kernelINS1_18TensorListMetadataILi2EEENS1_14UnaryOpFunctorIN3c108BFloat16ELi2ELi1ELi1EEEJNS0_4CoshIfEEEEEvT_T0_DpT1_.has_dyn_sized_stack, 0
	.set _ZN2at6native12_GLOBAL__N_125multi_tensor_apply_kernelINS1_18TensorListMetadataILi2EEENS1_14UnaryOpFunctorIN3c108BFloat16ELi2ELi1ELi1EEEJNS0_4CoshIfEEEEEvT_T0_DpT1_.has_recursion, 0
	.set _ZN2at6native12_GLOBAL__N_125multi_tensor_apply_kernelINS1_18TensorListMetadataILi2EEENS1_14UnaryOpFunctorIN3c108BFloat16ELi2ELi1ELi1EEEJNS0_4CoshIfEEEEEvT_T0_DpT1_.has_indirect_call, 0
	.section	.AMDGPU.csdata,"",@progbits
; Kernel info:
; codeLenInByte = 5972
; TotalNumSgprs: 26
; NumVgprs: 44
; ScratchSize: 0
; MemoryBound: 0
; FloatMode: 240
; IeeeMode: 1
; LDSByteSize: 0 bytes/workgroup (compile time only)
; SGPRBlocks: 3
; VGPRBlocks: 10
; NumSGPRsForWavesPerEU: 26
; NumVGPRsForWavesPerEU: 44
; Occupancy: 5
; WaveLimiterHint : 0
; COMPUTE_PGM_RSRC2:SCRATCH_EN: 0
; COMPUTE_PGM_RSRC2:USER_SGPR: 6
; COMPUTE_PGM_RSRC2:TRAP_HANDLER: 0
; COMPUTE_PGM_RSRC2:TGID_X_EN: 1
; COMPUTE_PGM_RSRC2:TGID_Y_EN: 0
; COMPUTE_PGM_RSRC2:TGID_Z_EN: 0
; COMPUTE_PGM_RSRC2:TIDIG_COMP_CNT: 0
	.section	.text._ZN2at6native12_GLOBAL__N_125multi_tensor_apply_kernelINS1_18TensorListMetadataILi1EEENS1_14UnaryOpFunctorIdLi1ELi1ELi0EEEJNS0_4CoshIdEEEEEvT_T0_DpT1_,"axG",@progbits,_ZN2at6native12_GLOBAL__N_125multi_tensor_apply_kernelINS1_18TensorListMetadataILi1EEENS1_14UnaryOpFunctorIdLi1ELi1ELi0EEEJNS0_4CoshIdEEEEEvT_T0_DpT1_,comdat
	.globl	_ZN2at6native12_GLOBAL__N_125multi_tensor_apply_kernelINS1_18TensorListMetadataILi1EEENS1_14UnaryOpFunctorIdLi1ELi1ELi0EEEJNS0_4CoshIdEEEEEvT_T0_DpT1_ ; -- Begin function _ZN2at6native12_GLOBAL__N_125multi_tensor_apply_kernelINS1_18TensorListMetadataILi1EEENS1_14UnaryOpFunctorIdLi1ELi1ELi0EEEJNS0_4CoshIdEEEEEvT_T0_DpT1_
	.p2align	8
	.type	_ZN2at6native12_GLOBAL__N_125multi_tensor_apply_kernelINS1_18TensorListMetadataILi1EEENS1_14UnaryOpFunctorIdLi1ELi1ELi0EEEJNS0_4CoshIdEEEEEvT_T0_DpT1_,@function
_ZN2at6native12_GLOBAL__N_125multi_tensor_apply_kernelINS1_18TensorListMetadataILi1EEENS1_14UnaryOpFunctorIdLi1ELi1ELi0EEEJNS0_4CoshIdEEEEEvT_T0_DpT1_: ; @_ZN2at6native12_GLOBAL__N_125multi_tensor_apply_kernelINS1_18TensorListMetadataILi1EEENS1_14UnaryOpFunctorIdLi1ELi1ELi0EEEJNS0_4CoshIdEEEEEvT_T0_DpT1_
; %bb.0:
	v_mov_b32_e32 v1, s6
	global_load_ubyte v1, v1, s[4:5] offset:1760
	s_add_u32 s0, s4, s6
	s_mul_hi_u32 s1, s6, 3
	s_mul_i32 s6, s6, 3
	s_addc_u32 s2, s5, 0
	s_add_u32 s0, s0, s6
	s_addc_u32 s1, s2, s1
	s_load_dword s0, s[0:1], 0x820
	s_mov_b32 s7, 0
	s_waitcnt vmcnt(0)
	v_readfirstlane_b32 s1, v1
	s_lshl_b32 s1, s1, 3
	s_load_dwordx2 s[2:3], s[4:5], s1 offset:0x370
	s_load_dwordx2 s[10:11], s[4:5], s1 offset:0x0
	s_waitcnt lgkmcnt(0)
	s_ashr_i32 s1, s0, 31
	s_lshl_b64 s[12:13], s[0:1], 19
	s_lshl_b64 s[0:1], s[0:1], 16
	s_and_b32 s6, s10, 31
	s_sub_u32 s14, s2, s0
	s_subb_u32 s15, s3, s1
	s_and_b32 s0, s2, 3
	s_mov_b32 s1, s7
	s_or_b64 s[0:1], s[6:7], s[0:1]
	s_cmp_eq_u64 s[0:1], 0
	s_cbranch_scc1 .LBB85_21
; %bb.1:
	v_cmp_lt_i64_e64 s[0:1], s[14:15], 1
	s_and_b64 vcc, exec, s[0:1]
	s_cbranch_vccnz .LBB85_20
; %bb.2:
	v_mov_b32_e32 v1, 0x10000
	s_load_dword s2, s[4:5], 0xd3c
	v_mov_b32_e32 v2, 0
	v_cmp_lt_i64_e32 vcc, s[14:15], v[1:2]
	s_mov_b32 s22, 0xfefa39ef
	s_and_b64 s[0:1], vcc, exec
	v_cmp_lt_u64_e32 vcc, s[14:15], v[1:2]
	s_cselect_b32 s17, s15, 0
	s_cselect_b32 s16, s14, 0x10000
	s_waitcnt lgkmcnt(0)
	s_and_b32 s2, s2, 0xffff
	s_and_b64 s[0:1], vcc, exec
	s_cselect_b32 s19, s15, 0
	s_cselect_b32 s18, s14, 0x10000
	s_lshl_b32 s3, s2, 1
	s_lshl_b32 s33, s2, 2
	s_add_u32 s6, s10, s12
	v_lshlrev_b32_e32 v1, 3, v0
	s_addc_u32 s7, s11, s13
	v_mov_b32_e32 v2, s7
	v_add_co_u32_e32 v1, vcc, s6, v1
	s_mul_i32 s0, s2, 3
	v_addc_co_u32_e32 v2, vcc, 0, v2, vcc
	v_add_co_u32_e32 v15, vcc, s0, v0
	v_addc_co_u32_e64 v16, s[0:1], 0, 0, vcc
	v_add_co_u32_e32 v17, vcc, s3, v0
	v_addc_co_u32_e64 v18, s[0:1], 0, 0, vcc
	v_add_co_u32_e32 v19, vcc, s2, v0
	v_lshlrev_b32_e32 v3, 3, v19
	v_addc_co_u32_e64 v20, s[0:1], 0, 0, vcc
	v_mov_b32_e32 v4, s7
	v_add_co_u32_e32 v3, vcc, s6, v3
	s_mov_b32 s26, 0x3b39803f
	s_mov_b32 s28, 0x652b82fe
	;; [unrolled: 1-line block ×14, first 2 shown]
	s_lshl_b32 s60, s2, 5
	s_mul_i32 s61, s2, 24
	s_lshl_b32 s62, s2, 4
	v_addc_co_u32_e32 v4, vcc, 0, v4, vcc
	s_mov_b64 s[20:21], 0
	s_mov_b32 s23, 0xbfe62e42
	s_mov_b32 s25, 0x3fe62e42
	;; [unrolled: 1-line block ×17, first 2 shown]
	v_mov_b32_e32 v5, 0xfca7ab0c
	v_mov_b32_e32 v6, 0x3e928af3
	;; [unrolled: 1-line block ×3, first 2 shown]
	s_branch .LBB85_4
.LBB85_3:                               ;   in Loop: Header=BB85_4 Depth=1
	s_or_b64 exec, exec, s[0:1]
	s_add_u32 s20, s20, s33
	v_add_co_u32_e32 v1, vcc, s60, v1
	v_mov_b32_e32 v7, s16
	s_addc_u32 s21, s21, 0
	v_addc_co_u32_e32 v2, vcc, 0, v2, vcc
	v_mov_b32_e32 v8, s17
	v_cmp_lt_i64_e32 vcc, s[20:21], v[7:8]
	v_add_co_u32_e64 v3, s[0:1], s60, v3
	v_addc_co_u32_e64 v4, s[0:1], 0, v4, s[0:1]
	s_cbranch_vccz .LBB85_20
.LBB85_4:                               ; =>This Inner Loop Header: Depth=1
	v_mov_b32_e32 v8, s21
	v_add_co_u32_e32 v7, vcc, s20, v0
	v_addc_co_u32_e32 v8, vcc, 0, v8, vcc
	v_cmp_gt_u64_e64 s[6:7], s[18:19], v[7:8]
	v_mov_b32_e32 v11, 0
	v_mov_b32_e32 v13, 0
	;; [unrolled: 1-line block ×4, first 2 shown]
	s_and_saveexec_b64 s[0:1], s[6:7]
	s_cbranch_execz .LBB85_6
; %bb.5:                                ;   in Loop: Header=BB85_4 Depth=1
	global_load_dwordx2 v[13:14], v[1:2], off
	s_waitcnt vmcnt(0)
	v_and_b32_e32 v14, 0x7fffffff, v14
.LBB85_6:                               ;   in Loop: Header=BB85_4 Depth=1
	s_or_b64 exec, exec, s[0:1]
	v_mov_b32_e32 v8, s21
	v_add_co_u32_e32 v7, vcc, s20, v19
	v_addc_co_u32_e32 v8, vcc, v20, v8, vcc
	v_cmp_gt_u64_e64 s[2:3], s[18:19], v[7:8]
	s_and_saveexec_b64 s[0:1], s[2:3]
	s_cbranch_execz .LBB85_8
; %bb.7:                                ;   in Loop: Header=BB85_4 Depth=1
	global_load_dwordx2 v[11:12], v[3:4], off
	s_waitcnt vmcnt(0)
	v_and_b32_e32 v12, 0x7fffffff, v12
.LBB85_8:                               ;   in Loop: Header=BB85_4 Depth=1
	s_or_b64 exec, exec, s[0:1]
	v_mov_b32_e32 v8, s21
	v_add_co_u32_e32 v7, vcc, s20, v17
	v_addc_co_u32_e32 v8, vcc, v18, v8, vcc
	v_cmp_gt_u64_e64 s[0:1], s[18:19], v[7:8]
	v_mov_b32_e32 v7, 0
	v_mov_b32_e32 v9, 0
	;; [unrolled: 1-line block ×4, first 2 shown]
	s_and_saveexec_b64 s[8:9], s[0:1]
	s_cbranch_execz .LBB85_10
; %bb.9:                                ;   in Loop: Header=BB85_4 Depth=1
	v_add_co_u32_e32 v9, vcc, s62, v1
	v_addc_co_u32_e32 v10, vcc, 0, v2, vcc
	global_load_dwordx2 v[9:10], v[9:10], off
	s_waitcnt vmcnt(0)
	v_and_b32_e32 v10, 0x7fffffff, v10
.LBB85_10:                              ;   in Loop: Header=BB85_4 Depth=1
	s_or_b64 exec, exec, s[8:9]
	v_mov_b32_e32 v23, s21
	v_add_co_u32_e32 v22, vcc, s20, v15
	v_addc_co_u32_e32 v23, vcc, v16, v23, vcc
	v_cmp_gt_u64_e32 vcc, s[18:19], v[22:23]
	s_and_saveexec_b64 s[58:59], vcc
	s_cbranch_execnz .LBB85_15
; %bb.11:                               ;   in Loop: Header=BB85_4 Depth=1
	s_or_b64 exec, exec, s[58:59]
	s_and_saveexec_b64 s[8:9], s[6:7]
	s_cbranch_execnz .LBB85_16
.LBB85_12:                              ;   in Loop: Header=BB85_4 Depth=1
	s_or_b64 exec, exec, s[8:9]
	s_and_saveexec_b64 s[6:7], s[2:3]
	s_cbranch_execnz .LBB85_17
.LBB85_13:                              ;   in Loop: Header=BB85_4 Depth=1
	s_or_b64 exec, exec, s[6:7]
	s_and_saveexec_b64 s[2:3], s[0:1]
	s_cbranch_execnz .LBB85_18
.LBB85_14:                              ;   in Loop: Header=BB85_4 Depth=1
	s_or_b64 exec, exec, s[2:3]
	s_and_saveexec_b64 s[0:1], vcc
	s_cbranch_execz .LBB85_3
	s_branch .LBB85_19
.LBB85_15:                              ;   in Loop: Header=BB85_4 Depth=1
	v_add_co_u32_e64 v7, s[8:9], s61, v1
	v_addc_co_u32_e64 v8, s[8:9], 0, v2, s[8:9]
	global_load_dwordx2 v[7:8], v[7:8], off
	s_waitcnt vmcnt(0)
	v_and_b32_e32 v8, 0x7fffffff, v8
	s_or_b64 exec, exec, s[58:59]
	s_and_saveexec_b64 s[8:9], s[6:7]
	s_cbranch_execz .LBB85_12
.LBB85_16:                              ;   in Loop: Header=BB85_4 Depth=1
	v_add_f64 v[22:23], v[13:14], s[22:23]
	s_mov_b32 s24, s22
	s_mov_b32 s31, s23
	v_cmp_nle_f64_e64 s[6:7], s[56:57], v[13:14]
	v_add_f64 v[24:25], v[22:23], -v[13:14]
	v_add_f64 v[26:27], v[24:25], -v[22:23]
	v_add_f64 v[24:25], v[24:25], s[24:25]
	v_add_f64 v[26:27], v[13:14], v[26:27]
	v_add_f64 v[24:25], v[26:27], -v[24:25]
	v_add_f64 v[24:25], v[24:25], s[26:27]
	v_add_f64 v[26:27], v[22:23], v[24:25]
	v_mul_f64 v[28:29], v[26:27], s[28:29]
	v_add_f64 v[22:23], v[22:23], -v[26:27]
	v_rndne_f64_e32 v[28:29], v[28:29]
	v_add_f64 v[22:23], v[24:25], v[22:23]
	v_fma_f64 v[24:25], v[28:29], s[30:31], v[26:27]
	v_mul_f64 v[26:27], v[28:29], s[34:35]
	v_add_f64 v[30:31], v[22:23], v[24:25]
	v_add_f64 v[32:33], v[30:31], v[26:27]
	v_add_f64 v[24:25], v[24:25], -v[30:31]
	v_add_f64 v[30:31], v[30:31], -v[32:33]
	v_add_f64 v[22:23], v[22:23], v[24:25]
	v_add_f64 v[24:25], v[30:31], v[26:27]
	;; [unrolled: 1-line block ×3, first 2 shown]
	v_mul_f64 v[24:25], v[28:29], s[36:37]
	v_add_f64 v[26:27], v[32:33], v[22:23]
	v_add_f64 v[30:31], v[26:27], v[24:25]
	v_add_f64 v[32:33], v[32:33], -v[26:27]
	v_add_f64 v[26:27], v[26:27], -v[30:31]
	v_add_f64 v[22:23], v[22:23], v[32:33]
	v_add_f64 v[24:25], v[26:27], v[24:25]
	;; [unrolled: 1-line block ×4, first 2 shown]
	v_fma_f64 v[26:27], v[24:25], s[38:39], v[5:6]
	v_add_f64 v[30:31], v[30:31], -v[24:25]
	v_mul_f64 v[32:33], v[24:25], v[24:25]
	v_fma_f64 v[26:27], v[24:25], v[26:27], s[40:41]
	v_add_f64 v[22:23], v[22:23], v[30:31]
	v_fma_f64 v[30:31], v[24:25], v[24:25], -v[32:33]
	v_fma_f64 v[26:27], v[24:25], v[26:27], s[42:43]
	v_add_f64 v[34:35], v[22:23], v[22:23]
	v_fma_f64 v[26:27], v[24:25], v[26:27], s[44:45]
	v_fma_f64 v[30:31], v[24:25], v[34:35], v[30:31]
	;; [unrolled: 1-line block ×3, first 2 shown]
	v_add_f64 v[34:35], v[32:33], v[30:31]
	v_fma_f64 v[26:27], v[24:25], v[26:27], s[48:49]
	v_add_f64 v[32:33], v[34:35], -v[32:33]
	v_fma_f64 v[26:27], v[24:25], v[26:27], s[50:51]
	v_add_f64 v[30:31], v[30:31], -v[32:33]
	v_fma_f64 v[26:27], v[24:25], v[26:27], s[52:53]
	v_fma_f64 v[26:27], v[24:25], v[26:27], s[54:55]
	v_mul_f64 v[36:37], v[34:35], v[26:27]
	v_fma_f64 v[32:33], v[34:35], v[26:27], -v[36:37]
	v_fma_f64 v[26:27], v[30:31], v[26:27], v[32:33]
	v_add_f64 v[30:31], v[36:37], v[26:27]
	v_add_f64 v[32:33], v[30:31], -v[36:37]
	v_add_f64 v[34:35], v[24:25], v[30:31]
	v_add_f64 v[26:27], v[26:27], -v[32:33]
	v_add_f64 v[24:25], v[34:35], -v[24:25]
	v_add_f64 v[22:23], v[22:23], v[26:27]
	v_add_f64 v[24:25], v[30:31], -v[24:25]
	v_add_f64 v[22:23], v[22:23], v[24:25]
	v_add_f64 v[24:25], v[34:35], v[22:23]
	v_add_f64 v[26:27], v[24:25], 1.0
	v_add_f64 v[30:31], v[24:25], -v[34:35]
	v_cvt_i32_f64_e32 v34, v[28:29]
	v_add_f64 v[32:33], v[26:27], -1.0
	v_add_f64 v[22:23], v[22:23], -v[30:31]
	v_add_f64 v[24:25], v[24:25], -v[32:33]
	v_add_f64 v[22:23], v[22:23], v[24:25]
	v_add_f64 v[24:25], v[26:27], v[22:23]
	v_ldexp_f64 v[28:29], v[24:25], v34
	v_add_f64 v[24:25], v[24:25], -v[26:27]
	v_rcp_f64_e32 v[30:31], v[28:29]
	v_add_f64 v[22:23], v[22:23], -v[24:25]
	v_ldexp_f64 v[22:23], v[22:23], v34
	v_fma_f64 v[32:33], -v[28:29], v[30:31], 1.0
	v_fma_f64 v[30:31], v[32:33], v[30:31], v[30:31]
	v_fma_f64 v[32:33], -v[28:29], v[30:31], 1.0
	v_fma_f64 v[26:27], v[32:33], v[30:31], v[30:31]
	v_mul_f64 v[24:25], v[28:29], v[26:27]
	v_fma_f64 v[30:31], v[26:27], v[28:29], -v[24:25]
	v_fma_f64 v[30:31], v[26:27], v[22:23], v[30:31]
	v_add_f64 v[32:33], v[24:25], v[30:31]
	v_add_f64 v[34:35], -v[32:33], 1.0
	v_add_f64 v[24:25], v[32:33], -v[24:25]
	v_add_f64 v[36:37], -v[34:35], 1.0
	v_add_f64 v[24:25], v[24:25], -v[30:31]
	v_add_f64 v[30:31], v[36:37], -v[32:33]
	v_add_f64 v[24:25], v[24:25], v[30:31]
	v_add_f64 v[30:31], v[34:35], v[24:25]
	v_mul_f64 v[32:33], v[26:27], v[30:31]
	v_add_f64 v[34:35], v[34:35], -v[30:31]
	v_mul_f64 v[36:37], v[28:29], v[32:33]
	v_add_f64 v[24:25], v[24:25], v[34:35]
	v_fma_f64 v[38:39], v[32:33], v[28:29], -v[36:37]
	v_fma_f64 v[38:39], v[32:33], v[22:23], v[38:39]
	v_add_f64 v[40:41], v[36:37], v[38:39]
	v_add_f64 v[42:43], v[30:31], -v[40:41]
	v_add_f64 v[34:35], v[40:41], -v[36:37]
	v_add_f64 v[30:31], v[30:31], -v[42:43]
	v_add_f64 v[34:35], v[34:35], -v[38:39]
	v_add_f64 v[30:31], v[30:31], -v[40:41]
	v_add_f64 v[24:25], v[24:25], v[30:31]
	v_add_f64 v[30:31], v[26:27], v[32:33]
	;; [unrolled: 1-line block ×3, first 2 shown]
	v_add_f64 v[34:35], v[30:31], -v[26:27]
	v_add_f64 v[24:25], v[42:43], v[24:25]
	v_add_f64 v[32:33], v[32:33], -v[34:35]
	v_mul_f64 v[24:25], v[26:27], v[24:25]
	v_add_f64 v[24:25], v[32:33], v[24:25]
	v_add_f64 v[26:27], v[30:31], v[24:25]
	v_add_f64 v[30:31], v[26:27], -v[30:31]
	v_ldexp_f64 v[26:27], v[26:27], -2
	v_add_f64 v[24:25], v[24:25], -v[30:31]
	v_add_f64 v[30:31], v[28:29], v[26:27]
	v_ldexp_f64 v[24:25], v[24:25], -2
	v_add_f64 v[28:29], v[30:31], -v[28:29]
	v_add_f64 v[22:23], v[22:23], v[24:25]
	v_add_f64 v[24:25], v[26:27], -v[28:29]
	v_add_f64 v[22:23], v[22:23], v[24:25]
	v_add_f64 v[22:23], v[30:31], v[22:23]
	v_cndmask_b32_e64 v14, v21, v23, s[6:7]
	v_cndmask_b32_e64 v13, 0, v22, s[6:7]
	global_store_dwordx2 v[1:2], v[13:14], off
	s_or_b64 exec, exec, s[8:9]
	s_and_saveexec_b64 s[6:7], s[2:3]
	s_cbranch_execz .LBB85_13
.LBB85_17:                              ;   in Loop: Header=BB85_4 Depth=1
	v_add_f64 v[13:14], v[11:12], s[22:23]
	s_mov_b32 s24, s22
	s_mov_b32 s31, s23
	v_cmp_nle_f64_e64 s[2:3], s[56:57], v[11:12]
	v_add_f64 v[22:23], v[13:14], -v[11:12]
	v_add_f64 v[24:25], v[22:23], -v[13:14]
	v_add_f64 v[22:23], v[22:23], s[24:25]
	v_add_f64 v[24:25], v[11:12], v[24:25]
	v_add_f64 v[22:23], v[24:25], -v[22:23]
	v_add_f64 v[22:23], v[22:23], s[26:27]
	v_add_f64 v[24:25], v[13:14], v[22:23]
	v_mul_f64 v[26:27], v[24:25], s[28:29]
	v_add_f64 v[13:14], v[13:14], -v[24:25]
	v_rndne_f64_e32 v[26:27], v[26:27]
	v_add_f64 v[13:14], v[22:23], v[13:14]
	v_fma_f64 v[22:23], v[26:27], s[30:31], v[24:25]
	v_mul_f64 v[24:25], v[26:27], s[34:35]
	v_add_f64 v[28:29], v[13:14], v[22:23]
	v_add_f64 v[30:31], v[28:29], v[24:25]
	v_add_f64 v[22:23], v[22:23], -v[28:29]
	v_add_f64 v[28:29], v[28:29], -v[30:31]
	v_add_f64 v[13:14], v[13:14], v[22:23]
	v_add_f64 v[22:23], v[28:29], v[24:25]
	;; [unrolled: 1-line block ×3, first 2 shown]
	v_mul_f64 v[22:23], v[26:27], s[36:37]
	v_add_f64 v[24:25], v[30:31], v[13:14]
	v_add_f64 v[28:29], v[24:25], v[22:23]
	v_add_f64 v[30:31], v[30:31], -v[24:25]
	v_add_f64 v[24:25], v[24:25], -v[28:29]
	v_add_f64 v[13:14], v[13:14], v[30:31]
	v_add_f64 v[22:23], v[24:25], v[22:23]
	;; [unrolled: 1-line block ×4, first 2 shown]
	v_fma_f64 v[24:25], v[22:23], s[38:39], v[5:6]
	v_add_f64 v[28:29], v[28:29], -v[22:23]
	v_mul_f64 v[30:31], v[22:23], v[22:23]
	v_fma_f64 v[24:25], v[22:23], v[24:25], s[40:41]
	v_add_f64 v[13:14], v[13:14], v[28:29]
	v_fma_f64 v[28:29], v[22:23], v[22:23], -v[30:31]
	v_fma_f64 v[24:25], v[22:23], v[24:25], s[42:43]
	v_add_f64 v[32:33], v[13:14], v[13:14]
	v_fma_f64 v[24:25], v[22:23], v[24:25], s[44:45]
	v_fma_f64 v[28:29], v[22:23], v[32:33], v[28:29]
	;; [unrolled: 1-line block ×3, first 2 shown]
	v_add_f64 v[32:33], v[30:31], v[28:29]
	v_fma_f64 v[24:25], v[22:23], v[24:25], s[48:49]
	v_add_f64 v[30:31], v[32:33], -v[30:31]
	v_fma_f64 v[24:25], v[22:23], v[24:25], s[50:51]
	v_add_f64 v[28:29], v[28:29], -v[30:31]
	v_fma_f64 v[24:25], v[22:23], v[24:25], s[52:53]
	v_fma_f64 v[24:25], v[22:23], v[24:25], s[54:55]
	v_mul_f64 v[34:35], v[32:33], v[24:25]
	v_fma_f64 v[30:31], v[32:33], v[24:25], -v[34:35]
	v_fma_f64 v[24:25], v[28:29], v[24:25], v[30:31]
	v_add_f64 v[28:29], v[34:35], v[24:25]
	v_add_f64 v[30:31], v[22:23], v[28:29]
	v_add_f64 v[32:33], v[28:29], -v[34:35]
	v_add_f64 v[22:23], v[30:31], -v[22:23]
	;; [unrolled: 1-line block ×3, first 2 shown]
	v_cvt_i32_f64_e32 v32, v[26:27]
	v_add_f64 v[22:23], v[28:29], -v[22:23]
	v_add_f64 v[13:14], v[13:14], v[24:25]
	v_add_f64 v[13:14], v[13:14], v[22:23]
	;; [unrolled: 1-line block ×3, first 2 shown]
	v_add_f64 v[24:25], v[22:23], 1.0
	v_add_f64 v[28:29], v[22:23], -v[30:31]
	v_add_f64 v[30:31], v[24:25], -1.0
	v_add_f64 v[13:14], v[13:14], -v[28:29]
	v_add_f64 v[22:23], v[22:23], -v[30:31]
	v_add_f64 v[13:14], v[13:14], v[22:23]
	v_add_f64 v[22:23], v[24:25], v[13:14]
	v_ldexp_f64 v[26:27], v[22:23], v32
	v_add_f64 v[22:23], v[22:23], -v[24:25]
	v_rcp_f64_e32 v[28:29], v[26:27]
	v_add_f64 v[13:14], v[13:14], -v[22:23]
	v_ldexp_f64 v[13:14], v[13:14], v32
	v_fma_f64 v[30:31], -v[26:27], v[28:29], 1.0
	v_fma_f64 v[28:29], v[30:31], v[28:29], v[28:29]
	v_fma_f64 v[30:31], -v[26:27], v[28:29], 1.0
	v_fma_f64 v[24:25], v[30:31], v[28:29], v[28:29]
	v_mul_f64 v[22:23], v[26:27], v[24:25]
	v_fma_f64 v[28:29], v[24:25], v[26:27], -v[22:23]
	v_fma_f64 v[28:29], v[24:25], v[13:14], v[28:29]
	v_add_f64 v[30:31], v[22:23], v[28:29]
	v_add_f64 v[32:33], -v[30:31], 1.0
	v_add_f64 v[22:23], v[30:31], -v[22:23]
	v_add_f64 v[34:35], -v[32:33], 1.0
	v_add_f64 v[22:23], v[22:23], -v[28:29]
	v_add_f64 v[28:29], v[34:35], -v[30:31]
	v_add_f64 v[22:23], v[22:23], v[28:29]
	v_add_f64 v[28:29], v[32:33], v[22:23]
	v_mul_f64 v[30:31], v[24:25], v[28:29]
	v_add_f64 v[32:33], v[32:33], -v[28:29]
	v_mul_f64 v[34:35], v[26:27], v[30:31]
	v_add_f64 v[22:23], v[22:23], v[32:33]
	v_fma_f64 v[36:37], v[30:31], v[26:27], -v[34:35]
	v_fma_f64 v[36:37], v[30:31], v[13:14], v[36:37]
	v_add_f64 v[38:39], v[34:35], v[36:37]
	v_add_f64 v[40:41], v[28:29], -v[38:39]
	v_add_f64 v[32:33], v[38:39], -v[34:35]
	;; [unrolled: 1-line block ×5, first 2 shown]
	v_add_f64 v[22:23], v[22:23], v[28:29]
	v_add_f64 v[28:29], v[24:25], v[30:31]
	;; [unrolled: 1-line block ×3, first 2 shown]
	v_add_f64 v[32:33], v[28:29], -v[24:25]
	v_add_f64 v[22:23], v[40:41], v[22:23]
	v_add_f64 v[30:31], v[30:31], -v[32:33]
	v_mul_f64 v[22:23], v[24:25], v[22:23]
	v_add_f64 v[22:23], v[30:31], v[22:23]
	v_add_f64 v[24:25], v[28:29], v[22:23]
	v_ldexp_f64 v[30:31], v[24:25], -2
	v_add_f64 v[24:25], v[24:25], -v[28:29]
	v_add_f64 v[28:29], v[26:27], v[30:31]
	v_add_f64 v[22:23], v[22:23], -v[24:25]
	v_add_f64 v[24:25], v[28:29], -v[26:27]
	v_ldexp_f64 v[22:23], v[22:23], -2
	v_add_f64 v[24:25], v[30:31], -v[24:25]
	v_add_f64 v[13:14], v[13:14], v[22:23]
	v_add_f64 v[13:14], v[13:14], v[24:25]
	;; [unrolled: 1-line block ×3, first 2 shown]
	v_cndmask_b32_e64 v12, v21, v14, s[2:3]
	v_cndmask_b32_e64 v11, 0, v13, s[2:3]
	global_store_dwordx2 v[3:4], v[11:12], off
	s_or_b64 exec, exec, s[6:7]
	s_and_saveexec_b64 s[2:3], s[0:1]
	s_cbranch_execz .LBB85_14
.LBB85_18:                              ;   in Loop: Header=BB85_4 Depth=1
	v_add_f64 v[11:12], v[9:10], s[22:23]
	s_mov_b32 s24, s22
	s_mov_b32 s31, s23
	v_cmp_nle_f64_e64 s[0:1], s[56:57], v[9:10]
	v_add_f64 v[13:14], v[11:12], -v[9:10]
	v_add_f64 v[22:23], v[13:14], -v[11:12]
	v_add_f64 v[13:14], v[13:14], s[24:25]
	v_add_f64 v[22:23], v[9:10], v[22:23]
	v_add_f64 v[13:14], v[22:23], -v[13:14]
	v_add_f64 v[13:14], v[13:14], s[26:27]
	v_add_f64 v[22:23], v[11:12], v[13:14]
	v_mul_f64 v[24:25], v[22:23], s[28:29]
	v_add_f64 v[11:12], v[11:12], -v[22:23]
	v_rndne_f64_e32 v[24:25], v[24:25]
	v_add_f64 v[11:12], v[13:14], v[11:12]
	v_fma_f64 v[13:14], v[24:25], s[30:31], v[22:23]
	v_mul_f64 v[22:23], v[24:25], s[34:35]
	v_add_f64 v[26:27], v[11:12], v[13:14]
	v_add_f64 v[28:29], v[26:27], v[22:23]
	v_add_f64 v[13:14], v[13:14], -v[26:27]
	v_add_f64 v[26:27], v[26:27], -v[28:29]
	v_add_f64 v[11:12], v[11:12], v[13:14]
	v_add_f64 v[13:14], v[26:27], v[22:23]
	;; [unrolled: 1-line block ×3, first 2 shown]
	v_mul_f64 v[13:14], v[24:25], s[36:37]
	v_add_f64 v[22:23], v[28:29], v[11:12]
	v_add_f64 v[26:27], v[22:23], v[13:14]
	v_add_f64 v[28:29], v[28:29], -v[22:23]
	v_add_f64 v[22:23], v[22:23], -v[26:27]
	v_add_f64 v[11:12], v[11:12], v[28:29]
	v_add_f64 v[13:14], v[22:23], v[13:14]
	;; [unrolled: 1-line block ×4, first 2 shown]
	v_fma_f64 v[22:23], v[13:14], s[38:39], v[5:6]
	v_add_f64 v[26:27], v[26:27], -v[13:14]
	v_mul_f64 v[28:29], v[13:14], v[13:14]
	v_fma_f64 v[22:23], v[13:14], v[22:23], s[40:41]
	v_add_f64 v[11:12], v[11:12], v[26:27]
	v_fma_f64 v[26:27], v[13:14], v[13:14], -v[28:29]
	v_fma_f64 v[22:23], v[13:14], v[22:23], s[42:43]
	v_add_f64 v[30:31], v[11:12], v[11:12]
	v_fma_f64 v[22:23], v[13:14], v[22:23], s[44:45]
	v_fma_f64 v[26:27], v[13:14], v[30:31], v[26:27]
	;; [unrolled: 1-line block ×3, first 2 shown]
	v_add_f64 v[30:31], v[28:29], v[26:27]
	v_fma_f64 v[22:23], v[13:14], v[22:23], s[48:49]
	v_add_f64 v[28:29], v[30:31], -v[28:29]
	v_fma_f64 v[22:23], v[13:14], v[22:23], s[50:51]
	v_add_f64 v[26:27], v[26:27], -v[28:29]
	v_fma_f64 v[22:23], v[13:14], v[22:23], s[52:53]
	v_fma_f64 v[22:23], v[13:14], v[22:23], s[54:55]
	v_mul_f64 v[32:33], v[30:31], v[22:23]
	v_fma_f64 v[28:29], v[30:31], v[22:23], -v[32:33]
	v_fma_f64 v[22:23], v[26:27], v[22:23], v[28:29]
	v_add_f64 v[26:27], v[32:33], v[22:23]
	v_add_f64 v[28:29], v[13:14], v[26:27]
	v_add_f64 v[30:31], v[26:27], -v[32:33]
	v_add_f64 v[13:14], v[28:29], -v[13:14]
	v_add_f64 v[22:23], v[22:23], -v[30:31]
	v_cvt_i32_f64_e32 v30, v[24:25]
	v_add_f64 v[13:14], v[26:27], -v[13:14]
	v_add_f64 v[11:12], v[11:12], v[22:23]
	v_add_f64 v[11:12], v[11:12], v[13:14]
	;; [unrolled: 1-line block ×3, first 2 shown]
	v_add_f64 v[22:23], v[13:14], 1.0
	v_add_f64 v[26:27], v[13:14], -v[28:29]
	v_add_f64 v[28:29], v[22:23], -1.0
	v_add_f64 v[11:12], v[11:12], -v[26:27]
	v_add_f64 v[13:14], v[13:14], -v[28:29]
	v_add_f64 v[11:12], v[11:12], v[13:14]
	v_add_f64 v[13:14], v[22:23], v[11:12]
	v_ldexp_f64 v[24:25], v[13:14], v30
	v_add_f64 v[13:14], v[13:14], -v[22:23]
	v_rcp_f64_e32 v[26:27], v[24:25]
	v_add_f64 v[11:12], v[11:12], -v[13:14]
	v_ldexp_f64 v[11:12], v[11:12], v30
	v_fma_f64 v[28:29], -v[24:25], v[26:27], 1.0
	v_fma_f64 v[26:27], v[28:29], v[26:27], v[26:27]
	v_fma_f64 v[28:29], -v[24:25], v[26:27], 1.0
	v_fma_f64 v[22:23], v[28:29], v[26:27], v[26:27]
	v_mul_f64 v[13:14], v[24:25], v[22:23]
	v_fma_f64 v[26:27], v[22:23], v[24:25], -v[13:14]
	v_fma_f64 v[26:27], v[22:23], v[11:12], v[26:27]
	v_add_f64 v[28:29], v[13:14], v[26:27]
	v_add_f64 v[30:31], -v[28:29], 1.0
	v_add_f64 v[13:14], v[28:29], -v[13:14]
	v_add_f64 v[32:33], -v[30:31], 1.0
	v_add_f64 v[13:14], v[13:14], -v[26:27]
	v_add_f64 v[26:27], v[32:33], -v[28:29]
	v_add_f64 v[13:14], v[13:14], v[26:27]
	v_add_f64 v[26:27], v[30:31], v[13:14]
	v_mul_f64 v[28:29], v[22:23], v[26:27]
	v_add_f64 v[30:31], v[30:31], -v[26:27]
	v_mul_f64 v[32:33], v[24:25], v[28:29]
	v_add_f64 v[13:14], v[13:14], v[30:31]
	v_fma_f64 v[34:35], v[28:29], v[24:25], -v[32:33]
	v_fma_f64 v[34:35], v[28:29], v[11:12], v[34:35]
	v_add_f64 v[36:37], v[32:33], v[34:35]
	v_add_f64 v[38:39], v[26:27], -v[36:37]
	v_add_f64 v[30:31], v[36:37], -v[32:33]
	;; [unrolled: 1-line block ×5, first 2 shown]
	v_add_f64 v[13:14], v[13:14], v[26:27]
	v_add_f64 v[26:27], v[22:23], v[28:29]
	;; [unrolled: 1-line block ×3, first 2 shown]
	v_add_f64 v[30:31], v[26:27], -v[22:23]
	v_add_f64 v[13:14], v[38:39], v[13:14]
	v_add_f64 v[28:29], v[28:29], -v[30:31]
	v_mul_f64 v[13:14], v[22:23], v[13:14]
	v_add_f64 v[13:14], v[28:29], v[13:14]
	v_add_f64 v[22:23], v[26:27], v[13:14]
	v_ldexp_f64 v[28:29], v[22:23], -2
	v_add_f64 v[22:23], v[22:23], -v[26:27]
	v_add_f64 v[26:27], v[24:25], v[28:29]
	v_add_f64 v[13:14], v[13:14], -v[22:23]
	v_add_f64 v[22:23], v[26:27], -v[24:25]
	v_ldexp_f64 v[13:14], v[13:14], -2
	v_add_f64 v[22:23], v[28:29], -v[22:23]
	v_add_f64 v[11:12], v[11:12], v[13:14]
	v_add_f64 v[11:12], v[11:12], v[22:23]
	;; [unrolled: 1-line block ×3, first 2 shown]
	v_cndmask_b32_e64 v10, v21, v12, s[0:1]
	v_cndmask_b32_e64 v9, 0, v11, s[0:1]
	v_add_co_u32_e64 v11, s[0:1], s62, v1
	v_addc_co_u32_e64 v12, s[0:1], 0, v2, s[0:1]
	global_store_dwordx2 v[11:12], v[9:10], off
	s_or_b64 exec, exec, s[2:3]
	s_and_saveexec_b64 s[0:1], vcc
	s_cbranch_execz .LBB85_3
.LBB85_19:                              ;   in Loop: Header=BB85_4 Depth=1
	v_add_f64 v[9:10], v[7:8], s[22:23]
	s_mov_b32 s24, s22
	s_mov_b32 s31, s23
	v_cmp_nle_f64_e32 vcc, s[56:57], v[7:8]
	v_add_f64 v[11:12], v[9:10], -v[7:8]
	v_add_f64 v[13:14], v[11:12], -v[9:10]
	v_add_f64 v[11:12], v[11:12], s[24:25]
	v_add_f64 v[13:14], v[7:8], v[13:14]
	v_add_f64 v[11:12], v[13:14], -v[11:12]
	v_add_f64 v[11:12], v[11:12], s[26:27]
	v_add_f64 v[13:14], v[9:10], v[11:12]
	v_mul_f64 v[22:23], v[13:14], s[28:29]
	v_add_f64 v[9:10], v[9:10], -v[13:14]
	v_rndne_f64_e32 v[22:23], v[22:23]
	v_add_f64 v[9:10], v[11:12], v[9:10]
	v_fma_f64 v[11:12], v[22:23], s[30:31], v[13:14]
	v_mul_f64 v[13:14], v[22:23], s[34:35]
	v_add_f64 v[24:25], v[9:10], v[11:12]
	v_add_f64 v[26:27], v[24:25], v[13:14]
	v_add_f64 v[11:12], v[11:12], -v[24:25]
	v_add_f64 v[24:25], v[24:25], -v[26:27]
	v_add_f64 v[9:10], v[9:10], v[11:12]
	v_add_f64 v[11:12], v[24:25], v[13:14]
	v_add_f64 v[9:10], v[9:10], v[11:12]
	v_mul_f64 v[11:12], v[22:23], s[36:37]
	v_add_f64 v[13:14], v[26:27], v[9:10]
	v_add_f64 v[24:25], v[13:14], v[11:12]
	v_add_f64 v[26:27], v[26:27], -v[13:14]
	v_add_f64 v[13:14], v[13:14], -v[24:25]
	v_add_f64 v[9:10], v[9:10], v[26:27]
	v_add_f64 v[11:12], v[13:14], v[11:12]
	;; [unrolled: 1-line block ×4, first 2 shown]
	v_fma_f64 v[13:14], v[11:12], s[38:39], v[5:6]
	v_add_f64 v[24:25], v[24:25], -v[11:12]
	v_mul_f64 v[26:27], v[11:12], v[11:12]
	v_fma_f64 v[13:14], v[11:12], v[13:14], s[40:41]
	v_add_f64 v[9:10], v[9:10], v[24:25]
	v_fma_f64 v[24:25], v[11:12], v[11:12], -v[26:27]
	v_fma_f64 v[13:14], v[11:12], v[13:14], s[42:43]
	v_add_f64 v[28:29], v[9:10], v[9:10]
	v_fma_f64 v[13:14], v[11:12], v[13:14], s[44:45]
	v_fma_f64 v[24:25], v[11:12], v[28:29], v[24:25]
	;; [unrolled: 1-line block ×3, first 2 shown]
	v_add_f64 v[28:29], v[26:27], v[24:25]
	v_fma_f64 v[13:14], v[11:12], v[13:14], s[48:49]
	v_add_f64 v[26:27], v[28:29], -v[26:27]
	v_fma_f64 v[13:14], v[11:12], v[13:14], s[50:51]
	v_add_f64 v[24:25], v[24:25], -v[26:27]
	v_fma_f64 v[13:14], v[11:12], v[13:14], s[52:53]
	v_fma_f64 v[13:14], v[11:12], v[13:14], s[54:55]
	v_mul_f64 v[30:31], v[28:29], v[13:14]
	v_fma_f64 v[26:27], v[28:29], v[13:14], -v[30:31]
	v_fma_f64 v[13:14], v[24:25], v[13:14], v[26:27]
	v_add_f64 v[24:25], v[30:31], v[13:14]
	v_add_f64 v[26:27], v[11:12], v[24:25]
	v_add_f64 v[28:29], v[24:25], -v[30:31]
	v_add_f64 v[11:12], v[26:27], -v[11:12]
	;; [unrolled: 1-line block ×3, first 2 shown]
	v_cvt_i32_f64_e32 v28, v[22:23]
	v_add_f64 v[11:12], v[24:25], -v[11:12]
	v_add_f64 v[9:10], v[9:10], v[13:14]
	v_add_f64 v[9:10], v[9:10], v[11:12]
	;; [unrolled: 1-line block ×3, first 2 shown]
	v_add_f64 v[13:14], v[11:12], 1.0
	v_add_f64 v[24:25], v[11:12], -v[26:27]
	v_add_f64 v[26:27], v[13:14], -1.0
	v_add_f64 v[9:10], v[9:10], -v[24:25]
	v_add_f64 v[11:12], v[11:12], -v[26:27]
	v_add_f64 v[9:10], v[9:10], v[11:12]
	v_add_f64 v[11:12], v[13:14], v[9:10]
	v_ldexp_f64 v[22:23], v[11:12], v28
	v_add_f64 v[11:12], v[11:12], -v[13:14]
	v_rcp_f64_e32 v[24:25], v[22:23]
	v_add_f64 v[9:10], v[9:10], -v[11:12]
	v_ldexp_f64 v[9:10], v[9:10], v28
	v_fma_f64 v[26:27], -v[22:23], v[24:25], 1.0
	v_fma_f64 v[24:25], v[26:27], v[24:25], v[24:25]
	v_fma_f64 v[26:27], -v[22:23], v[24:25], 1.0
	v_fma_f64 v[13:14], v[26:27], v[24:25], v[24:25]
	v_mul_f64 v[11:12], v[22:23], v[13:14]
	v_fma_f64 v[24:25], v[13:14], v[22:23], -v[11:12]
	v_fma_f64 v[24:25], v[13:14], v[9:10], v[24:25]
	v_add_f64 v[26:27], v[11:12], v[24:25]
	v_add_f64 v[28:29], -v[26:27], 1.0
	v_add_f64 v[11:12], v[26:27], -v[11:12]
	v_add_f64 v[30:31], -v[28:29], 1.0
	v_add_f64 v[11:12], v[11:12], -v[24:25]
	v_add_f64 v[24:25], v[30:31], -v[26:27]
	v_add_f64 v[11:12], v[11:12], v[24:25]
	v_add_f64 v[24:25], v[28:29], v[11:12]
	v_mul_f64 v[26:27], v[13:14], v[24:25]
	v_add_f64 v[28:29], v[28:29], -v[24:25]
	v_mul_f64 v[30:31], v[22:23], v[26:27]
	v_add_f64 v[11:12], v[11:12], v[28:29]
	v_fma_f64 v[32:33], v[26:27], v[22:23], -v[30:31]
	v_fma_f64 v[32:33], v[26:27], v[9:10], v[32:33]
	v_add_f64 v[34:35], v[30:31], v[32:33]
	v_add_f64 v[36:37], v[24:25], -v[34:35]
	v_add_f64 v[28:29], v[34:35], -v[30:31]
	;; [unrolled: 1-line block ×5, first 2 shown]
	v_add_f64 v[11:12], v[11:12], v[24:25]
	v_add_f64 v[24:25], v[13:14], v[26:27]
	;; [unrolled: 1-line block ×3, first 2 shown]
	v_add_f64 v[28:29], v[24:25], -v[13:14]
	v_add_f64 v[11:12], v[36:37], v[11:12]
	v_add_f64 v[26:27], v[26:27], -v[28:29]
	v_mul_f64 v[11:12], v[13:14], v[11:12]
	v_add_f64 v[11:12], v[26:27], v[11:12]
	v_add_f64 v[13:14], v[24:25], v[11:12]
	v_ldexp_f64 v[26:27], v[13:14], -2
	v_add_f64 v[13:14], v[13:14], -v[24:25]
	v_add_f64 v[24:25], v[22:23], v[26:27]
	v_add_f64 v[11:12], v[11:12], -v[13:14]
	v_add_f64 v[13:14], v[24:25], -v[22:23]
	v_ldexp_f64 v[11:12], v[11:12], -2
	v_add_f64 v[13:14], v[26:27], -v[13:14]
	v_add_f64 v[9:10], v[9:10], v[11:12]
	v_add_f64 v[9:10], v[9:10], v[13:14]
	;; [unrolled: 1-line block ×3, first 2 shown]
	v_cndmask_b32_e32 v8, v21, v10, vcc
	v_cndmask_b32_e32 v7, 0, v9, vcc
	v_add_co_u32_e32 v9, vcc, s61, v1
	v_addc_co_u32_e32 v10, vcc, 0, v2, vcc
	global_store_dwordx2 v[9:10], v[7:8], off
	s_branch .LBB85_3
.LBB85_20:
	s_cbranch_execz .LBB85_22
	s_branch .LBB85_25
.LBB85_21:
.LBB85_22:
	v_mov_b32_e32 v1, 0x10000
	v_mov_b32_e32 v2, 0
	v_cmp_lt_i64_e32 vcc, s[14:15], v[1:2]
	v_mov_b32_e32 v2, 0
	s_and_b64 s[0:1], vcc, exec
	s_cselect_b32 s1, s15, 0
	s_cselect_b32 s0, s14, 0x10000
	v_lshlrev_b32_e32 v1, 2, v0
	v_cmp_gt_i64_e32 vcc, s[0:1], v[1:2]
	s_and_saveexec_b64 s[2:3], vcc
	s_cbranch_execz .LBB85_25
; %bb.23:
	s_load_dword s2, s[4:5], 0xd3c
	v_mov_b32_e32 v1, v2
	v_lshlrev_b32_e32 v2, 5, v0
	s_mov_b32 s20, 0xfca7ab0c
	s_mov_b32 s4, 0xfefa39ef
	s_waitcnt lgkmcnt(0)
	s_and_b32 s33, s2, 0xffff
	s_add_u32 s2, s10, s12
	s_addc_u32 s3, s11, s13
	v_mov_b32_e32 v3, s3
	v_add_co_u32_e32 v2, vcc, s2, v2
	v_addc_co_u32_e32 v3, vcc, 0, v3, vcc
	s_mov_b32 s21, 0x3e928af3
	v_mov_b32_e32 v12, s20
	v_add_co_u32_e32 v10, vcc, 16, v2
	s_mov_b32 s5, 0xbfe62e42
	s_mov_b32 s8, 0x3b39803f
	;; [unrolled: 1-line block ×6, first 2 shown]
	v_mov_b32_e32 v13, s21
	s_mov_b32 s20, 0x623fde64
	s_mov_b32 s22, 0x7c89e6b0
	;; [unrolled: 1-line block ×9, first 2 shown]
	v_addc_co_u32_e32 v11, vcc, 0, v3, vcc
	s_lshl_b32 s40, s33, 5
	s_mov_b64 s[2:3], 0
	s_mov_b32 s7, 0x3fe62e42
	s_mov_b32 s6, s4
	;; [unrolled: 1-line block ×18, first 2 shown]
	v_mov_b32_e32 v16, 0x7ff00000
.LBB85_24:                              ; =>This Inner Loop Header: Depth=1
	global_load_dwordx4 v[2:5], v[10:11], off
	global_load_dwordx4 v[6:9], v[10:11], off offset:-16
	s_waitcnt vmcnt(0)
	v_add_f64 v[14:15], |v[6:7]|, s[4:5]
	v_cmp_nge_f64_e64 vcc, |v[6:7]|, s[38:39]
	v_add_f64 v[17:18], v[14:15], -|v[6:7]|
	v_add_f64 v[19:20], v[17:18], -v[14:15]
	v_add_f64 v[17:18], v[17:18], s[6:7]
	v_add_f64 v[19:20], |v[6:7]|, v[19:20]
	v_add_f64 v[17:18], v[19:20], -v[17:18]
	v_add_f64 v[17:18], v[17:18], s[8:9]
	v_add_f64 v[19:20], v[14:15], v[17:18]
	v_add_f64 v[14:15], v[14:15], -v[19:20]
	v_add_f64 v[14:15], v[17:18], v[14:15]
	v_mul_f64 v[17:18], v[19:20], s[10:11]
	v_rndne_f64_e32 v[17:18], v[17:18]
	v_fma_f64 v[19:20], v[17:18], s[12:13], v[19:20]
	v_add_f64 v[21:22], v[14:15], v[19:20]
	v_add_f64 v[19:20], v[19:20], -v[21:22]
	v_add_f64 v[14:15], v[14:15], v[19:20]
	v_mul_f64 v[19:20], v[17:18], s[14:15]
	v_add_f64 v[23:24], v[21:22], -v[19:20]
	v_add_f64 v[21:22], v[21:22], -v[23:24]
	;; [unrolled: 1-line block ×3, first 2 shown]
	v_add_f64 v[14:15], v[14:15], v[19:20]
	v_add_f64 v[19:20], v[23:24], v[14:15]
	v_add_f64 v[21:22], v[23:24], -v[19:20]
	v_add_f64 v[14:15], v[14:15], v[21:22]
	v_mul_f64 v[21:22], v[17:18], s[16:17]
	v_add_f64 v[23:24], v[19:20], -v[21:22]
	v_add_f64 v[19:20], v[19:20], -v[23:24]
	;; [unrolled: 1-line block ×3, first 2 shown]
	v_add_f64 v[14:15], v[14:15], v[19:20]
	v_add_f64 v[19:20], v[23:24], v[14:15]
	v_add_f64 v[21:22], v[23:24], -v[19:20]
	v_mul_f64 v[23:24], v[19:20], v[19:20]
	v_add_f64 v[14:15], v[14:15], v[21:22]
	v_fma_f64 v[21:22], v[19:20], s[18:19], v[12:13]
	v_fma_f64 v[25:26], v[19:20], v[19:20], -v[23:24]
	v_add_f64 v[27:28], v[14:15], v[14:15]
	v_fma_f64 v[21:22], v[19:20], v[21:22], s[20:21]
	v_fma_f64 v[25:26], v[19:20], v[27:28], v[25:26]
	;; [unrolled: 1-line block ×3, first 2 shown]
	v_add_f64 v[27:28], v[23:24], v[25:26]
	v_fma_f64 v[21:22], v[19:20], v[21:22], s[24:25]
	v_add_f64 v[23:24], v[27:28], -v[23:24]
	v_fma_f64 v[21:22], v[19:20], v[21:22], s[26:27]
	v_add_f64 v[23:24], v[25:26], -v[23:24]
	v_fma_f64 v[21:22], v[19:20], v[21:22], s[28:29]
	v_fma_f64 v[21:22], v[19:20], v[21:22], s[30:31]
	;; [unrolled: 1-line block ×4, first 2 shown]
	v_mul_f64 v[25:26], v[27:28], v[21:22]
	v_fma_f64 v[27:28], v[27:28], v[21:22], -v[25:26]
	v_fma_f64 v[21:22], v[23:24], v[21:22], v[27:28]
	v_add_f64 v[23:24], v[25:26], v[21:22]
	v_add_f64 v[25:26], v[23:24], -v[25:26]
	v_add_f64 v[21:22], v[21:22], -v[25:26]
	v_add_f64 v[25:26], v[19:20], v[23:24]
	v_add_f64 v[14:15], v[14:15], v[21:22]
	v_add_f64 v[19:20], v[25:26], -v[19:20]
	v_add_f64 v[19:20], v[23:24], -v[19:20]
	v_add_f64 v[14:15], v[14:15], v[19:20]
	v_add_f64 v[19:20], v[25:26], v[14:15]
	v_add_f64 v[21:22], v[19:20], -v[25:26]
	v_add_f64 v[14:15], v[14:15], -v[21:22]
	v_add_f64 v[21:22], v[19:20], 1.0
	v_add_f64 v[23:24], v[21:22], -1.0
	v_add_f64 v[19:20], v[19:20], -v[23:24]
	v_add_f64 v[14:15], v[14:15], v[19:20]
	v_add_f64 v[19:20], v[21:22], v[14:15]
	v_add_f64 v[21:22], v[19:20], -v[21:22]
	v_add_f64 v[14:15], v[14:15], -v[21:22]
	v_cvt_i32_f64_e32 v21, v[17:18]
	v_ldexp_f64 v[17:18], v[19:20], v21
	v_ldexp_f64 v[14:15], v[14:15], v21
	v_rcp_f64_e32 v[19:20], v[17:18]
	v_fma_f64 v[21:22], -v[17:18], v[19:20], 1.0
	v_fma_f64 v[19:20], v[21:22], v[19:20], v[19:20]
	v_fma_f64 v[21:22], -v[17:18], v[19:20], 1.0
	v_fma_f64 v[19:20], v[21:22], v[19:20], v[19:20]
	v_mul_f64 v[21:22], v[17:18], v[19:20]
	v_fma_f64 v[23:24], v[19:20], v[17:18], -v[21:22]
	v_fma_f64 v[23:24], v[19:20], v[14:15], v[23:24]
	v_add_f64 v[25:26], v[21:22], v[23:24]
	v_add_f64 v[27:28], -v[25:26], 1.0
	v_add_f64 v[21:22], v[25:26], -v[21:22]
	v_add_f64 v[29:30], -v[27:28], 1.0
	v_add_f64 v[21:22], v[21:22], -v[23:24]
	v_add_f64 v[25:26], v[29:30], -v[25:26]
	v_add_f64 v[21:22], v[21:22], v[25:26]
	v_add_f64 v[23:24], v[27:28], v[21:22]
	v_add_f64 v[25:26], v[27:28], -v[23:24]
	v_add_f64 v[21:22], v[21:22], v[25:26]
	v_mul_f64 v[25:26], v[19:20], v[23:24]
	v_mul_f64 v[27:28], v[17:18], v[25:26]
	v_fma_f64 v[29:30], v[25:26], v[17:18], -v[27:28]
	v_fma_f64 v[29:30], v[25:26], v[14:15], v[29:30]
	v_add_f64 v[31:32], v[27:28], v[29:30]
	v_add_f64 v[33:34], v[23:24], -v[31:32]
	v_add_f64 v[27:28], v[31:32], -v[27:28]
	;; [unrolled: 1-line block ×4, first 2 shown]
	v_add_f64 v[21:22], v[21:22], v[23:24]
	v_add_f64 v[23:24], v[27:28], -v[29:30]
	v_add_f64 v[21:22], v[23:24], v[21:22]
	v_add_f64 v[23:24], v[19:20], v[25:26]
	;; [unrolled: 1-line block ×3, first 2 shown]
	v_mul_f64 v[21:22], v[19:20], v[21:22]
	v_add_f64 v[19:20], v[23:24], -v[19:20]
	v_add_f64 v[19:20], v[25:26], -v[19:20]
	v_add_f64 v[19:20], v[19:20], v[21:22]
	v_add_f64 v[21:22], v[23:24], v[19:20]
	v_add_f64 v[23:24], v[21:22], -v[23:24]
	v_ldexp_f64 v[21:22], v[21:22], -2
	v_add_f64 v[19:20], v[19:20], -v[23:24]
	v_add_f64 v[23:24], v[17:18], v[21:22]
	v_ldexp_f64 v[19:20], v[19:20], -2
	v_add_f64 v[17:18], v[23:24], -v[17:18]
	v_add_f64 v[14:15], v[14:15], v[19:20]
	v_add_f64 v[17:18], v[21:22], -v[17:18]
	v_add_f64 v[14:15], v[14:15], v[17:18]
	v_add_f64 v[14:15], v[23:24], v[14:15]
	v_cndmask_b32_e32 v7, v16, v15, vcc
	v_cndmask_b32_e32 v6, 0, v14, vcc
	v_add_f64 v[14:15], |v[8:9]|, s[4:5]
	v_cmp_nge_f64_e64 vcc, |v[8:9]|, s[38:39]
	v_add_f64 v[17:18], v[14:15], -|v[8:9]|
	v_add_f64 v[19:20], v[17:18], -v[14:15]
	v_add_f64 v[17:18], v[17:18], s[6:7]
	v_add_f64 v[19:20], |v[8:9]|, v[19:20]
	v_add_f64 v[17:18], v[19:20], -v[17:18]
	v_add_f64 v[17:18], v[17:18], s[8:9]
	v_add_f64 v[19:20], v[14:15], v[17:18]
	v_add_f64 v[14:15], v[14:15], -v[19:20]
	v_add_f64 v[14:15], v[17:18], v[14:15]
	v_mul_f64 v[17:18], v[19:20], s[10:11]
	v_rndne_f64_e32 v[17:18], v[17:18]
	v_fma_f64 v[19:20], v[17:18], s[12:13], v[19:20]
	v_add_f64 v[21:22], v[14:15], v[19:20]
	v_add_f64 v[19:20], v[19:20], -v[21:22]
	v_add_f64 v[14:15], v[14:15], v[19:20]
	v_mul_f64 v[19:20], v[17:18], s[14:15]
	v_add_f64 v[23:24], v[21:22], -v[19:20]
	v_add_f64 v[21:22], v[21:22], -v[23:24]
	;; [unrolled: 1-line block ×3, first 2 shown]
	v_add_f64 v[14:15], v[14:15], v[19:20]
	v_add_f64 v[19:20], v[23:24], v[14:15]
	v_add_f64 v[21:22], v[23:24], -v[19:20]
	v_add_f64 v[14:15], v[14:15], v[21:22]
	v_mul_f64 v[21:22], v[17:18], s[16:17]
	v_add_f64 v[23:24], v[19:20], -v[21:22]
	v_add_f64 v[19:20], v[19:20], -v[23:24]
	;; [unrolled: 1-line block ×3, first 2 shown]
	v_add_f64 v[14:15], v[14:15], v[19:20]
	v_add_f64 v[19:20], v[23:24], v[14:15]
	v_add_f64 v[21:22], v[23:24], -v[19:20]
	v_mul_f64 v[23:24], v[19:20], v[19:20]
	v_add_f64 v[14:15], v[14:15], v[21:22]
	v_fma_f64 v[21:22], v[19:20], s[18:19], v[12:13]
	v_fma_f64 v[25:26], v[19:20], v[19:20], -v[23:24]
	v_add_f64 v[27:28], v[14:15], v[14:15]
	v_fma_f64 v[21:22], v[19:20], v[21:22], s[20:21]
	v_fma_f64 v[25:26], v[19:20], v[27:28], v[25:26]
	;; [unrolled: 1-line block ×3, first 2 shown]
	v_add_f64 v[27:28], v[23:24], v[25:26]
	v_fma_f64 v[21:22], v[19:20], v[21:22], s[24:25]
	v_add_f64 v[23:24], v[27:28], -v[23:24]
	v_fma_f64 v[21:22], v[19:20], v[21:22], s[26:27]
	v_add_f64 v[23:24], v[25:26], -v[23:24]
	v_fma_f64 v[21:22], v[19:20], v[21:22], s[28:29]
	v_fma_f64 v[21:22], v[19:20], v[21:22], s[30:31]
	;; [unrolled: 1-line block ×4, first 2 shown]
	v_mul_f64 v[25:26], v[27:28], v[21:22]
	v_fma_f64 v[27:28], v[27:28], v[21:22], -v[25:26]
	v_fma_f64 v[21:22], v[23:24], v[21:22], v[27:28]
	v_add_f64 v[23:24], v[25:26], v[21:22]
	v_add_f64 v[25:26], v[23:24], -v[25:26]
	v_add_f64 v[21:22], v[21:22], -v[25:26]
	v_add_f64 v[25:26], v[19:20], v[23:24]
	v_add_f64 v[14:15], v[14:15], v[21:22]
	v_add_f64 v[19:20], v[25:26], -v[19:20]
	v_add_f64 v[19:20], v[23:24], -v[19:20]
	v_add_f64 v[14:15], v[14:15], v[19:20]
	v_add_f64 v[19:20], v[25:26], v[14:15]
	v_add_f64 v[21:22], v[19:20], -v[25:26]
	v_add_f64 v[14:15], v[14:15], -v[21:22]
	v_add_f64 v[21:22], v[19:20], 1.0
	v_add_f64 v[23:24], v[21:22], -1.0
	v_add_f64 v[19:20], v[19:20], -v[23:24]
	v_add_f64 v[14:15], v[14:15], v[19:20]
	v_add_f64 v[19:20], v[21:22], v[14:15]
	v_add_f64 v[21:22], v[19:20], -v[21:22]
	v_add_f64 v[14:15], v[14:15], -v[21:22]
	v_cvt_i32_f64_e32 v21, v[17:18]
	v_ldexp_f64 v[17:18], v[19:20], v21
	v_ldexp_f64 v[14:15], v[14:15], v21
	v_rcp_f64_e32 v[19:20], v[17:18]
	v_fma_f64 v[21:22], -v[17:18], v[19:20], 1.0
	v_fma_f64 v[19:20], v[21:22], v[19:20], v[19:20]
	v_fma_f64 v[21:22], -v[17:18], v[19:20], 1.0
	v_fma_f64 v[19:20], v[21:22], v[19:20], v[19:20]
	v_mul_f64 v[21:22], v[17:18], v[19:20]
	v_fma_f64 v[23:24], v[19:20], v[17:18], -v[21:22]
	v_fma_f64 v[23:24], v[19:20], v[14:15], v[23:24]
	v_add_f64 v[25:26], v[21:22], v[23:24]
	v_add_f64 v[27:28], -v[25:26], 1.0
	v_add_f64 v[21:22], v[25:26], -v[21:22]
	v_add_f64 v[29:30], -v[27:28], 1.0
	v_add_f64 v[21:22], v[21:22], -v[23:24]
	v_add_f64 v[25:26], v[29:30], -v[25:26]
	v_add_f64 v[21:22], v[21:22], v[25:26]
	v_add_f64 v[23:24], v[27:28], v[21:22]
	v_add_f64 v[25:26], v[27:28], -v[23:24]
	v_add_f64 v[21:22], v[21:22], v[25:26]
	v_mul_f64 v[25:26], v[19:20], v[23:24]
	v_mul_f64 v[27:28], v[17:18], v[25:26]
	v_fma_f64 v[29:30], v[25:26], v[17:18], -v[27:28]
	v_fma_f64 v[29:30], v[25:26], v[14:15], v[29:30]
	v_add_f64 v[31:32], v[27:28], v[29:30]
	v_add_f64 v[33:34], v[23:24], -v[31:32]
	v_add_f64 v[27:28], v[31:32], -v[27:28]
	v_add_f64 v[23:24], v[23:24], -v[33:34]
	v_add_f64 v[23:24], v[23:24], -v[31:32]
	v_add_f64 v[21:22], v[21:22], v[23:24]
	v_add_f64 v[23:24], v[27:28], -v[29:30]
	v_add_f64 v[21:22], v[23:24], v[21:22]
	v_add_f64 v[23:24], v[19:20], v[25:26]
	;; [unrolled: 1-line block ×3, first 2 shown]
	v_mul_f64 v[21:22], v[19:20], v[21:22]
	v_add_f64 v[19:20], v[23:24], -v[19:20]
	v_add_f64 v[19:20], v[25:26], -v[19:20]
	v_add_f64 v[19:20], v[19:20], v[21:22]
	v_add_f64 v[21:22], v[23:24], v[19:20]
	v_add_f64 v[23:24], v[21:22], -v[23:24]
	v_ldexp_f64 v[21:22], v[21:22], -2
	v_add_f64 v[19:20], v[19:20], -v[23:24]
	v_add_f64 v[23:24], v[17:18], v[21:22]
	v_ldexp_f64 v[19:20], v[19:20], -2
	v_add_f64 v[17:18], v[23:24], -v[17:18]
	v_add_f64 v[14:15], v[14:15], v[19:20]
	v_add_f64 v[17:18], v[21:22], -v[17:18]
	v_add_f64 v[14:15], v[14:15], v[17:18]
	v_add_f64 v[14:15], v[23:24], v[14:15]
	v_cndmask_b32_e32 v9, v16, v15, vcc
	v_cndmask_b32_e32 v8, 0, v14, vcc
	v_add_f64 v[14:15], |v[2:3]|, s[4:5]
	v_cmp_nge_f64_e64 vcc, |v[2:3]|, s[38:39]
	v_add_f64 v[17:18], v[14:15], -|v[2:3]|
	v_add_f64 v[19:20], v[17:18], -v[14:15]
	v_add_f64 v[17:18], v[17:18], s[6:7]
	v_add_f64 v[19:20], |v[2:3]|, v[19:20]
	v_add_f64 v[17:18], v[19:20], -v[17:18]
	v_add_f64 v[17:18], v[17:18], s[8:9]
	v_add_f64 v[19:20], v[14:15], v[17:18]
	v_add_f64 v[14:15], v[14:15], -v[19:20]
	v_add_f64 v[14:15], v[17:18], v[14:15]
	v_mul_f64 v[17:18], v[19:20], s[10:11]
	v_rndne_f64_e32 v[17:18], v[17:18]
	v_fma_f64 v[19:20], v[17:18], s[12:13], v[19:20]
	v_add_f64 v[21:22], v[14:15], v[19:20]
	v_add_f64 v[19:20], v[19:20], -v[21:22]
	v_add_f64 v[14:15], v[14:15], v[19:20]
	v_mul_f64 v[19:20], v[17:18], s[14:15]
	v_add_f64 v[23:24], v[21:22], -v[19:20]
	v_add_f64 v[21:22], v[21:22], -v[23:24]
	v_add_f64 v[19:20], v[21:22], -v[19:20]
	v_add_f64 v[14:15], v[14:15], v[19:20]
	v_add_f64 v[19:20], v[23:24], v[14:15]
	v_add_f64 v[21:22], v[23:24], -v[19:20]
	v_add_f64 v[14:15], v[14:15], v[21:22]
	v_mul_f64 v[21:22], v[17:18], s[16:17]
	v_add_f64 v[23:24], v[19:20], -v[21:22]
	v_add_f64 v[19:20], v[19:20], -v[23:24]
	;; [unrolled: 1-line block ×3, first 2 shown]
	v_add_f64 v[14:15], v[14:15], v[19:20]
	v_add_f64 v[19:20], v[23:24], v[14:15]
	v_add_f64 v[21:22], v[23:24], -v[19:20]
	v_mul_f64 v[23:24], v[19:20], v[19:20]
	v_add_f64 v[14:15], v[14:15], v[21:22]
	v_fma_f64 v[21:22], v[19:20], s[18:19], v[12:13]
	v_fma_f64 v[25:26], v[19:20], v[19:20], -v[23:24]
	v_add_f64 v[27:28], v[14:15], v[14:15]
	v_fma_f64 v[21:22], v[19:20], v[21:22], s[20:21]
	v_fma_f64 v[25:26], v[19:20], v[27:28], v[25:26]
	;; [unrolled: 1-line block ×3, first 2 shown]
	v_add_f64 v[27:28], v[23:24], v[25:26]
	v_fma_f64 v[21:22], v[19:20], v[21:22], s[24:25]
	v_add_f64 v[23:24], v[27:28], -v[23:24]
	v_fma_f64 v[21:22], v[19:20], v[21:22], s[26:27]
	v_add_f64 v[23:24], v[25:26], -v[23:24]
	v_fma_f64 v[21:22], v[19:20], v[21:22], s[28:29]
	v_fma_f64 v[21:22], v[19:20], v[21:22], s[30:31]
	;; [unrolled: 1-line block ×4, first 2 shown]
	v_mul_f64 v[25:26], v[27:28], v[21:22]
	v_fma_f64 v[27:28], v[27:28], v[21:22], -v[25:26]
	v_fma_f64 v[21:22], v[23:24], v[21:22], v[27:28]
	v_add_f64 v[23:24], v[25:26], v[21:22]
	v_add_f64 v[25:26], v[23:24], -v[25:26]
	v_add_f64 v[21:22], v[21:22], -v[25:26]
	v_add_f64 v[25:26], v[19:20], v[23:24]
	v_add_f64 v[14:15], v[14:15], v[21:22]
	v_add_f64 v[19:20], v[25:26], -v[19:20]
	v_add_f64 v[19:20], v[23:24], -v[19:20]
	v_add_f64 v[14:15], v[14:15], v[19:20]
	v_add_f64 v[19:20], v[25:26], v[14:15]
	v_add_f64 v[21:22], v[19:20], -v[25:26]
	v_add_f64 v[14:15], v[14:15], -v[21:22]
	v_add_f64 v[21:22], v[19:20], 1.0
	v_add_f64 v[23:24], v[21:22], -1.0
	v_add_f64 v[19:20], v[19:20], -v[23:24]
	v_add_f64 v[14:15], v[14:15], v[19:20]
	v_add_f64 v[19:20], v[21:22], v[14:15]
	v_add_f64 v[21:22], v[19:20], -v[21:22]
	v_add_f64 v[14:15], v[14:15], -v[21:22]
	v_cvt_i32_f64_e32 v21, v[17:18]
	v_ldexp_f64 v[17:18], v[19:20], v21
	v_ldexp_f64 v[14:15], v[14:15], v21
	v_rcp_f64_e32 v[19:20], v[17:18]
	v_fma_f64 v[21:22], -v[17:18], v[19:20], 1.0
	v_fma_f64 v[19:20], v[21:22], v[19:20], v[19:20]
	v_fma_f64 v[21:22], -v[17:18], v[19:20], 1.0
	v_fma_f64 v[19:20], v[21:22], v[19:20], v[19:20]
	v_mul_f64 v[21:22], v[17:18], v[19:20]
	v_fma_f64 v[23:24], v[19:20], v[17:18], -v[21:22]
	v_fma_f64 v[23:24], v[19:20], v[14:15], v[23:24]
	v_add_f64 v[25:26], v[21:22], v[23:24]
	v_add_f64 v[27:28], -v[25:26], 1.0
	v_add_f64 v[21:22], v[25:26], -v[21:22]
	v_add_f64 v[29:30], -v[27:28], 1.0
	v_add_f64 v[21:22], v[21:22], -v[23:24]
	v_add_f64 v[25:26], v[29:30], -v[25:26]
	v_add_f64 v[21:22], v[21:22], v[25:26]
	v_add_f64 v[23:24], v[27:28], v[21:22]
	v_add_f64 v[25:26], v[27:28], -v[23:24]
	v_add_f64 v[21:22], v[21:22], v[25:26]
	v_mul_f64 v[25:26], v[19:20], v[23:24]
	v_mul_f64 v[27:28], v[17:18], v[25:26]
	v_fma_f64 v[29:30], v[25:26], v[17:18], -v[27:28]
	v_fma_f64 v[29:30], v[25:26], v[14:15], v[29:30]
	v_add_f64 v[31:32], v[27:28], v[29:30]
	v_add_f64 v[33:34], v[23:24], -v[31:32]
	v_add_f64 v[27:28], v[31:32], -v[27:28]
	;; [unrolled: 1-line block ×4, first 2 shown]
	v_add_f64 v[21:22], v[21:22], v[23:24]
	v_add_f64 v[23:24], v[27:28], -v[29:30]
	v_add_f64 v[21:22], v[23:24], v[21:22]
	v_add_f64 v[23:24], v[19:20], v[25:26]
	;; [unrolled: 1-line block ×3, first 2 shown]
	v_mul_f64 v[21:22], v[19:20], v[21:22]
	v_add_f64 v[19:20], v[23:24], -v[19:20]
	v_add_f64 v[19:20], v[25:26], -v[19:20]
	v_add_f64 v[19:20], v[19:20], v[21:22]
	v_add_f64 v[21:22], v[23:24], v[19:20]
	v_add_f64 v[23:24], v[21:22], -v[23:24]
	v_ldexp_f64 v[21:22], v[21:22], -2
	v_add_f64 v[19:20], v[19:20], -v[23:24]
	v_add_f64 v[23:24], v[17:18], v[21:22]
	v_ldexp_f64 v[19:20], v[19:20], -2
	v_add_f64 v[17:18], v[23:24], -v[17:18]
	v_add_f64 v[14:15], v[14:15], v[19:20]
	v_add_f64 v[17:18], v[21:22], -v[17:18]
	v_add_f64 v[14:15], v[14:15], v[17:18]
	v_add_f64 v[14:15], v[23:24], v[14:15]
	v_cndmask_b32_e32 v3, v16, v15, vcc
	v_cndmask_b32_e32 v2, 0, v14, vcc
	v_add_f64 v[14:15], |v[4:5]|, s[4:5]
	v_cmp_nge_f64_e64 vcc, |v[4:5]|, s[38:39]
	v_add_f64 v[17:18], v[14:15], -|v[4:5]|
	v_add_f64 v[19:20], v[17:18], -v[14:15]
	v_add_f64 v[17:18], v[17:18], s[6:7]
	v_add_f64 v[19:20], |v[4:5]|, v[19:20]
	v_add_f64 v[17:18], v[19:20], -v[17:18]
	v_add_f64 v[17:18], v[17:18], s[8:9]
	v_add_f64 v[19:20], v[14:15], v[17:18]
	v_add_f64 v[14:15], v[14:15], -v[19:20]
	v_add_f64 v[17:18], v[17:18], v[14:15]
	v_mul_f64 v[14:15], v[19:20], s[10:11]
	v_rndne_f64_e32 v[14:15], v[14:15]
	v_fma_f64 v[19:20], v[14:15], s[12:13], v[19:20]
	v_add_f64 v[21:22], v[17:18], v[19:20]
	v_add_f64 v[19:20], v[19:20], -v[21:22]
	v_add_f64 v[17:18], v[17:18], v[19:20]
	v_mul_f64 v[19:20], v[14:15], s[14:15]
	v_add_f64 v[23:24], v[21:22], -v[19:20]
	v_add_f64 v[21:22], v[21:22], -v[23:24]
	;; [unrolled: 1-line block ×3, first 2 shown]
	v_add_f64 v[17:18], v[17:18], v[19:20]
	v_add_f64 v[19:20], v[23:24], v[17:18]
	v_add_f64 v[21:22], v[23:24], -v[19:20]
	v_add_f64 v[17:18], v[17:18], v[21:22]
	v_mul_f64 v[21:22], v[14:15], s[16:17]
	v_add_f64 v[23:24], v[19:20], -v[21:22]
	v_add_f64 v[19:20], v[19:20], -v[23:24]
	;; [unrolled: 1-line block ×3, first 2 shown]
	v_add_f64 v[17:18], v[17:18], v[19:20]
	v_add_f64 v[19:20], v[23:24], v[17:18]
	v_add_f64 v[21:22], v[23:24], -v[19:20]
	v_mul_f64 v[23:24], v[19:20], v[19:20]
	v_add_f64 v[17:18], v[17:18], v[21:22]
	v_fma_f64 v[21:22], v[19:20], s[18:19], v[12:13]
	v_fma_f64 v[25:26], v[19:20], v[19:20], -v[23:24]
	v_add_f64 v[27:28], v[17:18], v[17:18]
	v_fma_f64 v[21:22], v[19:20], v[21:22], s[20:21]
	v_fma_f64 v[25:26], v[19:20], v[27:28], v[25:26]
	;; [unrolled: 1-line block ×3, first 2 shown]
	v_add_f64 v[27:28], v[23:24], v[25:26]
	v_fma_f64 v[21:22], v[19:20], v[21:22], s[24:25]
	v_add_f64 v[23:24], v[27:28], -v[23:24]
	v_fma_f64 v[21:22], v[19:20], v[21:22], s[26:27]
	v_add_f64 v[23:24], v[25:26], -v[23:24]
	v_fma_f64 v[21:22], v[19:20], v[21:22], s[28:29]
	v_fma_f64 v[21:22], v[19:20], v[21:22], s[30:31]
	;; [unrolled: 1-line block ×4, first 2 shown]
	v_mul_f64 v[25:26], v[27:28], v[21:22]
	v_fma_f64 v[27:28], v[27:28], v[21:22], -v[25:26]
	v_fma_f64 v[21:22], v[23:24], v[21:22], v[27:28]
	v_add_f64 v[23:24], v[25:26], v[21:22]
	v_add_f64 v[25:26], v[23:24], -v[25:26]
	v_add_f64 v[21:22], v[21:22], -v[25:26]
	v_add_f64 v[25:26], v[19:20], v[23:24]
	v_add_f64 v[17:18], v[17:18], v[21:22]
	v_add_f64 v[19:20], v[25:26], -v[19:20]
	v_add_f64 v[19:20], v[23:24], -v[19:20]
	v_add_f64 v[17:18], v[17:18], v[19:20]
	v_add_f64 v[19:20], v[25:26], v[17:18]
	v_add_f64 v[21:22], v[19:20], -v[25:26]
	v_add_f64 v[17:18], v[17:18], -v[21:22]
	v_add_f64 v[21:22], v[19:20], 1.0
	v_add_f64 v[23:24], v[21:22], -1.0
	v_add_f64 v[19:20], v[19:20], -v[23:24]
	v_add_f64 v[17:18], v[17:18], v[19:20]
	v_add_f64 v[19:20], v[21:22], v[17:18]
	v_add_f64 v[21:22], v[19:20], -v[21:22]
	v_add_f64 v[17:18], v[17:18], -v[21:22]
	v_cvt_i32_f64_e32 v21, v[14:15]
	v_ldexp_f64 v[14:15], v[19:20], v21
	v_ldexp_f64 v[17:18], v[17:18], v21
	v_rcp_f64_e32 v[19:20], v[14:15]
	v_fma_f64 v[21:22], -v[14:15], v[19:20], 1.0
	v_fma_f64 v[19:20], v[21:22], v[19:20], v[19:20]
	v_fma_f64 v[21:22], -v[14:15], v[19:20], 1.0
	v_fma_f64 v[19:20], v[21:22], v[19:20], v[19:20]
	v_mul_f64 v[21:22], v[14:15], v[19:20]
	v_fma_f64 v[23:24], v[19:20], v[14:15], -v[21:22]
	v_fma_f64 v[23:24], v[19:20], v[17:18], v[23:24]
	v_add_f64 v[25:26], v[21:22], v[23:24]
	v_add_f64 v[27:28], -v[25:26], 1.0
	v_add_f64 v[21:22], v[25:26], -v[21:22]
	v_add_f64 v[29:30], -v[27:28], 1.0
	v_add_f64 v[21:22], v[21:22], -v[23:24]
	v_add_f64 v[25:26], v[29:30], -v[25:26]
	v_add_f64 v[21:22], v[21:22], v[25:26]
	v_add_f64 v[23:24], v[27:28], v[21:22]
	v_add_f64 v[25:26], v[27:28], -v[23:24]
	v_add_f64 v[21:22], v[21:22], v[25:26]
	v_mul_f64 v[25:26], v[19:20], v[23:24]
	v_mul_f64 v[27:28], v[14:15], v[25:26]
	v_fma_f64 v[29:30], v[25:26], v[14:15], -v[27:28]
	v_fma_f64 v[29:30], v[25:26], v[17:18], v[29:30]
	v_add_f64 v[31:32], v[27:28], v[29:30]
	v_add_f64 v[33:34], v[23:24], -v[31:32]
	v_add_f64 v[27:28], v[31:32], -v[27:28]
	;; [unrolled: 1-line block ×4, first 2 shown]
	v_add_f64 v[21:22], v[21:22], v[23:24]
	v_add_f64 v[23:24], v[27:28], -v[29:30]
	v_add_f64 v[21:22], v[23:24], v[21:22]
	v_add_f64 v[23:24], v[19:20], v[25:26]
	;; [unrolled: 1-line block ×3, first 2 shown]
	v_mul_f64 v[21:22], v[19:20], v[21:22]
	v_add_f64 v[19:20], v[23:24], -v[19:20]
	v_add_f64 v[19:20], v[25:26], -v[19:20]
	v_add_f64 v[19:20], v[19:20], v[21:22]
	v_add_f64 v[21:22], v[23:24], v[19:20]
	v_add_f64 v[23:24], v[21:22], -v[23:24]
	v_ldexp_f64 v[21:22], v[21:22], -2
	v_add_f64 v[19:20], v[19:20], -v[23:24]
	v_add_f64 v[23:24], v[14:15], v[21:22]
	v_ldexp_f64 v[19:20], v[19:20], -2
	v_add_f64 v[14:15], v[23:24], -v[14:15]
	v_add_f64 v[17:18], v[17:18], v[19:20]
	v_add_f64 v[14:15], v[21:22], -v[14:15]
	v_add_f64 v[14:15], v[17:18], v[14:15]
	v_add_f64 v[14:15], v[23:24], v[14:15]
	v_cndmask_b32_e32 v5, v16, v15, vcc
	v_cndmask_b32_e32 v4, 0, v14, vcc
	v_add_co_u32_e32 v0, vcc, s33, v0
	v_addc_co_u32_e32 v1, vcc, 0, v1, vcc
	global_store_dwordx4 v[10:11], v[6:9], off offset:-16
	global_store_dwordx4 v[10:11], v[2:5], off
	v_add_co_u32_e32 v10, vcc, s40, v10
	v_lshlrev_b64 v[2:3], 2, v[0:1]
	v_addc_co_u32_e32 v11, vcc, 0, v11, vcc
	v_cmp_le_i64_e32 vcc, s[0:1], v[2:3]
	s_or_b64 s[2:3], vcc, s[2:3]
	s_andn2_b64 exec, exec, s[2:3]
	s_cbranch_execnz .LBB85_24
.LBB85_25:
	s_endpgm
	.section	.rodata,"a",@progbits
	.p2align	6, 0x0
	.amdhsa_kernel _ZN2at6native12_GLOBAL__N_125multi_tensor_apply_kernelINS1_18TensorListMetadataILi1EEENS1_14UnaryOpFunctorIdLi1ELi1ELi0EEEJNS0_4CoshIdEEEEEvT_T0_DpT1_
		.amdhsa_group_segment_fixed_size 0
		.amdhsa_private_segment_fixed_size 0
		.amdhsa_kernarg_size 3632
		.amdhsa_user_sgpr_count 6
		.amdhsa_user_sgpr_private_segment_buffer 1
		.amdhsa_user_sgpr_dispatch_ptr 0
		.amdhsa_user_sgpr_queue_ptr 0
		.amdhsa_user_sgpr_kernarg_segment_ptr 1
		.amdhsa_user_sgpr_dispatch_id 0
		.amdhsa_user_sgpr_flat_scratch_init 0
		.amdhsa_user_sgpr_private_segment_size 0
		.amdhsa_uses_dynamic_stack 0
		.amdhsa_system_sgpr_private_segment_wavefront_offset 0
		.amdhsa_system_sgpr_workgroup_id_x 1
		.amdhsa_system_sgpr_workgroup_id_y 0
		.amdhsa_system_sgpr_workgroup_id_z 0
		.amdhsa_system_sgpr_workgroup_info 0
		.amdhsa_system_vgpr_workitem_id 0
		.amdhsa_next_free_vgpr 44
		.amdhsa_next_free_sgpr 63
		.amdhsa_reserve_vcc 1
		.amdhsa_reserve_flat_scratch 0
		.amdhsa_float_round_mode_32 0
		.amdhsa_float_round_mode_16_64 0
		.amdhsa_float_denorm_mode_32 3
		.amdhsa_float_denorm_mode_16_64 3
		.amdhsa_dx10_clamp 1
		.amdhsa_ieee_mode 1
		.amdhsa_fp16_overflow 0
		.amdhsa_exception_fp_ieee_invalid_op 0
		.amdhsa_exception_fp_denorm_src 0
		.amdhsa_exception_fp_ieee_div_zero 0
		.amdhsa_exception_fp_ieee_overflow 0
		.amdhsa_exception_fp_ieee_underflow 0
		.amdhsa_exception_fp_ieee_inexact 0
		.amdhsa_exception_int_div_zero 0
	.end_amdhsa_kernel
	.section	.text._ZN2at6native12_GLOBAL__N_125multi_tensor_apply_kernelINS1_18TensorListMetadataILi1EEENS1_14UnaryOpFunctorIdLi1ELi1ELi0EEEJNS0_4CoshIdEEEEEvT_T0_DpT1_,"axG",@progbits,_ZN2at6native12_GLOBAL__N_125multi_tensor_apply_kernelINS1_18TensorListMetadataILi1EEENS1_14UnaryOpFunctorIdLi1ELi1ELi0EEEJNS0_4CoshIdEEEEEvT_T0_DpT1_,comdat
.Lfunc_end85:
	.size	_ZN2at6native12_GLOBAL__N_125multi_tensor_apply_kernelINS1_18TensorListMetadataILi1EEENS1_14UnaryOpFunctorIdLi1ELi1ELi0EEEJNS0_4CoshIdEEEEEvT_T0_DpT1_, .Lfunc_end85-_ZN2at6native12_GLOBAL__N_125multi_tensor_apply_kernelINS1_18TensorListMetadataILi1EEENS1_14UnaryOpFunctorIdLi1ELi1ELi0EEEJNS0_4CoshIdEEEEEvT_T0_DpT1_
                                        ; -- End function
	.set _ZN2at6native12_GLOBAL__N_125multi_tensor_apply_kernelINS1_18TensorListMetadataILi1EEENS1_14UnaryOpFunctorIdLi1ELi1ELi0EEEJNS0_4CoshIdEEEEEvT_T0_DpT1_.num_vgpr, 44
	.set _ZN2at6native12_GLOBAL__N_125multi_tensor_apply_kernelINS1_18TensorListMetadataILi1EEENS1_14UnaryOpFunctorIdLi1ELi1ELi0EEEJNS0_4CoshIdEEEEEvT_T0_DpT1_.num_agpr, 0
	.set _ZN2at6native12_GLOBAL__N_125multi_tensor_apply_kernelINS1_18TensorListMetadataILi1EEENS1_14UnaryOpFunctorIdLi1ELi1ELi0EEEJNS0_4CoshIdEEEEEvT_T0_DpT1_.numbered_sgpr, 63
	.set _ZN2at6native12_GLOBAL__N_125multi_tensor_apply_kernelINS1_18TensorListMetadataILi1EEENS1_14UnaryOpFunctorIdLi1ELi1ELi0EEEJNS0_4CoshIdEEEEEvT_T0_DpT1_.num_named_barrier, 0
	.set _ZN2at6native12_GLOBAL__N_125multi_tensor_apply_kernelINS1_18TensorListMetadataILi1EEENS1_14UnaryOpFunctorIdLi1ELi1ELi0EEEJNS0_4CoshIdEEEEEvT_T0_DpT1_.private_seg_size, 0
	.set _ZN2at6native12_GLOBAL__N_125multi_tensor_apply_kernelINS1_18TensorListMetadataILi1EEENS1_14UnaryOpFunctorIdLi1ELi1ELi0EEEJNS0_4CoshIdEEEEEvT_T0_DpT1_.uses_vcc, 1
	.set _ZN2at6native12_GLOBAL__N_125multi_tensor_apply_kernelINS1_18TensorListMetadataILi1EEENS1_14UnaryOpFunctorIdLi1ELi1ELi0EEEJNS0_4CoshIdEEEEEvT_T0_DpT1_.uses_flat_scratch, 0
	.set _ZN2at6native12_GLOBAL__N_125multi_tensor_apply_kernelINS1_18TensorListMetadataILi1EEENS1_14UnaryOpFunctorIdLi1ELi1ELi0EEEJNS0_4CoshIdEEEEEvT_T0_DpT1_.has_dyn_sized_stack, 0
	.set _ZN2at6native12_GLOBAL__N_125multi_tensor_apply_kernelINS1_18TensorListMetadataILi1EEENS1_14UnaryOpFunctorIdLi1ELi1ELi0EEEJNS0_4CoshIdEEEEEvT_T0_DpT1_.has_recursion, 0
	.set _ZN2at6native12_GLOBAL__N_125multi_tensor_apply_kernelINS1_18TensorListMetadataILi1EEENS1_14UnaryOpFunctorIdLi1ELi1ELi0EEEJNS0_4CoshIdEEEEEvT_T0_DpT1_.has_indirect_call, 0
	.section	.AMDGPU.csdata,"",@progbits
; Kernel info:
; codeLenInByte = 9260
; TotalNumSgprs: 67
; NumVgprs: 44
; ScratchSize: 0
; MemoryBound: 1
; FloatMode: 240
; IeeeMode: 1
; LDSByteSize: 0 bytes/workgroup (compile time only)
; SGPRBlocks: 8
; VGPRBlocks: 10
; NumSGPRsForWavesPerEU: 67
; NumVGPRsForWavesPerEU: 44
; Occupancy: 5
; WaveLimiterHint : 0
; COMPUTE_PGM_RSRC2:SCRATCH_EN: 0
; COMPUTE_PGM_RSRC2:USER_SGPR: 6
; COMPUTE_PGM_RSRC2:TRAP_HANDLER: 0
; COMPUTE_PGM_RSRC2:TGID_X_EN: 1
; COMPUTE_PGM_RSRC2:TGID_Y_EN: 0
; COMPUTE_PGM_RSRC2:TGID_Z_EN: 0
; COMPUTE_PGM_RSRC2:TIDIG_COMP_CNT: 0
	.section	.text._ZN2at6native12_GLOBAL__N_125multi_tensor_apply_kernelINS1_18TensorListMetadataILi1EEENS1_14UnaryOpFunctorIfLi1ELi1ELi0EEEJNS0_4CoshIfEEEEEvT_T0_DpT1_,"axG",@progbits,_ZN2at6native12_GLOBAL__N_125multi_tensor_apply_kernelINS1_18TensorListMetadataILi1EEENS1_14UnaryOpFunctorIfLi1ELi1ELi0EEEJNS0_4CoshIfEEEEEvT_T0_DpT1_,comdat
	.globl	_ZN2at6native12_GLOBAL__N_125multi_tensor_apply_kernelINS1_18TensorListMetadataILi1EEENS1_14UnaryOpFunctorIfLi1ELi1ELi0EEEJNS0_4CoshIfEEEEEvT_T0_DpT1_ ; -- Begin function _ZN2at6native12_GLOBAL__N_125multi_tensor_apply_kernelINS1_18TensorListMetadataILi1EEENS1_14UnaryOpFunctorIfLi1ELi1ELi0EEEJNS0_4CoshIfEEEEEvT_T0_DpT1_
	.p2align	8
	.type	_ZN2at6native12_GLOBAL__N_125multi_tensor_apply_kernelINS1_18TensorListMetadataILi1EEENS1_14UnaryOpFunctorIfLi1ELi1ELi0EEEJNS0_4CoshIfEEEEEvT_T0_DpT1_,@function
_ZN2at6native12_GLOBAL__N_125multi_tensor_apply_kernelINS1_18TensorListMetadataILi1EEENS1_14UnaryOpFunctorIfLi1ELi1ELi0EEEJNS0_4CoshIfEEEEEvT_T0_DpT1_: ; @_ZN2at6native12_GLOBAL__N_125multi_tensor_apply_kernelINS1_18TensorListMetadataILi1EEENS1_14UnaryOpFunctorIfLi1ELi1ELi0EEEJNS0_4CoshIfEEEEEvT_T0_DpT1_
; %bb.0:
	v_mov_b32_e32 v1, s6
	global_load_ubyte v1, v1, s[4:5] offset:1760
	s_add_u32 s0, s4, s6
	s_mul_hi_u32 s1, s6, 3
	s_mul_i32 s6, s6, 3
	s_addc_u32 s2, s5, 0
	s_add_u32 s0, s0, s6
	s_addc_u32 s1, s2, s1
	s_load_dword s0, s[0:1], 0x820
	s_mov_b32 s7, 0
	s_waitcnt vmcnt(0)
	v_readfirstlane_b32 s1, v1
	s_lshl_b32 s1, s1, 3
	s_load_dwordx2 s[2:3], s[4:5], s1 offset:0x370
	s_load_dwordx2 s[10:11], s[4:5], s1 offset:0x0
	s_waitcnt lgkmcnt(0)
	s_ashr_i32 s1, s0, 31
	s_lshl_b64 s[12:13], s[0:1], 18
	s_lshl_b64 s[0:1], s[0:1], 16
	s_and_b32 s6, s10, 15
	s_sub_u32 s14, s2, s0
	s_subb_u32 s15, s3, s1
	s_and_b32 s0, s2, 3
	s_mov_b32 s1, s7
	s_or_b64 s[0:1], s[6:7], s[0:1]
	s_cmp_eq_u64 s[0:1], 0
	s_cbranch_scc1 .LBB86_21
; %bb.1:
	v_cmp_lt_i64_e64 s[0:1], s[14:15], 1
	s_and_b64 vcc, exec, s[0:1]
	s_cbranch_vccnz .LBB86_20
; %bb.2:
	v_mov_b32_e32 v1, 0x10000
	s_load_dword s2, s[4:5], 0xd3c
	v_mov_b32_e32 v2, 0
	v_cmp_lt_i64_e32 vcc, s[14:15], v[1:2]
	s_mov_b64 s[20:21], 0
	s_and_b64 s[0:1], vcc, exec
	v_cmp_lt_u64_e32 vcc, s[14:15], v[1:2]
	s_cselect_b32 s17, s15, 0
	s_cselect_b32 s16, s14, 0x10000
	s_waitcnt lgkmcnt(0)
	s_and_b32 s2, s2, 0xffff
	s_and_b64 s[0:1], vcc, exec
	s_cselect_b32 s19, s15, 0
	s_cselect_b32 s18, s14, 0x10000
	s_lshl_b32 s3, s2, 1
	s_lshl_b32 s24, s2, 2
	s_add_u32 s6, s10, s12
	v_lshlrev_b32_e32 v1, 2, v0
	s_addc_u32 s7, s11, s13
	v_mov_b32_e32 v2, s7
	v_add_co_u32_e32 v1, vcc, s6, v1
	s_mul_i32 s0, s2, 3
	v_addc_co_u32_e32 v2, vcc, 0, v2, vcc
	v_add_co_u32_e32 v5, vcc, s0, v0
	v_addc_co_u32_e64 v6, s[0:1], 0, 0, vcc
	v_add_co_u32_e32 v7, vcc, s3, v0
	v_addc_co_u32_e64 v8, s[0:1], 0, 0, vcc
	v_add_co_u32_e32 v9, vcc, s2, v0
	v_lshlrev_b32_e32 v3, 2, v9
	v_addc_co_u32_e64 v10, s[0:1], 0, 0, vcc
	v_mov_b32_e32 v4, s7
	v_add_co_u32_e32 v3, vcc, s6, v3
	s_lshl_b32 s25, s2, 4
	s_mul_i32 s26, s2, 12
	s_lshl_b32 s27, s2, 3
	v_addc_co_u32_e32 v4, vcc, 0, v4, vcc
	v_mov_b32_e32 v11, 0x3d2aadcc
	v_mov_b32_e32 v12, 0x3e2aaa47
	;; [unrolled: 1-line block ×3, first 2 shown]
	s_mov_b32 s28, 0x42b2d4fc
	v_mov_b32_e32 v14, 0x7f800000
	s_branch .LBB86_4
.LBB86_3:                               ;   in Loop: Header=BB86_4 Depth=1
	s_or_b64 exec, exec, s[0:1]
	s_add_u32 s20, s20, s24
	v_add_co_u32_e32 v1, vcc, s25, v1
	v_mov_b32_e32 v15, s16
	s_addc_u32 s21, s21, 0
	v_addc_co_u32_e32 v2, vcc, 0, v2, vcc
	v_mov_b32_e32 v16, s17
	v_cmp_lt_i64_e32 vcc, s[20:21], v[15:16]
	v_add_co_u32_e64 v3, s[0:1], s25, v3
	v_addc_co_u32_e64 v4, s[0:1], 0, v4, s[0:1]
	s_cbranch_vccz .LBB86_20
.LBB86_4:                               ; =>This Inner Loop Header: Depth=1
	v_mov_b32_e32 v16, s21
	v_add_co_u32_e32 v15, vcc, s20, v0
	v_addc_co_u32_e32 v16, vcc, 0, v16, vcc
	v_cmp_gt_u64_e64 s[6:7], s[18:19], v[15:16]
	v_mov_b32_e32 v18, 0
	s_and_saveexec_b64 s[0:1], s[6:7]
	s_cbranch_execz .LBB86_6
; %bb.5:                                ;   in Loop: Header=BB86_4 Depth=1
	global_load_dword v15, v[1:2], off
	s_waitcnt vmcnt(0)
	v_and_b32_e32 v18, 0x7fffffff, v15
.LBB86_6:                               ;   in Loop: Header=BB86_4 Depth=1
	s_or_b64 exec, exec, s[0:1]
	v_mov_b32_e32 v16, s21
	v_add_co_u32_e32 v15, vcc, s20, v9
	v_addc_co_u32_e32 v16, vcc, v10, v16, vcc
	v_cmp_gt_u64_e64 s[2:3], s[18:19], v[15:16]
	v_mov_b32_e32 v16, 0
	v_mov_b32_e32 v17, 0
	s_and_saveexec_b64 s[0:1], s[2:3]
	s_cbranch_execz .LBB86_8
; %bb.7:                                ;   in Loop: Header=BB86_4 Depth=1
	global_load_dword v15, v[3:4], off
	s_waitcnt vmcnt(0)
	v_and_b32_e32 v17, 0x7fffffff, v15
.LBB86_8:                               ;   in Loop: Header=BB86_4 Depth=1
	s_or_b64 exec, exec, s[0:1]
	v_mov_b32_e32 v15, s21
	v_add_co_u32_e32 v19, vcc, s20, v7
	v_addc_co_u32_e32 v20, vcc, v8, v15, vcc
	v_cmp_gt_u64_e64 s[0:1], s[18:19], v[19:20]
	s_and_saveexec_b64 s[8:9], s[0:1]
	s_cbranch_execz .LBB86_10
; %bb.9:                                ;   in Loop: Header=BB86_4 Depth=1
	v_add_co_u32_e32 v15, vcc, s27, v1
	v_addc_co_u32_e32 v16, vcc, 0, v2, vcc
	global_load_dword v15, v[15:16], off
	s_waitcnt vmcnt(0)
	v_and_b32_e32 v16, 0x7fffffff, v15
.LBB86_10:                              ;   in Loop: Header=BB86_4 Depth=1
	s_or_b64 exec, exec, s[8:9]
	v_mov_b32_e32 v15, s21
	v_add_co_u32_e32 v19, vcc, s20, v5
	v_addc_co_u32_e32 v20, vcc, v6, v15, vcc
	v_cmp_gt_u64_e32 vcc, s[18:19], v[19:20]
	v_mov_b32_e32 v15, 0
	s_and_saveexec_b64 s[22:23], vcc
	s_cbranch_execnz .LBB86_15
; %bb.11:                               ;   in Loop: Header=BB86_4 Depth=1
	s_or_b64 exec, exec, s[22:23]
	s_and_saveexec_b64 s[8:9], s[6:7]
	s_cbranch_execnz .LBB86_16
.LBB86_12:                              ;   in Loop: Header=BB86_4 Depth=1
	s_or_b64 exec, exec, s[8:9]
	s_and_saveexec_b64 s[6:7], s[2:3]
	s_cbranch_execnz .LBB86_17
.LBB86_13:                              ;   in Loop: Header=BB86_4 Depth=1
	s_or_b64 exec, exec, s[6:7]
	s_and_saveexec_b64 s[2:3], s[0:1]
	s_cbranch_execnz .LBB86_18
.LBB86_14:                              ;   in Loop: Header=BB86_4 Depth=1
	s_or_b64 exec, exec, s[2:3]
	s_and_saveexec_b64 s[0:1], vcc
	s_cbranch_execz .LBB86_3
	s_branch .LBB86_19
.LBB86_15:                              ;   in Loop: Header=BB86_4 Depth=1
	v_add_co_u32_e64 v19, s[8:9], s26, v1
	v_addc_co_u32_e64 v20, s[8:9], 0, v2, s[8:9]
	global_load_dword v15, v[19:20], off
	s_waitcnt vmcnt(0)
	v_and_b32_e32 v15, 0x7fffffff, v15
	s_or_b64 exec, exec, s[22:23]
	s_and_saveexec_b64 s[8:9], s[6:7]
	s_cbranch_execz .LBB86_12
.LBB86_16:                              ;   in Loop: Header=BB86_4 Depth=1
	v_add_f32_e32 v19, 0xbf317218, v18
	v_sub_f32_e32 v20, v19, v18
	v_sub_f32_e32 v21, v20, v19
	v_add_f32_e32 v21, v18, v21
	v_add_f32_e32 v20, 0x3f317218, v20
	v_sub_f32_e32 v20, v21, v20
	v_add_f32_e32 v20, 0x3102e308, v20
	v_add_f32_e32 v21, v19, v20
	v_sub_f32_e32 v19, v19, v21
	v_add_f32_e32 v19, v20, v19
	v_mul_f32_e32 v20, 0x3fb8aa3b, v21
	v_rndne_f32_e32 v20, v20
	v_fmac_f32_e32 v21, 0xbf317200, v20
	v_add_f32_e32 v22, v19, v21
	v_mul_f32_e32 v23, 0x35bfbc00, v20
	v_sub_f32_e32 v24, v22, v23
	v_sub_f32_e32 v21, v21, v22
	v_add_f32_e32 v19, v19, v21
	v_sub_f32_e32 v21, v22, v24
	v_sub_f32_e32 v21, v21, v23
	v_add_f32_e32 v19, v19, v21
	v_add_f32_e32 v21, v24, v19
	v_mul_f32_e32 v22, 0x2ea39ef3, v20
	v_sub_f32_e32 v23, v21, v22
	v_sub_f32_e32 v24, v24, v21
	;; [unrolled: 1-line block ×3, first 2 shown]
	v_add_f32_e32 v19, v19, v24
	v_sub_f32_e32 v21, v21, v22
	v_add_f32_e32 v19, v19, v21
	v_add_f32_e32 v21, v23, v19
	v_mov_b32_e32 v22, 0x3c091de6
	v_sub_f32_e32 v23, v23, v21
	v_fmac_f32_e32 v22, 0x3ab42872, v21
	v_mul_f32_e32 v24, v21, v21
	v_add_f32_e32 v19, v19, v23
	v_fma_f32 v22, v21, v22, v11
	v_add_f32_e32 v23, v19, v19
	v_fma_f32 v25, v21, v21, -v24
	v_fma_f32 v22, v21, v22, v12
	v_fmac_f32_e32 v25, v21, v23
	v_fma_f32 v22, v21, v22, v13
	v_add_f32_e32 v23, v24, v25
	v_mul_f32_e32 v26, v22, v23
	v_sub_f32_e32 v24, v23, v24
	v_sub_f32_e32 v24, v25, v24
	v_fma_f32 v23, v23, v22, -v26
	v_fmac_f32_e32 v23, v24, v22
	v_add_f32_e32 v22, v26, v23
	v_add_f32_e32 v24, v21, v22
	v_sub_f32_e32 v25, v22, v26
	v_sub_f32_e32 v23, v23, v25
	v_sub_f32_e32 v21, v24, v21
	v_add_f32_e32 v19, v19, v23
	v_sub_f32_e32 v21, v22, v21
	v_add_f32_e32 v19, v19, v21
	v_add_f32_e32 v21, v24, v19
	v_add_f32_e32 v22, 1.0, v21
	v_sub_f32_e32 v23, v21, v24
	v_sub_f32_e32 v19, v19, v23
	v_add_f32_e32 v23, -1.0, v22
	v_cvt_i32_f32_e32 v20, v20
	v_sub_f32_e32 v21, v21, v23
	v_add_f32_e32 v19, v19, v21
	v_add_f32_e32 v21, v22, v19
	v_ldexp_f32 v23, v21, v20
	v_rcp_f32_e32 v24, v23
	v_sub_f32_e32 v21, v21, v22
	v_sub_f32_e32 v19, v19, v21
	v_ldexp_f32 v19, v19, v20
	v_mul_f32_e32 v25, v23, v24
	v_fma_f32 v20, v24, v23, -v25
	v_fmac_f32_e32 v20, v24, v19
	v_add_f32_e32 v21, v25, v20
	v_sub_f32_e32 v22, 1.0, v21
	v_sub_f32_e32 v25, v21, v25
	v_sub_f32_e32 v20, v25, v20
	v_sub_f32_e32 v25, 1.0, v22
	v_sub_f32_e32 v21, v25, v21
	v_add_f32_e32 v20, v20, v21
	v_add_f32_e32 v21, v22, v20
	v_mul_f32_e32 v25, v24, v21
	v_mul_f32_e32 v28, v23, v25
	v_add_f32_e32 v26, v24, v25
	v_fma_f32 v29, v25, v23, -v28
	v_sub_f32_e32 v27, v26, v24
	v_fmac_f32_e32 v29, v25, v19
	v_sub_f32_e32 v27, v25, v27
	v_add_f32_e32 v25, v28, v29
	v_sub_f32_e32 v22, v22, v21
	v_add_f32_e32 v20, v20, v22
	v_sub_f32_e32 v22, v21, v25
	v_sub_f32_e32 v21, v21, v22
	;; [unrolled: 1-line block ×5, first 2 shown]
	v_add_f32_e32 v20, v20, v21
	v_add_f32_e32 v20, v28, v20
	;; [unrolled: 1-line block ×3, first 2 shown]
	v_mul_f32_e32 v20, v24, v20
	v_add_f32_e32 v20, v27, v20
	v_add_f32_e32 v21, v26, v20
	v_ldexp_f32 v22, v21, -2
	v_sub_f32_e32 v21, v21, v26
	v_sub_f32_e32 v20, v20, v21
	v_add_f32_e32 v24, v23, v22
	v_ldexp_f32 v20, v20, -2
	v_add_f32_e32 v19, v19, v20
	v_sub_f32_e32 v20, v24, v23
	v_sub_f32_e32 v20, v22, v20
	v_add_f32_e32 v19, v19, v20
	v_add_f32_e32 v19, v24, v19
	v_cmp_nlt_f32_e64 s[6:7], s28, v18
	v_cndmask_b32_e64 v18, v14, v19, s[6:7]
	global_store_dword v[1:2], v18, off
	s_or_b64 exec, exec, s[8:9]
	s_and_saveexec_b64 s[6:7], s[2:3]
	s_cbranch_execz .LBB86_13
.LBB86_17:                              ;   in Loop: Header=BB86_4 Depth=1
	v_add_f32_e32 v18, 0xbf317218, v17
	v_sub_f32_e32 v19, v18, v17
	v_sub_f32_e32 v20, v19, v18
	v_add_f32_e32 v20, v17, v20
	v_add_f32_e32 v19, 0x3f317218, v19
	v_sub_f32_e32 v19, v20, v19
	v_add_f32_e32 v19, 0x3102e308, v19
	v_add_f32_e32 v20, v18, v19
	v_sub_f32_e32 v18, v18, v20
	v_add_f32_e32 v18, v19, v18
	v_mul_f32_e32 v19, 0x3fb8aa3b, v20
	v_rndne_f32_e32 v19, v19
	v_fmac_f32_e32 v20, 0xbf317200, v19
	v_add_f32_e32 v21, v18, v20
	v_sub_f32_e32 v20, v20, v21
	v_add_f32_e32 v18, v18, v20
	v_mul_f32_e32 v20, 0x35bfbc00, v19
	v_sub_f32_e32 v22, v21, v20
	v_sub_f32_e32 v21, v21, v22
	;; [unrolled: 1-line block ×3, first 2 shown]
	v_add_f32_e32 v18, v18, v20
	v_add_f32_e32 v20, v22, v18
	v_sub_f32_e32 v21, v22, v20
	v_add_f32_e32 v18, v18, v21
	v_mul_f32_e32 v21, 0x2ea39ef3, v19
	v_sub_f32_e32 v22, v20, v21
	v_sub_f32_e32 v20, v20, v22
	v_sub_f32_e32 v20, v20, v21
	v_add_f32_e32 v18, v18, v20
	v_add_f32_e32 v20, v22, v18
	v_sub_f32_e32 v22, v22, v20
	v_mov_b32_e32 v21, 0x3c091de6
	v_add_f32_e32 v18, v18, v22
	v_mul_f32_e32 v23, v20, v20
	v_fmac_f32_e32 v21, 0x3ab42872, v20
	v_add_f32_e32 v22, v18, v18
	v_fma_f32 v24, v20, v20, -v23
	v_fma_f32 v21, v20, v21, v11
	v_fmac_f32_e32 v24, v20, v22
	v_fma_f32 v21, v20, v21, v12
	v_add_f32_e32 v22, v23, v24
	v_fma_f32 v21, v20, v21, v13
	v_sub_f32_e32 v23, v22, v23
	v_sub_f32_e32 v23, v24, v23
	v_mul_f32_e32 v24, v21, v22
	v_fma_f32 v22, v22, v21, -v24
	v_fmac_f32_e32 v22, v23, v21
	v_add_f32_e32 v21, v24, v22
	v_sub_f32_e32 v23, v21, v24
	v_sub_f32_e32 v22, v22, v23
	v_add_f32_e32 v23, v20, v21
	v_sub_f32_e32 v20, v23, v20
	v_sub_f32_e32 v20, v21, v20
	v_add_f32_e32 v18, v18, v22
	v_add_f32_e32 v18, v18, v20
	;; [unrolled: 1-line block ×3, first 2 shown]
	v_sub_f32_e32 v21, v20, v23
	v_sub_f32_e32 v18, v18, v21
	v_add_f32_e32 v21, 1.0, v20
	v_add_f32_e32 v22, -1.0, v21
	v_cvt_i32_f32_e32 v19, v19
	v_sub_f32_e32 v20, v20, v22
	v_add_f32_e32 v18, v18, v20
	v_add_f32_e32 v20, v21, v18
	v_ldexp_f32 v22, v20, v19
	v_rcp_f32_e32 v23, v22
	v_sub_f32_e32 v20, v20, v21
	v_sub_f32_e32 v18, v18, v20
	v_ldexp_f32 v18, v18, v19
	v_mul_f32_e32 v19, v22, v23
	v_fma_f32 v20, v23, v22, -v19
	v_fmac_f32_e32 v20, v23, v18
	v_add_f32_e32 v21, v19, v20
	v_sub_f32_e32 v24, 1.0, v21
	v_sub_f32_e32 v25, 1.0, v24
	v_sub_f32_e32 v19, v21, v19
	v_sub_f32_e32 v25, v25, v21
	;; [unrolled: 1-line block ×3, first 2 shown]
	v_add_f32_e32 v19, v19, v25
	v_add_f32_e32 v20, v24, v19
	v_mul_f32_e32 v21, v23, v20
	v_mul_f32_e32 v25, v22, v21
	v_fma_f32 v26, v21, v22, -v25
	v_fmac_f32_e32 v26, v21, v18
	v_sub_f32_e32 v24, v24, v20
	v_add_f32_e32 v19, v19, v24
	v_add_f32_e32 v24, v25, v26
	v_sub_f32_e32 v27, v20, v24
	v_sub_f32_e32 v20, v20, v27
	;; [unrolled: 1-line block ×4, first 2 shown]
	v_add_f32_e32 v19, v19, v20
	v_sub_f32_e32 v20, v25, v26
	v_add_f32_e32 v19, v20, v19
	v_add_f32_e32 v19, v27, v19
	v_add_f32_e32 v20, v23, v21
	v_mul_f32_e32 v19, v23, v19
	v_sub_f32_e32 v23, v20, v23
	v_sub_f32_e32 v21, v21, v23
	v_add_f32_e32 v19, v21, v19
	v_add_f32_e32 v21, v20, v19
	v_sub_f32_e32 v20, v21, v20
	v_sub_f32_e32 v19, v19, v20
	v_ldexp_f32 v20, v21, -2
	v_add_f32_e32 v21, v22, v20
	v_ldexp_f32 v19, v19, -2
	v_sub_f32_e32 v22, v21, v22
	v_sub_f32_e32 v20, v20, v22
	v_add_f32_e32 v18, v18, v19
	v_add_f32_e32 v18, v18, v20
	;; [unrolled: 1-line block ×3, first 2 shown]
	v_cmp_nlt_f32_e64 s[2:3], s28, v17
	v_cndmask_b32_e64 v17, v14, v18, s[2:3]
	global_store_dword v[3:4], v17, off
	s_or_b64 exec, exec, s[6:7]
	s_and_saveexec_b64 s[2:3], s[0:1]
	s_cbranch_execz .LBB86_14
.LBB86_18:                              ;   in Loop: Header=BB86_4 Depth=1
	v_add_f32_e32 v17, 0xbf317218, v16
	v_sub_f32_e32 v18, v17, v16
	v_sub_f32_e32 v19, v18, v17
	v_add_f32_e32 v19, v16, v19
	v_add_f32_e32 v18, 0x3f317218, v18
	v_sub_f32_e32 v18, v19, v18
	v_add_f32_e32 v18, 0x3102e308, v18
	v_add_f32_e32 v19, v17, v18
	v_sub_f32_e32 v17, v17, v19
	v_add_f32_e32 v17, v18, v17
	v_mul_f32_e32 v18, 0x3fb8aa3b, v19
	v_rndne_f32_e32 v18, v18
	v_fmac_f32_e32 v19, 0xbf317200, v18
	v_add_f32_e32 v20, v17, v19
	v_sub_f32_e32 v19, v19, v20
	v_add_f32_e32 v17, v17, v19
	v_mul_f32_e32 v19, 0x35bfbc00, v18
	v_sub_f32_e32 v21, v20, v19
	v_sub_f32_e32 v20, v20, v21
	;; [unrolled: 1-line block ×3, first 2 shown]
	v_add_f32_e32 v17, v17, v19
	v_add_f32_e32 v19, v21, v17
	v_sub_f32_e32 v20, v21, v19
	v_add_f32_e32 v17, v17, v20
	v_mul_f32_e32 v20, 0x2ea39ef3, v18
	v_sub_f32_e32 v21, v19, v20
	v_sub_f32_e32 v19, v19, v21
	;; [unrolled: 1-line block ×3, first 2 shown]
	v_add_f32_e32 v17, v17, v19
	v_add_f32_e32 v19, v21, v17
	v_sub_f32_e32 v21, v21, v19
	v_mov_b32_e32 v20, 0x3c091de6
	v_add_f32_e32 v17, v17, v21
	v_mul_f32_e32 v22, v19, v19
	v_fmac_f32_e32 v20, 0x3ab42872, v19
	v_add_f32_e32 v21, v17, v17
	v_fma_f32 v23, v19, v19, -v22
	v_fma_f32 v20, v19, v20, v11
	v_fmac_f32_e32 v23, v19, v21
	v_fma_f32 v20, v19, v20, v12
	v_add_f32_e32 v21, v22, v23
	v_fma_f32 v20, v19, v20, v13
	v_sub_f32_e32 v22, v21, v22
	v_sub_f32_e32 v22, v23, v22
	v_mul_f32_e32 v23, v20, v21
	v_fma_f32 v21, v21, v20, -v23
	v_fmac_f32_e32 v21, v22, v20
	v_add_f32_e32 v20, v23, v21
	v_sub_f32_e32 v22, v20, v23
	v_sub_f32_e32 v21, v21, v22
	v_add_f32_e32 v22, v19, v20
	v_sub_f32_e32 v19, v22, v19
	v_sub_f32_e32 v19, v20, v19
	v_add_f32_e32 v17, v17, v21
	v_add_f32_e32 v17, v17, v19
	;; [unrolled: 1-line block ×3, first 2 shown]
	v_sub_f32_e32 v20, v19, v22
	v_sub_f32_e32 v17, v17, v20
	v_add_f32_e32 v20, 1.0, v19
	v_add_f32_e32 v21, -1.0, v20
	v_cvt_i32_f32_e32 v18, v18
	v_sub_f32_e32 v19, v19, v21
	v_add_f32_e32 v17, v17, v19
	v_add_f32_e32 v19, v20, v17
	v_ldexp_f32 v21, v19, v18
	v_rcp_f32_e32 v22, v21
	v_sub_f32_e32 v19, v19, v20
	v_sub_f32_e32 v17, v17, v19
	v_ldexp_f32 v17, v17, v18
	v_mul_f32_e32 v18, v21, v22
	v_fma_f32 v19, v22, v21, -v18
	v_fmac_f32_e32 v19, v22, v17
	v_add_f32_e32 v20, v18, v19
	v_sub_f32_e32 v23, 1.0, v20
	v_sub_f32_e32 v24, 1.0, v23
	v_sub_f32_e32 v18, v20, v18
	v_sub_f32_e32 v24, v24, v20
	;; [unrolled: 1-line block ×3, first 2 shown]
	v_add_f32_e32 v18, v18, v24
	v_add_f32_e32 v19, v23, v18
	v_mul_f32_e32 v20, v22, v19
	v_mul_f32_e32 v24, v21, v20
	v_fma_f32 v25, v20, v21, -v24
	v_fmac_f32_e32 v25, v20, v17
	v_sub_f32_e32 v23, v23, v19
	v_add_f32_e32 v18, v18, v23
	v_add_f32_e32 v23, v24, v25
	v_sub_f32_e32 v26, v19, v23
	v_sub_f32_e32 v19, v19, v26
	;; [unrolled: 1-line block ×4, first 2 shown]
	v_add_f32_e32 v18, v18, v19
	v_sub_f32_e32 v19, v24, v25
	v_add_f32_e32 v18, v19, v18
	v_add_f32_e32 v18, v26, v18
	;; [unrolled: 1-line block ×3, first 2 shown]
	v_mul_f32_e32 v18, v22, v18
	v_sub_f32_e32 v22, v19, v22
	v_sub_f32_e32 v20, v20, v22
	v_add_f32_e32 v18, v20, v18
	v_add_f32_e32 v20, v19, v18
	v_sub_f32_e32 v19, v20, v19
	v_sub_f32_e32 v18, v18, v19
	v_ldexp_f32 v19, v20, -2
	v_add_f32_e32 v20, v21, v19
	v_ldexp_f32 v18, v18, -2
	v_sub_f32_e32 v21, v20, v21
	v_sub_f32_e32 v19, v19, v21
	v_add_f32_e32 v17, v17, v18
	v_add_f32_e32 v17, v17, v19
	;; [unrolled: 1-line block ×3, first 2 shown]
	v_cmp_nlt_f32_e64 s[0:1], s28, v16
	v_cndmask_b32_e64 v18, v14, v17, s[0:1]
	v_add_co_u32_e64 v16, s[0:1], s27, v1
	v_addc_co_u32_e64 v17, s[0:1], 0, v2, s[0:1]
	global_store_dword v[16:17], v18, off
	s_or_b64 exec, exec, s[2:3]
	s_and_saveexec_b64 s[0:1], vcc
	s_cbranch_execz .LBB86_3
.LBB86_19:                              ;   in Loop: Header=BB86_4 Depth=1
	v_add_f32_e32 v16, 0xbf317218, v15
	v_sub_f32_e32 v17, v16, v15
	v_sub_f32_e32 v18, v17, v16
	v_add_f32_e32 v18, v15, v18
	v_add_f32_e32 v17, 0x3f317218, v17
	v_sub_f32_e32 v17, v18, v17
	v_add_f32_e32 v17, 0x3102e308, v17
	v_add_f32_e32 v18, v16, v17
	v_sub_f32_e32 v16, v16, v18
	v_add_f32_e32 v16, v17, v16
	v_mul_f32_e32 v17, 0x3fb8aa3b, v18
	v_rndne_f32_e32 v17, v17
	v_fmac_f32_e32 v18, 0xbf317200, v17
	v_add_f32_e32 v19, v16, v18
	v_sub_f32_e32 v18, v18, v19
	v_add_f32_e32 v16, v16, v18
	v_mul_f32_e32 v18, 0x35bfbc00, v17
	v_sub_f32_e32 v20, v19, v18
	v_sub_f32_e32 v19, v19, v20
	;; [unrolled: 1-line block ×3, first 2 shown]
	v_add_f32_e32 v16, v16, v18
	v_add_f32_e32 v18, v20, v16
	v_sub_f32_e32 v19, v20, v18
	v_add_f32_e32 v16, v16, v19
	v_mul_f32_e32 v19, 0x2ea39ef3, v17
	v_sub_f32_e32 v20, v18, v19
	v_sub_f32_e32 v18, v18, v20
	;; [unrolled: 1-line block ×3, first 2 shown]
	v_add_f32_e32 v16, v16, v18
	v_add_f32_e32 v18, v20, v16
	v_sub_f32_e32 v20, v20, v18
	v_mov_b32_e32 v19, 0x3c091de6
	v_add_f32_e32 v16, v16, v20
	v_mul_f32_e32 v21, v18, v18
	v_fmac_f32_e32 v19, 0x3ab42872, v18
	v_add_f32_e32 v20, v16, v16
	v_fma_f32 v22, v18, v18, -v21
	v_fma_f32 v19, v18, v19, v11
	v_fmac_f32_e32 v22, v18, v20
	v_fma_f32 v19, v18, v19, v12
	v_add_f32_e32 v20, v21, v22
	v_fma_f32 v19, v18, v19, v13
	v_sub_f32_e32 v21, v20, v21
	v_sub_f32_e32 v21, v22, v21
	v_mul_f32_e32 v22, v19, v20
	v_fma_f32 v20, v20, v19, -v22
	v_fmac_f32_e32 v20, v21, v19
	v_add_f32_e32 v19, v22, v20
	v_sub_f32_e32 v21, v19, v22
	v_sub_f32_e32 v20, v20, v21
	v_add_f32_e32 v21, v18, v19
	v_sub_f32_e32 v18, v21, v18
	v_sub_f32_e32 v18, v19, v18
	v_add_f32_e32 v16, v16, v20
	v_add_f32_e32 v16, v16, v18
	v_add_f32_e32 v18, v21, v16
	v_sub_f32_e32 v19, v18, v21
	v_sub_f32_e32 v16, v16, v19
	v_add_f32_e32 v19, 1.0, v18
	v_add_f32_e32 v20, -1.0, v19
	v_cvt_i32_f32_e32 v17, v17
	v_sub_f32_e32 v18, v18, v20
	v_add_f32_e32 v16, v16, v18
	v_add_f32_e32 v18, v19, v16
	v_ldexp_f32 v20, v18, v17
	v_rcp_f32_e32 v21, v20
	v_sub_f32_e32 v18, v18, v19
	v_sub_f32_e32 v16, v16, v18
	v_ldexp_f32 v16, v16, v17
	v_mul_f32_e32 v17, v20, v21
	v_fma_f32 v18, v21, v20, -v17
	v_fmac_f32_e32 v18, v21, v16
	v_add_f32_e32 v19, v17, v18
	v_sub_f32_e32 v22, 1.0, v19
	v_sub_f32_e32 v23, 1.0, v22
	v_sub_f32_e32 v17, v19, v17
	v_sub_f32_e32 v23, v23, v19
	v_sub_f32_e32 v17, v17, v18
	v_add_f32_e32 v17, v17, v23
	v_add_f32_e32 v18, v22, v17
	v_mul_f32_e32 v19, v21, v18
	v_mul_f32_e32 v23, v20, v19
	v_fma_f32 v24, v19, v20, -v23
	v_fmac_f32_e32 v24, v19, v16
	v_sub_f32_e32 v22, v22, v18
	v_add_f32_e32 v17, v17, v22
	v_add_f32_e32 v22, v23, v24
	v_sub_f32_e32 v25, v18, v22
	v_sub_f32_e32 v18, v18, v25
	;; [unrolled: 1-line block ×4, first 2 shown]
	v_add_f32_e32 v17, v17, v18
	v_sub_f32_e32 v18, v23, v24
	v_add_f32_e32 v17, v18, v17
	v_add_f32_e32 v17, v25, v17
	;; [unrolled: 1-line block ×3, first 2 shown]
	v_mul_f32_e32 v17, v21, v17
	v_sub_f32_e32 v21, v18, v21
	v_sub_f32_e32 v19, v19, v21
	v_add_f32_e32 v17, v19, v17
	v_add_f32_e32 v19, v18, v17
	v_sub_f32_e32 v18, v19, v18
	v_sub_f32_e32 v17, v17, v18
	v_ldexp_f32 v18, v19, -2
	v_add_f32_e32 v19, v20, v18
	v_ldexp_f32 v17, v17, -2
	v_sub_f32_e32 v20, v19, v20
	v_sub_f32_e32 v18, v18, v20
	v_add_f32_e32 v16, v16, v17
	v_add_f32_e32 v16, v16, v18
	;; [unrolled: 1-line block ×3, first 2 shown]
	v_cmp_nlt_f32_e32 vcc, s28, v15
	v_cndmask_b32_e32 v17, v14, v16, vcc
	v_add_co_u32_e32 v15, vcc, s26, v1
	v_addc_co_u32_e32 v16, vcc, 0, v2, vcc
	global_store_dword v[15:16], v17, off
	s_branch .LBB86_3
.LBB86_20:
	s_cbranch_execz .LBB86_22
	s_branch .LBB86_25
.LBB86_21:
.LBB86_22:
	v_mov_b32_e32 v1, 0x10000
	v_mov_b32_e32 v2, 0
	v_cmp_lt_i64_e32 vcc, s[14:15], v[1:2]
	v_mov_b32_e32 v2, 0
	s_and_b64 s[0:1], vcc, exec
	s_cselect_b32 s1, s15, 0
	s_cselect_b32 s0, s14, 0x10000
	v_lshlrev_b32_e32 v1, 2, v0
	v_cmp_gt_i64_e32 vcc, s[0:1], v[1:2]
	s_and_saveexec_b64 s[2:3], vcc
	s_cbranch_execz .LBB86_25
; %bb.23:
	s_load_dword s2, s[4:5], 0xd3c
	v_mov_b32_e32 v1, v2
	v_lshlrev_b32_e32 v2, 4, v0
	s_mov_b32 s6, 0xbf317218
	v_mov_b32_e32 v8, 0x3d2aadcc
	s_waitcnt lgkmcnt(0)
	s_and_b32 s4, s2, 0xffff
	s_add_u32 s2, s10, s12
	s_addc_u32 s3, s11, s13
	v_mov_b32_e32 v3, s3
	v_add_co_u32_e32 v2, vcc, s2, v2
	v_addc_co_u32_e32 v3, vcc, 0, v3, vcc
	v_add_co_u32_e32 v6, vcc, 8, v2
	v_addc_co_u32_e32 v7, vcc, 0, v3, vcc
	s_lshl_b32 s5, s4, 4
	s_mov_b64 s[2:3], 0
	v_mov_b32_e32 v9, 0x3e2aaa47
	v_mov_b32_e32 v10, 0x3efffffc
	s_mov_b32 s7, 0x42b2d4fc
	v_mov_b32_e32 v11, 0x7f800000
.LBB86_24:                              ; =>This Inner Loop Header: Depth=1
	global_load_dwordx4 v[2:5], v[6:7], off offset:-8
	v_mov_b32_e32 v12, 0x3c091de6
	v_mov_b32_e32 v13, 0x3c091de6
	s_waitcnt vmcnt(0)
	v_add_f32_e64 v14, |v2|, s6
	v_sub_f32_e64 v16, v14, |v2|
	v_add_f32_e64 v15, |v3|, s6
	v_sub_f32_e32 v18, v16, v14
	v_sub_f32_e64 v17, v15, |v3|
	v_add_f32_e32 v16, 0x3f317218, v16
	v_add_f32_e64 v18, |v2|, v18
	v_sub_f32_e32 v19, v17, v15
	v_sub_f32_e32 v16, v18, v16
	v_add_f32_e32 v17, 0x3f317218, v17
	v_add_f32_e64 v19, |v3|, v19
	v_add_f32_e32 v16, 0x3102e308, v16
	v_sub_f32_e32 v17, v19, v17
	v_add_f32_e32 v18, v14, v16
	v_add_f32_e32 v17, 0x3102e308, v17
	v_sub_f32_e32 v14, v14, v18
	v_mul_f32_e32 v20, 0x3fb8aa3b, v18
	v_add_f32_e32 v19, v15, v17
	v_add_f32_e32 v14, v16, v14
	v_rndne_f32_e32 v16, v20
	v_sub_f32_e32 v15, v15, v19
	v_mul_f32_e32 v21, 0x3fb8aa3b, v19
	v_fmac_f32_e32 v18, 0xbf317200, v16
	v_add_f32_e32 v15, v17, v15
	v_rndne_f32_e32 v17, v21
	v_mul_f32_e32 v20, 0x35bfbc00, v16
	v_add_f32_e32 v24, v14, v18
	v_fmac_f32_e32 v19, 0xbf317200, v17
	v_sub_f32_e32 v18, v18, v24
	v_sub_f32_e32 v26, v24, v20
	v_mul_f32_e32 v22, 0x35bfbc00, v17
	v_add_f32_e32 v25, v15, v19
	v_add_f32_e32 v14, v14, v18
	v_sub_f32_e32 v18, v24, v26
	v_sub_f32_e32 v19, v19, v25
	;; [unrolled: 1-line block ×4, first 2 shown]
	v_add_f32_e32 v15, v15, v19
	v_sub_f32_e32 v19, v25, v27
	v_add_f32_e32 v14, v14, v18
	v_mul_f32_e32 v21, 0x2ea39ef3, v16
	v_sub_f32_e32 v19, v19, v22
	v_add_f32_e32 v18, v26, v14
	v_add_f32_e32 v15, v15, v19
	v_sub_f32_e32 v22, v18, v21
	v_mul_f32_e32 v23, 0x2ea39ef3, v17
	v_add_f32_e32 v19, v27, v15
	v_sub_f32_e32 v20, v26, v18
	v_sub_f32_e32 v18, v18, v22
	;; [unrolled: 1-line block ×3, first 2 shown]
	v_add_f32_e32 v14, v14, v20
	v_sub_f32_e32 v18, v18, v21
	v_sub_f32_e32 v24, v27, v19
	;; [unrolled: 1-line block ×3, first 2 shown]
	v_add_f32_e32 v14, v14, v18
	v_add_f32_e32 v15, v15, v24
	v_sub_f32_e32 v19, v19, v23
	v_add_f32_e32 v18, v22, v14
	v_add_f32_e32 v15, v15, v19
	v_sub_f32_e32 v20, v22, v18
	v_add_f32_e32 v19, v25, v15
	v_fmac_f32_e32 v12, 0x3ab42872, v18
	v_mul_f32_e32 v21, v18, v18
	v_add_f32_e32 v14, v14, v20
	v_sub_f32_e32 v22, v25, v19
	v_fma_f32 v12, v18, v12, v8
	v_fma_f32 v20, v18, v18, -v21
	v_add_f32_e32 v24, v14, v14
	v_mul_f32_e32 v23, v19, v19
	v_add_f32_e32 v15, v15, v22
	v_fma_f32 v12, v18, v12, v9
	v_fmac_f32_e32 v20, v18, v24
	v_fma_f32 v22, v19, v19, -v23
	v_add_f32_e32 v25, v15, v15
	v_fma_f32 v12, v18, v12, v10
	v_add_f32_e32 v24, v21, v20
	v_fmac_f32_e32 v22, v19, v25
	v_sub_f32_e32 v21, v24, v21
	v_mul_f32_e32 v25, v12, v24
	v_sub_f32_e32 v20, v20, v21
	v_fma_f32 v21, v24, v12, -v25
	v_fmac_f32_e32 v21, v20, v12
	v_add_f32_e32 v12, v25, v21
	v_sub_f32_e32 v20, v12, v25
	v_add_f32_e32 v24, v18, v12
	v_sub_f32_e32 v20, v21, v20
	v_sub_f32_e32 v18, v24, v18
	;; [unrolled: 1-line block ×3, first 2 shown]
	v_add_f32_e32 v14, v14, v20
	v_add_f32_e32 v12, v14, v12
	;; [unrolled: 1-line block ×3, first 2 shown]
	v_sub_f32_e32 v18, v14, v24
	v_add_f32_e32 v20, 1.0, v14
	v_cvt_i32_f32_e32 v16, v16
	v_sub_f32_e32 v12, v12, v18
	v_add_f32_e32 v18, -1.0, v20
	v_sub_f32_e32 v14, v14, v18
	v_add_f32_e32 v12, v12, v14
	v_add_f32_e32 v14, v20, v12
	v_ldexp_f32 v18, v14, v16
	v_rcp_f32_e32 v21, v18
	v_sub_f32_e32 v14, v14, v20
	v_sub_f32_e32 v12, v12, v14
	v_ldexp_f32 v12, v12, v16
	v_mul_f32_e32 v14, v18, v21
	v_fma_f32 v16, v21, v18, -v14
	v_fmac_f32_e32 v16, v21, v12
	v_add_f32_e32 v20, v14, v16
	v_sub_f32_e32 v24, 1.0, v20
	v_sub_f32_e32 v14, v20, v14
	v_sub_f32_e32 v25, 1.0, v24
	v_sub_f32_e32 v14, v14, v16
	v_sub_f32_e32 v16, v25, v20
	v_add_f32_e32 v14, v14, v16
	v_add_f32_e32 v16, v24, v14
	v_mul_f32_e32 v20, v21, v16
	v_sub_f32_e32 v24, v24, v16
	v_mul_f32_e32 v25, v18, v20
	v_add_f32_e32 v14, v14, v24
	v_add_f32_e32 v24, v21, v20
	v_fma_f32 v26, v20, v18, -v25
	v_sub_f32_e32 v27, v24, v21
	v_fmac_f32_e32 v26, v20, v12
	v_sub_f32_e32 v20, v20, v27
	v_add_f32_e32 v27, v25, v26
	v_sub_f32_e32 v25, v27, v25
	v_sub_f32_e32 v25, v25, v26
	;; [unrolled: 1-line block ×5, first 2 shown]
	v_add_f32_e32 v14, v14, v16
	v_add_f32_e32 v14, v25, v14
	;; [unrolled: 1-line block ×3, first 2 shown]
	v_mul_f32_e32 v14, v21, v14
	v_add_f32_e32 v14, v20, v14
	v_add_f32_e32 v16, v24, v14
	v_sub_f32_e32 v20, v16, v24
	v_ldexp_f32 v16, v16, -2
	v_sub_f32_e32 v14, v14, v20
	v_add_f32_e32 v20, v18, v16
	v_ldexp_f32 v14, v14, -2
	v_sub_f32_e32 v18, v20, v18
	v_fmac_f32_e32 v13, 0x3ab42872, v19
	v_sub_f32_e32 v16, v16, v18
	v_add_f32_e32 v12, v12, v14
	v_fma_f32 v13, v19, v13, v8
	v_add_f32_e32 v12, v12, v16
	v_fma_f32 v13, v19, v13, v9
	v_add_f32_e32 v12, v20, v12
	v_cmp_ngt_f32_e64 vcc, |v2|, s7
	v_fma_f32 v13, v19, v13, v10
	v_cndmask_b32_e32 v2, v11, v12, vcc
	v_add_f32_e32 v12, v23, v22
	v_sub_f32_e32 v14, v12, v23
	v_mul_f32_e32 v16, v13, v12
	v_sub_f32_e32 v14, v22, v14
	v_fma_f32 v12, v12, v13, -v16
	v_fmac_f32_e32 v12, v14, v13
	v_add_f32_e32 v13, v16, v12
	v_sub_f32_e32 v14, v13, v16
	v_sub_f32_e32 v12, v12, v14
	v_add_f32_e32 v14, v19, v13
	v_sub_f32_e32 v16, v14, v19
	v_sub_f32_e32 v13, v13, v16
	v_add_f32_e32 v12, v15, v12
	v_add_f32_e32 v12, v12, v13
	;; [unrolled: 1-line block ×3, first 2 shown]
	v_sub_f32_e32 v14, v13, v14
	v_sub_f32_e32 v12, v12, v14
	v_add_f32_e32 v14, 1.0, v13
	v_add_f32_e32 v15, -1.0, v14
	v_cvt_i32_f32_e32 v16, v17
	v_sub_f32_e32 v13, v13, v15
	v_add_f32_e32 v12, v12, v13
	v_add_f32_e32 v13, v14, v12
	v_ldexp_f32 v15, v13, v16
	v_rcp_f32_e32 v17, v15
	v_sub_f32_e32 v13, v13, v14
	v_sub_f32_e32 v12, v12, v13
	v_ldexp_f32 v12, v12, v16
	v_mul_f32_e32 v13, v15, v17
	v_fma_f32 v14, v17, v15, -v13
	v_fmac_f32_e32 v14, v17, v12
	v_add_f32_e32 v16, v13, v14
	v_sub_f32_e32 v18, 1.0, v16
	v_sub_f32_e32 v19, 1.0, v18
	v_sub_f32_e32 v13, v16, v13
	v_sub_f32_e32 v19, v19, v16
	;; [unrolled: 1-line block ×3, first 2 shown]
	v_add_f32_e32 v13, v13, v19
	v_add_f32_e32 v14, v18, v13
	v_mul_f32_e32 v16, v17, v14
	v_mul_f32_e32 v19, v15, v16
	v_fma_f32 v20, v16, v15, -v19
	v_fmac_f32_e32 v20, v16, v12
	v_sub_f32_e32 v18, v18, v14
	v_add_f32_e32 v13, v13, v18
	v_add_f32_e32 v18, v19, v20
	v_sub_f32_e32 v21, v14, v18
	v_sub_f32_e32 v14, v14, v21
	;; [unrolled: 1-line block ×4, first 2 shown]
	v_add_f32_e32 v13, v13, v14
	v_sub_f32_e32 v14, v19, v20
	v_add_f32_e32 v13, v14, v13
	v_add_f32_e32 v13, v21, v13
	;; [unrolled: 1-line block ×3, first 2 shown]
	v_mul_f32_e32 v13, v17, v13
	v_sub_f32_e32 v17, v14, v17
	v_sub_f32_e32 v16, v16, v17
	v_add_f32_e32 v13, v16, v13
	v_add_f32_e32 v16, v14, v13
	v_sub_f32_e32 v14, v16, v14
	v_sub_f32_e32 v13, v13, v14
	v_ldexp_f32 v14, v16, -2
	v_add_f32_e32 v16, v15, v14
	v_ldexp_f32 v13, v13, -2
	v_sub_f32_e32 v15, v16, v15
	v_sub_f32_e32 v14, v14, v15
	v_add_f32_e32 v12, v12, v13
	v_add_f32_e32 v12, v12, v14
	;; [unrolled: 1-line block ×3, first 2 shown]
	v_cmp_ngt_f32_e64 vcc, |v3|, s7
	v_cndmask_b32_e32 v3, v11, v12, vcc
	v_add_f32_e64 v12, |v4|, s6
	v_sub_f32_e64 v13, v12, |v4|
	v_sub_f32_e32 v14, v13, v12
	v_add_f32_e64 v14, |v4|, v14
	v_add_f32_e32 v13, 0x3f317218, v13
	v_sub_f32_e32 v13, v14, v13
	v_add_f32_e32 v13, 0x3102e308, v13
	v_add_f32_e32 v14, v12, v13
	v_sub_f32_e32 v12, v12, v14
	v_add_f32_e32 v12, v13, v12
	v_mul_f32_e32 v13, 0x3fb8aa3b, v14
	v_rndne_f32_e32 v13, v13
	v_fmac_f32_e32 v14, 0xbf317200, v13
	v_add_f32_e32 v15, v12, v14
	v_sub_f32_e32 v14, v14, v15
	v_add_f32_e32 v12, v12, v14
	v_mul_f32_e32 v14, 0x35bfbc00, v13
	v_sub_f32_e32 v16, v15, v14
	v_sub_f32_e32 v15, v15, v16
	;; [unrolled: 1-line block ×3, first 2 shown]
	v_add_f32_e32 v12, v12, v14
	v_add_f32_e32 v14, v16, v12
	v_sub_f32_e32 v15, v16, v14
	v_add_f32_e32 v12, v12, v15
	v_mul_f32_e32 v15, 0x2ea39ef3, v13
	v_sub_f32_e32 v16, v14, v15
	v_sub_f32_e32 v14, v14, v16
	;; [unrolled: 1-line block ×3, first 2 shown]
	v_add_f32_e32 v12, v12, v14
	v_add_f32_e32 v14, v16, v12
	v_sub_f32_e32 v16, v16, v14
	v_mov_b32_e32 v15, 0x3c091de6
	v_add_f32_e32 v12, v12, v16
	v_mul_f32_e32 v17, v14, v14
	v_fmac_f32_e32 v15, 0x3ab42872, v14
	v_add_f32_e32 v16, v12, v12
	v_fma_f32 v18, v14, v14, -v17
	v_fma_f32 v15, v14, v15, v8
	v_fmac_f32_e32 v18, v14, v16
	v_fma_f32 v15, v14, v15, v9
	v_add_f32_e32 v16, v17, v18
	v_fma_f32 v15, v14, v15, v10
	v_sub_f32_e32 v17, v16, v17
	v_sub_f32_e32 v17, v18, v17
	v_mul_f32_e32 v18, v15, v16
	v_fma_f32 v16, v16, v15, -v18
	v_fmac_f32_e32 v16, v17, v15
	v_add_f32_e32 v15, v18, v16
	v_sub_f32_e32 v17, v15, v18
	v_sub_f32_e32 v16, v16, v17
	v_add_f32_e32 v17, v14, v15
	v_sub_f32_e32 v14, v17, v14
	v_sub_f32_e32 v14, v15, v14
	v_add_f32_e32 v12, v12, v16
	v_add_f32_e32 v12, v12, v14
	;; [unrolled: 1-line block ×3, first 2 shown]
	v_sub_f32_e32 v15, v14, v17
	v_sub_f32_e32 v12, v12, v15
	v_add_f32_e32 v15, 1.0, v14
	v_add_f32_e32 v16, -1.0, v15
	v_cvt_i32_f32_e32 v13, v13
	v_sub_f32_e32 v14, v14, v16
	v_add_f32_e32 v12, v12, v14
	v_add_f32_e32 v14, v15, v12
	v_ldexp_f32 v16, v14, v13
	v_rcp_f32_e32 v17, v16
	v_sub_f32_e32 v14, v14, v15
	v_sub_f32_e32 v12, v12, v14
	v_ldexp_f32 v12, v12, v13
	v_mul_f32_e32 v13, v16, v17
	v_fma_f32 v14, v17, v16, -v13
	v_fmac_f32_e32 v14, v17, v12
	v_add_f32_e32 v15, v13, v14
	v_sub_f32_e32 v18, 1.0, v15
	v_sub_f32_e32 v19, 1.0, v18
	v_sub_f32_e32 v13, v15, v13
	v_sub_f32_e32 v19, v19, v15
	;; [unrolled: 1-line block ×3, first 2 shown]
	v_add_f32_e32 v13, v13, v19
	v_add_f32_e32 v14, v18, v13
	v_mul_f32_e32 v15, v17, v14
	v_mul_f32_e32 v19, v16, v15
	v_fma_f32 v20, v15, v16, -v19
	v_fmac_f32_e32 v20, v15, v12
	v_sub_f32_e32 v18, v18, v14
	v_add_f32_e32 v13, v13, v18
	v_add_f32_e32 v18, v19, v20
	v_sub_f32_e32 v21, v14, v18
	v_sub_f32_e32 v14, v14, v21
	;; [unrolled: 1-line block ×4, first 2 shown]
	v_add_f32_e32 v13, v13, v14
	v_sub_f32_e32 v14, v19, v20
	v_add_f32_e32 v13, v14, v13
	v_add_f32_e32 v13, v21, v13
	;; [unrolled: 1-line block ×3, first 2 shown]
	v_mul_f32_e32 v13, v17, v13
	v_sub_f32_e32 v17, v14, v17
	v_sub_f32_e32 v15, v15, v17
	v_add_f32_e32 v13, v15, v13
	v_add_f32_e32 v15, v14, v13
	v_sub_f32_e32 v14, v15, v14
	v_sub_f32_e32 v13, v13, v14
	v_ldexp_f32 v14, v15, -2
	v_add_f32_e32 v15, v16, v14
	v_ldexp_f32 v13, v13, -2
	v_sub_f32_e32 v16, v15, v16
	v_sub_f32_e32 v14, v14, v16
	v_add_f32_e32 v12, v12, v13
	v_add_f32_e32 v12, v12, v14
	v_add_f32_e32 v12, v15, v12
	v_cmp_ngt_f32_e64 vcc, |v4|, s7
	v_cndmask_b32_e32 v4, v11, v12, vcc
	v_add_f32_e64 v12, |v5|, s6
	v_sub_f32_e64 v13, v12, |v5|
	v_sub_f32_e32 v14, v13, v12
	v_add_f32_e64 v14, |v5|, v14
	v_add_f32_e32 v13, 0x3f317218, v13
	v_sub_f32_e32 v13, v14, v13
	v_add_f32_e32 v13, 0x3102e308, v13
	v_add_f32_e32 v14, v12, v13
	v_sub_f32_e32 v12, v12, v14
	v_add_f32_e32 v13, v13, v12
	v_mul_f32_e32 v12, 0x3fb8aa3b, v14
	v_rndne_f32_e32 v12, v12
	v_fmac_f32_e32 v14, 0xbf317200, v12
	v_add_f32_e32 v15, v13, v14
	v_sub_f32_e32 v14, v14, v15
	v_add_f32_e32 v13, v13, v14
	v_mul_f32_e32 v14, 0x35bfbc00, v12
	v_sub_f32_e32 v16, v15, v14
	v_sub_f32_e32 v15, v15, v16
	v_sub_f32_e32 v14, v15, v14
	v_add_f32_e32 v13, v13, v14
	v_add_f32_e32 v14, v16, v13
	v_sub_f32_e32 v15, v16, v14
	v_add_f32_e32 v13, v13, v15
	v_mul_f32_e32 v15, 0x2ea39ef3, v12
	v_sub_f32_e32 v16, v14, v15
	v_sub_f32_e32 v14, v14, v16
	v_sub_f32_e32 v14, v14, v15
	v_add_f32_e32 v13, v13, v14
	v_add_f32_e32 v14, v16, v13
	v_sub_f32_e32 v16, v16, v14
	v_mov_b32_e32 v15, 0x3c091de6
	v_add_f32_e32 v13, v13, v16
	v_mul_f32_e32 v17, v14, v14
	v_fmac_f32_e32 v15, 0x3ab42872, v14
	v_add_f32_e32 v16, v13, v13
	v_fma_f32 v18, v14, v14, -v17
	v_fma_f32 v15, v14, v15, v8
	v_fmac_f32_e32 v18, v14, v16
	v_fma_f32 v15, v14, v15, v9
	v_add_f32_e32 v16, v17, v18
	v_fma_f32 v15, v14, v15, v10
	v_sub_f32_e32 v17, v16, v17
	v_sub_f32_e32 v17, v18, v17
	v_mul_f32_e32 v18, v15, v16
	v_fma_f32 v16, v16, v15, -v18
	v_fmac_f32_e32 v16, v17, v15
	v_add_f32_e32 v15, v18, v16
	v_sub_f32_e32 v17, v15, v18
	v_sub_f32_e32 v16, v16, v17
	v_add_f32_e32 v17, v14, v15
	v_sub_f32_e32 v14, v17, v14
	v_sub_f32_e32 v14, v15, v14
	v_add_f32_e32 v13, v13, v16
	v_add_f32_e32 v13, v13, v14
	;; [unrolled: 1-line block ×3, first 2 shown]
	v_sub_f32_e32 v15, v14, v17
	v_sub_f32_e32 v13, v13, v15
	v_add_f32_e32 v15, 1.0, v14
	v_add_f32_e32 v16, -1.0, v15
	v_cvt_i32_f32_e32 v12, v12
	v_sub_f32_e32 v14, v14, v16
	v_add_f32_e32 v13, v13, v14
	v_add_f32_e32 v14, v15, v13
	v_ldexp_f32 v16, v14, v12
	v_rcp_f32_e32 v17, v16
	v_sub_f32_e32 v14, v14, v15
	v_sub_f32_e32 v13, v13, v14
	v_ldexp_f32 v12, v13, v12
	v_mul_f32_e32 v13, v16, v17
	v_fma_f32 v14, v17, v16, -v13
	v_fmac_f32_e32 v14, v17, v12
	v_add_f32_e32 v15, v13, v14
	v_sub_f32_e32 v18, 1.0, v15
	v_sub_f32_e32 v19, 1.0, v18
	v_sub_f32_e32 v13, v15, v13
	v_sub_f32_e32 v19, v19, v15
	;; [unrolled: 1-line block ×3, first 2 shown]
	v_add_f32_e32 v13, v13, v19
	v_add_f32_e32 v14, v18, v13
	v_mul_f32_e32 v15, v17, v14
	v_mul_f32_e32 v19, v16, v15
	v_fma_f32 v20, v15, v16, -v19
	v_fmac_f32_e32 v20, v15, v12
	v_sub_f32_e32 v18, v18, v14
	v_add_f32_e32 v13, v13, v18
	v_add_f32_e32 v18, v19, v20
	v_sub_f32_e32 v21, v14, v18
	v_sub_f32_e32 v14, v14, v21
	;; [unrolled: 1-line block ×4, first 2 shown]
	v_add_f32_e32 v13, v13, v14
	v_sub_f32_e32 v14, v19, v20
	v_add_f32_e32 v13, v14, v13
	v_add_f32_e32 v13, v21, v13
	;; [unrolled: 1-line block ×3, first 2 shown]
	v_mul_f32_e32 v13, v17, v13
	v_sub_f32_e32 v17, v14, v17
	v_sub_f32_e32 v15, v15, v17
	v_add_f32_e32 v13, v15, v13
	v_add_f32_e32 v15, v14, v13
	v_sub_f32_e32 v14, v15, v14
	v_sub_f32_e32 v13, v13, v14
	v_ldexp_f32 v14, v15, -2
	v_add_f32_e32 v15, v16, v14
	v_ldexp_f32 v13, v13, -2
	v_sub_f32_e32 v16, v15, v16
	v_sub_f32_e32 v14, v14, v16
	v_add_f32_e32 v12, v12, v13
	v_add_co_u32_e32 v0, vcc, s4, v0
	v_add_f32_e32 v12, v12, v14
	v_addc_co_u32_e32 v1, vcc, 0, v1, vcc
	v_add_f32_e32 v14, v15, v12
	v_lshlrev_b64 v[12:13], 2, v[0:1]
	v_cmp_ngt_f32_e64 vcc, |v5|, s7
	v_cndmask_b32_e32 v5, v11, v14, vcc
	v_cmp_le_i64_e32 vcc, s[0:1], v[12:13]
	global_store_dwordx4 v[6:7], v[2:5], off offset:-8
	s_or_b64 s[2:3], vcc, s[2:3]
	v_add_co_u32_e32 v6, vcc, s5, v6
	v_addc_co_u32_e32 v7, vcc, 0, v7, vcc
	s_andn2_b64 exec, exec, s[2:3]
	s_cbranch_execnz .LBB86_24
.LBB86_25:
	s_endpgm
	.section	.rodata,"a",@progbits
	.p2align	6, 0x0
	.amdhsa_kernel _ZN2at6native12_GLOBAL__N_125multi_tensor_apply_kernelINS1_18TensorListMetadataILi1EEENS1_14UnaryOpFunctorIfLi1ELi1ELi0EEEJNS0_4CoshIfEEEEEvT_T0_DpT1_
		.amdhsa_group_segment_fixed_size 0
		.amdhsa_private_segment_fixed_size 0
		.amdhsa_kernarg_size 3632
		.amdhsa_user_sgpr_count 6
		.amdhsa_user_sgpr_private_segment_buffer 1
		.amdhsa_user_sgpr_dispatch_ptr 0
		.amdhsa_user_sgpr_queue_ptr 0
		.amdhsa_user_sgpr_kernarg_segment_ptr 1
		.amdhsa_user_sgpr_dispatch_id 0
		.amdhsa_user_sgpr_flat_scratch_init 0
		.amdhsa_user_sgpr_private_segment_size 0
		.amdhsa_uses_dynamic_stack 0
		.amdhsa_system_sgpr_private_segment_wavefront_offset 0
		.amdhsa_system_sgpr_workgroup_id_x 1
		.amdhsa_system_sgpr_workgroup_id_y 0
		.amdhsa_system_sgpr_workgroup_id_z 0
		.amdhsa_system_sgpr_workgroup_info 0
		.amdhsa_system_vgpr_workitem_id 0
		.amdhsa_next_free_vgpr 30
		.amdhsa_next_free_sgpr 29
		.amdhsa_reserve_vcc 1
		.amdhsa_reserve_flat_scratch 0
		.amdhsa_float_round_mode_32 0
		.amdhsa_float_round_mode_16_64 0
		.amdhsa_float_denorm_mode_32 3
		.amdhsa_float_denorm_mode_16_64 3
		.amdhsa_dx10_clamp 1
		.amdhsa_ieee_mode 1
		.amdhsa_fp16_overflow 0
		.amdhsa_exception_fp_ieee_invalid_op 0
		.amdhsa_exception_fp_denorm_src 0
		.amdhsa_exception_fp_ieee_div_zero 0
		.amdhsa_exception_fp_ieee_overflow 0
		.amdhsa_exception_fp_ieee_underflow 0
		.amdhsa_exception_fp_ieee_inexact 0
		.amdhsa_exception_int_div_zero 0
	.end_amdhsa_kernel
	.section	.text._ZN2at6native12_GLOBAL__N_125multi_tensor_apply_kernelINS1_18TensorListMetadataILi1EEENS1_14UnaryOpFunctorIfLi1ELi1ELi0EEEJNS0_4CoshIfEEEEEvT_T0_DpT1_,"axG",@progbits,_ZN2at6native12_GLOBAL__N_125multi_tensor_apply_kernelINS1_18TensorListMetadataILi1EEENS1_14UnaryOpFunctorIfLi1ELi1ELi0EEEJNS0_4CoshIfEEEEEvT_T0_DpT1_,comdat
.Lfunc_end86:
	.size	_ZN2at6native12_GLOBAL__N_125multi_tensor_apply_kernelINS1_18TensorListMetadataILi1EEENS1_14UnaryOpFunctorIfLi1ELi1ELi0EEEJNS0_4CoshIfEEEEEvT_T0_DpT1_, .Lfunc_end86-_ZN2at6native12_GLOBAL__N_125multi_tensor_apply_kernelINS1_18TensorListMetadataILi1EEENS1_14UnaryOpFunctorIfLi1ELi1ELi0EEEJNS0_4CoshIfEEEEEvT_T0_DpT1_
                                        ; -- End function
	.set _ZN2at6native12_GLOBAL__N_125multi_tensor_apply_kernelINS1_18TensorListMetadataILi1EEENS1_14UnaryOpFunctorIfLi1ELi1ELi0EEEJNS0_4CoshIfEEEEEvT_T0_DpT1_.num_vgpr, 30
	.set _ZN2at6native12_GLOBAL__N_125multi_tensor_apply_kernelINS1_18TensorListMetadataILi1EEENS1_14UnaryOpFunctorIfLi1ELi1ELi0EEEJNS0_4CoshIfEEEEEvT_T0_DpT1_.num_agpr, 0
	.set _ZN2at6native12_GLOBAL__N_125multi_tensor_apply_kernelINS1_18TensorListMetadataILi1EEENS1_14UnaryOpFunctorIfLi1ELi1ELi0EEEJNS0_4CoshIfEEEEEvT_T0_DpT1_.numbered_sgpr, 29
	.set _ZN2at6native12_GLOBAL__N_125multi_tensor_apply_kernelINS1_18TensorListMetadataILi1EEENS1_14UnaryOpFunctorIfLi1ELi1ELi0EEEJNS0_4CoshIfEEEEEvT_T0_DpT1_.num_named_barrier, 0
	.set _ZN2at6native12_GLOBAL__N_125multi_tensor_apply_kernelINS1_18TensorListMetadataILi1EEENS1_14UnaryOpFunctorIfLi1ELi1ELi0EEEJNS0_4CoshIfEEEEEvT_T0_DpT1_.private_seg_size, 0
	.set _ZN2at6native12_GLOBAL__N_125multi_tensor_apply_kernelINS1_18TensorListMetadataILi1EEENS1_14UnaryOpFunctorIfLi1ELi1ELi0EEEJNS0_4CoshIfEEEEEvT_T0_DpT1_.uses_vcc, 1
	.set _ZN2at6native12_GLOBAL__N_125multi_tensor_apply_kernelINS1_18TensorListMetadataILi1EEENS1_14UnaryOpFunctorIfLi1ELi1ELi0EEEJNS0_4CoshIfEEEEEvT_T0_DpT1_.uses_flat_scratch, 0
	.set _ZN2at6native12_GLOBAL__N_125multi_tensor_apply_kernelINS1_18TensorListMetadataILi1EEENS1_14UnaryOpFunctorIfLi1ELi1ELi0EEEJNS0_4CoshIfEEEEEvT_T0_DpT1_.has_dyn_sized_stack, 0
	.set _ZN2at6native12_GLOBAL__N_125multi_tensor_apply_kernelINS1_18TensorListMetadataILi1EEENS1_14UnaryOpFunctorIfLi1ELi1ELi0EEEJNS0_4CoshIfEEEEEvT_T0_DpT1_.has_recursion, 0
	.set _ZN2at6native12_GLOBAL__N_125multi_tensor_apply_kernelINS1_18TensorListMetadataILi1EEENS1_14UnaryOpFunctorIfLi1ELi1ELi0EEEJNS0_4CoshIfEEEEEvT_T0_DpT1_.has_indirect_call, 0
	.section	.AMDGPU.csdata,"",@progbits
; Kernel info:
; codeLenInByte = 5376
; TotalNumSgprs: 33
; NumVgprs: 30
; ScratchSize: 0
; MemoryBound: 0
; FloatMode: 240
; IeeeMode: 1
; LDSByteSize: 0 bytes/workgroup (compile time only)
; SGPRBlocks: 4
; VGPRBlocks: 7
; NumSGPRsForWavesPerEU: 33
; NumVGPRsForWavesPerEU: 30
; Occupancy: 8
; WaveLimiterHint : 0
; COMPUTE_PGM_RSRC2:SCRATCH_EN: 0
; COMPUTE_PGM_RSRC2:USER_SGPR: 6
; COMPUTE_PGM_RSRC2:TRAP_HANDLER: 0
; COMPUTE_PGM_RSRC2:TGID_X_EN: 1
; COMPUTE_PGM_RSRC2:TGID_Y_EN: 0
; COMPUTE_PGM_RSRC2:TGID_Z_EN: 0
; COMPUTE_PGM_RSRC2:TIDIG_COMP_CNT: 0
	.section	.text._ZN2at6native12_GLOBAL__N_125multi_tensor_apply_kernelINS1_18TensorListMetadataILi1EEENS1_14UnaryOpFunctorIN3c107complexIdEELi1ELi1ELi0EEEJNS0_4CoshIS8_EEEEEvT_T0_DpT1_,"axG",@progbits,_ZN2at6native12_GLOBAL__N_125multi_tensor_apply_kernelINS1_18TensorListMetadataILi1EEENS1_14UnaryOpFunctorIN3c107complexIdEELi1ELi1ELi0EEEJNS0_4CoshIS8_EEEEEvT_T0_DpT1_,comdat
	.globl	_ZN2at6native12_GLOBAL__N_125multi_tensor_apply_kernelINS1_18TensorListMetadataILi1EEENS1_14UnaryOpFunctorIN3c107complexIdEELi1ELi1ELi0EEEJNS0_4CoshIS8_EEEEEvT_T0_DpT1_ ; -- Begin function _ZN2at6native12_GLOBAL__N_125multi_tensor_apply_kernelINS1_18TensorListMetadataILi1EEENS1_14UnaryOpFunctorIN3c107complexIdEELi1ELi1ELi0EEEJNS0_4CoshIS8_EEEEEvT_T0_DpT1_
	.p2align	8
	.type	_ZN2at6native12_GLOBAL__N_125multi_tensor_apply_kernelINS1_18TensorListMetadataILi1EEENS1_14UnaryOpFunctorIN3c107complexIdEELi1ELi1ELi0EEEJNS0_4CoshIS8_EEEEEvT_T0_DpT1_,@function
_ZN2at6native12_GLOBAL__N_125multi_tensor_apply_kernelINS1_18TensorListMetadataILi1EEENS1_14UnaryOpFunctorIN3c107complexIdEELi1ELi1ELi0EEEJNS0_4CoshIS8_EEEEEvT_T0_DpT1_: ; @_ZN2at6native12_GLOBAL__N_125multi_tensor_apply_kernelINS1_18TensorListMetadataILi1EEENS1_14UnaryOpFunctorIN3c107complexIdEELi1ELi1ELi0EEEJNS0_4CoshIS8_EEEEEvT_T0_DpT1_
; %bb.0:
	v_mov_b32_e32 v58, v0
	v_mov_b32_e32 v0, s6
	global_load_ubyte v0, v0, s[4:5] offset:1760
	s_add_u32 s0, s0, s7
	s_addc_u32 s1, s1, 0
	s_mov_b64 s[34:35], s[4:5]
	s_add_u32 s4, s34, s6
	s_mul_hi_u32 s5, s6, 3
	s_mul_i32 s6, s6, 3
	s_addc_u32 s7, s35, 0
	s_add_u32 s4, s4, s6
	s_addc_u32 s5, s7, s5
	s_load_dword s4, s[4:5], 0x820
	s_mov_b32 s9, 0
	s_mov_b32 s32, 0
	s_waitcnt vmcnt(0)
	v_readfirstlane_b32 s5, v0
	s_lshl_b32 s5, s5, 3
	s_load_dwordx2 s[50:51], s[34:35], s5 offset:0x0
	s_load_dwordx2 s[6:7], s[34:35], s5 offset:0x370
	s_waitcnt lgkmcnt(0)
	s_ashr_i32 s5, s4, 31
	s_lshl_b64 s[52:53], s[4:5], 20
	s_add_u32 s33, s50, s52
	s_addc_u32 s64, s51, s53
	s_lshl_b64 s[4:5], s[4:5], 16
	s_and_b32 s8, s33, 63
	s_sub_u32 s54, s6, s4
	s_subb_u32 s55, s7, s5
	s_and_b32 s4, s6, 3
	s_mov_b32 s5, s9
	s_or_b64 s[4:5], s[8:9], s[4:5]
	s_cmp_eq_u64 s[4:5], 0
	s_cbranch_scc1 .LBB87_21
; %bb.1:
	v_cmp_lt_i64_e64 s[4:5], s[54:55], 1
	s_and_b64 vcc, exec, s[4:5]
	s_cbranch_vccnz .LBB87_20
; %bb.2:
	v_mov_b32_e32 v0, 0x10000
	s_load_dword s6, s[34:35], 0xd3c
	v_mov_b32_e32 v1, 0
	v_cmp_lt_i64_e32 vcc, s[54:55], v[0:1]
	v_mov_b32_e32 v60, 0
	s_and_b64 s[4:5], vcc, exec
	v_cmp_lt_u64_e32 vcc, s[54:55], v[0:1]
	s_cselect_b32 s57, s55, 0
	s_cselect_b32 s56, s54, 0x10000
	s_waitcnt lgkmcnt(0)
	s_and_b32 s6, s6, 0xffff
	s_and_b64 s[4:5], vcc, exec
	s_mul_i32 s8, s6, 3
	v_add_co_u32_e32 v62, vcc, s6, v58
	v_lshlrev_b32_e32 v59, 4, v58
	v_addc_co_u32_e64 v63, s[4:5], 0, 0, vcc
	v_add_co_u32_e32 v64, vcc, s8, v58
	v_mad_u64_u32 v[60:61], s[4:5], s6, 48, v[59:60]
	v_addc_co_u32_e64 v65, s[4:5], 0, 0, vcc
	s_cselect_b32 s59, s55, 0
	s_cselect_b32 s58, s54, 0x10000
	s_lshl_b32 s4, s6, 5
	s_lshl_b32 s7, s6, 1
	v_add_co_u32_e32 v0, vcc, s4, v59
	v_addc_co_u32_e64 v67, s[4:5], 0, 0, vcc
	v_add_co_u32_e32 v69, vcc, s7, v58
	s_lshl_b32 s65, s6, 2
	s_lshl_b32 s66, s6, 6
	v_or_b32_e32 v60, 8, v60
	v_lshlrev_b32_e32 v66, 4, v62
	v_or_b32_e32 v68, 8, v0
	v_addc_co_u32_e64 v70, s[4:5], 0, 0, vcc
	s_mov_b64 s[60:61], 0
	s_branch .LBB87_4
.LBB87_3:                               ;   in Loop: Header=BB87_4 Depth=1
	s_or_b64 exec, exec, s[38:39]
	s_add_u32 s60, s60, s65
	s_waitcnt vmcnt(0)
	v_mov_b32_e32 v0, s56
	s_addc_u32 s61, s61, 0
	v_mov_b32_e32 v1, s57
	v_cmp_lt_i64_e32 vcc, s[60:61], v[0:1]
	s_add_u32 s33, s33, s66
	s_addc_u32 s64, s64, 0
	s_cbranch_vccz .LBB87_20
.LBB87_4:                               ; =>This Inner Loop Header: Depth=1
	v_mov_b32_e32 v1, s61
	v_add_co_u32_e32 v0, vcc, s60, v58
	v_addc_co_u32_e32 v1, vcc, 0, v1, vcc
	v_cmp_gt_u64_e32 vcc, s[58:59], v[0:1]
	v_mov_b32_e32 v46, 0
	v_mov_b32_e32 v2, 0
	;; [unrolled: 1-line block ×6, first 2 shown]
	s_and_saveexec_b64 s[6:7], vcc
	s_cbranch_execz .LBB87_6
; %bb.5:                                ;   in Loop: Header=BB87_4 Depth=1
	v_mov_b32_e32 v1, s64
	v_add_co_u32_e64 v0, s[4:5], s33, v59
	v_addc_co_u32_e64 v1, s[4:5], 0, v1, s[4:5]
	global_load_dwordx4 v[0:3], v[0:1], off
.LBB87_6:                               ;   in Loop: Header=BB87_4 Depth=1
	s_or_b64 exec, exec, s[6:7]
	v_mov_b32_e32 v5, s61
	v_add_co_u32_e64 v4, s[4:5], s60, v62
	v_addc_co_u32_e64 v5, s[4:5], v63, v5, s[4:5]
	v_cmp_gt_u64_e64 s[48:49], s[58:59], v[4:5]
	v_mov_b32_e32 v44, 0
	v_mov_b32_e32 v45, 0
	s_and_saveexec_b64 s[6:7], s[48:49]
	s_cbranch_execz .LBB87_8
; %bb.7:                                ;   in Loop: Header=BB87_4 Depth=1
	v_mov_b32_e32 v5, s64
	v_add_co_u32_e64 v4, s[4:5], s33, v66
	v_addc_co_u32_e64 v5, s[4:5], 0, v5, s[4:5]
	global_load_dwordx4 v[44:47], v[4:5], off
.LBB87_8:                               ;   in Loop: Header=BB87_4 Depth=1
	s_or_b64 exec, exec, s[6:7]
	v_mov_b32_e32 v5, s61
	v_add_co_u32_e64 v4, s[4:5], s60, v69
	v_addc_co_u32_e64 v5, s[4:5], v70, v5, s[4:5]
	v_cmp_gt_u64_e64 s[38:39], s[58:59], v[4:5]
	v_mov_b32_e32 v42, 0
	v_mov_b32_e32 v56, 0
	;; [unrolled: 1-line block ×6, first 2 shown]
	s_and_saveexec_b64 s[6:7], s[38:39]
	s_cbranch_execz .LBB87_10
; %bb.9:                                ;   in Loop: Header=BB87_4 Depth=1
	v_mov_b32_e32 v5, s64
	v_add_co_u32_e64 v4, s[4:5], s33, v68
	v_addc_co_u32_e64 v5, s[4:5], v5, v67, s[4:5]
	global_load_dwordx4 v[54:57], v[4:5], off offset:-8
.LBB87_10:                              ;   in Loop: Header=BB87_4 Depth=1
	s_or_b64 exec, exec, s[6:7]
	v_mov_b32_e32 v5, s61
	v_add_co_u32_e64 v4, s[4:5], s60, v64
	v_addc_co_u32_e64 v5, s[4:5], v65, v5, s[4:5]
	v_cmp_gt_u64_e64 s[36:37], s[58:59], v[4:5]
	v_mov_b32_e32 v40, 0
	v_mov_b32_e32 v41, 0
	s_and_saveexec_b64 s[6:7], s[36:37]
	s_cbranch_execnz .LBB87_15
; %bb.11:                               ;   in Loop: Header=BB87_4 Depth=1
	s_or_b64 exec, exec, s[6:7]
	s_and_saveexec_b64 s[62:63], vcc
	s_cbranch_execnz .LBB87_16
.LBB87_12:                              ;   in Loop: Header=BB87_4 Depth=1
	s_or_b64 exec, exec, s[62:63]
	s_and_saveexec_b64 s[62:63], s[48:49]
	s_cbranch_execnz .LBB87_17
.LBB87_13:                              ;   in Loop: Header=BB87_4 Depth=1
	s_or_b64 exec, exec, s[62:63]
	s_and_saveexec_b64 s[48:49], s[38:39]
	s_cbranch_execnz .LBB87_18
.LBB87_14:                              ;   in Loop: Header=BB87_4 Depth=1
	s_or_b64 exec, exec, s[48:49]
	s_and_saveexec_b64 s[38:39], s[36:37]
	s_cbranch_execz .LBB87_3
	s_branch .LBB87_19
.LBB87_15:                              ;   in Loop: Header=BB87_4 Depth=1
	v_mov_b32_e32 v5, s64
	v_add_co_u32_e64 v4, s[4:5], s33, v60
	v_addc_co_u32_e64 v5, s[4:5], v5, v61, s[4:5]
	global_load_dwordx4 v[40:43], v[4:5], off offset:-8
	s_or_b64 exec, exec, s[6:7]
	s_and_saveexec_b64 s[62:63], vcc
	s_cbranch_execz .LBB87_12
.LBB87_16:                              ;   in Loop: Header=BB87_4 Depth=1
	s_getpc_b64 s[4:5]
	s_add_u32 s4, s4, _ZN6thrust23THRUST_200600_302600_NS6detail7complex5ccoshERKNS0_7complexIdEE@rel32@lo+4
	s_addc_u32 s5, s5, _ZN6thrust23THRUST_200600_302600_NS6detail7complex5ccoshERKNS0_7complexIdEE@rel32@hi+12
	s_swappc_b64 s[30:31], s[4:5]
	v_mov_b32_e32 v5, s64
	v_add_co_u32_e32 v4, vcc, s33, v59
	v_addc_co_u32_e32 v5, vcc, 0, v5, vcc
	global_store_dwordx4 v[4:5], v[0:3], off
	s_or_b64 exec, exec, s[62:63]
	s_and_saveexec_b64 s[62:63], s[48:49]
	s_cbranch_execz .LBB87_13
.LBB87_17:                              ;   in Loop: Header=BB87_4 Depth=1
	s_getpc_b64 s[4:5]
	s_add_u32 s4, s4, _ZN6thrust23THRUST_200600_302600_NS6detail7complex5ccoshERKNS0_7complexIdEE@rel32@lo+4
	s_addc_u32 s5, s5, _ZN6thrust23THRUST_200600_302600_NS6detail7complex5ccoshERKNS0_7complexIdEE@rel32@hi+12
	s_waitcnt vmcnt(0)
	v_mov_b32_e32 v0, v44
	v_mov_b32_e32 v1, v45
	;; [unrolled: 1-line block ×4, first 2 shown]
	s_swappc_b64 s[30:31], s[4:5]
	v_mov_b32_e32 v5, s64
	v_add_co_u32_e32 v4, vcc, s33, v66
	v_addc_co_u32_e32 v5, vcc, 0, v5, vcc
	global_store_dwordx4 v[4:5], v[0:3], off
	s_or_b64 exec, exec, s[62:63]
	s_and_saveexec_b64 s[48:49], s[38:39]
	s_cbranch_execz .LBB87_14
.LBB87_18:                              ;   in Loop: Header=BB87_4 Depth=1
	s_getpc_b64 s[4:5]
	s_add_u32 s4, s4, _ZN6thrust23THRUST_200600_302600_NS6detail7complex5ccoshERKNS0_7complexIdEE@rel32@lo+4
	s_addc_u32 s5, s5, _ZN6thrust23THRUST_200600_302600_NS6detail7complex5ccoshERKNS0_7complexIdEE@rel32@hi+12
	s_waitcnt vmcnt(0)
	v_mov_b32_e32 v0, v54
	v_mov_b32_e32 v1, v55
	v_mov_b32_e32 v2, v56
	v_mov_b32_e32 v3, v57
	s_swappc_b64 s[30:31], s[4:5]
	v_mov_b32_e32 v5, s64
	v_add_co_u32_e32 v4, vcc, s33, v68
	v_addc_co_u32_e32 v5, vcc, v5, v67, vcc
	global_store_dwordx4 v[4:5], v[0:3], off offset:-8
	s_or_b64 exec, exec, s[48:49]
	s_and_saveexec_b64 s[38:39], s[36:37]
	s_cbranch_execz .LBB87_3
.LBB87_19:                              ;   in Loop: Header=BB87_4 Depth=1
	s_getpc_b64 s[4:5]
	s_add_u32 s4, s4, _ZN6thrust23THRUST_200600_302600_NS6detail7complex5ccoshERKNS0_7complexIdEE@rel32@lo+4
	s_addc_u32 s5, s5, _ZN6thrust23THRUST_200600_302600_NS6detail7complex5ccoshERKNS0_7complexIdEE@rel32@hi+12
	s_waitcnt vmcnt(0)
	v_mov_b32_e32 v0, v40
	v_mov_b32_e32 v1, v41
	;; [unrolled: 1-line block ×4, first 2 shown]
	s_swappc_b64 s[30:31], s[4:5]
	v_mov_b32_e32 v5, s64
	v_add_co_u32_e32 v4, vcc, s33, v60
	v_addc_co_u32_e32 v5, vcc, v5, v61, vcc
	global_store_dwordx4 v[4:5], v[0:3], off offset:-8
	s_branch .LBB87_3
.LBB87_20:
	s_cbranch_execz .LBB87_22
	s_branch .LBB87_25
.LBB87_21:
.LBB87_22:
	v_mov_b32_e32 v0, 0x10000
	v_mov_b32_e32 v1, 0
	v_cmp_lt_i64_e32 vcc, s[54:55], v[0:1]
	v_mov_b32_e32 v1, 0
	s_and_b64 s[4:5], vcc, exec
	s_cselect_b32 s37, s55, 0
	s_cselect_b32 s36, s54, 0x10000
	v_lshlrev_b32_e32 v0, 2, v58
	v_cmp_gt_i64_e32 vcc, s[36:37], v[0:1]
	s_and_saveexec_b64 s[4:5], vcc
	s_cbranch_execz .LBB87_25
; %bb.23:
	s_load_dword s4, s[34:35], 0xd3c
	v_lshlrev_b32_e32 v0, 6, v58
	v_mov_b32_e32 v59, v1
	s_mov_b64 s[34:35], 0
	s_waitcnt lgkmcnt(0)
	s_and_b32 s33, s4, 0xffff
	s_add_u32 s4, s50, s52
	s_addc_u32 s5, s51, s53
	v_mov_b32_e32 v1, s5
	v_add_co_u32_e32 v64, vcc, s4, v0
	v_addc_co_u32_e32 v65, vcc, 0, v1, vcc
	s_lshl_b32 s38, s33, 6
.LBB87_24:                              ; =>This Inner Loop Header: Depth=1
	global_load_dwordx4 v[0:3], v[64:65], off
	global_load_dwordx4 v[40:43], v[64:65], off offset:16
	global_load_dwordx4 v[44:47], v[64:65], off offset:48
	;; [unrolled: 1-line block ×3, first 2 shown]
	s_getpc_b64 s[48:49]
	s_add_u32 s48, s48, _ZN6thrust23THRUST_200600_302600_NS6detail7complex5ccoshERKNS0_7complexIdEE@rel32@lo+4
	s_addc_u32 s49, s49, _ZN6thrust23THRUST_200600_302600_NS6detail7complex5ccoshERKNS0_7complexIdEE@rel32@hi+12
	s_swappc_b64 s[30:31], s[48:49]
	v_mov_b32_e32 v60, v0
	v_mov_b32_e32 v61, v1
	v_mov_b32_e32 v62, v2
	v_mov_b32_e32 v63, v3
	v_mov_b32_e32 v0, v40
	v_mov_b32_e32 v1, v41
	v_mov_b32_e32 v2, v42
	v_mov_b32_e32 v3, v43
	s_swappc_b64 s[30:31], s[48:49]
	v_mov_b32_e32 v40, v0
	v_mov_b32_e32 v41, v1
	v_mov_b32_e32 v42, v2
	v_mov_b32_e32 v43, v3
	v_mov_b32_e32 v0, v54
	v_mov_b32_e32 v1, v55
	v_mov_b32_e32 v2, v56
	v_mov_b32_e32 v3, v57
	;; [unrolled: 9-line block ×3, first 2 shown]
	s_swappc_b64 s[30:31], s[48:49]
	v_add_co_u32_e32 v58, vcc, s33, v58
	v_addc_co_u32_e32 v59, vcc, 0, v59, vcc
	global_store_dwordx4 v[64:65], v[60:63], off
	global_store_dwordx4 v[64:65], v[40:43], off offset:16
	global_store_dwordx4 v[64:65], v[54:57], off offset:32
	;; [unrolled: 1-line block ×3, first 2 shown]
	v_add_co_u32_e32 v64, vcc, s38, v64
	v_lshlrev_b64 v[0:1], 2, v[58:59]
	v_addc_co_u32_e32 v65, vcc, 0, v65, vcc
	v_cmp_le_i64_e64 s[4:5], s[36:37], v[0:1]
	s_or_b64 s[34:35], s[4:5], s[34:35]
	s_andn2_b64 exec, exec, s[34:35]
	s_cbranch_execnz .LBB87_24
.LBB87_25:
	s_endpgm
	.section	.rodata,"a",@progbits
	.p2align	6, 0x0
	.amdhsa_kernel _ZN2at6native12_GLOBAL__N_125multi_tensor_apply_kernelINS1_18TensorListMetadataILi1EEENS1_14UnaryOpFunctorIN3c107complexIdEELi1ELi1ELi0EEEJNS0_4CoshIS8_EEEEEvT_T0_DpT1_
		.amdhsa_group_segment_fixed_size 0
		.amdhsa_private_segment_fixed_size 0
		.amdhsa_kernarg_size 3632
		.amdhsa_user_sgpr_count 6
		.amdhsa_user_sgpr_private_segment_buffer 1
		.amdhsa_user_sgpr_dispatch_ptr 0
		.amdhsa_user_sgpr_queue_ptr 0
		.amdhsa_user_sgpr_kernarg_segment_ptr 1
		.amdhsa_user_sgpr_dispatch_id 0
		.amdhsa_user_sgpr_flat_scratch_init 0
		.amdhsa_user_sgpr_private_segment_size 0
		.amdhsa_uses_dynamic_stack 0
		.amdhsa_system_sgpr_private_segment_wavefront_offset 0
		.amdhsa_system_sgpr_workgroup_id_x 1
		.amdhsa_system_sgpr_workgroup_id_y 0
		.amdhsa_system_sgpr_workgroup_id_z 0
		.amdhsa_system_sgpr_workgroup_info 0
		.amdhsa_system_vgpr_workitem_id 0
		.amdhsa_next_free_vgpr 71
		.amdhsa_next_free_sgpr 67
		.amdhsa_reserve_vcc 1
		.amdhsa_reserve_flat_scratch 0
		.amdhsa_float_round_mode_32 0
		.amdhsa_float_round_mode_16_64 0
		.amdhsa_float_denorm_mode_32 3
		.amdhsa_float_denorm_mode_16_64 3
		.amdhsa_dx10_clamp 1
		.amdhsa_ieee_mode 1
		.amdhsa_fp16_overflow 0
		.amdhsa_exception_fp_ieee_invalid_op 0
		.amdhsa_exception_fp_denorm_src 0
		.amdhsa_exception_fp_ieee_div_zero 0
		.amdhsa_exception_fp_ieee_overflow 0
		.amdhsa_exception_fp_ieee_underflow 0
		.amdhsa_exception_fp_ieee_inexact 0
		.amdhsa_exception_int_div_zero 0
	.end_amdhsa_kernel
	.section	.text._ZN2at6native12_GLOBAL__N_125multi_tensor_apply_kernelINS1_18TensorListMetadataILi1EEENS1_14UnaryOpFunctorIN3c107complexIdEELi1ELi1ELi0EEEJNS0_4CoshIS8_EEEEEvT_T0_DpT1_,"axG",@progbits,_ZN2at6native12_GLOBAL__N_125multi_tensor_apply_kernelINS1_18TensorListMetadataILi1EEENS1_14UnaryOpFunctorIN3c107complexIdEELi1ELi1ELi0EEEJNS0_4CoshIS8_EEEEEvT_T0_DpT1_,comdat
.Lfunc_end87:
	.size	_ZN2at6native12_GLOBAL__N_125multi_tensor_apply_kernelINS1_18TensorListMetadataILi1EEENS1_14UnaryOpFunctorIN3c107complexIdEELi1ELi1ELi0EEEJNS0_4CoshIS8_EEEEEvT_T0_DpT1_, .Lfunc_end87-_ZN2at6native12_GLOBAL__N_125multi_tensor_apply_kernelINS1_18TensorListMetadataILi1EEENS1_14UnaryOpFunctorIN3c107complexIdEELi1ELi1ELi0EEEJNS0_4CoshIS8_EEEEEvT_T0_DpT1_
                                        ; -- End function
	.set _ZN2at6native12_GLOBAL__N_125multi_tensor_apply_kernelINS1_18TensorListMetadataILi1EEENS1_14UnaryOpFunctorIN3c107complexIdEELi1ELi1ELi0EEEJNS0_4CoshIS8_EEEEEvT_T0_DpT1_.num_vgpr, max(71, .L_ZN6thrust23THRUST_200600_302600_NS6detail7complex5ccoshERKNS0_7complexIdEE.num_vgpr)
	.set _ZN2at6native12_GLOBAL__N_125multi_tensor_apply_kernelINS1_18TensorListMetadataILi1EEENS1_14UnaryOpFunctorIN3c107complexIdEELi1ELi1ELi0EEEJNS0_4CoshIS8_EEEEEvT_T0_DpT1_.num_agpr, max(0, .L_ZN6thrust23THRUST_200600_302600_NS6detail7complex5ccoshERKNS0_7complexIdEE.num_agpr)
	.set _ZN2at6native12_GLOBAL__N_125multi_tensor_apply_kernelINS1_18TensorListMetadataILi1EEENS1_14UnaryOpFunctorIN3c107complexIdEELi1ELi1ELi0EEEJNS0_4CoshIS8_EEEEEvT_T0_DpT1_.numbered_sgpr, max(67, .L_ZN6thrust23THRUST_200600_302600_NS6detail7complex5ccoshERKNS0_7complexIdEE.numbered_sgpr)
	.set _ZN2at6native12_GLOBAL__N_125multi_tensor_apply_kernelINS1_18TensorListMetadataILi1EEENS1_14UnaryOpFunctorIN3c107complexIdEELi1ELi1ELi0EEEJNS0_4CoshIS8_EEEEEvT_T0_DpT1_.num_named_barrier, max(0, .L_ZN6thrust23THRUST_200600_302600_NS6detail7complex5ccoshERKNS0_7complexIdEE.num_named_barrier)
	.set _ZN2at6native12_GLOBAL__N_125multi_tensor_apply_kernelINS1_18TensorListMetadataILi1EEENS1_14UnaryOpFunctorIN3c107complexIdEELi1ELi1ELi0EEEJNS0_4CoshIS8_EEEEEvT_T0_DpT1_.private_seg_size, 0+max(.L_ZN6thrust23THRUST_200600_302600_NS6detail7complex5ccoshERKNS0_7complexIdEE.private_seg_size)
	.set _ZN2at6native12_GLOBAL__N_125multi_tensor_apply_kernelINS1_18TensorListMetadataILi1EEENS1_14UnaryOpFunctorIN3c107complexIdEELi1ELi1ELi0EEEJNS0_4CoshIS8_EEEEEvT_T0_DpT1_.uses_vcc, or(1, .L_ZN6thrust23THRUST_200600_302600_NS6detail7complex5ccoshERKNS0_7complexIdEE.uses_vcc)
	.set _ZN2at6native12_GLOBAL__N_125multi_tensor_apply_kernelINS1_18TensorListMetadataILi1EEENS1_14UnaryOpFunctorIN3c107complexIdEELi1ELi1ELi0EEEJNS0_4CoshIS8_EEEEEvT_T0_DpT1_.uses_flat_scratch, or(0, .L_ZN6thrust23THRUST_200600_302600_NS6detail7complex5ccoshERKNS0_7complexIdEE.uses_flat_scratch)
	.set _ZN2at6native12_GLOBAL__N_125multi_tensor_apply_kernelINS1_18TensorListMetadataILi1EEENS1_14UnaryOpFunctorIN3c107complexIdEELi1ELi1ELi0EEEJNS0_4CoshIS8_EEEEEvT_T0_DpT1_.has_dyn_sized_stack, or(0, .L_ZN6thrust23THRUST_200600_302600_NS6detail7complex5ccoshERKNS0_7complexIdEE.has_dyn_sized_stack)
	.set _ZN2at6native12_GLOBAL__N_125multi_tensor_apply_kernelINS1_18TensorListMetadataILi1EEENS1_14UnaryOpFunctorIN3c107complexIdEELi1ELi1ELi0EEEJNS0_4CoshIS8_EEEEEvT_T0_DpT1_.has_recursion, or(0, .L_ZN6thrust23THRUST_200600_302600_NS6detail7complex5ccoshERKNS0_7complexIdEE.has_recursion)
	.set _ZN2at6native12_GLOBAL__N_125multi_tensor_apply_kernelINS1_18TensorListMetadataILi1EEENS1_14UnaryOpFunctorIN3c107complexIdEELi1ELi1ELi0EEEJNS0_4CoshIS8_EEEEEvT_T0_DpT1_.has_indirect_call, or(0, .L_ZN6thrust23THRUST_200600_302600_NS6detail7complex5ccoshERKNS0_7complexIdEE.has_indirect_call)
	.section	.AMDGPU.csdata,"",@progbits
; Kernel info:
; codeLenInByte = 1404
; TotalNumSgprs: 71
; NumVgprs: 71
; ScratchSize: 0
; MemoryBound: 1
; FloatMode: 240
; IeeeMode: 1
; LDSByteSize: 0 bytes/workgroup (compile time only)
; SGPRBlocks: 8
; VGPRBlocks: 17
; NumSGPRsForWavesPerEU: 71
; NumVGPRsForWavesPerEU: 71
; Occupancy: 3
; WaveLimiterHint : 0
; COMPUTE_PGM_RSRC2:SCRATCH_EN: 0
; COMPUTE_PGM_RSRC2:USER_SGPR: 6
; COMPUTE_PGM_RSRC2:TRAP_HANDLER: 0
; COMPUTE_PGM_RSRC2:TGID_X_EN: 1
; COMPUTE_PGM_RSRC2:TGID_Y_EN: 0
; COMPUTE_PGM_RSRC2:TGID_Z_EN: 0
; COMPUTE_PGM_RSRC2:TIDIG_COMP_CNT: 0
	.section	.text._ZN2at6native12_GLOBAL__N_125multi_tensor_apply_kernelINS1_18TensorListMetadataILi1EEENS1_14UnaryOpFunctorIN3c107complexIfEELi1ELi1ELi0EEEJNS0_4CoshIS8_EEEEEvT_T0_DpT1_,"axG",@progbits,_ZN2at6native12_GLOBAL__N_125multi_tensor_apply_kernelINS1_18TensorListMetadataILi1EEENS1_14UnaryOpFunctorIN3c107complexIfEELi1ELi1ELi0EEEJNS0_4CoshIS8_EEEEEvT_T0_DpT1_,comdat
	.globl	_ZN2at6native12_GLOBAL__N_125multi_tensor_apply_kernelINS1_18TensorListMetadataILi1EEENS1_14UnaryOpFunctorIN3c107complexIfEELi1ELi1ELi0EEEJNS0_4CoshIS8_EEEEEvT_T0_DpT1_ ; -- Begin function _ZN2at6native12_GLOBAL__N_125multi_tensor_apply_kernelINS1_18TensorListMetadataILi1EEENS1_14UnaryOpFunctorIN3c107complexIfEELi1ELi1ELi0EEEJNS0_4CoshIS8_EEEEEvT_T0_DpT1_
	.p2align	8
	.type	_ZN2at6native12_GLOBAL__N_125multi_tensor_apply_kernelINS1_18TensorListMetadataILi1EEENS1_14UnaryOpFunctorIN3c107complexIfEELi1ELi1ELi0EEEJNS0_4CoshIS8_EEEEEvT_T0_DpT1_,@function
_ZN2at6native12_GLOBAL__N_125multi_tensor_apply_kernelINS1_18TensorListMetadataILi1EEENS1_14UnaryOpFunctorIN3c107complexIfEELi1ELi1ELi0EEEJNS0_4CoshIS8_EEEEEvT_T0_DpT1_: ; @_ZN2at6native12_GLOBAL__N_125multi_tensor_apply_kernelINS1_18TensorListMetadataILi1EEENS1_14UnaryOpFunctorIN3c107complexIfEELi1ELi1ELi0EEEJNS0_4CoshIS8_EEEEEvT_T0_DpT1_
; %bb.0:
	v_mov_b32_e32 v20, v0
	v_mov_b32_e32 v0, s6
	global_load_ubyte v0, v0, s[4:5] offset:1760
	s_add_u32 s0, s0, s7
	s_addc_u32 s1, s1, 0
	s_mov_b64 s[26:27], s[4:5]
	s_add_u32 s4, s26, s6
	s_mul_hi_u32 s5, s6, 3
	s_mul_i32 s6, s6, 3
	s_addc_u32 s7, s27, 0
	s_add_u32 s4, s4, s6
	s_addc_u32 s5, s7, s5
	s_load_dword s4, s[4:5], 0x820
	s_mov_b32 s9, 0
	s_mov_b32 s32, 0
	s_waitcnt vmcnt(0)
	v_readfirstlane_b32 s5, v0
	s_lshl_b32 s5, s5, 3
	s_load_dwordx2 s[38:39], s[26:27], s5 offset:0x0
	s_load_dwordx2 s[6:7], s[26:27], s5 offset:0x370
	s_waitcnt lgkmcnt(0)
	s_ashr_i32 s5, s4, 31
	s_lshl_b64 s[40:41], s[4:5], 19
	s_add_u32 s33, s38, s40
	s_addc_u32 s52, s39, s41
	s_lshl_b64 s[4:5], s[4:5], 16
	s_and_b32 s8, s33, 31
	s_sub_u32 s42, s6, s4
	s_subb_u32 s43, s7, s5
	s_and_b32 s4, s6, 3
	s_mov_b32 s5, s9
	s_or_b64 s[4:5], s[8:9], s[4:5]
	s_cmp_eq_u64 s[4:5], 0
	s_cbranch_scc1 .LBB88_21
; %bb.1:
	v_cmp_lt_i64_e64 s[4:5], s[42:43], 1
	s_and_b64 vcc, exec, s[4:5]
	s_cbranch_vccnz .LBB88_20
; %bb.2:
	v_mov_b32_e32 v0, 0x10000
	s_load_dword s6, s[26:27], 0xd3c
	v_mov_b32_e32 v1, 0
	v_cmp_lt_i64_e32 vcc, s[42:43], v[0:1]
	v_mov_b32_e32 v28, 0
	s_and_b64 s[4:5], vcc, exec
	v_cmp_lt_u64_e32 vcc, s[42:43], v[0:1]
	s_cselect_b32 s45, s43, 0
	s_cselect_b32 s44, s42, 0x10000
	s_waitcnt lgkmcnt(0)
	s_and_b32 s6, s6, 0xffff
	s_and_b64 s[4:5], vcc, exec
	s_mul_i32 s8, s6, 3
	v_add_co_u32_e32 v30, vcc, s6, v20
	v_lshlrev_b32_e32 v27, 3, v20
	v_addc_co_u32_e64 v31, s[4:5], 0, 0, vcc
	v_add_co_u32_e32 v32, vcc, s8, v20
	v_mad_u64_u32 v[28:29], s[4:5], s6, 24, v[27:28]
	v_addc_co_u32_e64 v33, s[4:5], 0, 0, vcc
	s_cselect_b32 s47, s43, 0
	s_cselect_b32 s46, s42, 0x10000
	s_lshl_b32 s4, s6, 4
	s_lshl_b32 s7, s6, 1
	v_add_co_u32_e32 v0, vcc, s4, v27
	v_addc_co_u32_e64 v35, s[4:5], 0, 0, vcc
	v_add_co_u32_e32 v37, vcc, s7, v20
	s_lshl_b32 s53, s6, 2
	s_lshl_b32 s54, s6, 5
	v_or_b32_e32 v28, 4, v28
	v_lshlrev_b32_e32 v34, 3, v30
	v_or_b32_e32 v36, 4, v0
	v_addc_co_u32_e64 v38, s[4:5], 0, 0, vcc
	s_mov_b64 s[48:49], 0
	s_branch .LBB88_4
.LBB88_3:                               ;   in Loop: Header=BB88_4 Depth=1
	s_or_b64 exec, exec, s[28:29]
	s_add_u32 s48, s48, s53
	s_waitcnt vmcnt(0)
	v_mov_b32_e32 v0, s44
	s_addc_u32 s49, s49, 0
	v_mov_b32_e32 v1, s45
	v_cmp_lt_i64_e32 vcc, s[48:49], v[0:1]
	s_add_u32 s33, s33, s54
	s_addc_u32 s52, s52, 0
	s_cbranch_vccz .LBB88_20
.LBB88_4:                               ; =>This Inner Loop Header: Depth=1
	v_mov_b32_e32 v1, s49
	v_add_co_u32_e32 v0, vcc, s48, v20
	v_addc_co_u32_e32 v1, vcc, 0, v1, vcc
	v_cmp_gt_u64_e32 vcc, s[46:47], v[0:1]
	v_mov_b32_e32 v1, 0
	v_mov_b32_e32 v0, 0
	s_and_saveexec_b64 s[6:7], vcc
	s_cbranch_execz .LBB88_6
; %bb.5:                                ;   in Loop: Header=BB88_4 Depth=1
	v_mov_b32_e32 v1, s52
	v_add_co_u32_e64 v0, s[4:5], s33, v27
	v_addc_co_u32_e64 v1, s[4:5], 0, v1, s[4:5]
	global_load_dwordx2 v[0:1], v[0:1], off
.LBB88_6:                               ;   in Loop: Header=BB88_4 Depth=1
	s_or_b64 exec, exec, s[6:7]
	v_mov_b32_e32 v3, s49
	v_add_co_u32_e64 v2, s[4:5], s48, v30
	v_addc_co_u32_e64 v3, s[4:5], v31, v3, s[4:5]
	v_cmp_gt_u64_e64 s[28:29], s[46:47], v[2:3]
	v_mov_b32_e32 v22, 0
	v_mov_b32_e32 v24, 0
	;; [unrolled: 1-line block ×3, first 2 shown]
	s_and_saveexec_b64 s[6:7], s[28:29]
	s_cbranch_execz .LBB88_8
; %bb.7:                                ;   in Loop: Header=BB88_4 Depth=1
	v_mov_b32_e32 v3, s52
	v_add_co_u32_e64 v2, s[4:5], s33, v34
	v_addc_co_u32_e64 v3, s[4:5], 0, v3, s[4:5]
	global_load_dwordx2 v[23:24], v[2:3], off
.LBB88_8:                               ;   in Loop: Header=BB88_4 Depth=1
	s_or_b64 exec, exec, s[6:7]
	v_mov_b32_e32 v3, s49
	v_add_co_u32_e64 v2, s[4:5], s48, v37
	v_addc_co_u32_e64 v3, s[4:5], v38, v3, s[4:5]
	v_cmp_gt_u64_e64 s[34:35], s[46:47], v[2:3]
	v_mov_b32_e32 v21, 0
	s_and_saveexec_b64 s[6:7], s[34:35]
	s_cbranch_execz .LBB88_10
; %bb.9:                                ;   in Loop: Header=BB88_4 Depth=1
	v_mov_b32_e32 v3, s52
	v_add_co_u32_e64 v2, s[4:5], s33, v36
	v_addc_co_u32_e64 v3, s[4:5], v3, v35, s[4:5]
	global_load_dwordx2 v[21:22], v[2:3], off offset:-4
.LBB88_10:                              ;   in Loop: Header=BB88_4 Depth=1
	s_or_b64 exec, exec, s[6:7]
	v_mov_b32_e32 v3, s49
	v_add_co_u32_e64 v2, s[4:5], s48, v32
	v_addc_co_u32_e64 v3, s[4:5], v33, v3, s[4:5]
	v_cmp_gt_u64_e64 s[36:37], s[46:47], v[2:3]
	v_mov_b32_e32 v26, 0
	v_mov_b32_e32 v25, 0
	s_and_saveexec_b64 s[6:7], s[36:37]
	s_cbranch_execnz .LBB88_15
; %bb.11:                               ;   in Loop: Header=BB88_4 Depth=1
	s_or_b64 exec, exec, s[6:7]
	s_and_saveexec_b64 s[50:51], vcc
	s_cbranch_execnz .LBB88_16
.LBB88_12:                              ;   in Loop: Header=BB88_4 Depth=1
	s_or_b64 exec, exec, s[50:51]
	s_and_saveexec_b64 s[50:51], s[28:29]
	s_cbranch_execnz .LBB88_17
.LBB88_13:                              ;   in Loop: Header=BB88_4 Depth=1
	s_or_b64 exec, exec, s[50:51]
	s_and_saveexec_b64 s[28:29], s[34:35]
	s_cbranch_execnz .LBB88_18
.LBB88_14:                              ;   in Loop: Header=BB88_4 Depth=1
	s_or_b64 exec, exec, s[28:29]
	s_and_saveexec_b64 s[28:29], s[36:37]
	s_cbranch_execz .LBB88_3
	s_branch .LBB88_19
.LBB88_15:                              ;   in Loop: Header=BB88_4 Depth=1
	v_mov_b32_e32 v3, s52
	v_add_co_u32_e64 v2, s[4:5], s33, v28
	v_addc_co_u32_e64 v3, s[4:5], v3, v29, s[4:5]
	global_load_dwordx2 v[25:26], v[2:3], off offset:-4
	s_or_b64 exec, exec, s[6:7]
	s_and_saveexec_b64 s[50:51], vcc
	s_cbranch_execz .LBB88_12
.LBB88_16:                              ;   in Loop: Header=BB88_4 Depth=1
	s_getpc_b64 s[4:5]
	s_add_u32 s4, s4, _ZN6thrust23THRUST_200600_302600_NS6detail7complex6ccoshfERKNS0_7complexIfEE@rel32@lo+4
	s_addc_u32 s5, s5, _ZN6thrust23THRUST_200600_302600_NS6detail7complex6ccoshfERKNS0_7complexIfEE@rel32@hi+12
	s_swappc_b64 s[30:31], s[4:5]
	v_mov_b32_e32 v3, s52
	v_add_co_u32_e32 v2, vcc, s33, v27
	v_addc_co_u32_e32 v3, vcc, 0, v3, vcc
	global_store_dwordx2 v[2:3], v[0:1], off
	s_or_b64 exec, exec, s[50:51]
	s_and_saveexec_b64 s[50:51], s[28:29]
	s_cbranch_execz .LBB88_13
.LBB88_17:                              ;   in Loop: Header=BB88_4 Depth=1
	s_getpc_b64 s[4:5]
	s_add_u32 s4, s4, _ZN6thrust23THRUST_200600_302600_NS6detail7complex6ccoshfERKNS0_7complexIfEE@rel32@lo+4
	s_addc_u32 s5, s5, _ZN6thrust23THRUST_200600_302600_NS6detail7complex6ccoshfERKNS0_7complexIfEE@rel32@hi+12
	s_waitcnt vmcnt(0)
	v_mov_b32_e32 v0, v23
	v_mov_b32_e32 v1, v24
	s_swappc_b64 s[30:31], s[4:5]
	v_mov_b32_e32 v3, s52
	v_add_co_u32_e32 v2, vcc, s33, v34
	v_addc_co_u32_e32 v3, vcc, 0, v3, vcc
	global_store_dwordx2 v[2:3], v[0:1], off
	s_or_b64 exec, exec, s[50:51]
	s_and_saveexec_b64 s[28:29], s[34:35]
	s_cbranch_execz .LBB88_14
.LBB88_18:                              ;   in Loop: Header=BB88_4 Depth=1
	s_getpc_b64 s[4:5]
	s_add_u32 s4, s4, _ZN6thrust23THRUST_200600_302600_NS6detail7complex6ccoshfERKNS0_7complexIfEE@rel32@lo+4
	s_addc_u32 s5, s5, _ZN6thrust23THRUST_200600_302600_NS6detail7complex6ccoshfERKNS0_7complexIfEE@rel32@hi+12
	s_waitcnt vmcnt(0)
	v_mov_b32_e32 v0, v21
	v_mov_b32_e32 v1, v22
	s_swappc_b64 s[30:31], s[4:5]
	v_mov_b32_e32 v3, s52
	v_add_co_u32_e32 v2, vcc, s33, v36
	v_addc_co_u32_e32 v3, vcc, v3, v35, vcc
	global_store_dwordx2 v[2:3], v[0:1], off offset:-4
	s_or_b64 exec, exec, s[28:29]
	s_and_saveexec_b64 s[28:29], s[36:37]
	s_cbranch_execz .LBB88_3
.LBB88_19:                              ;   in Loop: Header=BB88_4 Depth=1
	s_getpc_b64 s[4:5]
	s_add_u32 s4, s4, _ZN6thrust23THRUST_200600_302600_NS6detail7complex6ccoshfERKNS0_7complexIfEE@rel32@lo+4
	s_addc_u32 s5, s5, _ZN6thrust23THRUST_200600_302600_NS6detail7complex6ccoshfERKNS0_7complexIfEE@rel32@hi+12
	s_waitcnt vmcnt(0)
	v_mov_b32_e32 v0, v25
	v_mov_b32_e32 v1, v26
	s_swappc_b64 s[30:31], s[4:5]
	v_mov_b32_e32 v3, s52
	v_add_co_u32_e32 v2, vcc, s33, v28
	v_addc_co_u32_e32 v3, vcc, v3, v29, vcc
	global_store_dwordx2 v[2:3], v[0:1], off offset:-4
	s_branch .LBB88_3
.LBB88_20:
	s_cbranch_execz .LBB88_22
	s_branch .LBB88_25
.LBB88_21:
.LBB88_22:
	v_mov_b32_e32 v0, 0x10000
	v_mov_b32_e32 v1, 0
	v_cmp_lt_i64_e32 vcc, s[42:43], v[0:1]
	v_mov_b32_e32 v1, 0
	s_and_b64 s[4:5], vcc, exec
	s_cselect_b32 s29, s43, 0
	s_cselect_b32 s28, s42, 0x10000
	v_lshlrev_b32_e32 v0, 2, v20
	v_cmp_gt_i64_e32 vcc, s[28:29], v[0:1]
	s_and_saveexec_b64 s[4:5], vcc
	s_cbranch_execz .LBB88_25
; %bb.23:
	s_load_dword s4, s[26:27], 0xd3c
	v_lshlrev_b32_e32 v0, 5, v20
	v_mov_b32_e32 v21, v1
	s_mov_b64 s[26:27], 0
	s_waitcnt lgkmcnt(0)
	s_and_b32 s33, s4, 0xffff
	s_add_u32 s4, s38, s40
	s_addc_u32 s5, s39, s41
	v_mov_b32_e32 v1, s5
	v_add_co_u32_e32 v30, vcc, s4, v0
	v_addc_co_u32_e32 v31, vcc, 0, v1, vcc
	s_lshl_b32 s34, s33, 5
.LBB88_24:                              ; =>This Inner Loop Header: Depth=1
	global_load_dwordx4 v[22:25], v[30:31], off
	global_load_dwordx4 v[26:29], v[30:31], off offset:16
	s_getpc_b64 s[36:37]
	s_add_u32 s36, s36, _ZN6thrust23THRUST_200600_302600_NS6detail7complex6ccoshfERKNS0_7complexIfEE@rel32@lo+4
	s_addc_u32 s37, s37, _ZN6thrust23THRUST_200600_302600_NS6detail7complex6ccoshfERKNS0_7complexIfEE@rel32@hi+12
	s_waitcnt vmcnt(1)
	v_mov_b32_e32 v0, v22
	v_mov_b32_e32 v1, v23
	s_swappc_b64 s[30:31], s[36:37]
	v_mov_b32_e32 v22, v0
	v_mov_b32_e32 v23, v1
	v_mov_b32_e32 v0, v24
	v_mov_b32_e32 v1, v25
	s_swappc_b64 s[30:31], s[36:37]
	v_mov_b32_e32 v24, v0
	v_mov_b32_e32 v25, v1
	v_mov_b32_e32 v0, v26
	v_mov_b32_e32 v1, v27
	s_swappc_b64 s[30:31], s[36:37]
	v_mov_b32_e32 v26, v0
	v_mov_b32_e32 v27, v1
	v_mov_b32_e32 v0, v28
	v_mov_b32_e32 v1, v29
	s_swappc_b64 s[30:31], s[36:37]
	v_add_co_u32_e32 v20, vcc, s33, v20
	v_addc_co_u32_e32 v21, vcc, 0, v21, vcc
	v_mov_b32_e32 v28, v0
	v_mov_b32_e32 v29, v1
	v_lshlrev_b64 v[0:1], 2, v[20:21]
	global_store_dwordx4 v[30:31], v[22:25], off
	v_cmp_le_i64_e64 s[4:5], s[28:29], v[0:1]
	global_store_dwordx4 v[30:31], v[26:29], off offset:16
	v_add_co_u32_e32 v30, vcc, s34, v30
	s_or_b64 s[26:27], s[4:5], s[26:27]
	v_addc_co_u32_e32 v31, vcc, 0, v31, vcc
	s_andn2_b64 exec, exec, s[26:27]
	s_cbranch_execnz .LBB88_24
.LBB88_25:
	s_endpgm
	.section	.rodata,"a",@progbits
	.p2align	6, 0x0
	.amdhsa_kernel _ZN2at6native12_GLOBAL__N_125multi_tensor_apply_kernelINS1_18TensorListMetadataILi1EEENS1_14UnaryOpFunctorIN3c107complexIfEELi1ELi1ELi0EEEJNS0_4CoshIS8_EEEEEvT_T0_DpT1_
		.amdhsa_group_segment_fixed_size 0
		.amdhsa_private_segment_fixed_size 0
		.amdhsa_kernarg_size 3632
		.amdhsa_user_sgpr_count 6
		.amdhsa_user_sgpr_private_segment_buffer 1
		.amdhsa_user_sgpr_dispatch_ptr 0
		.amdhsa_user_sgpr_queue_ptr 0
		.amdhsa_user_sgpr_kernarg_segment_ptr 1
		.amdhsa_user_sgpr_dispatch_id 0
		.amdhsa_user_sgpr_flat_scratch_init 0
		.amdhsa_user_sgpr_private_segment_size 0
		.amdhsa_uses_dynamic_stack 0
		.amdhsa_system_sgpr_private_segment_wavefront_offset 0
		.amdhsa_system_sgpr_workgroup_id_x 1
		.amdhsa_system_sgpr_workgroup_id_y 0
		.amdhsa_system_sgpr_workgroup_id_z 0
		.amdhsa_system_sgpr_workgroup_info 0
		.amdhsa_system_vgpr_workitem_id 0
		.amdhsa_next_free_vgpr 39
		.amdhsa_next_free_sgpr 55
		.amdhsa_reserve_vcc 1
		.amdhsa_reserve_flat_scratch 0
		.amdhsa_float_round_mode_32 0
		.amdhsa_float_round_mode_16_64 0
		.amdhsa_float_denorm_mode_32 3
		.amdhsa_float_denorm_mode_16_64 3
		.amdhsa_dx10_clamp 1
		.amdhsa_ieee_mode 1
		.amdhsa_fp16_overflow 0
		.amdhsa_exception_fp_ieee_invalid_op 0
		.amdhsa_exception_fp_denorm_src 0
		.amdhsa_exception_fp_ieee_div_zero 0
		.amdhsa_exception_fp_ieee_overflow 0
		.amdhsa_exception_fp_ieee_underflow 0
		.amdhsa_exception_fp_ieee_inexact 0
		.amdhsa_exception_int_div_zero 0
	.end_amdhsa_kernel
	.section	.text._ZN2at6native12_GLOBAL__N_125multi_tensor_apply_kernelINS1_18TensorListMetadataILi1EEENS1_14UnaryOpFunctorIN3c107complexIfEELi1ELi1ELi0EEEJNS0_4CoshIS8_EEEEEvT_T0_DpT1_,"axG",@progbits,_ZN2at6native12_GLOBAL__N_125multi_tensor_apply_kernelINS1_18TensorListMetadataILi1EEENS1_14UnaryOpFunctorIN3c107complexIfEELi1ELi1ELi0EEEJNS0_4CoshIS8_EEEEEvT_T0_DpT1_,comdat
.Lfunc_end88:
	.size	_ZN2at6native12_GLOBAL__N_125multi_tensor_apply_kernelINS1_18TensorListMetadataILi1EEENS1_14UnaryOpFunctorIN3c107complexIfEELi1ELi1ELi0EEEJNS0_4CoshIS8_EEEEEvT_T0_DpT1_, .Lfunc_end88-_ZN2at6native12_GLOBAL__N_125multi_tensor_apply_kernelINS1_18TensorListMetadataILi1EEENS1_14UnaryOpFunctorIN3c107complexIfEELi1ELi1ELi0EEEJNS0_4CoshIS8_EEEEEvT_T0_DpT1_
                                        ; -- End function
	.set _ZN2at6native12_GLOBAL__N_125multi_tensor_apply_kernelINS1_18TensorListMetadataILi1EEENS1_14UnaryOpFunctorIN3c107complexIfEELi1ELi1ELi0EEEJNS0_4CoshIS8_EEEEEvT_T0_DpT1_.num_vgpr, max(39, .L_ZN6thrust23THRUST_200600_302600_NS6detail7complex6ccoshfERKNS0_7complexIfEE.num_vgpr)
	.set _ZN2at6native12_GLOBAL__N_125multi_tensor_apply_kernelINS1_18TensorListMetadataILi1EEENS1_14UnaryOpFunctorIN3c107complexIfEELi1ELi1ELi0EEEJNS0_4CoshIS8_EEEEEvT_T0_DpT1_.num_agpr, max(0, .L_ZN6thrust23THRUST_200600_302600_NS6detail7complex6ccoshfERKNS0_7complexIfEE.num_agpr)
	.set _ZN2at6native12_GLOBAL__N_125multi_tensor_apply_kernelINS1_18TensorListMetadataILi1EEENS1_14UnaryOpFunctorIN3c107complexIfEELi1ELi1ELi0EEEJNS0_4CoshIS8_EEEEEvT_T0_DpT1_.numbered_sgpr, max(55, .L_ZN6thrust23THRUST_200600_302600_NS6detail7complex6ccoshfERKNS0_7complexIfEE.numbered_sgpr)
	.set _ZN2at6native12_GLOBAL__N_125multi_tensor_apply_kernelINS1_18TensorListMetadataILi1EEENS1_14UnaryOpFunctorIN3c107complexIfEELi1ELi1ELi0EEEJNS0_4CoshIS8_EEEEEvT_T0_DpT1_.num_named_barrier, max(0, .L_ZN6thrust23THRUST_200600_302600_NS6detail7complex6ccoshfERKNS0_7complexIfEE.num_named_barrier)
	.set _ZN2at6native12_GLOBAL__N_125multi_tensor_apply_kernelINS1_18TensorListMetadataILi1EEENS1_14UnaryOpFunctorIN3c107complexIfEELi1ELi1ELi0EEEJNS0_4CoshIS8_EEEEEvT_T0_DpT1_.private_seg_size, 0+max(.L_ZN6thrust23THRUST_200600_302600_NS6detail7complex6ccoshfERKNS0_7complexIfEE.private_seg_size)
	.set _ZN2at6native12_GLOBAL__N_125multi_tensor_apply_kernelINS1_18TensorListMetadataILi1EEENS1_14UnaryOpFunctorIN3c107complexIfEELi1ELi1ELi0EEEJNS0_4CoshIS8_EEEEEvT_T0_DpT1_.uses_vcc, or(1, .L_ZN6thrust23THRUST_200600_302600_NS6detail7complex6ccoshfERKNS0_7complexIfEE.uses_vcc)
	.set _ZN2at6native12_GLOBAL__N_125multi_tensor_apply_kernelINS1_18TensorListMetadataILi1EEENS1_14UnaryOpFunctorIN3c107complexIfEELi1ELi1ELi0EEEJNS0_4CoshIS8_EEEEEvT_T0_DpT1_.uses_flat_scratch, or(0, .L_ZN6thrust23THRUST_200600_302600_NS6detail7complex6ccoshfERKNS0_7complexIfEE.uses_flat_scratch)
	.set _ZN2at6native12_GLOBAL__N_125multi_tensor_apply_kernelINS1_18TensorListMetadataILi1EEENS1_14UnaryOpFunctorIN3c107complexIfEELi1ELi1ELi0EEEJNS0_4CoshIS8_EEEEEvT_T0_DpT1_.has_dyn_sized_stack, or(0, .L_ZN6thrust23THRUST_200600_302600_NS6detail7complex6ccoshfERKNS0_7complexIfEE.has_dyn_sized_stack)
	.set _ZN2at6native12_GLOBAL__N_125multi_tensor_apply_kernelINS1_18TensorListMetadataILi1EEENS1_14UnaryOpFunctorIN3c107complexIfEELi1ELi1ELi0EEEJNS0_4CoshIS8_EEEEEvT_T0_DpT1_.has_recursion, or(0, .L_ZN6thrust23THRUST_200600_302600_NS6detail7complex6ccoshfERKNS0_7complexIfEE.has_recursion)
	.set _ZN2at6native12_GLOBAL__N_125multi_tensor_apply_kernelINS1_18TensorListMetadataILi1EEENS1_14UnaryOpFunctorIN3c107complexIfEELi1ELi1ELi0EEEJNS0_4CoshIS8_EEEEEvT_T0_DpT1_.has_indirect_call, or(0, .L_ZN6thrust23THRUST_200600_302600_NS6detail7complex6ccoshfERKNS0_7complexIfEE.has_indirect_call)
	.section	.AMDGPU.csdata,"",@progbits
; Kernel info:
; codeLenInByte = 1288
; TotalNumSgprs: 59
; NumVgprs: 39
; ScratchSize: 0
; MemoryBound: 0
; FloatMode: 240
; IeeeMode: 1
; LDSByteSize: 0 bytes/workgroup (compile time only)
; SGPRBlocks: 7
; VGPRBlocks: 9
; NumSGPRsForWavesPerEU: 59
; NumVGPRsForWavesPerEU: 39
; Occupancy: 6
; WaveLimiterHint : 0
; COMPUTE_PGM_RSRC2:SCRATCH_EN: 0
; COMPUTE_PGM_RSRC2:USER_SGPR: 6
; COMPUTE_PGM_RSRC2:TRAP_HANDLER: 0
; COMPUTE_PGM_RSRC2:TGID_X_EN: 1
; COMPUTE_PGM_RSRC2:TGID_Y_EN: 0
; COMPUTE_PGM_RSRC2:TGID_Z_EN: 0
; COMPUTE_PGM_RSRC2:TIDIG_COMP_CNT: 0
	.section	.text._ZN2at6native12_GLOBAL__N_125multi_tensor_apply_kernelINS1_18TensorListMetadataILi1EEENS1_14UnaryOpFunctorIN3c104HalfELi1ELi1ELi0EEEJNS0_4CoshIfEEEEEvT_T0_DpT1_,"axG",@progbits,_ZN2at6native12_GLOBAL__N_125multi_tensor_apply_kernelINS1_18TensorListMetadataILi1EEENS1_14UnaryOpFunctorIN3c104HalfELi1ELi1ELi0EEEJNS0_4CoshIfEEEEEvT_T0_DpT1_,comdat
	.globl	_ZN2at6native12_GLOBAL__N_125multi_tensor_apply_kernelINS1_18TensorListMetadataILi1EEENS1_14UnaryOpFunctorIN3c104HalfELi1ELi1ELi0EEEJNS0_4CoshIfEEEEEvT_T0_DpT1_ ; -- Begin function _ZN2at6native12_GLOBAL__N_125multi_tensor_apply_kernelINS1_18TensorListMetadataILi1EEENS1_14UnaryOpFunctorIN3c104HalfELi1ELi1ELi0EEEJNS0_4CoshIfEEEEEvT_T0_DpT1_
	.p2align	8
	.type	_ZN2at6native12_GLOBAL__N_125multi_tensor_apply_kernelINS1_18TensorListMetadataILi1EEENS1_14UnaryOpFunctorIN3c104HalfELi1ELi1ELi0EEEJNS0_4CoshIfEEEEEvT_T0_DpT1_,@function
_ZN2at6native12_GLOBAL__N_125multi_tensor_apply_kernelINS1_18TensorListMetadataILi1EEENS1_14UnaryOpFunctorIN3c104HalfELi1ELi1ELi0EEEJNS0_4CoshIfEEEEEvT_T0_DpT1_: ; @_ZN2at6native12_GLOBAL__N_125multi_tensor_apply_kernelINS1_18TensorListMetadataILi1EEENS1_14UnaryOpFunctorIN3c104HalfELi1ELi1ELi0EEEJNS0_4CoshIfEEEEEvT_T0_DpT1_
; %bb.0:
	v_mov_b32_e32 v1, s6
	global_load_ubyte v1, v1, s[4:5] offset:1760
	s_add_u32 s0, s4, s6
	s_mul_hi_u32 s1, s6, 3
	s_mul_i32 s6, s6, 3
	s_addc_u32 s2, s5, 0
	s_add_u32 s0, s0, s6
	s_addc_u32 s1, s2, s1
	s_load_dword s0, s[0:1], 0x820
	s_mov_b32 s7, 0
	s_waitcnt vmcnt(0)
	v_readfirstlane_b32 s1, v1
	s_lshl_b32 s1, s1, 3
	s_load_dwordx2 s[2:3], s[4:5], s1 offset:0x370
	s_load_dwordx2 s[10:11], s[4:5], s1 offset:0x0
	s_waitcnt lgkmcnt(0)
	s_ashr_i32 s1, s0, 31
	s_lshl_b64 s[12:13], s[0:1], 17
	s_lshl_b64 s[0:1], s[0:1], 16
	s_and_b32 s6, s10, 7
	s_sub_u32 s14, s2, s0
	s_subb_u32 s15, s3, s1
	s_and_b32 s0, s2, 3
	s_mov_b32 s1, s7
	s_or_b64 s[0:1], s[6:7], s[0:1]
	s_cmp_eq_u64 s[0:1], 0
	s_cbranch_scc1 .LBB89_21
; %bb.1:
	v_cmp_lt_i64_e64 s[0:1], s[14:15], 1
	s_and_b64 vcc, exec, s[0:1]
	s_cbranch_vccnz .LBB89_20
; %bb.2:
	v_mov_b32_e32 v1, 0x10000
	s_load_dword s2, s[4:5], 0xd3c
	v_mov_b32_e32 v2, 0
	v_cmp_lt_i64_e32 vcc, s[14:15], v[1:2]
	s_mov_b64 s[20:21], 0
	s_and_b64 s[0:1], vcc, exec
	v_cmp_lt_u64_e32 vcc, s[14:15], v[1:2]
	s_cselect_b32 s17, s15, 0
	s_cselect_b32 s16, s14, 0x10000
	s_waitcnt lgkmcnt(0)
	s_and_b32 s2, s2, 0xffff
	s_and_b64 s[0:1], vcc, exec
	s_cselect_b32 s19, s15, 0
	s_cselect_b32 s18, s14, 0x10000
	s_lshl_b32 s3, s2, 1
	s_lshl_b32 s24, s2, 2
	s_add_u32 s6, s10, s12
	v_lshlrev_b32_e32 v1, 1, v0
	s_addc_u32 s7, s11, s13
	v_mov_b32_e32 v2, s7
	v_add_co_u32_e32 v1, vcc, s6, v1
	s_mul_i32 s0, s2, 3
	v_addc_co_u32_e32 v2, vcc, 0, v2, vcc
	v_add_co_u32_e32 v5, vcc, s0, v0
	v_addc_co_u32_e64 v6, s[0:1], 0, 0, vcc
	v_add_co_u32_e32 v7, vcc, s3, v0
	v_addc_co_u32_e64 v8, s[0:1], 0, 0, vcc
	v_add_co_u32_e32 v9, vcc, s2, v0
	v_lshlrev_b32_e32 v3, 1, v9
	v_addc_co_u32_e64 v10, s[0:1], 0, 0, vcc
	v_mov_b32_e32 v4, s7
	v_add_co_u32_e32 v3, vcc, s6, v3
	s_lshl_b32 s25, s2, 3
	s_mul_i32 s26, s2, 6
	v_addc_co_u32_e32 v4, vcc, 0, v4, vcc
	v_mov_b32_e32 v11, 0x3d2aadcc
	v_mov_b32_e32 v12, 0x3e2aaa47
	;; [unrolled: 1-line block ×3, first 2 shown]
	s_mov_b32 s27, 0x42b2d4fc
	v_mov_b32_e32 v14, 0x7f800000
	s_branch .LBB89_4
.LBB89_3:                               ;   in Loop: Header=BB89_4 Depth=1
	s_or_b64 exec, exec, s[0:1]
	s_add_u32 s20, s20, s24
	v_add_co_u32_e32 v1, vcc, s25, v1
	v_mov_b32_e32 v15, s16
	s_addc_u32 s21, s21, 0
	v_addc_co_u32_e32 v2, vcc, 0, v2, vcc
	v_mov_b32_e32 v16, s17
	v_cmp_lt_i64_e32 vcc, s[20:21], v[15:16]
	v_add_co_u32_e64 v3, s[0:1], s25, v3
	v_addc_co_u32_e64 v4, s[0:1], 0, v4, s[0:1]
	s_cbranch_vccz .LBB89_20
.LBB89_4:                               ; =>This Inner Loop Header: Depth=1
	v_mov_b32_e32 v16, s21
	v_add_co_u32_e32 v15, vcc, s20, v0
	v_addc_co_u32_e32 v16, vcc, 0, v16, vcc
	v_cmp_gt_u64_e64 s[6:7], s[18:19], v[15:16]
	v_mov_b32_e32 v18, 0
	s_and_saveexec_b64 s[0:1], s[6:7]
	s_cbranch_execz .LBB89_6
; %bb.5:                                ;   in Loop: Header=BB89_4 Depth=1
	global_load_ushort v15, v[1:2], off
	s_waitcnt vmcnt(0)
	v_cvt_f32_f16_e64 v18, |v15|
.LBB89_6:                               ;   in Loop: Header=BB89_4 Depth=1
	s_or_b64 exec, exec, s[0:1]
	v_mov_b32_e32 v16, s21
	v_add_co_u32_e32 v15, vcc, s20, v9
	v_addc_co_u32_e32 v16, vcc, v10, v16, vcc
	v_cmp_gt_u64_e64 s[2:3], s[18:19], v[15:16]
	v_mov_b32_e32 v16, 0
	v_mov_b32_e32 v17, 0
	s_and_saveexec_b64 s[0:1], s[2:3]
	s_cbranch_execz .LBB89_8
; %bb.7:                                ;   in Loop: Header=BB89_4 Depth=1
	global_load_ushort v15, v[3:4], off
	s_waitcnt vmcnt(0)
	v_cvt_f32_f16_e64 v17, |v15|
.LBB89_8:                               ;   in Loop: Header=BB89_4 Depth=1
	s_or_b64 exec, exec, s[0:1]
	v_mov_b32_e32 v15, s21
	v_add_co_u32_e32 v19, vcc, s20, v7
	v_addc_co_u32_e32 v20, vcc, v8, v15, vcc
	v_cmp_gt_u64_e64 s[0:1], s[18:19], v[19:20]
	s_and_saveexec_b64 s[8:9], s[0:1]
	s_cbranch_execz .LBB89_10
; %bb.9:                                ;   in Loop: Header=BB89_4 Depth=1
	v_add_co_u32_e32 v15, vcc, s24, v1
	v_addc_co_u32_e32 v16, vcc, 0, v2, vcc
	global_load_ushort v15, v[15:16], off
	s_waitcnt vmcnt(0)
	v_cvt_f32_f16_e64 v16, |v15|
.LBB89_10:                              ;   in Loop: Header=BB89_4 Depth=1
	s_or_b64 exec, exec, s[8:9]
	v_mov_b32_e32 v15, s21
	v_add_co_u32_e32 v19, vcc, s20, v5
	v_addc_co_u32_e32 v20, vcc, v6, v15, vcc
	v_cmp_gt_u64_e32 vcc, s[18:19], v[19:20]
	v_mov_b32_e32 v15, 0
	s_and_saveexec_b64 s[22:23], vcc
	s_cbranch_execnz .LBB89_15
; %bb.11:                               ;   in Loop: Header=BB89_4 Depth=1
	s_or_b64 exec, exec, s[22:23]
	s_and_saveexec_b64 s[8:9], s[6:7]
	s_cbranch_execnz .LBB89_16
.LBB89_12:                              ;   in Loop: Header=BB89_4 Depth=1
	s_or_b64 exec, exec, s[8:9]
	s_and_saveexec_b64 s[6:7], s[2:3]
	s_cbranch_execnz .LBB89_17
.LBB89_13:                              ;   in Loop: Header=BB89_4 Depth=1
	s_or_b64 exec, exec, s[6:7]
	s_and_saveexec_b64 s[2:3], s[0:1]
	s_cbranch_execnz .LBB89_18
.LBB89_14:                              ;   in Loop: Header=BB89_4 Depth=1
	s_or_b64 exec, exec, s[2:3]
	s_and_saveexec_b64 s[0:1], vcc
	s_cbranch_execz .LBB89_3
	s_branch .LBB89_19
.LBB89_15:                              ;   in Loop: Header=BB89_4 Depth=1
	v_add_co_u32_e64 v19, s[8:9], s26, v1
	v_addc_co_u32_e64 v20, s[8:9], 0, v2, s[8:9]
	global_load_ushort v15, v[19:20], off
	s_waitcnt vmcnt(0)
	v_cvt_f32_f16_e64 v15, |v15|
	s_or_b64 exec, exec, s[22:23]
	s_and_saveexec_b64 s[8:9], s[6:7]
	s_cbranch_execz .LBB89_12
.LBB89_16:                              ;   in Loop: Header=BB89_4 Depth=1
	v_add_f32_e32 v19, 0xbf317218, v18
	v_sub_f32_e32 v20, v19, v18
	v_sub_f32_e32 v21, v20, v19
	v_add_f32_e32 v21, v18, v21
	v_add_f32_e32 v20, 0x3f317218, v20
	v_sub_f32_e32 v20, v21, v20
	v_add_f32_e32 v20, 0x3102e308, v20
	v_add_f32_e32 v21, v19, v20
	v_sub_f32_e32 v19, v19, v21
	v_add_f32_e32 v19, v20, v19
	v_mul_f32_e32 v20, 0x3fb8aa3b, v21
	v_rndne_f32_e32 v20, v20
	v_fmac_f32_e32 v21, 0xbf317200, v20
	v_add_f32_e32 v22, v19, v21
	v_mul_f32_e32 v23, 0x35bfbc00, v20
	v_sub_f32_e32 v24, v22, v23
	v_sub_f32_e32 v21, v21, v22
	v_add_f32_e32 v19, v19, v21
	v_sub_f32_e32 v21, v22, v24
	v_sub_f32_e32 v21, v21, v23
	v_add_f32_e32 v19, v19, v21
	v_add_f32_e32 v21, v24, v19
	v_mul_f32_e32 v22, 0x2ea39ef3, v20
	v_sub_f32_e32 v23, v21, v22
	v_sub_f32_e32 v24, v24, v21
	;; [unrolled: 1-line block ×3, first 2 shown]
	v_add_f32_e32 v19, v19, v24
	v_sub_f32_e32 v21, v21, v22
	v_add_f32_e32 v19, v19, v21
	v_add_f32_e32 v21, v23, v19
	v_mov_b32_e32 v22, 0x3c091de6
	v_sub_f32_e32 v23, v23, v21
	v_fmac_f32_e32 v22, 0x3ab42872, v21
	v_mul_f32_e32 v24, v21, v21
	v_add_f32_e32 v19, v19, v23
	v_fma_f32 v22, v21, v22, v11
	v_add_f32_e32 v23, v19, v19
	v_fma_f32 v25, v21, v21, -v24
	v_fma_f32 v22, v21, v22, v12
	v_fmac_f32_e32 v25, v21, v23
	v_fma_f32 v22, v21, v22, v13
	v_add_f32_e32 v23, v24, v25
	v_mul_f32_e32 v26, v22, v23
	v_sub_f32_e32 v24, v23, v24
	v_sub_f32_e32 v24, v25, v24
	v_fma_f32 v23, v23, v22, -v26
	v_fmac_f32_e32 v23, v24, v22
	v_add_f32_e32 v22, v26, v23
	v_add_f32_e32 v24, v21, v22
	v_sub_f32_e32 v25, v22, v26
	v_sub_f32_e32 v23, v23, v25
	;; [unrolled: 1-line block ×3, first 2 shown]
	v_add_f32_e32 v19, v19, v23
	v_sub_f32_e32 v21, v22, v21
	v_add_f32_e32 v19, v19, v21
	v_add_f32_e32 v21, v24, v19
	v_add_f32_e32 v22, 1.0, v21
	v_sub_f32_e32 v23, v21, v24
	v_sub_f32_e32 v19, v19, v23
	v_add_f32_e32 v23, -1.0, v22
	v_cvt_i32_f32_e32 v20, v20
	v_sub_f32_e32 v21, v21, v23
	v_add_f32_e32 v19, v19, v21
	v_add_f32_e32 v21, v22, v19
	v_ldexp_f32 v23, v21, v20
	v_rcp_f32_e32 v24, v23
	v_sub_f32_e32 v21, v21, v22
	v_sub_f32_e32 v19, v19, v21
	v_ldexp_f32 v19, v19, v20
	v_mul_f32_e32 v25, v23, v24
	v_fma_f32 v20, v24, v23, -v25
	v_fmac_f32_e32 v20, v24, v19
	v_add_f32_e32 v21, v25, v20
	v_sub_f32_e32 v22, 1.0, v21
	v_sub_f32_e32 v25, v21, v25
	v_sub_f32_e32 v20, v25, v20
	v_sub_f32_e32 v25, 1.0, v22
	v_sub_f32_e32 v21, v25, v21
	v_add_f32_e32 v20, v20, v21
	v_add_f32_e32 v21, v22, v20
	v_mul_f32_e32 v25, v24, v21
	v_mul_f32_e32 v28, v23, v25
	v_add_f32_e32 v26, v24, v25
	v_fma_f32 v29, v25, v23, -v28
	v_sub_f32_e32 v27, v26, v24
	v_fmac_f32_e32 v29, v25, v19
	v_sub_f32_e32 v27, v25, v27
	v_add_f32_e32 v25, v28, v29
	v_sub_f32_e32 v22, v22, v21
	v_add_f32_e32 v20, v20, v22
	v_sub_f32_e32 v22, v21, v25
	v_sub_f32_e32 v21, v21, v22
	;; [unrolled: 1-line block ×5, first 2 shown]
	v_add_f32_e32 v20, v20, v21
	v_add_f32_e32 v20, v28, v20
	;; [unrolled: 1-line block ×3, first 2 shown]
	v_mul_f32_e32 v20, v24, v20
	v_add_f32_e32 v20, v27, v20
	v_add_f32_e32 v21, v26, v20
	v_ldexp_f32 v22, v21, -2
	v_sub_f32_e32 v21, v21, v26
	v_sub_f32_e32 v20, v20, v21
	v_add_f32_e32 v24, v23, v22
	v_ldexp_f32 v20, v20, -2
	v_add_f32_e32 v19, v19, v20
	v_sub_f32_e32 v20, v24, v23
	v_sub_f32_e32 v20, v22, v20
	v_add_f32_e32 v19, v19, v20
	v_add_f32_e32 v19, v24, v19
	v_cmp_nlt_f32_e64 s[6:7], s27, v18
	v_cndmask_b32_e64 v18, v14, v19, s[6:7]
	v_cvt_f16_f32_e32 v18, v18
	global_store_short v[1:2], v18, off
	s_or_b64 exec, exec, s[8:9]
	s_and_saveexec_b64 s[6:7], s[2:3]
	s_cbranch_execz .LBB89_13
.LBB89_17:                              ;   in Loop: Header=BB89_4 Depth=1
	v_add_f32_e32 v18, 0xbf317218, v17
	v_sub_f32_e32 v19, v18, v17
	v_sub_f32_e32 v20, v19, v18
	v_add_f32_e32 v20, v17, v20
	v_add_f32_e32 v19, 0x3f317218, v19
	v_sub_f32_e32 v19, v20, v19
	v_add_f32_e32 v19, 0x3102e308, v19
	v_add_f32_e32 v20, v18, v19
	v_sub_f32_e32 v18, v18, v20
	v_add_f32_e32 v18, v19, v18
	v_mul_f32_e32 v19, 0x3fb8aa3b, v20
	v_rndne_f32_e32 v19, v19
	v_fmac_f32_e32 v20, 0xbf317200, v19
	v_add_f32_e32 v21, v18, v20
	v_sub_f32_e32 v20, v20, v21
	v_add_f32_e32 v18, v18, v20
	v_mul_f32_e32 v20, 0x35bfbc00, v19
	v_sub_f32_e32 v22, v21, v20
	v_sub_f32_e32 v21, v21, v22
	;; [unrolled: 1-line block ×3, first 2 shown]
	v_add_f32_e32 v18, v18, v20
	v_add_f32_e32 v20, v22, v18
	v_sub_f32_e32 v21, v22, v20
	v_add_f32_e32 v18, v18, v21
	v_mul_f32_e32 v21, 0x2ea39ef3, v19
	v_sub_f32_e32 v22, v20, v21
	v_sub_f32_e32 v20, v20, v22
	;; [unrolled: 1-line block ×3, first 2 shown]
	v_add_f32_e32 v18, v18, v20
	v_add_f32_e32 v20, v22, v18
	v_sub_f32_e32 v22, v22, v20
	v_mov_b32_e32 v21, 0x3c091de6
	v_add_f32_e32 v18, v18, v22
	v_mul_f32_e32 v23, v20, v20
	v_fmac_f32_e32 v21, 0x3ab42872, v20
	v_add_f32_e32 v22, v18, v18
	v_fma_f32 v24, v20, v20, -v23
	v_fma_f32 v21, v20, v21, v11
	v_fmac_f32_e32 v24, v20, v22
	v_fma_f32 v21, v20, v21, v12
	v_add_f32_e32 v22, v23, v24
	v_fma_f32 v21, v20, v21, v13
	v_sub_f32_e32 v23, v22, v23
	v_sub_f32_e32 v23, v24, v23
	v_mul_f32_e32 v24, v21, v22
	v_fma_f32 v22, v22, v21, -v24
	v_fmac_f32_e32 v22, v23, v21
	v_add_f32_e32 v21, v24, v22
	v_sub_f32_e32 v23, v21, v24
	v_sub_f32_e32 v22, v22, v23
	v_add_f32_e32 v23, v20, v21
	v_sub_f32_e32 v20, v23, v20
	v_sub_f32_e32 v20, v21, v20
	v_add_f32_e32 v18, v18, v22
	v_add_f32_e32 v18, v18, v20
	;; [unrolled: 1-line block ×3, first 2 shown]
	v_sub_f32_e32 v21, v20, v23
	v_sub_f32_e32 v18, v18, v21
	v_add_f32_e32 v21, 1.0, v20
	v_add_f32_e32 v22, -1.0, v21
	v_cvt_i32_f32_e32 v19, v19
	v_sub_f32_e32 v20, v20, v22
	v_add_f32_e32 v18, v18, v20
	v_add_f32_e32 v20, v21, v18
	v_ldexp_f32 v22, v20, v19
	v_rcp_f32_e32 v23, v22
	v_sub_f32_e32 v20, v20, v21
	v_sub_f32_e32 v18, v18, v20
	v_ldexp_f32 v18, v18, v19
	v_mul_f32_e32 v19, v22, v23
	v_fma_f32 v20, v23, v22, -v19
	v_fmac_f32_e32 v20, v23, v18
	v_add_f32_e32 v21, v19, v20
	v_sub_f32_e32 v24, 1.0, v21
	v_sub_f32_e32 v25, 1.0, v24
	v_sub_f32_e32 v19, v21, v19
	v_sub_f32_e32 v25, v25, v21
	;; [unrolled: 1-line block ×3, first 2 shown]
	v_add_f32_e32 v19, v19, v25
	v_add_f32_e32 v20, v24, v19
	v_mul_f32_e32 v21, v23, v20
	v_mul_f32_e32 v25, v22, v21
	v_fma_f32 v26, v21, v22, -v25
	v_fmac_f32_e32 v26, v21, v18
	v_sub_f32_e32 v24, v24, v20
	v_add_f32_e32 v19, v19, v24
	v_add_f32_e32 v24, v25, v26
	v_sub_f32_e32 v27, v20, v24
	v_sub_f32_e32 v20, v20, v27
	;; [unrolled: 1-line block ×4, first 2 shown]
	v_add_f32_e32 v19, v19, v20
	v_sub_f32_e32 v20, v25, v26
	v_add_f32_e32 v19, v20, v19
	v_add_f32_e32 v19, v27, v19
	;; [unrolled: 1-line block ×3, first 2 shown]
	v_mul_f32_e32 v19, v23, v19
	v_sub_f32_e32 v23, v20, v23
	v_sub_f32_e32 v21, v21, v23
	v_add_f32_e32 v19, v21, v19
	v_add_f32_e32 v21, v20, v19
	v_sub_f32_e32 v20, v21, v20
	v_sub_f32_e32 v19, v19, v20
	v_ldexp_f32 v20, v21, -2
	v_add_f32_e32 v21, v22, v20
	v_ldexp_f32 v19, v19, -2
	v_sub_f32_e32 v22, v21, v22
	v_sub_f32_e32 v20, v20, v22
	v_add_f32_e32 v18, v18, v19
	v_add_f32_e32 v18, v18, v20
	;; [unrolled: 1-line block ×3, first 2 shown]
	v_cmp_nlt_f32_e64 s[2:3], s27, v17
	v_cndmask_b32_e64 v17, v14, v18, s[2:3]
	v_cvt_f16_f32_e32 v17, v17
	global_store_short v[3:4], v17, off
	s_or_b64 exec, exec, s[6:7]
	s_and_saveexec_b64 s[2:3], s[0:1]
	s_cbranch_execz .LBB89_14
.LBB89_18:                              ;   in Loop: Header=BB89_4 Depth=1
	v_add_f32_e32 v17, 0xbf317218, v16
	v_sub_f32_e32 v18, v17, v16
	v_sub_f32_e32 v19, v18, v17
	v_add_f32_e32 v19, v16, v19
	v_add_f32_e32 v18, 0x3f317218, v18
	v_sub_f32_e32 v18, v19, v18
	v_add_f32_e32 v18, 0x3102e308, v18
	v_add_f32_e32 v19, v17, v18
	v_sub_f32_e32 v17, v17, v19
	v_add_f32_e32 v17, v18, v17
	v_mul_f32_e32 v18, 0x3fb8aa3b, v19
	v_rndne_f32_e32 v18, v18
	v_fmac_f32_e32 v19, 0xbf317200, v18
	v_add_f32_e32 v20, v17, v19
	v_sub_f32_e32 v19, v19, v20
	v_add_f32_e32 v17, v17, v19
	v_mul_f32_e32 v19, 0x35bfbc00, v18
	v_sub_f32_e32 v21, v20, v19
	v_sub_f32_e32 v20, v20, v21
	;; [unrolled: 1-line block ×3, first 2 shown]
	v_add_f32_e32 v17, v17, v19
	v_add_f32_e32 v19, v21, v17
	v_sub_f32_e32 v20, v21, v19
	v_add_f32_e32 v17, v17, v20
	v_mul_f32_e32 v20, 0x2ea39ef3, v18
	v_sub_f32_e32 v21, v19, v20
	v_sub_f32_e32 v19, v19, v21
	;; [unrolled: 1-line block ×3, first 2 shown]
	v_add_f32_e32 v17, v17, v19
	v_add_f32_e32 v19, v21, v17
	v_sub_f32_e32 v21, v21, v19
	v_mov_b32_e32 v20, 0x3c091de6
	v_add_f32_e32 v17, v17, v21
	v_mul_f32_e32 v22, v19, v19
	v_fmac_f32_e32 v20, 0x3ab42872, v19
	v_add_f32_e32 v21, v17, v17
	v_fma_f32 v23, v19, v19, -v22
	v_fma_f32 v20, v19, v20, v11
	v_fmac_f32_e32 v23, v19, v21
	v_fma_f32 v20, v19, v20, v12
	v_add_f32_e32 v21, v22, v23
	v_fma_f32 v20, v19, v20, v13
	v_sub_f32_e32 v22, v21, v22
	v_sub_f32_e32 v22, v23, v22
	v_mul_f32_e32 v23, v20, v21
	v_fma_f32 v21, v21, v20, -v23
	v_fmac_f32_e32 v21, v22, v20
	v_add_f32_e32 v20, v23, v21
	v_sub_f32_e32 v22, v20, v23
	v_sub_f32_e32 v21, v21, v22
	v_add_f32_e32 v22, v19, v20
	v_sub_f32_e32 v19, v22, v19
	v_sub_f32_e32 v19, v20, v19
	v_add_f32_e32 v17, v17, v21
	v_add_f32_e32 v17, v17, v19
	v_add_f32_e32 v19, v22, v17
	v_sub_f32_e32 v20, v19, v22
	v_sub_f32_e32 v17, v17, v20
	v_add_f32_e32 v20, 1.0, v19
	v_add_f32_e32 v21, -1.0, v20
	v_cvt_i32_f32_e32 v18, v18
	v_sub_f32_e32 v19, v19, v21
	v_add_f32_e32 v17, v17, v19
	v_add_f32_e32 v19, v20, v17
	v_ldexp_f32 v21, v19, v18
	v_rcp_f32_e32 v22, v21
	v_sub_f32_e32 v19, v19, v20
	v_sub_f32_e32 v17, v17, v19
	v_ldexp_f32 v17, v17, v18
	v_mul_f32_e32 v18, v21, v22
	v_fma_f32 v19, v22, v21, -v18
	v_fmac_f32_e32 v19, v22, v17
	v_add_f32_e32 v20, v18, v19
	v_sub_f32_e32 v23, 1.0, v20
	v_sub_f32_e32 v24, 1.0, v23
	v_sub_f32_e32 v18, v20, v18
	v_sub_f32_e32 v24, v24, v20
	;; [unrolled: 1-line block ×3, first 2 shown]
	v_add_f32_e32 v18, v18, v24
	v_add_f32_e32 v19, v23, v18
	v_mul_f32_e32 v20, v22, v19
	v_mul_f32_e32 v24, v21, v20
	v_fma_f32 v25, v20, v21, -v24
	v_fmac_f32_e32 v25, v20, v17
	v_sub_f32_e32 v23, v23, v19
	v_add_f32_e32 v18, v18, v23
	v_add_f32_e32 v23, v24, v25
	v_sub_f32_e32 v26, v19, v23
	v_sub_f32_e32 v19, v19, v26
	;; [unrolled: 1-line block ×4, first 2 shown]
	v_add_f32_e32 v18, v18, v19
	v_sub_f32_e32 v19, v24, v25
	v_add_f32_e32 v18, v19, v18
	v_add_f32_e32 v18, v26, v18
	;; [unrolled: 1-line block ×3, first 2 shown]
	v_mul_f32_e32 v18, v22, v18
	v_sub_f32_e32 v22, v19, v22
	v_sub_f32_e32 v20, v20, v22
	v_add_f32_e32 v18, v20, v18
	v_add_f32_e32 v20, v19, v18
	v_sub_f32_e32 v19, v20, v19
	v_sub_f32_e32 v18, v18, v19
	v_ldexp_f32 v19, v20, -2
	v_add_f32_e32 v20, v21, v19
	v_ldexp_f32 v18, v18, -2
	v_sub_f32_e32 v21, v20, v21
	v_sub_f32_e32 v19, v19, v21
	v_add_f32_e32 v17, v17, v18
	v_add_f32_e32 v17, v17, v19
	;; [unrolled: 1-line block ×3, first 2 shown]
	v_cmp_nlt_f32_e64 s[0:1], s27, v16
	v_cndmask_b32_e64 v16, v14, v17, s[0:1]
	v_cvt_f16_f32_e32 v18, v16
	v_add_co_u32_e64 v16, s[0:1], s24, v1
	v_addc_co_u32_e64 v17, s[0:1], 0, v2, s[0:1]
	global_store_short v[16:17], v18, off
	s_or_b64 exec, exec, s[2:3]
	s_and_saveexec_b64 s[0:1], vcc
	s_cbranch_execz .LBB89_3
.LBB89_19:                              ;   in Loop: Header=BB89_4 Depth=1
	v_add_f32_e32 v16, 0xbf317218, v15
	v_sub_f32_e32 v17, v16, v15
	v_sub_f32_e32 v18, v17, v16
	v_add_f32_e32 v18, v15, v18
	v_add_f32_e32 v17, 0x3f317218, v17
	v_sub_f32_e32 v17, v18, v17
	v_add_f32_e32 v17, 0x3102e308, v17
	v_add_f32_e32 v18, v16, v17
	v_sub_f32_e32 v16, v16, v18
	v_add_f32_e32 v16, v17, v16
	v_mul_f32_e32 v17, 0x3fb8aa3b, v18
	v_rndne_f32_e32 v17, v17
	v_fmac_f32_e32 v18, 0xbf317200, v17
	v_add_f32_e32 v19, v16, v18
	v_sub_f32_e32 v18, v18, v19
	v_add_f32_e32 v16, v16, v18
	v_mul_f32_e32 v18, 0x35bfbc00, v17
	v_sub_f32_e32 v20, v19, v18
	v_sub_f32_e32 v19, v19, v20
	;; [unrolled: 1-line block ×3, first 2 shown]
	v_add_f32_e32 v16, v16, v18
	v_add_f32_e32 v18, v20, v16
	v_sub_f32_e32 v19, v20, v18
	v_add_f32_e32 v16, v16, v19
	v_mul_f32_e32 v19, 0x2ea39ef3, v17
	v_sub_f32_e32 v20, v18, v19
	v_sub_f32_e32 v18, v18, v20
	;; [unrolled: 1-line block ×3, first 2 shown]
	v_add_f32_e32 v16, v16, v18
	v_add_f32_e32 v18, v20, v16
	v_sub_f32_e32 v20, v20, v18
	v_mov_b32_e32 v19, 0x3c091de6
	v_add_f32_e32 v16, v16, v20
	v_mul_f32_e32 v21, v18, v18
	v_fmac_f32_e32 v19, 0x3ab42872, v18
	v_add_f32_e32 v20, v16, v16
	v_fma_f32 v22, v18, v18, -v21
	v_fma_f32 v19, v18, v19, v11
	v_fmac_f32_e32 v22, v18, v20
	v_fma_f32 v19, v18, v19, v12
	v_add_f32_e32 v20, v21, v22
	v_fma_f32 v19, v18, v19, v13
	v_sub_f32_e32 v21, v20, v21
	v_sub_f32_e32 v21, v22, v21
	v_mul_f32_e32 v22, v19, v20
	v_fma_f32 v20, v20, v19, -v22
	v_fmac_f32_e32 v20, v21, v19
	v_add_f32_e32 v19, v22, v20
	v_sub_f32_e32 v21, v19, v22
	v_sub_f32_e32 v20, v20, v21
	v_add_f32_e32 v21, v18, v19
	v_sub_f32_e32 v18, v21, v18
	v_sub_f32_e32 v18, v19, v18
	v_add_f32_e32 v16, v16, v20
	v_add_f32_e32 v16, v16, v18
	;; [unrolled: 1-line block ×3, first 2 shown]
	v_sub_f32_e32 v19, v18, v21
	v_sub_f32_e32 v16, v16, v19
	v_add_f32_e32 v19, 1.0, v18
	v_add_f32_e32 v20, -1.0, v19
	v_cvt_i32_f32_e32 v17, v17
	v_sub_f32_e32 v18, v18, v20
	v_add_f32_e32 v16, v16, v18
	v_add_f32_e32 v18, v19, v16
	v_ldexp_f32 v20, v18, v17
	v_rcp_f32_e32 v21, v20
	v_sub_f32_e32 v18, v18, v19
	v_sub_f32_e32 v16, v16, v18
	v_ldexp_f32 v16, v16, v17
	v_mul_f32_e32 v17, v20, v21
	v_fma_f32 v18, v21, v20, -v17
	v_fmac_f32_e32 v18, v21, v16
	v_add_f32_e32 v19, v17, v18
	v_sub_f32_e32 v22, 1.0, v19
	v_sub_f32_e32 v23, 1.0, v22
	v_sub_f32_e32 v17, v19, v17
	v_sub_f32_e32 v23, v23, v19
	v_sub_f32_e32 v17, v17, v18
	v_add_f32_e32 v17, v17, v23
	v_add_f32_e32 v18, v22, v17
	v_mul_f32_e32 v19, v21, v18
	v_mul_f32_e32 v23, v20, v19
	v_fma_f32 v24, v19, v20, -v23
	v_fmac_f32_e32 v24, v19, v16
	v_sub_f32_e32 v22, v22, v18
	v_add_f32_e32 v17, v17, v22
	v_add_f32_e32 v22, v23, v24
	v_sub_f32_e32 v25, v18, v22
	v_sub_f32_e32 v18, v18, v25
	;; [unrolled: 1-line block ×4, first 2 shown]
	v_add_f32_e32 v17, v17, v18
	v_sub_f32_e32 v18, v23, v24
	v_add_f32_e32 v17, v18, v17
	v_add_f32_e32 v17, v25, v17
	;; [unrolled: 1-line block ×3, first 2 shown]
	v_mul_f32_e32 v17, v21, v17
	v_sub_f32_e32 v21, v18, v21
	v_sub_f32_e32 v19, v19, v21
	v_add_f32_e32 v17, v19, v17
	v_add_f32_e32 v19, v18, v17
	v_sub_f32_e32 v18, v19, v18
	v_sub_f32_e32 v17, v17, v18
	v_ldexp_f32 v18, v19, -2
	v_add_f32_e32 v19, v20, v18
	v_ldexp_f32 v17, v17, -2
	v_sub_f32_e32 v20, v19, v20
	v_sub_f32_e32 v18, v18, v20
	v_add_f32_e32 v16, v16, v17
	v_add_f32_e32 v16, v16, v18
	;; [unrolled: 1-line block ×3, first 2 shown]
	v_cmp_nlt_f32_e32 vcc, s27, v15
	v_cndmask_b32_e32 v15, v14, v16, vcc
	v_cvt_f16_f32_e32 v17, v15
	v_add_co_u32_e32 v15, vcc, s26, v1
	v_addc_co_u32_e32 v16, vcc, 0, v2, vcc
	global_store_short v[15:16], v17, off
	s_branch .LBB89_3
.LBB89_20:
	s_cbranch_execz .LBB89_22
	s_branch .LBB89_25
.LBB89_21:
.LBB89_22:
	v_mov_b32_e32 v1, 0x10000
	v_mov_b32_e32 v2, 0
	v_cmp_lt_i64_e32 vcc, s[14:15], v[1:2]
	v_mov_b32_e32 v2, 0
	s_and_b64 s[0:1], vcc, exec
	s_cselect_b32 s1, s15, 0
	s_cselect_b32 s0, s14, 0x10000
	v_lshlrev_b32_e32 v1, 2, v0
	v_cmp_gt_i64_e32 vcc, s[0:1], v[1:2]
	s_and_saveexec_b64 s[2:3], vcc
	s_cbranch_execz .LBB89_25
; %bb.23:
	s_load_dword s2, s[4:5], 0xd3c
	v_mov_b32_e32 v1, v2
	v_lshlrev_b32_e32 v2, 3, v0
	v_mov_b32_e32 v6, 0x3d2aadcc
	v_mov_b32_e32 v7, 0x3e2aaa47
	s_waitcnt lgkmcnt(0)
	s_and_b32 s4, s2, 0xffff
	s_add_u32 s2, s10, s12
	s_addc_u32 s3, s11, s13
	v_mov_b32_e32 v3, s3
	v_add_co_u32_e32 v2, vcc, s2, v2
	v_addc_co_u32_e32 v3, vcc, 0, v3, vcc
	v_add_co_u32_e32 v2, vcc, 4, v2
	v_addc_co_u32_e32 v3, vcc, 0, v3, vcc
	s_lshl_b32 s5, s4, 3
	s_mov_b64 s[2:3], 0
	v_mov_b32_e32 v8, 0x3efffffc
	s_mov_b32 s6, 0x42b2d4fc
	v_mov_b32_e32 v9, 0x7f800000
.LBB89_24:                              ; =>This Inner Loop Header: Depth=1
	global_load_dwordx2 v[4:5], v[2:3], off offset:-4
	v_mov_b32_e32 v11, 0x3c091de6
	v_mov_b32_e32 v12, 0x3c091de6
	s_waitcnt vmcnt(0)
	v_cvt_f32_f16_e64 v10, |v4|
	v_cvt_f32_f16_sdwa v4, |v4| dst_sel:DWORD dst_unused:UNUSED_PAD src0_sel:WORD_1
	v_add_f32_e32 v13, 0xbf317218, v10
	v_sub_f32_e32 v15, v13, v10
	v_add_f32_e32 v14, 0xbf317218, v4
	v_sub_f32_e32 v17, v15, v13
	v_sub_f32_e32 v16, v14, v4
	v_add_f32_e32 v15, 0x3f317218, v15
	v_add_f32_e32 v17, v17, v10
	v_sub_f32_e32 v18, v16, v14
	v_sub_f32_e32 v15, v17, v15
	v_add_f32_e32 v16, 0x3f317218, v16
	v_add_f32_e32 v18, v18, v4
	;; [unrolled: 1-line block ×3, first 2 shown]
	v_sub_f32_e32 v16, v18, v16
	v_add_f32_e32 v17, v13, v15
	v_add_f32_e32 v16, 0x3102e308, v16
	v_sub_f32_e32 v13, v13, v17
	v_mul_f32_e32 v19, 0x3fb8aa3b, v17
	v_add_f32_e32 v18, v14, v16
	v_add_f32_e32 v13, v15, v13
	v_rndne_f32_e32 v15, v19
	v_sub_f32_e32 v14, v14, v18
	v_mul_f32_e32 v20, 0x3fb8aa3b, v18
	v_fmac_f32_e32 v17, 0xbf317200, v15
	v_add_f32_e32 v14, v16, v14
	v_rndne_f32_e32 v16, v20
	v_mul_f32_e32 v19, 0x35bfbc00, v15
	v_add_f32_e32 v23, v13, v17
	v_fmac_f32_e32 v18, 0xbf317200, v16
	v_sub_f32_e32 v17, v17, v23
	v_sub_f32_e32 v25, v23, v19
	v_mul_f32_e32 v21, 0x35bfbc00, v16
	v_add_f32_e32 v24, v14, v18
	v_add_f32_e32 v13, v13, v17
	v_sub_f32_e32 v17, v23, v25
	v_sub_f32_e32 v18, v18, v24
	v_sub_f32_e32 v26, v24, v21
	v_sub_f32_e32 v17, v17, v19
	v_add_f32_e32 v14, v14, v18
	v_sub_f32_e32 v18, v24, v26
	v_add_f32_e32 v13, v13, v17
	v_mul_f32_e32 v20, 0x2ea39ef3, v15
	v_sub_f32_e32 v18, v18, v21
	v_add_f32_e32 v17, v25, v13
	v_add_f32_e32 v14, v14, v18
	v_sub_f32_e32 v21, v17, v20
	v_mul_f32_e32 v22, 0x2ea39ef3, v16
	v_add_f32_e32 v18, v26, v14
	v_sub_f32_e32 v19, v25, v17
	v_sub_f32_e32 v17, v17, v21
	;; [unrolled: 1-line block ×3, first 2 shown]
	v_add_f32_e32 v13, v13, v19
	v_sub_f32_e32 v17, v17, v20
	v_sub_f32_e32 v23, v26, v18
	;; [unrolled: 1-line block ×3, first 2 shown]
	v_add_f32_e32 v13, v13, v17
	v_add_f32_e32 v14, v14, v23
	v_sub_f32_e32 v18, v18, v22
	v_add_f32_e32 v17, v21, v13
	v_add_f32_e32 v14, v14, v18
	v_sub_f32_e32 v19, v21, v17
	v_add_f32_e32 v18, v24, v14
	v_fmac_f32_e32 v11, 0x3ab42872, v17
	v_mul_f32_e32 v20, v17, v17
	v_add_f32_e32 v13, v13, v19
	v_sub_f32_e32 v21, v24, v18
	v_fma_f32 v11, v17, v11, v6
	v_fma_f32 v19, v17, v17, -v20
	v_add_f32_e32 v23, v13, v13
	v_mul_f32_e32 v22, v18, v18
	v_add_f32_e32 v14, v14, v21
	v_fma_f32 v11, v17, v11, v7
	v_fmac_f32_e32 v19, v17, v23
	v_fma_f32 v21, v18, v18, -v22
	v_add_f32_e32 v24, v14, v14
	v_fma_f32 v11, v17, v11, v8
	v_add_f32_e32 v23, v20, v19
	v_fmac_f32_e32 v21, v18, v24
	v_sub_f32_e32 v20, v23, v20
	v_mul_f32_e32 v24, v11, v23
	v_sub_f32_e32 v19, v19, v20
	v_fma_f32 v20, v23, v11, -v24
	v_fmac_f32_e32 v20, v19, v11
	v_add_f32_e32 v11, v24, v20
	v_sub_f32_e32 v19, v11, v24
	v_add_f32_e32 v23, v17, v11
	v_sub_f32_e32 v19, v20, v19
	v_sub_f32_e32 v17, v23, v17
	;; [unrolled: 1-line block ×3, first 2 shown]
	v_add_f32_e32 v13, v13, v19
	v_add_f32_e32 v11, v13, v11
	;; [unrolled: 1-line block ×3, first 2 shown]
	v_sub_f32_e32 v17, v13, v23
	v_add_f32_e32 v19, 1.0, v13
	v_cvt_i32_f32_e32 v15, v15
	v_sub_f32_e32 v11, v11, v17
	v_add_f32_e32 v17, -1.0, v19
	v_sub_f32_e32 v13, v13, v17
	v_add_f32_e32 v11, v11, v13
	v_add_f32_e32 v13, v19, v11
	v_ldexp_f32 v17, v13, v15
	v_rcp_f32_e32 v20, v17
	v_sub_f32_e32 v13, v13, v19
	v_sub_f32_e32 v11, v11, v13
	v_ldexp_f32 v11, v11, v15
	v_mul_f32_e32 v13, v17, v20
	v_fma_f32 v15, v20, v17, -v13
	v_fmac_f32_e32 v15, v20, v11
	v_add_f32_e32 v19, v13, v15
	v_sub_f32_e32 v23, 1.0, v19
	v_sub_f32_e32 v13, v19, v13
	v_sub_f32_e32 v24, 1.0, v23
	v_sub_f32_e32 v13, v13, v15
	v_sub_f32_e32 v15, v24, v19
	v_add_f32_e32 v13, v13, v15
	v_add_f32_e32 v15, v23, v13
	v_mul_f32_e32 v19, v20, v15
	v_sub_f32_e32 v23, v23, v15
	v_mul_f32_e32 v24, v17, v19
	v_add_f32_e32 v13, v13, v23
	v_add_f32_e32 v23, v20, v19
	v_fma_f32 v25, v19, v17, -v24
	v_sub_f32_e32 v26, v23, v20
	v_fmac_f32_e32 v25, v19, v11
	v_sub_f32_e32 v19, v19, v26
	v_add_f32_e32 v26, v24, v25
	v_sub_f32_e32 v24, v26, v24
	v_sub_f32_e32 v24, v24, v25
	v_sub_f32_e32 v25, v15, v26
	v_sub_f32_e32 v15, v15, v25
	v_sub_f32_e32 v15, v15, v26
	v_add_f32_e32 v13, v13, v15
	v_add_f32_e32 v13, v24, v13
	;; [unrolled: 1-line block ×3, first 2 shown]
	v_mul_f32_e32 v13, v20, v13
	v_add_f32_e32 v13, v19, v13
	v_add_f32_e32 v15, v23, v13
	v_sub_f32_e32 v19, v15, v23
	v_ldexp_f32 v15, v15, -2
	v_fmac_f32_e32 v12, 0x3ab42872, v18
	v_sub_f32_e32 v13, v13, v19
	v_add_f32_e32 v19, v17, v15
	v_fma_f32 v12, v18, v12, v6
	v_ldexp_f32 v13, v13, -2
	v_sub_f32_e32 v17, v19, v17
	v_fma_f32 v12, v18, v12, v7
	v_sub_f32_e32 v15, v15, v17
	v_add_f32_e32 v11, v11, v13
	v_fma_f32 v12, v18, v12, v8
	v_add_f32_e32 v26, v22, v21
	v_add_f32_e32 v11, v11, v15
	v_sub_f32_e32 v22, v26, v22
	v_add_f32_e32 v11, v19, v11
	v_cmp_nlt_f32_e32 vcc, s6, v10
	v_mul_f32_e32 v13, v12, v26
	v_cndmask_b32_e32 v10, v9, v11, vcc
	v_sub_f32_e32 v11, v21, v22
	v_fma_f32 v15, v26, v12, -v13
	v_fmac_f32_e32 v15, v11, v12
	v_add_f32_e32 v11, v13, v15
	v_sub_f32_e32 v12, v11, v13
	v_add_f32_e32 v13, v18, v11
	v_sub_f32_e32 v12, v15, v12
	v_sub_f32_e32 v15, v13, v18
	;; [unrolled: 1-line block ×3, first 2 shown]
	v_add_f32_e32 v12, v14, v12
	v_add_f32_e32 v11, v12, v11
	;; [unrolled: 1-line block ×3, first 2 shown]
	v_sub_f32_e32 v13, v12, v13
	v_sub_f32_e32 v11, v11, v13
	v_add_f32_e32 v13, 1.0, v12
	v_add_f32_e32 v14, -1.0, v13
	v_cvt_i32_f32_e32 v15, v16
	v_sub_f32_e32 v12, v12, v14
	v_add_f32_e32 v11, v11, v12
	v_add_f32_e32 v12, v13, v11
	v_ldexp_f32 v14, v12, v15
	v_rcp_f32_e32 v16, v14
	v_sub_f32_e32 v12, v12, v13
	v_sub_f32_e32 v11, v11, v12
	v_ldexp_f32 v11, v11, v15
	v_mul_f32_e32 v12, v14, v16
	v_fma_f32 v13, v16, v14, -v12
	v_fmac_f32_e32 v13, v16, v11
	v_add_f32_e32 v15, v12, v13
	v_sub_f32_e32 v17, 1.0, v15
	v_sub_f32_e32 v18, 1.0, v17
	v_sub_f32_e32 v12, v15, v12
	v_sub_f32_e32 v18, v18, v15
	;; [unrolled: 1-line block ×3, first 2 shown]
	v_add_f32_e32 v12, v12, v18
	v_add_f32_e32 v13, v17, v12
	v_mul_f32_e32 v15, v16, v13
	v_mul_f32_e32 v18, v14, v15
	v_fma_f32 v19, v15, v14, -v18
	v_fmac_f32_e32 v19, v15, v11
	v_sub_f32_e32 v17, v17, v13
	v_add_f32_e32 v12, v12, v17
	v_add_f32_e32 v17, v18, v19
	v_sub_f32_e32 v20, v13, v17
	v_sub_f32_e32 v13, v13, v20
	;; [unrolled: 1-line block ×4, first 2 shown]
	v_add_f32_e32 v12, v12, v13
	v_sub_f32_e32 v13, v18, v19
	v_add_f32_e32 v12, v13, v12
	v_add_f32_e32 v12, v20, v12
	;; [unrolled: 1-line block ×3, first 2 shown]
	v_mul_f32_e32 v12, v16, v12
	v_sub_f32_e32 v16, v13, v16
	v_sub_f32_e32 v15, v15, v16
	v_add_f32_e32 v12, v15, v12
	v_add_f32_e32 v15, v13, v12
	v_sub_f32_e32 v13, v15, v13
	v_sub_f32_e32 v12, v12, v13
	v_ldexp_f32 v13, v15, -2
	v_add_f32_e32 v15, v14, v13
	v_sub_f32_e32 v14, v15, v14
	v_sub_f32_e32 v13, v13, v14
	v_cvt_f32_f16_e64 v14, |v5|
	v_ldexp_f32 v12, v12, -2
	v_add_f32_e32 v11, v11, v12
	v_add_f32_e32 v11, v11, v13
	;; [unrolled: 1-line block ×3, first 2 shown]
	v_sub_f32_e32 v13, v12, v14
	v_add_f32_e32 v11, v15, v11
	v_sub_f32_e32 v15, v13, v12
	v_add_f32_e32 v15, v15, v14
	v_add_f32_e32 v13, 0x3f317218, v13
	v_sub_f32_e32 v13, v15, v13
	v_add_f32_e32 v13, 0x3102e308, v13
	;; [unrolled: 3-line block ×3, first 2 shown]
	v_mul_f32_e32 v13, 0x3fb8aa3b, v15
	v_rndne_f32_e32 v13, v13
	v_fmac_f32_e32 v15, 0xbf317200, v13
	v_add_f32_e32 v16, v12, v15
	v_sub_f32_e32 v15, v15, v16
	v_add_f32_e32 v12, v12, v15
	v_mul_f32_e32 v15, 0x35bfbc00, v13
	v_sub_f32_e32 v17, v16, v15
	v_sub_f32_e32 v16, v16, v17
	;; [unrolled: 1-line block ×3, first 2 shown]
	v_add_f32_e32 v12, v12, v15
	v_add_f32_e32 v15, v17, v12
	v_sub_f32_e32 v16, v17, v15
	v_add_f32_e32 v12, v12, v16
	v_mul_f32_e32 v16, 0x2ea39ef3, v13
	v_sub_f32_e32 v17, v15, v16
	v_sub_f32_e32 v15, v15, v17
	;; [unrolled: 1-line block ×3, first 2 shown]
	v_add_f32_e32 v12, v12, v15
	v_add_f32_e32 v15, v17, v12
	v_sub_f32_e32 v17, v17, v15
	v_mov_b32_e32 v16, 0x3c091de6
	v_add_f32_e32 v12, v12, v17
	v_mul_f32_e32 v18, v15, v15
	v_fmac_f32_e32 v16, 0x3ab42872, v15
	v_add_f32_e32 v17, v12, v12
	v_fma_f32 v19, v15, v15, -v18
	v_fma_f32 v16, v15, v16, v6
	v_fmac_f32_e32 v19, v15, v17
	v_fma_f32 v16, v15, v16, v7
	v_add_f32_e32 v17, v18, v19
	v_fma_f32 v16, v15, v16, v8
	v_sub_f32_e32 v18, v17, v18
	v_sub_f32_e32 v18, v19, v18
	v_mul_f32_e32 v19, v16, v17
	v_fma_f32 v17, v17, v16, -v19
	v_fmac_f32_e32 v17, v18, v16
	v_add_f32_e32 v16, v19, v17
	v_sub_f32_e32 v18, v16, v19
	v_sub_f32_e32 v17, v17, v18
	v_add_f32_e32 v18, v15, v16
	v_sub_f32_e32 v15, v18, v15
	v_sub_f32_e32 v15, v16, v15
	v_add_f32_e32 v12, v12, v17
	v_add_f32_e32 v12, v12, v15
	;; [unrolled: 1-line block ×3, first 2 shown]
	v_sub_f32_e32 v16, v15, v18
	v_sub_f32_e32 v12, v12, v16
	v_add_f32_e32 v16, 1.0, v15
	v_add_f32_e32 v17, -1.0, v16
	v_cvt_i32_f32_e32 v13, v13
	v_sub_f32_e32 v15, v15, v17
	v_add_f32_e32 v12, v12, v15
	v_add_f32_e32 v15, v16, v12
	v_ldexp_f32 v17, v15, v13
	v_rcp_f32_e32 v18, v17
	v_sub_f32_e32 v15, v15, v16
	v_sub_f32_e32 v12, v12, v15
	v_ldexp_f32 v12, v12, v13
	v_mul_f32_e32 v13, v17, v18
	v_fma_f32 v15, v18, v17, -v13
	v_fmac_f32_e32 v15, v18, v12
	v_add_f32_e32 v16, v13, v15
	v_sub_f32_e32 v19, 1.0, v16
	v_sub_f32_e32 v20, 1.0, v19
	v_sub_f32_e32 v13, v16, v13
	v_sub_f32_e32 v20, v20, v16
	;; [unrolled: 1-line block ×3, first 2 shown]
	v_add_f32_e32 v13, v13, v20
	v_add_f32_e32 v15, v19, v13
	v_mul_f32_e32 v16, v18, v15
	v_mul_f32_e32 v20, v17, v16
	v_fma_f32 v21, v16, v17, -v20
	v_fmac_f32_e32 v21, v16, v12
	v_sub_f32_e32 v19, v19, v15
	v_add_f32_e32 v13, v13, v19
	v_add_f32_e32 v19, v20, v21
	v_sub_f32_e32 v22, v15, v19
	v_sub_f32_e32 v15, v15, v22
	;; [unrolled: 1-line block ×4, first 2 shown]
	v_add_f32_e32 v13, v13, v15
	v_sub_f32_e32 v15, v20, v21
	v_add_f32_e32 v13, v15, v13
	v_add_f32_e32 v13, v22, v13
	;; [unrolled: 1-line block ×3, first 2 shown]
	v_mul_f32_e32 v13, v18, v13
	v_sub_f32_e32 v18, v15, v18
	v_sub_f32_e32 v16, v16, v18
	v_add_f32_e32 v13, v16, v13
	v_add_f32_e32 v16, v15, v13
	v_sub_f32_e32 v15, v16, v15
	v_sub_f32_e32 v13, v13, v15
	v_ldexp_f32 v15, v16, -2
	v_add_f32_e32 v16, v17, v15
	v_ldexp_f32 v13, v13, -2
	v_sub_f32_e32 v17, v16, v17
	v_sub_f32_e32 v15, v15, v17
	v_add_f32_e32 v12, v12, v13
	v_add_f32_e32 v12, v12, v15
	;; [unrolled: 1-line block ×3, first 2 shown]
	v_cvt_f32_f16_sdwa v12, |v5| dst_sel:DWORD dst_unused:UNUSED_PAD src0_sel:WORD_1
	v_cmp_nlt_f32_e32 vcc, s6, v14
	v_cndmask_b32_e32 v5, v9, v13, vcc
	v_cvt_f16_f32_e32 v5, v5
	v_add_f32_e32 v13, 0xbf317218, v12
	v_sub_f32_e32 v14, v13, v12
	v_sub_f32_e32 v15, v14, v13
	v_add_f32_e32 v15, v15, v12
	v_add_f32_e32 v14, 0x3f317218, v14
	v_sub_f32_e32 v14, v15, v14
	v_add_f32_e32 v14, 0x3102e308, v14
	v_add_f32_e32 v15, v13, v14
	v_sub_f32_e32 v13, v13, v15
	v_add_f32_e32 v14, v14, v13
	v_mul_f32_e32 v13, 0x3fb8aa3b, v15
	v_rndne_f32_e32 v13, v13
	v_fmac_f32_e32 v15, 0xbf317200, v13
	v_add_f32_e32 v16, v14, v15
	v_sub_f32_e32 v15, v15, v16
	v_add_f32_e32 v14, v14, v15
	v_mul_f32_e32 v15, 0x35bfbc00, v13
	v_sub_f32_e32 v17, v16, v15
	v_sub_f32_e32 v16, v16, v17
	;; [unrolled: 1-line block ×3, first 2 shown]
	v_add_f32_e32 v14, v14, v15
	v_add_f32_e32 v15, v17, v14
	v_sub_f32_e32 v16, v17, v15
	v_add_f32_e32 v14, v14, v16
	v_mul_f32_e32 v16, 0x2ea39ef3, v13
	v_sub_f32_e32 v17, v15, v16
	v_sub_f32_e32 v15, v15, v17
	;; [unrolled: 1-line block ×3, first 2 shown]
	v_add_f32_e32 v14, v14, v15
	v_add_f32_e32 v15, v17, v14
	v_sub_f32_e32 v17, v17, v15
	v_mov_b32_e32 v16, 0x3c091de6
	v_add_f32_e32 v14, v14, v17
	v_mul_f32_e32 v18, v15, v15
	v_fmac_f32_e32 v16, 0x3ab42872, v15
	v_add_f32_e32 v17, v14, v14
	v_fma_f32 v19, v15, v15, -v18
	v_fma_f32 v16, v15, v16, v6
	v_fmac_f32_e32 v19, v15, v17
	v_fma_f32 v16, v15, v16, v7
	v_add_f32_e32 v17, v18, v19
	v_fma_f32 v16, v15, v16, v8
	v_sub_f32_e32 v18, v17, v18
	v_sub_f32_e32 v18, v19, v18
	v_mul_f32_e32 v19, v16, v17
	v_fma_f32 v17, v17, v16, -v19
	v_fmac_f32_e32 v17, v18, v16
	v_add_f32_e32 v16, v19, v17
	v_sub_f32_e32 v18, v16, v19
	v_sub_f32_e32 v17, v17, v18
	v_add_f32_e32 v18, v15, v16
	v_sub_f32_e32 v15, v18, v15
	v_sub_f32_e32 v15, v16, v15
	v_add_f32_e32 v14, v14, v17
	v_add_f32_e32 v14, v14, v15
	;; [unrolled: 1-line block ×3, first 2 shown]
	v_sub_f32_e32 v16, v15, v18
	v_sub_f32_e32 v14, v14, v16
	v_add_f32_e32 v16, 1.0, v15
	v_add_f32_e32 v17, -1.0, v16
	v_cvt_i32_f32_e32 v13, v13
	v_sub_f32_e32 v15, v15, v17
	v_add_f32_e32 v14, v14, v15
	v_add_f32_e32 v15, v16, v14
	v_ldexp_f32 v17, v15, v13
	v_rcp_f32_e32 v18, v17
	v_sub_f32_e32 v15, v15, v16
	v_sub_f32_e32 v14, v14, v15
	v_ldexp_f32 v13, v14, v13
	v_mul_f32_e32 v14, v17, v18
	v_fma_f32 v15, v18, v17, -v14
	v_fmac_f32_e32 v15, v18, v13
	v_add_f32_e32 v16, v14, v15
	v_sub_f32_e32 v19, 1.0, v16
	v_sub_f32_e32 v20, 1.0, v19
	v_sub_f32_e32 v14, v16, v14
	v_sub_f32_e32 v20, v20, v16
	;; [unrolled: 1-line block ×3, first 2 shown]
	v_add_f32_e32 v14, v14, v20
	v_add_f32_e32 v15, v19, v14
	v_mul_f32_e32 v16, v18, v15
	v_mul_f32_e32 v20, v17, v16
	v_fma_f32 v21, v16, v17, -v20
	v_fmac_f32_e32 v21, v16, v13
	v_sub_f32_e32 v19, v19, v15
	v_add_f32_e32 v14, v14, v19
	v_add_f32_e32 v19, v20, v21
	v_sub_f32_e32 v22, v15, v19
	v_sub_f32_e32 v15, v15, v22
	;; [unrolled: 1-line block ×4, first 2 shown]
	v_add_f32_e32 v14, v14, v15
	v_sub_f32_e32 v15, v20, v21
	v_add_f32_e32 v14, v15, v14
	v_add_f32_e32 v14, v22, v14
	;; [unrolled: 1-line block ×3, first 2 shown]
	v_mul_f32_e32 v14, v18, v14
	v_sub_f32_e32 v18, v15, v18
	v_sub_f32_e32 v16, v16, v18
	v_add_f32_e32 v14, v16, v14
	v_add_f32_e32 v16, v15, v14
	v_sub_f32_e32 v15, v16, v15
	v_sub_f32_e32 v14, v14, v15
	v_ldexp_f32 v15, v16, -2
	v_add_f32_e32 v16, v17, v15
	v_ldexp_f32 v14, v14, -2
	v_sub_f32_e32 v17, v16, v17
	v_sub_f32_e32 v15, v15, v17
	v_add_f32_e32 v13, v13, v14
	v_add_f32_e32 v13, v13, v15
	;; [unrolled: 1-line block ×3, first 2 shown]
	v_cmp_nlt_f32_e32 vcc, s6, v12
	v_cndmask_b32_e32 v12, v9, v13, vcc
	v_cvt_f16_f32_e32 v12, v12
	v_cmp_nlt_f32_e32 vcc, s6, v4
	v_cndmask_b32_e32 v4, v9, v11, vcc
	v_add_co_u32_e32 v0, vcc, s4, v0
	v_cvt_f16_f32_e32 v10, v10
	v_cvt_f16_f32_e32 v4, v4
	v_addc_co_u32_e32 v1, vcc, 0, v1, vcc
	v_pack_b32_f16 v5, v5, v12
	v_lshlrev_b64 v[11:12], 2, v[0:1]
	v_pack_b32_f16 v4, v10, v4
	v_cmp_le_i64_e32 vcc, s[0:1], v[11:12]
	global_store_dwordx2 v[2:3], v[4:5], off offset:-4
	s_or_b64 s[2:3], vcc, s[2:3]
	v_add_co_u32_e32 v2, vcc, s5, v2
	v_addc_co_u32_e32 v3, vcc, 0, v3, vcc
	s_andn2_b64 exec, exec, s[2:3]
	s_cbranch_execnz .LBB89_24
.LBB89_25:
	s_endpgm
	.section	.rodata,"a",@progbits
	.p2align	6, 0x0
	.amdhsa_kernel _ZN2at6native12_GLOBAL__N_125multi_tensor_apply_kernelINS1_18TensorListMetadataILi1EEENS1_14UnaryOpFunctorIN3c104HalfELi1ELi1ELi0EEEJNS0_4CoshIfEEEEEvT_T0_DpT1_
		.amdhsa_group_segment_fixed_size 0
		.amdhsa_private_segment_fixed_size 0
		.amdhsa_kernarg_size 3632
		.amdhsa_user_sgpr_count 6
		.amdhsa_user_sgpr_private_segment_buffer 1
		.amdhsa_user_sgpr_dispatch_ptr 0
		.amdhsa_user_sgpr_queue_ptr 0
		.amdhsa_user_sgpr_kernarg_segment_ptr 1
		.amdhsa_user_sgpr_dispatch_id 0
		.amdhsa_user_sgpr_flat_scratch_init 0
		.amdhsa_user_sgpr_private_segment_size 0
		.amdhsa_uses_dynamic_stack 0
		.amdhsa_system_sgpr_private_segment_wavefront_offset 0
		.amdhsa_system_sgpr_workgroup_id_x 1
		.amdhsa_system_sgpr_workgroup_id_y 0
		.amdhsa_system_sgpr_workgroup_id_z 0
		.amdhsa_system_sgpr_workgroup_info 0
		.amdhsa_system_vgpr_workitem_id 0
		.amdhsa_next_free_vgpr 30
		.amdhsa_next_free_sgpr 28
		.amdhsa_reserve_vcc 1
		.amdhsa_reserve_flat_scratch 0
		.amdhsa_float_round_mode_32 0
		.amdhsa_float_round_mode_16_64 0
		.amdhsa_float_denorm_mode_32 3
		.amdhsa_float_denorm_mode_16_64 3
		.amdhsa_dx10_clamp 1
		.amdhsa_ieee_mode 1
		.amdhsa_fp16_overflow 0
		.amdhsa_exception_fp_ieee_invalid_op 0
		.amdhsa_exception_fp_denorm_src 0
		.amdhsa_exception_fp_ieee_div_zero 0
		.amdhsa_exception_fp_ieee_overflow 0
		.amdhsa_exception_fp_ieee_underflow 0
		.amdhsa_exception_fp_ieee_inexact 0
		.amdhsa_exception_int_div_zero 0
	.end_amdhsa_kernel
	.section	.text._ZN2at6native12_GLOBAL__N_125multi_tensor_apply_kernelINS1_18TensorListMetadataILi1EEENS1_14UnaryOpFunctorIN3c104HalfELi1ELi1ELi0EEEJNS0_4CoshIfEEEEEvT_T0_DpT1_,"axG",@progbits,_ZN2at6native12_GLOBAL__N_125multi_tensor_apply_kernelINS1_18TensorListMetadataILi1EEENS1_14UnaryOpFunctorIN3c104HalfELi1ELi1ELi0EEEJNS0_4CoshIfEEEEEvT_T0_DpT1_,comdat
.Lfunc_end89:
	.size	_ZN2at6native12_GLOBAL__N_125multi_tensor_apply_kernelINS1_18TensorListMetadataILi1EEENS1_14UnaryOpFunctorIN3c104HalfELi1ELi1ELi0EEEJNS0_4CoshIfEEEEEvT_T0_DpT1_, .Lfunc_end89-_ZN2at6native12_GLOBAL__N_125multi_tensor_apply_kernelINS1_18TensorListMetadataILi1EEENS1_14UnaryOpFunctorIN3c104HalfELi1ELi1ELi0EEEJNS0_4CoshIfEEEEEvT_T0_DpT1_
                                        ; -- End function
	.set _ZN2at6native12_GLOBAL__N_125multi_tensor_apply_kernelINS1_18TensorListMetadataILi1EEENS1_14UnaryOpFunctorIN3c104HalfELi1ELi1ELi0EEEJNS0_4CoshIfEEEEEvT_T0_DpT1_.num_vgpr, 30
	.set _ZN2at6native12_GLOBAL__N_125multi_tensor_apply_kernelINS1_18TensorListMetadataILi1EEENS1_14UnaryOpFunctorIN3c104HalfELi1ELi1ELi0EEEJNS0_4CoshIfEEEEEvT_T0_DpT1_.num_agpr, 0
	.set _ZN2at6native12_GLOBAL__N_125multi_tensor_apply_kernelINS1_18TensorListMetadataILi1EEENS1_14UnaryOpFunctorIN3c104HalfELi1ELi1ELi0EEEJNS0_4CoshIfEEEEEvT_T0_DpT1_.numbered_sgpr, 28
	.set _ZN2at6native12_GLOBAL__N_125multi_tensor_apply_kernelINS1_18TensorListMetadataILi1EEENS1_14UnaryOpFunctorIN3c104HalfELi1ELi1ELi0EEEJNS0_4CoshIfEEEEEvT_T0_DpT1_.num_named_barrier, 0
	.set _ZN2at6native12_GLOBAL__N_125multi_tensor_apply_kernelINS1_18TensorListMetadataILi1EEENS1_14UnaryOpFunctorIN3c104HalfELi1ELi1ELi0EEEJNS0_4CoshIfEEEEEvT_T0_DpT1_.private_seg_size, 0
	.set _ZN2at6native12_GLOBAL__N_125multi_tensor_apply_kernelINS1_18TensorListMetadataILi1EEENS1_14UnaryOpFunctorIN3c104HalfELi1ELi1ELi0EEEJNS0_4CoshIfEEEEEvT_T0_DpT1_.uses_vcc, 1
	.set _ZN2at6native12_GLOBAL__N_125multi_tensor_apply_kernelINS1_18TensorListMetadataILi1EEENS1_14UnaryOpFunctorIN3c104HalfELi1ELi1ELi0EEEJNS0_4CoshIfEEEEEvT_T0_DpT1_.uses_flat_scratch, 0
	.set _ZN2at6native12_GLOBAL__N_125multi_tensor_apply_kernelINS1_18TensorListMetadataILi1EEENS1_14UnaryOpFunctorIN3c104HalfELi1ELi1ELi0EEEJNS0_4CoshIfEEEEEvT_T0_DpT1_.has_dyn_sized_stack, 0
	.set _ZN2at6native12_GLOBAL__N_125multi_tensor_apply_kernelINS1_18TensorListMetadataILi1EEENS1_14UnaryOpFunctorIN3c104HalfELi1ELi1ELi0EEEJNS0_4CoshIfEEEEEvT_T0_DpT1_.has_recursion, 0
	.set _ZN2at6native12_GLOBAL__N_125multi_tensor_apply_kernelINS1_18TensorListMetadataILi1EEENS1_14UnaryOpFunctorIN3c104HalfELi1ELi1ELi0EEEJNS0_4CoshIfEEEEEvT_T0_DpT1_.has_indirect_call, 0
	.section	.AMDGPU.csdata,"",@progbits
; Kernel info:
; codeLenInByte = 5396
; TotalNumSgprs: 32
; NumVgprs: 30
; ScratchSize: 0
; MemoryBound: 0
; FloatMode: 240
; IeeeMode: 1
; LDSByteSize: 0 bytes/workgroup (compile time only)
; SGPRBlocks: 3
; VGPRBlocks: 7
; NumSGPRsForWavesPerEU: 32
; NumVGPRsForWavesPerEU: 30
; Occupancy: 8
; WaveLimiterHint : 0
; COMPUTE_PGM_RSRC2:SCRATCH_EN: 0
; COMPUTE_PGM_RSRC2:USER_SGPR: 6
; COMPUTE_PGM_RSRC2:TRAP_HANDLER: 0
; COMPUTE_PGM_RSRC2:TGID_X_EN: 1
; COMPUTE_PGM_RSRC2:TGID_Y_EN: 0
; COMPUTE_PGM_RSRC2:TGID_Z_EN: 0
; COMPUTE_PGM_RSRC2:TIDIG_COMP_CNT: 0
	.section	.text._ZN2at6native12_GLOBAL__N_125multi_tensor_apply_kernelINS1_18TensorListMetadataILi1EEENS1_14UnaryOpFunctorIN3c108BFloat16ELi1ELi1ELi0EEEJNS0_4CoshIfEEEEEvT_T0_DpT1_,"axG",@progbits,_ZN2at6native12_GLOBAL__N_125multi_tensor_apply_kernelINS1_18TensorListMetadataILi1EEENS1_14UnaryOpFunctorIN3c108BFloat16ELi1ELi1ELi0EEEJNS0_4CoshIfEEEEEvT_T0_DpT1_,comdat
	.globl	_ZN2at6native12_GLOBAL__N_125multi_tensor_apply_kernelINS1_18TensorListMetadataILi1EEENS1_14UnaryOpFunctorIN3c108BFloat16ELi1ELi1ELi0EEEJNS0_4CoshIfEEEEEvT_T0_DpT1_ ; -- Begin function _ZN2at6native12_GLOBAL__N_125multi_tensor_apply_kernelINS1_18TensorListMetadataILi1EEENS1_14UnaryOpFunctorIN3c108BFloat16ELi1ELi1ELi0EEEJNS0_4CoshIfEEEEEvT_T0_DpT1_
	.p2align	8
	.type	_ZN2at6native12_GLOBAL__N_125multi_tensor_apply_kernelINS1_18TensorListMetadataILi1EEENS1_14UnaryOpFunctorIN3c108BFloat16ELi1ELi1ELi0EEEJNS0_4CoshIfEEEEEvT_T0_DpT1_,@function
_ZN2at6native12_GLOBAL__N_125multi_tensor_apply_kernelINS1_18TensorListMetadataILi1EEENS1_14UnaryOpFunctorIN3c108BFloat16ELi1ELi1ELi0EEEJNS0_4CoshIfEEEEEvT_T0_DpT1_: ; @_ZN2at6native12_GLOBAL__N_125multi_tensor_apply_kernelINS1_18TensorListMetadataILi1EEENS1_14UnaryOpFunctorIN3c108BFloat16ELi1ELi1ELi0EEEJNS0_4CoshIfEEEEEvT_T0_DpT1_
; %bb.0:
	v_mov_b32_e32 v1, s6
	global_load_ubyte v1, v1, s[4:5] offset:1760
	s_add_u32 s0, s4, s6
	s_mul_hi_u32 s1, s6, 3
	s_mul_i32 s6, s6, 3
	s_addc_u32 s2, s5, 0
	s_add_u32 s0, s0, s6
	s_addc_u32 s1, s2, s1
	s_load_dword s0, s[0:1], 0x820
	s_mov_b32 s7, 0
	s_waitcnt vmcnt(0)
	v_readfirstlane_b32 s1, v1
	s_lshl_b32 s1, s1, 3
	s_load_dwordx2 s[2:3], s[4:5], s1 offset:0x370
	s_load_dwordx2 s[10:11], s[4:5], s1 offset:0x0
	s_waitcnt lgkmcnt(0)
	s_ashr_i32 s1, s0, 31
	s_lshl_b64 s[12:13], s[0:1], 17
	s_lshl_b64 s[0:1], s[0:1], 16
	s_and_b32 s6, s10, 7
	s_sub_u32 s14, s2, s0
	s_subb_u32 s15, s3, s1
	s_and_b32 s0, s2, 3
	s_mov_b32 s1, s7
	s_or_b64 s[0:1], s[6:7], s[0:1]
	s_cmp_eq_u64 s[0:1], 0
	s_cbranch_scc1 .LBB90_21
; %bb.1:
	v_cmp_lt_i64_e64 s[0:1], s[14:15], 1
	s_and_b64 vcc, exec, s[0:1]
	s_cbranch_vccnz .LBB90_20
; %bb.2:
	v_mov_b32_e32 v1, 0x10000
	s_load_dword s2, s[4:5], 0xd3c
	v_mov_b32_e32 v2, 0
	v_cmp_lt_i64_e32 vcc, s[14:15], v[1:2]
	s_mov_b64 s[20:21], 0
	s_and_b64 s[0:1], vcc, exec
	v_cmp_lt_u64_e32 vcc, s[14:15], v[1:2]
	s_cselect_b32 s17, s15, 0
	s_cselect_b32 s16, s14, 0x10000
	s_waitcnt lgkmcnt(0)
	s_and_b32 s2, s2, 0xffff
	s_and_b64 s[0:1], vcc, exec
	s_cselect_b32 s19, s15, 0
	s_cselect_b32 s18, s14, 0x10000
	s_lshl_b32 s3, s2, 1
	s_lshl_b32 s24, s2, 2
	s_add_u32 s6, s10, s12
	v_lshlrev_b32_e32 v1, 1, v0
	s_addc_u32 s7, s11, s13
	v_mov_b32_e32 v2, s7
	v_add_co_u32_e32 v1, vcc, s6, v1
	s_mul_i32 s0, s2, 3
	v_addc_co_u32_e32 v2, vcc, 0, v2, vcc
	v_add_co_u32_e32 v5, vcc, s0, v0
	v_addc_co_u32_e64 v6, s[0:1], 0, 0, vcc
	v_add_co_u32_e32 v7, vcc, s3, v0
	v_addc_co_u32_e64 v8, s[0:1], 0, 0, vcc
	v_add_co_u32_e32 v9, vcc, s2, v0
	v_lshlrev_b32_e32 v3, 1, v9
	v_addc_co_u32_e64 v10, s[0:1], 0, 0, vcc
	v_mov_b32_e32 v4, s7
	v_add_co_u32_e32 v3, vcc, s6, v3
	s_lshl_b32 s25, s2, 3
	s_mul_i32 s26, s2, 6
	v_addc_co_u32_e32 v4, vcc, 0, v4, vcc
	v_mov_b32_e32 v11, 0x3d2aadcc
	v_mov_b32_e32 v12, 0x3e2aaa47
	;; [unrolled: 1-line block ×3, first 2 shown]
	s_mov_b32 s27, 0x42b2d4fc
	s_movk_i32 s28, 0x7fff
	v_mov_b32_e32 v14, 0x7f800000
	v_mov_b32_e32 v15, 0x7fc0
	s_branch .LBB90_4
.LBB90_3:                               ;   in Loop: Header=BB90_4 Depth=1
	s_or_b64 exec, exec, s[2:3]
	s_add_u32 s20, s20, s24
	v_add_co_u32_e32 v1, vcc, s25, v1
	v_mov_b32_e32 v16, s16
	s_addc_u32 s21, s21, 0
	v_addc_co_u32_e32 v2, vcc, 0, v2, vcc
	v_mov_b32_e32 v17, s17
	v_cmp_lt_i64_e32 vcc, s[20:21], v[16:17]
	v_add_co_u32_e64 v3, s[0:1], s25, v3
	v_addc_co_u32_e64 v4, s[0:1], 0, v4, s[0:1]
	s_cbranch_vccz .LBB90_20
.LBB90_4:                               ; =>This Inner Loop Header: Depth=1
	v_mov_b32_e32 v17, s21
	v_add_co_u32_e32 v16, vcc, s20, v0
	v_addc_co_u32_e32 v17, vcc, 0, v17, vcc
	v_cmp_gt_u64_e32 vcc, s[18:19], v[16:17]
	v_mov_b32_e32 v19, 0
	s_and_saveexec_b64 s[0:1], vcc
	s_cbranch_execz .LBB90_6
; %bb.5:                                ;   in Loop: Header=BB90_4 Depth=1
	global_load_ushort v16, v[1:2], off
	s_waitcnt vmcnt(0)
	v_lshlrev_b32_e32 v16, 16, v16
	v_and_b32_e32 v19, 0x7fffffff, v16
.LBB90_6:                               ;   in Loop: Header=BB90_4 Depth=1
	s_or_b64 exec, exec, s[0:1]
	v_mov_b32_e32 v17, s21
	v_add_co_u32_e64 v16, s[0:1], s20, v9
	v_addc_co_u32_e64 v17, s[0:1], v10, v17, s[0:1]
	v_cmp_gt_u64_e64 s[6:7], s[18:19], v[16:17]
	v_mov_b32_e32 v17, 0
	v_mov_b32_e32 v18, 0
	s_and_saveexec_b64 s[0:1], s[6:7]
	s_cbranch_execz .LBB90_8
; %bb.7:                                ;   in Loop: Header=BB90_4 Depth=1
	global_load_ushort v16, v[3:4], off
	s_waitcnt vmcnt(0)
	v_lshlrev_b32_e32 v16, 16, v16
	v_and_b32_e32 v18, 0x7fffffff, v16
.LBB90_8:                               ;   in Loop: Header=BB90_4 Depth=1
	s_or_b64 exec, exec, s[0:1]
	v_mov_b32_e32 v16, s21
	v_add_co_u32_e64 v20, s[0:1], s20, v7
	v_addc_co_u32_e64 v21, s[0:1], v8, v16, s[0:1]
	v_cmp_gt_u64_e64 s[2:3], s[18:19], v[20:21]
	s_and_saveexec_b64 s[8:9], s[2:3]
	s_cbranch_execz .LBB90_10
; %bb.9:                                ;   in Loop: Header=BB90_4 Depth=1
	v_add_co_u32_e64 v16, s[0:1], s24, v1
	v_addc_co_u32_e64 v17, s[0:1], 0, v2, s[0:1]
	global_load_ushort v16, v[16:17], off
	s_waitcnt vmcnt(0)
	v_lshlrev_b32_e32 v16, 16, v16
	v_and_b32_e32 v17, 0x7fffffff, v16
.LBB90_10:                              ;   in Loop: Header=BB90_4 Depth=1
	s_or_b64 exec, exec, s[8:9]
	v_mov_b32_e32 v16, s21
	v_add_co_u32_e64 v20, s[0:1], s20, v5
	v_addc_co_u32_e64 v21, s[0:1], v6, v16, s[0:1]
	v_cmp_gt_u64_e64 s[0:1], s[18:19], v[20:21]
	v_mov_b32_e32 v16, 0
	s_and_saveexec_b64 s[22:23], s[0:1]
	s_cbranch_execnz .LBB90_15
; %bb.11:                               ;   in Loop: Header=BB90_4 Depth=1
	s_or_b64 exec, exec, s[22:23]
	s_and_saveexec_b64 s[8:9], vcc
	s_cbranch_execnz .LBB90_16
.LBB90_12:                              ;   in Loop: Header=BB90_4 Depth=1
	s_or_b64 exec, exec, s[8:9]
	s_and_saveexec_b64 s[8:9], s[6:7]
	s_cbranch_execnz .LBB90_17
.LBB90_13:                              ;   in Loop: Header=BB90_4 Depth=1
	s_or_b64 exec, exec, s[8:9]
	s_and_saveexec_b64 s[6:7], s[2:3]
	s_cbranch_execnz .LBB90_18
.LBB90_14:                              ;   in Loop: Header=BB90_4 Depth=1
	s_or_b64 exec, exec, s[6:7]
	s_and_saveexec_b64 s[2:3], s[0:1]
	s_cbranch_execz .LBB90_3
	s_branch .LBB90_19
.LBB90_15:                              ;   in Loop: Header=BB90_4 Depth=1
	v_add_co_u32_e64 v20, s[8:9], s26, v1
	v_addc_co_u32_e64 v21, s[8:9], 0, v2, s[8:9]
	global_load_ushort v16, v[20:21], off
	s_waitcnt vmcnt(0)
	v_lshlrev_b32_e32 v16, 16, v16
	v_and_b32_e32 v16, 0x7fffffff, v16
	s_or_b64 exec, exec, s[22:23]
	s_and_saveexec_b64 s[8:9], vcc
	s_cbranch_execz .LBB90_12
.LBB90_16:                              ;   in Loop: Header=BB90_4 Depth=1
	v_add_f32_e32 v20, 0xbf317218, v19
	v_sub_f32_e32 v21, v20, v19
	v_sub_f32_e32 v22, v21, v20
	v_add_f32_e32 v22, v19, v22
	v_add_f32_e32 v21, 0x3f317218, v21
	v_sub_f32_e32 v21, v22, v21
	v_add_f32_e32 v21, 0x3102e308, v21
	v_add_f32_e32 v22, v20, v21
	v_sub_f32_e32 v20, v20, v22
	v_add_f32_e32 v20, v21, v20
	v_mul_f32_e32 v21, 0x3fb8aa3b, v22
	v_rndne_f32_e32 v21, v21
	v_fmac_f32_e32 v22, 0xbf317200, v21
	v_add_f32_e32 v23, v20, v22
	v_mul_f32_e32 v24, 0x35bfbc00, v21
	v_sub_f32_e32 v25, v23, v24
	v_sub_f32_e32 v22, v22, v23
	v_add_f32_e32 v20, v20, v22
	v_sub_f32_e32 v22, v23, v25
	v_sub_f32_e32 v22, v22, v24
	v_add_f32_e32 v20, v20, v22
	v_add_f32_e32 v22, v25, v20
	v_mul_f32_e32 v23, 0x2ea39ef3, v21
	v_sub_f32_e32 v24, v22, v23
	v_sub_f32_e32 v25, v25, v22
	;; [unrolled: 1-line block ×3, first 2 shown]
	v_add_f32_e32 v20, v20, v25
	v_sub_f32_e32 v22, v22, v23
	v_add_f32_e32 v20, v20, v22
	v_add_f32_e32 v22, v24, v20
	v_mov_b32_e32 v23, 0x3c091de6
	v_sub_f32_e32 v24, v24, v22
	v_fmac_f32_e32 v23, 0x3ab42872, v22
	v_mul_f32_e32 v25, v22, v22
	v_add_f32_e32 v20, v20, v24
	v_fma_f32 v23, v22, v23, v11
	v_add_f32_e32 v24, v20, v20
	v_fma_f32 v26, v22, v22, -v25
	v_fma_f32 v23, v22, v23, v12
	v_fmac_f32_e32 v26, v22, v24
	v_fma_f32 v23, v22, v23, v13
	v_add_f32_e32 v24, v25, v26
	v_mul_f32_e32 v27, v23, v24
	v_sub_f32_e32 v25, v24, v25
	v_sub_f32_e32 v25, v26, v25
	v_fma_f32 v24, v24, v23, -v27
	v_fmac_f32_e32 v24, v25, v23
	v_add_f32_e32 v23, v27, v24
	v_add_f32_e32 v25, v22, v23
	v_sub_f32_e32 v26, v23, v27
	v_sub_f32_e32 v24, v24, v26
	;; [unrolled: 1-line block ×3, first 2 shown]
	v_add_f32_e32 v20, v20, v24
	v_sub_f32_e32 v22, v23, v22
	v_add_f32_e32 v20, v20, v22
	v_add_f32_e32 v22, v25, v20
	v_add_f32_e32 v23, 1.0, v22
	v_sub_f32_e32 v24, v22, v25
	v_sub_f32_e32 v20, v20, v24
	v_add_f32_e32 v24, -1.0, v23
	v_cvt_i32_f32_e32 v21, v21
	v_sub_f32_e32 v22, v22, v24
	v_add_f32_e32 v20, v20, v22
	v_add_f32_e32 v22, v23, v20
	v_ldexp_f32 v24, v22, v21
	v_rcp_f32_e32 v25, v24
	v_sub_f32_e32 v22, v22, v23
	v_sub_f32_e32 v20, v20, v22
	v_ldexp_f32 v20, v20, v21
	v_mul_f32_e32 v26, v24, v25
	v_fma_f32 v21, v25, v24, -v26
	v_fmac_f32_e32 v21, v25, v20
	v_add_f32_e32 v22, v26, v21
	v_sub_f32_e32 v23, 1.0, v22
	v_sub_f32_e32 v26, v22, v26
	v_sub_f32_e32 v21, v26, v21
	v_sub_f32_e32 v26, 1.0, v23
	v_sub_f32_e32 v22, v26, v22
	v_add_f32_e32 v21, v21, v22
	v_add_f32_e32 v22, v23, v21
	v_mul_f32_e32 v26, v25, v22
	v_mul_f32_e32 v29, v24, v26
	v_add_f32_e32 v27, v25, v26
	v_fma_f32 v30, v26, v24, -v29
	v_sub_f32_e32 v28, v27, v25
	v_fmac_f32_e32 v30, v26, v20
	v_sub_f32_e32 v28, v26, v28
	v_add_f32_e32 v26, v29, v30
	v_sub_f32_e32 v31, v22, v26
	v_sub_f32_e32 v23, v23, v22
	;; [unrolled: 1-line block ×4, first 2 shown]
	v_add_f32_e32 v21, v21, v23
	v_sub_f32_e32 v22, v22, v26
	v_sub_f32_e32 v29, v29, v30
	v_add_f32_e32 v21, v21, v22
	v_add_f32_e32 v21, v29, v21
	;; [unrolled: 1-line block ×3, first 2 shown]
	v_mul_f32_e32 v21, v25, v21
	v_add_f32_e32 v21, v28, v21
	v_add_f32_e32 v22, v27, v21
	v_ldexp_f32 v23, v22, -2
	v_sub_f32_e32 v22, v22, v27
	v_sub_f32_e32 v21, v21, v22
	v_add_f32_e32 v25, v24, v23
	v_ldexp_f32 v21, v21, -2
	v_add_f32_e32 v20, v20, v21
	v_sub_f32_e32 v21, v25, v24
	v_sub_f32_e32 v21, v23, v21
	v_add_f32_e32 v20, v20, v21
	v_add_f32_e32 v20, v25, v20
	v_cmp_nlt_f32_e32 vcc, s27, v19
	v_cndmask_b32_e32 v19, v14, v20, vcc
	v_bfe_u32 v20, v19, 16, 1
	v_add3_u32 v20, v19, v20, s28
	v_cmp_o_f32_e32 vcc, v19, v19
	v_cndmask_b32_sdwa v19, v15, v20, vcc dst_sel:DWORD dst_unused:UNUSED_PAD src0_sel:DWORD src1_sel:WORD_1
	global_store_short v[1:2], v19, off
	s_or_b64 exec, exec, s[8:9]
	s_and_saveexec_b64 s[8:9], s[6:7]
	s_cbranch_execz .LBB90_13
.LBB90_17:                              ;   in Loop: Header=BB90_4 Depth=1
	v_add_f32_e32 v19, 0xbf317218, v18
	v_sub_f32_e32 v20, v19, v18
	v_sub_f32_e32 v21, v20, v19
	v_add_f32_e32 v21, v18, v21
	v_add_f32_e32 v20, 0x3f317218, v20
	v_sub_f32_e32 v20, v21, v20
	v_add_f32_e32 v20, 0x3102e308, v20
	v_add_f32_e32 v21, v19, v20
	v_sub_f32_e32 v19, v19, v21
	v_add_f32_e32 v19, v20, v19
	v_mul_f32_e32 v20, 0x3fb8aa3b, v21
	v_rndne_f32_e32 v20, v20
	v_fmac_f32_e32 v21, 0xbf317200, v20
	v_add_f32_e32 v22, v19, v21
	v_sub_f32_e32 v21, v21, v22
	v_add_f32_e32 v19, v19, v21
	v_mul_f32_e32 v21, 0x35bfbc00, v20
	v_sub_f32_e32 v23, v22, v21
	v_sub_f32_e32 v22, v22, v23
	;; [unrolled: 1-line block ×3, first 2 shown]
	v_add_f32_e32 v19, v19, v21
	v_add_f32_e32 v21, v23, v19
	v_sub_f32_e32 v22, v23, v21
	v_add_f32_e32 v19, v19, v22
	v_mul_f32_e32 v22, 0x2ea39ef3, v20
	v_sub_f32_e32 v23, v21, v22
	v_sub_f32_e32 v21, v21, v23
	;; [unrolled: 1-line block ×3, first 2 shown]
	v_add_f32_e32 v19, v19, v21
	v_add_f32_e32 v21, v23, v19
	v_sub_f32_e32 v23, v23, v21
	v_mov_b32_e32 v22, 0x3c091de6
	v_add_f32_e32 v19, v19, v23
	v_mul_f32_e32 v24, v21, v21
	v_fmac_f32_e32 v22, 0x3ab42872, v21
	v_add_f32_e32 v23, v19, v19
	v_fma_f32 v25, v21, v21, -v24
	v_fma_f32 v22, v21, v22, v11
	v_fmac_f32_e32 v25, v21, v23
	v_fma_f32 v22, v21, v22, v12
	v_add_f32_e32 v23, v24, v25
	v_fma_f32 v22, v21, v22, v13
	v_sub_f32_e32 v24, v23, v24
	v_sub_f32_e32 v24, v25, v24
	v_mul_f32_e32 v25, v22, v23
	v_fma_f32 v23, v23, v22, -v25
	v_fmac_f32_e32 v23, v24, v22
	v_add_f32_e32 v22, v25, v23
	v_sub_f32_e32 v24, v22, v25
	v_sub_f32_e32 v23, v23, v24
	v_add_f32_e32 v24, v21, v22
	v_sub_f32_e32 v21, v24, v21
	v_sub_f32_e32 v21, v22, v21
	v_add_f32_e32 v19, v19, v23
	v_add_f32_e32 v19, v19, v21
	;; [unrolled: 1-line block ×3, first 2 shown]
	v_sub_f32_e32 v22, v21, v24
	v_sub_f32_e32 v19, v19, v22
	v_add_f32_e32 v22, 1.0, v21
	v_add_f32_e32 v23, -1.0, v22
	v_cvt_i32_f32_e32 v20, v20
	v_sub_f32_e32 v21, v21, v23
	v_add_f32_e32 v19, v19, v21
	v_add_f32_e32 v21, v22, v19
	v_ldexp_f32 v23, v21, v20
	v_rcp_f32_e32 v24, v23
	v_sub_f32_e32 v21, v21, v22
	v_sub_f32_e32 v19, v19, v21
	v_ldexp_f32 v19, v19, v20
	v_mul_f32_e32 v20, v23, v24
	v_fma_f32 v21, v24, v23, -v20
	v_fmac_f32_e32 v21, v24, v19
	v_add_f32_e32 v22, v20, v21
	v_sub_f32_e32 v25, 1.0, v22
	v_sub_f32_e32 v26, 1.0, v25
	v_sub_f32_e32 v20, v22, v20
	v_sub_f32_e32 v26, v26, v22
	;; [unrolled: 1-line block ×3, first 2 shown]
	v_add_f32_e32 v20, v20, v26
	v_add_f32_e32 v21, v25, v20
	v_mul_f32_e32 v22, v24, v21
	v_mul_f32_e32 v26, v23, v22
	v_fma_f32 v27, v22, v23, -v26
	v_fmac_f32_e32 v27, v22, v19
	v_sub_f32_e32 v25, v25, v21
	v_add_f32_e32 v20, v20, v25
	v_add_f32_e32 v25, v26, v27
	v_sub_f32_e32 v28, v21, v25
	v_sub_f32_e32 v21, v21, v28
	v_sub_f32_e32 v26, v25, v26
	v_sub_f32_e32 v21, v21, v25
	v_add_f32_e32 v20, v20, v21
	v_sub_f32_e32 v21, v26, v27
	v_add_f32_e32 v20, v21, v20
	v_add_f32_e32 v20, v28, v20
	;; [unrolled: 1-line block ×3, first 2 shown]
	v_mul_f32_e32 v20, v24, v20
	v_sub_f32_e32 v24, v21, v24
	v_sub_f32_e32 v22, v22, v24
	v_add_f32_e32 v20, v22, v20
	v_add_f32_e32 v22, v21, v20
	v_sub_f32_e32 v21, v22, v21
	v_sub_f32_e32 v20, v20, v21
	v_ldexp_f32 v21, v22, -2
	v_add_f32_e32 v22, v23, v21
	v_ldexp_f32 v20, v20, -2
	v_sub_f32_e32 v23, v22, v23
	v_sub_f32_e32 v21, v21, v23
	v_add_f32_e32 v19, v19, v20
	v_add_f32_e32 v19, v19, v21
	v_add_f32_e32 v19, v22, v19
	v_cmp_nlt_f32_e32 vcc, s27, v18
	v_cndmask_b32_e32 v18, v14, v19, vcc
	v_bfe_u32 v19, v18, 16, 1
	v_add3_u32 v19, v18, v19, s28
	v_cmp_o_f32_e32 vcc, v18, v18
	v_cndmask_b32_sdwa v18, v15, v19, vcc dst_sel:DWORD dst_unused:UNUSED_PAD src0_sel:DWORD src1_sel:WORD_1
	global_store_short v[3:4], v18, off
	s_or_b64 exec, exec, s[8:9]
	s_and_saveexec_b64 s[6:7], s[2:3]
	s_cbranch_execz .LBB90_14
.LBB90_18:                              ;   in Loop: Header=BB90_4 Depth=1
	v_add_f32_e32 v18, 0xbf317218, v17
	v_sub_f32_e32 v19, v18, v17
	v_sub_f32_e32 v20, v19, v18
	v_add_f32_e32 v20, v17, v20
	v_add_f32_e32 v19, 0x3f317218, v19
	v_sub_f32_e32 v19, v20, v19
	v_add_f32_e32 v19, 0x3102e308, v19
	v_add_f32_e32 v20, v18, v19
	v_sub_f32_e32 v18, v18, v20
	v_add_f32_e32 v18, v19, v18
	v_mul_f32_e32 v19, 0x3fb8aa3b, v20
	v_rndne_f32_e32 v19, v19
	v_fmac_f32_e32 v20, 0xbf317200, v19
	v_add_f32_e32 v21, v18, v20
	v_sub_f32_e32 v20, v20, v21
	v_add_f32_e32 v18, v18, v20
	v_mul_f32_e32 v20, 0x35bfbc00, v19
	v_sub_f32_e32 v22, v21, v20
	v_sub_f32_e32 v21, v21, v22
	;; [unrolled: 1-line block ×3, first 2 shown]
	v_add_f32_e32 v18, v18, v20
	v_add_f32_e32 v20, v22, v18
	v_sub_f32_e32 v21, v22, v20
	v_add_f32_e32 v18, v18, v21
	v_mul_f32_e32 v21, 0x2ea39ef3, v19
	v_sub_f32_e32 v22, v20, v21
	v_sub_f32_e32 v20, v20, v22
	;; [unrolled: 1-line block ×3, first 2 shown]
	v_add_f32_e32 v18, v18, v20
	v_add_f32_e32 v20, v22, v18
	v_sub_f32_e32 v22, v22, v20
	v_mov_b32_e32 v21, 0x3c091de6
	v_add_f32_e32 v18, v18, v22
	v_mul_f32_e32 v23, v20, v20
	v_fmac_f32_e32 v21, 0x3ab42872, v20
	v_add_f32_e32 v22, v18, v18
	v_fma_f32 v24, v20, v20, -v23
	v_fma_f32 v21, v20, v21, v11
	v_fmac_f32_e32 v24, v20, v22
	v_fma_f32 v21, v20, v21, v12
	v_add_f32_e32 v22, v23, v24
	v_fma_f32 v21, v20, v21, v13
	v_sub_f32_e32 v23, v22, v23
	v_sub_f32_e32 v23, v24, v23
	v_mul_f32_e32 v24, v21, v22
	v_fma_f32 v22, v22, v21, -v24
	v_fmac_f32_e32 v22, v23, v21
	v_add_f32_e32 v21, v24, v22
	v_sub_f32_e32 v23, v21, v24
	v_sub_f32_e32 v22, v22, v23
	v_add_f32_e32 v23, v20, v21
	v_sub_f32_e32 v20, v23, v20
	v_sub_f32_e32 v20, v21, v20
	v_add_f32_e32 v18, v18, v22
	v_add_f32_e32 v18, v18, v20
	;; [unrolled: 1-line block ×3, first 2 shown]
	v_sub_f32_e32 v21, v20, v23
	v_sub_f32_e32 v18, v18, v21
	v_add_f32_e32 v21, 1.0, v20
	v_add_f32_e32 v22, -1.0, v21
	v_cvt_i32_f32_e32 v19, v19
	v_sub_f32_e32 v20, v20, v22
	v_add_f32_e32 v18, v18, v20
	v_add_f32_e32 v20, v21, v18
	v_ldexp_f32 v22, v20, v19
	v_rcp_f32_e32 v23, v22
	v_sub_f32_e32 v20, v20, v21
	v_sub_f32_e32 v18, v18, v20
	v_ldexp_f32 v18, v18, v19
	v_mul_f32_e32 v19, v22, v23
	v_fma_f32 v20, v23, v22, -v19
	v_fmac_f32_e32 v20, v23, v18
	v_add_f32_e32 v21, v19, v20
	v_sub_f32_e32 v24, 1.0, v21
	v_sub_f32_e32 v25, 1.0, v24
	v_sub_f32_e32 v19, v21, v19
	v_sub_f32_e32 v25, v25, v21
	;; [unrolled: 1-line block ×3, first 2 shown]
	v_add_f32_e32 v19, v19, v25
	v_add_f32_e32 v20, v24, v19
	v_mul_f32_e32 v21, v23, v20
	v_mul_f32_e32 v25, v22, v21
	v_fma_f32 v26, v21, v22, -v25
	v_fmac_f32_e32 v26, v21, v18
	v_sub_f32_e32 v24, v24, v20
	v_add_f32_e32 v19, v19, v24
	v_add_f32_e32 v24, v25, v26
	v_sub_f32_e32 v27, v20, v24
	v_sub_f32_e32 v20, v20, v27
	;; [unrolled: 1-line block ×4, first 2 shown]
	v_add_f32_e32 v19, v19, v20
	v_sub_f32_e32 v20, v25, v26
	v_add_f32_e32 v19, v20, v19
	v_add_f32_e32 v19, v27, v19
	;; [unrolled: 1-line block ×3, first 2 shown]
	v_mul_f32_e32 v19, v23, v19
	v_sub_f32_e32 v23, v20, v23
	v_sub_f32_e32 v21, v21, v23
	v_add_f32_e32 v19, v21, v19
	v_add_f32_e32 v21, v20, v19
	v_sub_f32_e32 v20, v21, v20
	v_sub_f32_e32 v19, v19, v20
	v_ldexp_f32 v20, v21, -2
	v_add_f32_e32 v21, v22, v20
	v_ldexp_f32 v19, v19, -2
	v_sub_f32_e32 v22, v21, v22
	v_sub_f32_e32 v20, v20, v22
	v_add_f32_e32 v18, v18, v19
	v_add_f32_e32 v18, v18, v20
	v_add_f32_e32 v18, v21, v18
	v_cmp_nlt_f32_e32 vcc, s27, v17
	v_cndmask_b32_e32 v17, v14, v18, vcc
	v_bfe_u32 v18, v17, 16, 1
	v_add3_u32 v18, v17, v18, s28
	v_cmp_o_f32_e32 vcc, v17, v17
	v_cndmask_b32_sdwa v19, v15, v18, vcc dst_sel:DWORD dst_unused:UNUSED_PAD src0_sel:DWORD src1_sel:WORD_1
	v_add_co_u32_e32 v17, vcc, s24, v1
	v_addc_co_u32_e32 v18, vcc, 0, v2, vcc
	global_store_short v[17:18], v19, off
	s_or_b64 exec, exec, s[6:7]
	s_and_saveexec_b64 s[2:3], s[0:1]
	s_cbranch_execz .LBB90_3
.LBB90_19:                              ;   in Loop: Header=BB90_4 Depth=1
	v_add_f32_e32 v17, 0xbf317218, v16
	v_sub_f32_e32 v18, v17, v16
	v_sub_f32_e32 v19, v18, v17
	v_add_f32_e32 v19, v16, v19
	v_add_f32_e32 v18, 0x3f317218, v18
	v_sub_f32_e32 v18, v19, v18
	v_add_f32_e32 v18, 0x3102e308, v18
	v_add_f32_e32 v19, v17, v18
	v_sub_f32_e32 v17, v17, v19
	v_add_f32_e32 v17, v18, v17
	v_mul_f32_e32 v18, 0x3fb8aa3b, v19
	v_rndne_f32_e32 v18, v18
	v_fmac_f32_e32 v19, 0xbf317200, v18
	v_add_f32_e32 v20, v17, v19
	v_sub_f32_e32 v19, v19, v20
	v_add_f32_e32 v17, v17, v19
	v_mul_f32_e32 v19, 0x35bfbc00, v18
	v_sub_f32_e32 v21, v20, v19
	v_sub_f32_e32 v20, v20, v21
	;; [unrolled: 1-line block ×3, first 2 shown]
	v_add_f32_e32 v17, v17, v19
	v_add_f32_e32 v19, v21, v17
	v_sub_f32_e32 v20, v21, v19
	v_add_f32_e32 v17, v17, v20
	v_mul_f32_e32 v20, 0x2ea39ef3, v18
	v_sub_f32_e32 v21, v19, v20
	v_sub_f32_e32 v19, v19, v21
	;; [unrolled: 1-line block ×3, first 2 shown]
	v_add_f32_e32 v17, v17, v19
	v_add_f32_e32 v19, v21, v17
	v_sub_f32_e32 v21, v21, v19
	v_mov_b32_e32 v20, 0x3c091de6
	v_add_f32_e32 v17, v17, v21
	v_mul_f32_e32 v22, v19, v19
	v_fmac_f32_e32 v20, 0x3ab42872, v19
	v_add_f32_e32 v21, v17, v17
	v_fma_f32 v23, v19, v19, -v22
	v_fma_f32 v20, v19, v20, v11
	v_fmac_f32_e32 v23, v19, v21
	v_fma_f32 v20, v19, v20, v12
	v_add_f32_e32 v21, v22, v23
	v_fma_f32 v20, v19, v20, v13
	v_sub_f32_e32 v22, v21, v22
	v_sub_f32_e32 v22, v23, v22
	v_mul_f32_e32 v23, v20, v21
	v_fma_f32 v21, v21, v20, -v23
	v_fmac_f32_e32 v21, v22, v20
	v_add_f32_e32 v20, v23, v21
	v_sub_f32_e32 v22, v20, v23
	v_sub_f32_e32 v21, v21, v22
	v_add_f32_e32 v22, v19, v20
	v_sub_f32_e32 v19, v22, v19
	v_sub_f32_e32 v19, v20, v19
	v_add_f32_e32 v17, v17, v21
	v_add_f32_e32 v17, v17, v19
	;; [unrolled: 1-line block ×3, first 2 shown]
	v_sub_f32_e32 v20, v19, v22
	v_sub_f32_e32 v17, v17, v20
	v_add_f32_e32 v20, 1.0, v19
	v_add_f32_e32 v21, -1.0, v20
	v_cvt_i32_f32_e32 v18, v18
	v_sub_f32_e32 v19, v19, v21
	v_add_f32_e32 v17, v17, v19
	v_add_f32_e32 v19, v20, v17
	v_ldexp_f32 v21, v19, v18
	v_rcp_f32_e32 v22, v21
	v_sub_f32_e32 v19, v19, v20
	v_sub_f32_e32 v17, v17, v19
	v_ldexp_f32 v17, v17, v18
	v_mul_f32_e32 v18, v21, v22
	v_fma_f32 v19, v22, v21, -v18
	v_fmac_f32_e32 v19, v22, v17
	v_add_f32_e32 v20, v18, v19
	v_sub_f32_e32 v23, 1.0, v20
	v_sub_f32_e32 v24, 1.0, v23
	v_sub_f32_e32 v18, v20, v18
	v_sub_f32_e32 v24, v24, v20
	;; [unrolled: 1-line block ×3, first 2 shown]
	v_add_f32_e32 v18, v18, v24
	v_add_f32_e32 v19, v23, v18
	v_mul_f32_e32 v20, v22, v19
	v_mul_f32_e32 v24, v21, v20
	v_fma_f32 v25, v20, v21, -v24
	v_fmac_f32_e32 v25, v20, v17
	v_sub_f32_e32 v23, v23, v19
	v_add_f32_e32 v18, v18, v23
	v_add_f32_e32 v23, v24, v25
	v_sub_f32_e32 v26, v19, v23
	v_sub_f32_e32 v19, v19, v26
	;; [unrolled: 1-line block ×4, first 2 shown]
	v_add_f32_e32 v18, v18, v19
	v_sub_f32_e32 v19, v24, v25
	v_add_f32_e32 v18, v19, v18
	v_add_f32_e32 v18, v26, v18
	;; [unrolled: 1-line block ×3, first 2 shown]
	v_mul_f32_e32 v18, v22, v18
	v_sub_f32_e32 v22, v19, v22
	v_sub_f32_e32 v20, v20, v22
	v_add_f32_e32 v18, v20, v18
	v_add_f32_e32 v20, v19, v18
	v_sub_f32_e32 v19, v20, v19
	v_sub_f32_e32 v18, v18, v19
	v_ldexp_f32 v19, v20, -2
	v_add_f32_e32 v20, v21, v19
	v_ldexp_f32 v18, v18, -2
	v_sub_f32_e32 v21, v20, v21
	v_sub_f32_e32 v19, v19, v21
	v_add_f32_e32 v17, v17, v18
	v_add_f32_e32 v17, v17, v19
	;; [unrolled: 1-line block ×3, first 2 shown]
	v_cmp_nlt_f32_e32 vcc, s27, v16
	v_cndmask_b32_e32 v16, v14, v17, vcc
	v_bfe_u32 v17, v16, 16, 1
	v_add3_u32 v17, v16, v17, s28
	v_cmp_o_f32_e32 vcc, v16, v16
	v_cndmask_b32_sdwa v18, v15, v17, vcc dst_sel:DWORD dst_unused:UNUSED_PAD src0_sel:DWORD src1_sel:WORD_1
	v_add_co_u32_e32 v16, vcc, s26, v1
	v_addc_co_u32_e32 v17, vcc, 0, v2, vcc
	global_store_short v[16:17], v18, off
	s_branch .LBB90_3
.LBB90_20:
	s_cbranch_execz .LBB90_22
	s_branch .LBB90_25
.LBB90_21:
.LBB90_22:
	v_mov_b32_e32 v1, 0x10000
	v_mov_b32_e32 v2, 0
	v_cmp_lt_i64_e32 vcc, s[14:15], v[1:2]
	v_mov_b32_e32 v2, 0
	s_and_b64 s[0:1], vcc, exec
	s_cselect_b32 s1, s15, 0
	s_cselect_b32 s0, s14, 0x10000
	v_lshlrev_b32_e32 v1, 2, v0
	v_cmp_gt_i64_e32 vcc, s[0:1], v[1:2]
	s_and_saveexec_b64 s[2:3], vcc
	s_cbranch_execz .LBB90_25
; %bb.23:
	s_load_dword s2, s[4:5], 0xd3c
	v_mov_b32_e32 v1, v2
	v_lshlrev_b32_e32 v2, 3, v0
	s_mov_b32 s6, 0xbf317218
	v_mov_b32_e32 v6, 0x3d2aadcc
	s_waitcnt lgkmcnt(0)
	s_and_b32 s4, s2, 0xffff
	s_add_u32 s2, s10, s12
	s_addc_u32 s3, s11, s13
	v_mov_b32_e32 v3, s3
	v_add_co_u32_e32 v2, vcc, s2, v2
	v_addc_co_u32_e32 v3, vcc, 0, v3, vcc
	s_lshl_b32 s5, s4, 3
	s_mov_b64 s[2:3], 0
	v_mov_b32_e32 v7, 0x3e2aaa47
	v_mov_b32_e32 v8, 0x3efffffc
	s_mov_b32 s7, 0x42b2d4fc
	v_mov_b32_e32 v9, 0x7f800000
	s_movk_i32 s8, 0x7fff
	v_mov_b32_e32 v10, 0x7fc00000
	v_mov_b32_e32 v11, 0x7fc0
.LBB90_24:                              ; =>This Inner Loop Header: Depth=1
	global_load_dwordx2 v[4:5], v[2:3], off
	v_mov_b32_e32 v12, 0x3c091de6
	v_mov_b32_e32 v13, 0x3c091de6
	s_waitcnt vmcnt(0)
	v_lshlrev_b32_e32 v15, 16, v4
	v_and_b32_e32 v14, 0xffff0000, v4
	v_add_f32_e64 v16, |v15|, s6
	v_add_f32_e64 v17, |v14|, s6
	v_sub_f32_e64 v18, v16, |v15|
	v_sub_f32_e64 v19, v17, |v14|
	v_sub_f32_e32 v20, v18, v16
	v_add_f32_e32 v18, 0x3f317218, v18
	v_sub_f32_e32 v21, v19, v17
	v_add_f32_e64 v20, |v15|, v20
	v_add_f32_e32 v19, 0x3f317218, v19
	v_add_f32_e64 v21, |v14|, v21
	v_sub_f32_e32 v18, v20, v18
	v_sub_f32_e32 v19, v21, v19
	v_add_f32_e32 v18, 0x3102e308, v18
	v_add_f32_e32 v19, 0x3102e308, v19
	;; [unrolled: 1-line block ×4, first 2 shown]
	v_sub_f32_e32 v16, v16, v20
	v_mul_f32_e32 v22, 0x3fb8aa3b, v20
	v_sub_f32_e32 v17, v17, v21
	v_mul_f32_e32 v23, 0x3fb8aa3b, v21
	v_add_f32_e32 v16, v18, v16
	v_rndne_f32_e32 v18, v22
	v_add_f32_e32 v17, v19, v17
	v_rndne_f32_e32 v19, v23
	v_fmac_f32_e32 v20, 0xbf317200, v18
	v_mul_f32_e32 v22, 0x35bfbc00, v18
	v_fmac_f32_e32 v21, 0xbf317200, v19
	v_add_f32_e32 v26, v16, v20
	v_mul_f32_e32 v24, 0x35bfbc00, v19
	v_add_f32_e32 v27, v17, v21
	v_sub_f32_e32 v20, v20, v26
	v_sub_f32_e32 v28, v26, v22
	v_sub_f32_e32 v21, v21, v27
	v_sub_f32_e32 v29, v27, v24
	v_add_f32_e32 v16, v16, v20
	v_sub_f32_e32 v20, v26, v28
	v_add_f32_e32 v17, v17, v21
	v_sub_f32_e32 v21, v27, v29
	v_sub_f32_e32 v20, v20, v22
	;; [unrolled: 1-line block ×3, first 2 shown]
	v_add_f32_e32 v16, v16, v20
	v_mul_f32_e32 v23, 0x2ea39ef3, v18
	v_add_f32_e32 v17, v17, v21
	v_add_f32_e32 v20, v28, v16
	v_mul_f32_e32 v25, 0x2ea39ef3, v19
	v_add_f32_e32 v21, v29, v17
	v_sub_f32_e32 v24, v20, v23
	v_sub_f32_e32 v22, v28, v20
	v_sub_f32_e32 v27, v21, v25
	v_sub_f32_e32 v20, v20, v24
	v_sub_f32_e32 v26, v29, v21
	v_add_f32_e32 v16, v16, v22
	v_sub_f32_e32 v21, v21, v27
	v_sub_f32_e32 v20, v20, v23
	v_add_f32_e32 v17, v17, v26
	v_sub_f32_e32 v21, v21, v25
	v_add_f32_e32 v16, v16, v20
	v_add_f32_e32 v17, v17, v21
	;; [unrolled: 1-line block ×4, first 2 shown]
	v_sub_f32_e32 v22, v24, v20
	v_fmac_f32_e32 v12, 0x3ab42872, v20
	v_mul_f32_e32 v23, v20, v20
	v_fmac_f32_e32 v13, 0x3ab42872, v21
	v_add_f32_e32 v16, v16, v22
	v_fma_f32 v12, v20, v12, v6
	v_fma_f32 v22, v20, v20, -v23
	v_fma_f32 v13, v21, v13, v6
	v_add_f32_e32 v26, v16, v16
	v_fma_f32 v12, v20, v12, v7
	v_fma_f32 v13, v21, v13, v7
	v_fmac_f32_e32 v22, v20, v26
	v_fma_f32 v12, v20, v12, v8
	v_fma_f32 v26, v21, v13, v8
	v_add_f32_e32 v13, v23, v22
	v_sub_f32_e32 v23, v13, v23
	v_mul_f32_e32 v28, v12, v13
	v_sub_f32_e32 v22, v22, v23
	v_fma_f32 v13, v13, v12, -v28
	v_fmac_f32_e32 v13, v22, v12
	v_add_f32_e32 v12, v28, v13
	v_sub_f32_e32 v22, v12, v28
	v_add_f32_e32 v23, v20, v12
	v_sub_f32_e32 v13, v13, v22
	v_sub_f32_e32 v20, v23, v20
	;; [unrolled: 1-line block ×3, first 2 shown]
	v_add_f32_e32 v13, v16, v13
	v_add_f32_e32 v12, v13, v12
	;; [unrolled: 1-line block ×3, first 2 shown]
	v_sub_f32_e32 v16, v13, v23
	v_add_f32_e32 v20, 1.0, v13
	v_cvt_i32_f32_e32 v18, v18
	v_sub_f32_e32 v12, v12, v16
	v_add_f32_e32 v16, -1.0, v20
	v_sub_f32_e32 v13, v13, v16
	v_add_f32_e32 v12, v12, v13
	v_add_f32_e32 v13, v20, v12
	v_ldexp_f32 v16, v13, v18
	v_rcp_f32_e32 v22, v16
	v_sub_f32_e32 v13, v13, v20
	v_sub_f32_e32 v12, v12, v13
	v_ldexp_f32 v12, v12, v18
	v_mul_f32_e32 v13, v16, v22
	v_fma_f32 v18, v22, v16, -v13
	v_fmac_f32_e32 v18, v22, v12
	v_add_f32_e32 v20, v13, v18
	v_sub_f32_e32 v23, 1.0, v20
	v_sub_f32_e32 v13, v20, v13
	v_sub_f32_e32 v28, 1.0, v23
	v_sub_f32_e32 v13, v13, v18
	v_sub_f32_e32 v18, v28, v20
	v_add_f32_e32 v13, v13, v18
	v_add_f32_e32 v18, v23, v13
	v_mul_f32_e32 v20, v22, v18
	v_sub_f32_e32 v23, v23, v18
	v_mul_f32_e32 v28, v16, v20
	v_add_f32_e32 v13, v13, v23
	v_add_f32_e32 v23, v22, v20
	v_fma_f32 v29, v20, v16, -v28
	v_sub_f32_e32 v30, v23, v22
	v_fmac_f32_e32 v29, v20, v12
	v_sub_f32_e32 v20, v20, v30
	v_add_f32_e32 v30, v28, v29
	v_sub_f32_e32 v31, v18, v30
	v_sub_f32_e32 v18, v18, v31
	;; [unrolled: 1-line block ×5, first 2 shown]
	v_add_f32_e32 v13, v13, v18
	v_add_f32_e32 v13, v28, v13
	;; [unrolled: 1-line block ×3, first 2 shown]
	v_mul_f32_e32 v13, v22, v13
	v_add_f32_e32 v13, v20, v13
	v_sub_f32_e32 v24, v27, v21
	v_add_f32_e32 v18, v23, v13
	v_mul_f32_e32 v25, v21, v21
	v_add_f32_e32 v17, v17, v24
	v_sub_f32_e32 v20, v18, v23
	v_ldexp_f32 v18, v18, -2
	v_fma_f32 v24, v21, v21, -v25
	v_add_f32_e32 v27, v17, v17
	v_sub_f32_e32 v13, v13, v20
	v_add_f32_e32 v20, v16, v18
	v_ldexp_f32 v13, v13, -2
	v_sub_f32_e32 v16, v20, v16
	v_fmac_f32_e32 v24, v21, v27
	v_sub_f32_e32 v16, v18, v16
	v_add_f32_e32 v12, v12, v13
	v_cmp_ngt_f32_e64 vcc, |v15|, s7
	v_add_f32_e32 v15, v25, v24
	v_add_f32_e32 v12, v12, v16
	v_sub_f32_e32 v16, v15, v25
	v_mul_f32_e32 v18, v26, v15
	v_sub_f32_e32 v16, v24, v16
	v_fma_f32 v15, v15, v26, -v18
	v_fmac_f32_e32 v15, v16, v26
	v_add_f32_e32 v16, v18, v15
	v_sub_f32_e32 v18, v16, v18
	v_sub_f32_e32 v15, v15, v18
	v_add_f32_e32 v18, v21, v16
	v_add_f32_e32 v12, v20, v12
	v_sub_f32_e32 v20, v18, v21
	v_sub_f32_e32 v16, v16, v20
	v_add_f32_e32 v15, v17, v15
	v_add_f32_e32 v15, v15, v16
	;; [unrolled: 1-line block ×3, first 2 shown]
	v_sub_f32_e32 v17, v16, v18
	v_sub_f32_e32 v15, v15, v17
	v_add_f32_e32 v17, 1.0, v16
	v_add_f32_e32 v18, -1.0, v17
	v_cvt_i32_f32_e32 v19, v19
	v_sub_f32_e32 v16, v16, v18
	v_add_f32_e32 v15, v15, v16
	v_add_f32_e32 v16, v17, v15
	v_ldexp_f32 v18, v16, v19
	v_rcp_f32_e32 v20, v18
	v_sub_f32_e32 v16, v16, v17
	v_sub_f32_e32 v15, v15, v16
	v_ldexp_f32 v15, v15, v19
	v_mul_f32_e32 v16, v18, v20
	v_fma_f32 v17, v20, v18, -v16
	v_fmac_f32_e32 v17, v20, v15
	v_add_f32_e32 v19, v16, v17
	v_sub_f32_e32 v21, 1.0, v19
	v_sub_f32_e32 v22, 1.0, v21
	v_sub_f32_e32 v16, v19, v16
	v_sub_f32_e32 v22, v22, v19
	;; [unrolled: 1-line block ×3, first 2 shown]
	v_add_f32_e32 v16, v16, v22
	v_add_f32_e32 v17, v21, v16
	v_mul_f32_e32 v19, v20, v17
	v_mul_f32_e32 v22, v18, v19
	v_fma_f32 v23, v19, v18, -v22
	v_fmac_f32_e32 v23, v19, v15
	v_sub_f32_e32 v21, v21, v17
	v_add_f32_e32 v16, v16, v21
	v_add_f32_e32 v21, v22, v23
	v_sub_f32_e32 v24, v17, v21
	v_sub_f32_e32 v17, v17, v24
	v_sub_f32_e32 v22, v21, v22
	v_sub_f32_e32 v17, v17, v21
	v_add_f32_e32 v16, v16, v17
	v_sub_f32_e32 v17, v22, v23
	v_add_f32_e32 v16, v17, v16
	v_add_f32_e32 v16, v24, v16
	;; [unrolled: 1-line block ×3, first 2 shown]
	v_mul_f32_e32 v16, v20, v16
	v_sub_f32_e32 v20, v17, v20
	v_sub_f32_e32 v19, v19, v20
	v_add_f32_e32 v16, v19, v16
	v_add_f32_e32 v19, v17, v16
	v_sub_f32_e32 v17, v19, v17
	v_sub_f32_e32 v16, v16, v17
	v_ldexp_f32 v17, v19, -2
	v_add_f32_e32 v19, v18, v17
	v_alignbit_b32 v4, v5, v4, 16
	v_ldexp_f32 v16, v16, -2
	v_sub_f32_e32 v18, v19, v18
	v_and_b32_e32 v4, 0xffff0000, v4
	v_sub_f32_e32 v17, v17, v18
	v_add_f32_e32 v15, v15, v16
	v_add_f32_e64 v16, |v4|, s6
	v_add_f32_e32 v15, v15, v17
	v_sub_f32_e64 v17, v16, |v4|
	v_sub_f32_e32 v18, v17, v16
	v_add_f32_e64 v18, |v4|, v18
	v_add_f32_e32 v17, 0x3f317218, v17
	v_sub_f32_e32 v17, v18, v17
	v_add_f32_e32 v17, 0x3102e308, v17
	v_add_f32_e32 v18, v16, v17
	v_sub_f32_e32 v16, v16, v18
	v_add_f32_e32 v16, v17, v16
	v_mul_f32_e32 v17, 0x3fb8aa3b, v18
	v_rndne_f32_e32 v17, v17
	v_fmac_f32_e32 v18, 0xbf317200, v17
	v_add_f32_e32 v15, v19, v15
	v_add_f32_e32 v19, v16, v18
	v_sub_f32_e32 v18, v18, v19
	v_add_f32_e32 v16, v16, v18
	v_mul_f32_e32 v18, 0x35bfbc00, v17
	v_sub_f32_e32 v20, v19, v18
	v_sub_f32_e32 v19, v19, v20
	;; [unrolled: 1-line block ×3, first 2 shown]
	v_add_f32_e32 v16, v16, v18
	v_add_f32_e32 v18, v20, v16
	v_sub_f32_e32 v19, v20, v18
	v_add_f32_e32 v16, v16, v19
	v_mul_f32_e32 v19, 0x2ea39ef3, v17
	v_sub_f32_e32 v20, v18, v19
	v_sub_f32_e32 v18, v18, v20
	;; [unrolled: 1-line block ×3, first 2 shown]
	v_add_f32_e32 v16, v16, v18
	v_add_f32_e32 v18, v20, v16
	v_sub_f32_e32 v20, v20, v18
	v_mov_b32_e32 v19, 0x3c091de6
	v_add_f32_e32 v16, v16, v20
	v_mul_f32_e32 v21, v18, v18
	v_fmac_f32_e32 v19, 0x3ab42872, v18
	v_add_f32_e32 v20, v16, v16
	v_fma_f32 v22, v18, v18, -v21
	v_fma_f32 v19, v18, v19, v6
	v_fmac_f32_e32 v22, v18, v20
	v_fma_f32 v19, v18, v19, v7
	v_add_f32_e32 v20, v21, v22
	v_fma_f32 v19, v18, v19, v8
	v_sub_f32_e32 v21, v20, v21
	v_sub_f32_e32 v21, v22, v21
	v_mul_f32_e32 v22, v19, v20
	v_fma_f32 v20, v20, v19, -v22
	v_fmac_f32_e32 v20, v21, v19
	v_add_f32_e32 v19, v22, v20
	v_sub_f32_e32 v21, v19, v22
	v_sub_f32_e32 v20, v20, v21
	v_add_f32_e32 v21, v18, v19
	v_sub_f32_e32 v18, v21, v18
	v_sub_f32_e32 v18, v19, v18
	v_add_f32_e32 v16, v16, v20
	v_add_f32_e32 v16, v16, v18
	;; [unrolled: 1-line block ×3, first 2 shown]
	v_sub_f32_e32 v19, v18, v21
	v_sub_f32_e32 v16, v16, v19
	v_add_f32_e32 v19, 1.0, v18
	v_add_f32_e32 v20, -1.0, v19
	v_cvt_i32_f32_e32 v17, v17
	v_sub_f32_e32 v18, v18, v20
	v_add_f32_e32 v16, v16, v18
	v_add_f32_e32 v18, v19, v16
	v_ldexp_f32 v20, v18, v17
	v_rcp_f32_e32 v21, v20
	v_sub_f32_e32 v18, v18, v19
	v_sub_f32_e32 v16, v16, v18
	v_ldexp_f32 v16, v16, v17
	v_mul_f32_e32 v17, v20, v21
	v_fma_f32 v18, v21, v20, -v17
	v_fmac_f32_e32 v18, v21, v16
	v_add_f32_e32 v19, v17, v18
	v_sub_f32_e32 v22, 1.0, v19
	v_sub_f32_e32 v23, 1.0, v22
	v_sub_f32_e32 v17, v19, v17
	v_sub_f32_e32 v23, v23, v19
	;; [unrolled: 1-line block ×3, first 2 shown]
	v_add_f32_e32 v17, v17, v23
	v_add_f32_e32 v18, v22, v17
	v_mul_f32_e32 v19, v21, v18
	v_mul_f32_e32 v23, v20, v19
	v_fma_f32 v24, v19, v20, -v23
	v_fmac_f32_e32 v24, v19, v16
	v_sub_f32_e32 v22, v22, v18
	v_add_f32_e32 v17, v17, v22
	v_add_f32_e32 v22, v23, v24
	v_sub_f32_e32 v25, v18, v22
	v_sub_f32_e32 v18, v18, v25
	;; [unrolled: 1-line block ×4, first 2 shown]
	v_add_f32_e32 v17, v17, v18
	v_sub_f32_e32 v18, v23, v24
	v_add_f32_e32 v17, v18, v17
	v_add_f32_e32 v17, v25, v17
	;; [unrolled: 1-line block ×3, first 2 shown]
	v_mul_f32_e32 v17, v21, v17
	v_sub_f32_e32 v21, v18, v21
	v_sub_f32_e32 v19, v19, v21
	v_add_f32_e32 v17, v19, v17
	v_add_f32_e32 v19, v18, v17
	v_sub_f32_e32 v18, v19, v18
	v_sub_f32_e32 v17, v17, v18
	v_ldexp_f32 v18, v19, -2
	v_add_f32_e32 v19, v20, v18
	v_ldexp_f32 v17, v17, -2
	v_sub_f32_e32 v20, v19, v20
	v_and_b32_e32 v5, 0xffff0000, v5
	v_sub_f32_e32 v18, v18, v20
	v_add_f32_e32 v16, v16, v17
	v_add_f32_e64 v17, |v5|, s6
	v_add_f32_e32 v16, v16, v18
	v_sub_f32_e64 v18, v17, |v5|
	v_add_f32_e32 v16, v19, v16
	v_sub_f32_e32 v19, v18, v17
	v_add_f32_e64 v19, |v5|, v19
	v_add_f32_e32 v18, 0x3f317218, v18
	v_sub_f32_e32 v18, v19, v18
	v_add_f32_e32 v18, 0x3102e308, v18
	v_add_f32_e32 v19, v17, v18
	v_sub_f32_e32 v17, v17, v19
	v_add_f32_e32 v18, v18, v17
	v_mul_f32_e32 v17, 0x3fb8aa3b, v19
	v_rndne_f32_e32 v17, v17
	v_fmac_f32_e32 v19, 0xbf317200, v17
	v_add_f32_e32 v20, v18, v19
	v_sub_f32_e32 v19, v19, v20
	v_add_f32_e32 v18, v18, v19
	v_mul_f32_e32 v19, 0x35bfbc00, v17
	v_sub_f32_e32 v21, v20, v19
	v_sub_f32_e32 v20, v20, v21
	v_sub_f32_e32 v19, v20, v19
	v_add_f32_e32 v18, v18, v19
	v_add_f32_e32 v19, v21, v18
	v_sub_f32_e32 v20, v21, v19
	v_add_f32_e32 v18, v18, v20
	v_mul_f32_e32 v20, 0x2ea39ef3, v17
	v_sub_f32_e32 v21, v19, v20
	v_sub_f32_e32 v19, v19, v21
	;; [unrolled: 1-line block ×3, first 2 shown]
	v_add_f32_e32 v18, v18, v19
	v_add_f32_e32 v19, v21, v18
	v_sub_f32_e32 v21, v21, v19
	v_mov_b32_e32 v20, 0x3c091de6
	v_add_f32_e32 v18, v18, v21
	v_mul_f32_e32 v22, v19, v19
	v_fmac_f32_e32 v20, 0x3ab42872, v19
	v_add_f32_e32 v21, v18, v18
	v_fma_f32 v23, v19, v19, -v22
	v_fma_f32 v20, v19, v20, v6
	v_fmac_f32_e32 v23, v19, v21
	v_fma_f32 v20, v19, v20, v7
	v_add_f32_e32 v21, v22, v23
	v_fma_f32 v20, v19, v20, v8
	v_sub_f32_e32 v22, v21, v22
	v_sub_f32_e32 v22, v23, v22
	v_mul_f32_e32 v23, v20, v21
	v_fma_f32 v21, v21, v20, -v23
	v_fmac_f32_e32 v21, v22, v20
	v_add_f32_e32 v20, v23, v21
	v_sub_f32_e32 v22, v20, v23
	v_sub_f32_e32 v21, v21, v22
	v_add_f32_e32 v22, v19, v20
	v_sub_f32_e32 v19, v22, v19
	v_sub_f32_e32 v19, v20, v19
	v_add_f32_e32 v18, v18, v21
	v_add_f32_e32 v18, v18, v19
	;; [unrolled: 1-line block ×3, first 2 shown]
	v_sub_f32_e32 v20, v19, v22
	v_sub_f32_e32 v18, v18, v20
	v_add_f32_e32 v20, 1.0, v19
	v_add_f32_e32 v21, -1.0, v20
	v_cvt_i32_f32_e32 v17, v17
	v_sub_f32_e32 v19, v19, v21
	v_add_f32_e32 v18, v18, v19
	v_add_f32_e32 v19, v20, v18
	v_ldexp_f32 v21, v19, v17
	v_rcp_f32_e32 v22, v21
	v_sub_f32_e32 v19, v19, v20
	v_sub_f32_e32 v18, v18, v19
	v_ldexp_f32 v17, v18, v17
	v_mul_f32_e32 v18, v21, v22
	v_fma_f32 v19, v22, v21, -v18
	v_fmac_f32_e32 v19, v22, v17
	v_add_f32_e32 v20, v18, v19
	v_sub_f32_e32 v23, 1.0, v20
	v_sub_f32_e32 v24, 1.0, v23
	v_sub_f32_e32 v18, v20, v18
	v_sub_f32_e32 v24, v24, v20
	;; [unrolled: 1-line block ×3, first 2 shown]
	v_add_f32_e32 v18, v18, v24
	v_add_f32_e32 v19, v23, v18
	v_mul_f32_e32 v20, v22, v19
	v_mul_f32_e32 v24, v21, v20
	v_fma_f32 v25, v20, v21, -v24
	v_fmac_f32_e32 v25, v20, v17
	v_sub_f32_e32 v23, v23, v19
	v_add_f32_e32 v18, v18, v23
	v_add_f32_e32 v23, v24, v25
	v_sub_f32_e32 v26, v19, v23
	v_sub_f32_e32 v19, v19, v26
	;; [unrolled: 1-line block ×4, first 2 shown]
	v_add_f32_e32 v18, v18, v19
	v_sub_f32_e32 v19, v24, v25
	v_add_f32_e32 v18, v19, v18
	v_add_f32_e32 v18, v26, v18
	;; [unrolled: 1-line block ×3, first 2 shown]
	v_mul_f32_e32 v18, v22, v18
	v_sub_f32_e32 v22, v19, v22
	v_sub_f32_e32 v20, v20, v22
	v_add_f32_e32 v18, v20, v18
	v_add_f32_e32 v20, v19, v18
	v_sub_f32_e32 v19, v20, v19
	v_sub_f32_e32 v18, v18, v19
	v_ldexp_f32 v19, v20, -2
	v_add_f32_e32 v20, v21, v19
	v_ldexp_f32 v18, v18, -2
	v_sub_f32_e32 v21, v20, v21
	v_cndmask_b32_e32 v12, v9, v12, vcc
	v_cmp_ngt_f32_e64 vcc, |v14|, s7
	v_sub_f32_e32 v19, v19, v21
	v_add_f32_e32 v17, v17, v18
	v_cndmask_b32_e32 v14, v9, v15, vcc
	v_cmp_ngt_f32_e64 vcc, |v4|, s7
	v_add_f32_e32 v17, v17, v19
	v_cndmask_b32_e32 v4, v9, v16, vcc
	v_add_f32_e32 v17, v20, v17
	v_cmp_ngt_f32_e64 vcc, |v5|, s7
	v_cndmask_b32_e32 v5, v9, v17, vcc
	v_bfe_u32 v17, v5, 16, 1
	v_bfe_u32 v16, v4, 16, 1
	v_add3_u32 v17, v5, v17, s8
	v_bfe_u32 v15, v14, 16, 1
	v_add3_u32 v16, v4, v16, s8
	v_and_b32_e32 v17, 0xffff0000, v17
	v_cmp_o_f32_e32 vcc, v5, v5
	v_bfe_u32 v13, v12, 16, 1
	v_add3_u32 v15, v14, v15, s8
	v_lshrrev_b32_e32 v16, 16, v16
	v_cndmask_b32_e32 v5, v10, v17, vcc
	v_cmp_o_f32_e32 vcc, v4, v4
	v_add3_u32 v13, v12, v13, s8
	v_and_b32_e32 v15, 0xffff0000, v15
	v_cndmask_b32_e32 v4, v11, v16, vcc
	v_cmp_o_f32_e32 vcc, v14, v14
	v_lshrrev_b32_e32 v13, 16, v13
	v_cndmask_b32_e32 v14, v10, v15, vcc
	v_cmp_o_f32_e32 vcc, v12, v12
	v_cndmask_b32_e32 v12, v11, v13, vcc
	v_add_co_u32_e32 v0, vcc, s4, v0
	v_addc_co_u32_e32 v1, vcc, 0, v1, vcc
	v_or_b32_e32 v14, v12, v14
	v_lshlrev_b64 v[12:13], 2, v[0:1]
	v_or3_b32 v5, 0, v4, v5
	v_cmp_le_i64_e32 vcc, s[0:1], v[12:13]
	v_or3_b32 v4, v14, 0, 0
	global_store_dwordx2 v[2:3], v[4:5], off
	s_or_b64 s[2:3], vcc, s[2:3]
	v_add_co_u32_e32 v2, vcc, s5, v2
	v_addc_co_u32_e32 v3, vcc, 0, v3, vcc
	s_andn2_b64 exec, exec, s[2:3]
	s_cbranch_execnz .LBB90_24
.LBB90_25:
	s_endpgm
	.section	.rodata,"a",@progbits
	.p2align	6, 0x0
	.amdhsa_kernel _ZN2at6native12_GLOBAL__N_125multi_tensor_apply_kernelINS1_18TensorListMetadataILi1EEENS1_14UnaryOpFunctorIN3c108BFloat16ELi1ELi1ELi0EEEJNS0_4CoshIfEEEEEvT_T0_DpT1_
		.amdhsa_group_segment_fixed_size 0
		.amdhsa_private_segment_fixed_size 0
		.amdhsa_kernarg_size 3632
		.amdhsa_user_sgpr_count 6
		.amdhsa_user_sgpr_private_segment_buffer 1
		.amdhsa_user_sgpr_dispatch_ptr 0
		.amdhsa_user_sgpr_queue_ptr 0
		.amdhsa_user_sgpr_kernarg_segment_ptr 1
		.amdhsa_user_sgpr_dispatch_id 0
		.amdhsa_user_sgpr_flat_scratch_init 0
		.amdhsa_user_sgpr_private_segment_size 0
		.amdhsa_uses_dynamic_stack 0
		.amdhsa_system_sgpr_private_segment_wavefront_offset 0
		.amdhsa_system_sgpr_workgroup_id_x 1
		.amdhsa_system_sgpr_workgroup_id_y 0
		.amdhsa_system_sgpr_workgroup_id_z 0
		.amdhsa_system_sgpr_workgroup_info 0
		.amdhsa_system_vgpr_workitem_id 0
		.amdhsa_next_free_vgpr 32
		.amdhsa_next_free_sgpr 29
		.amdhsa_reserve_vcc 1
		.amdhsa_reserve_flat_scratch 0
		.amdhsa_float_round_mode_32 0
		.amdhsa_float_round_mode_16_64 0
		.amdhsa_float_denorm_mode_32 3
		.amdhsa_float_denorm_mode_16_64 3
		.amdhsa_dx10_clamp 1
		.amdhsa_ieee_mode 1
		.amdhsa_fp16_overflow 0
		.amdhsa_exception_fp_ieee_invalid_op 0
		.amdhsa_exception_fp_denorm_src 0
		.amdhsa_exception_fp_ieee_div_zero 0
		.amdhsa_exception_fp_ieee_overflow 0
		.amdhsa_exception_fp_ieee_underflow 0
		.amdhsa_exception_fp_ieee_inexact 0
		.amdhsa_exception_int_div_zero 0
	.end_amdhsa_kernel
	.section	.text._ZN2at6native12_GLOBAL__N_125multi_tensor_apply_kernelINS1_18TensorListMetadataILi1EEENS1_14UnaryOpFunctorIN3c108BFloat16ELi1ELi1ELi0EEEJNS0_4CoshIfEEEEEvT_T0_DpT1_,"axG",@progbits,_ZN2at6native12_GLOBAL__N_125multi_tensor_apply_kernelINS1_18TensorListMetadataILi1EEENS1_14UnaryOpFunctorIN3c108BFloat16ELi1ELi1ELi0EEEJNS0_4CoshIfEEEEEvT_T0_DpT1_,comdat
.Lfunc_end90:
	.size	_ZN2at6native12_GLOBAL__N_125multi_tensor_apply_kernelINS1_18TensorListMetadataILi1EEENS1_14UnaryOpFunctorIN3c108BFloat16ELi1ELi1ELi0EEEJNS0_4CoshIfEEEEEvT_T0_DpT1_, .Lfunc_end90-_ZN2at6native12_GLOBAL__N_125multi_tensor_apply_kernelINS1_18TensorListMetadataILi1EEENS1_14UnaryOpFunctorIN3c108BFloat16ELi1ELi1ELi0EEEJNS0_4CoshIfEEEEEvT_T0_DpT1_
                                        ; -- End function
	.set _ZN2at6native12_GLOBAL__N_125multi_tensor_apply_kernelINS1_18TensorListMetadataILi1EEENS1_14UnaryOpFunctorIN3c108BFloat16ELi1ELi1ELi0EEEJNS0_4CoshIfEEEEEvT_T0_DpT1_.num_vgpr, 32
	.set _ZN2at6native12_GLOBAL__N_125multi_tensor_apply_kernelINS1_18TensorListMetadataILi1EEENS1_14UnaryOpFunctorIN3c108BFloat16ELi1ELi1ELi0EEEJNS0_4CoshIfEEEEEvT_T0_DpT1_.num_agpr, 0
	.set _ZN2at6native12_GLOBAL__N_125multi_tensor_apply_kernelINS1_18TensorListMetadataILi1EEENS1_14UnaryOpFunctorIN3c108BFloat16ELi1ELi1ELi0EEEJNS0_4CoshIfEEEEEvT_T0_DpT1_.numbered_sgpr, 29
	.set _ZN2at6native12_GLOBAL__N_125multi_tensor_apply_kernelINS1_18TensorListMetadataILi1EEENS1_14UnaryOpFunctorIN3c108BFloat16ELi1ELi1ELi0EEEJNS0_4CoshIfEEEEEvT_T0_DpT1_.num_named_barrier, 0
	.set _ZN2at6native12_GLOBAL__N_125multi_tensor_apply_kernelINS1_18TensorListMetadataILi1EEENS1_14UnaryOpFunctorIN3c108BFloat16ELi1ELi1ELi0EEEJNS0_4CoshIfEEEEEvT_T0_DpT1_.private_seg_size, 0
	.set _ZN2at6native12_GLOBAL__N_125multi_tensor_apply_kernelINS1_18TensorListMetadataILi1EEENS1_14UnaryOpFunctorIN3c108BFloat16ELi1ELi1ELi0EEEJNS0_4CoshIfEEEEEvT_T0_DpT1_.uses_vcc, 1
	.set _ZN2at6native12_GLOBAL__N_125multi_tensor_apply_kernelINS1_18TensorListMetadataILi1EEENS1_14UnaryOpFunctorIN3c108BFloat16ELi1ELi1ELi0EEEJNS0_4CoshIfEEEEEvT_T0_DpT1_.uses_flat_scratch, 0
	.set _ZN2at6native12_GLOBAL__N_125multi_tensor_apply_kernelINS1_18TensorListMetadataILi1EEENS1_14UnaryOpFunctorIN3c108BFloat16ELi1ELi1ELi0EEEJNS0_4CoshIfEEEEEvT_T0_DpT1_.has_dyn_sized_stack, 0
	.set _ZN2at6native12_GLOBAL__N_125multi_tensor_apply_kernelINS1_18TensorListMetadataILi1EEENS1_14UnaryOpFunctorIN3c108BFloat16ELi1ELi1ELi0EEEJNS0_4CoshIfEEEEEvT_T0_DpT1_.has_recursion, 0
	.set _ZN2at6native12_GLOBAL__N_125multi_tensor_apply_kernelINS1_18TensorListMetadataILi1EEENS1_14UnaryOpFunctorIN3c108BFloat16ELi1ELi1ELi0EEEJNS0_4CoshIfEEEEEvT_T0_DpT1_.has_indirect_call, 0
	.section	.AMDGPU.csdata,"",@progbits
; Kernel info:
; codeLenInByte = 5700
; TotalNumSgprs: 33
; NumVgprs: 32
; ScratchSize: 0
; MemoryBound: 0
; FloatMode: 240
; IeeeMode: 1
; LDSByteSize: 0 bytes/workgroup (compile time only)
; SGPRBlocks: 4
; VGPRBlocks: 7
; NumSGPRsForWavesPerEU: 33
; NumVGPRsForWavesPerEU: 32
; Occupancy: 8
; WaveLimiterHint : 0
; COMPUTE_PGM_RSRC2:SCRATCH_EN: 0
; COMPUTE_PGM_RSRC2:USER_SGPR: 6
; COMPUTE_PGM_RSRC2:TRAP_HANDLER: 0
; COMPUTE_PGM_RSRC2:TGID_X_EN: 1
; COMPUTE_PGM_RSRC2:TGID_Y_EN: 0
; COMPUTE_PGM_RSRC2:TGID_Z_EN: 0
; COMPUTE_PGM_RSRC2:TIDIG_COMP_CNT: 0
	.section	.text._ZN2at6native12_GLOBAL__N_125multi_tensor_apply_kernelINS1_18TensorListMetadataILi2EEENS1_14UnaryOpFunctorIdLi2ELi1ELi1EEEJNS0_3TanIdEEEEEvT_T0_DpT1_,"axG",@progbits,_ZN2at6native12_GLOBAL__N_125multi_tensor_apply_kernelINS1_18TensorListMetadataILi2EEENS1_14UnaryOpFunctorIdLi2ELi1ELi1EEEJNS0_3TanIdEEEEEvT_T0_DpT1_,comdat
	.globl	_ZN2at6native12_GLOBAL__N_125multi_tensor_apply_kernelINS1_18TensorListMetadataILi2EEENS1_14UnaryOpFunctorIdLi2ELi1ELi1EEEJNS0_3TanIdEEEEEvT_T0_DpT1_ ; -- Begin function _ZN2at6native12_GLOBAL__N_125multi_tensor_apply_kernelINS1_18TensorListMetadataILi2EEENS1_14UnaryOpFunctorIdLi2ELi1ELi1EEEJNS0_3TanIdEEEEEvT_T0_DpT1_
	.p2align	8
	.type	_ZN2at6native12_GLOBAL__N_125multi_tensor_apply_kernelINS1_18TensorListMetadataILi2EEENS1_14UnaryOpFunctorIdLi2ELi1ELi1EEEJNS0_3TanIdEEEEEvT_T0_DpT1_,@function
_ZN2at6native12_GLOBAL__N_125multi_tensor_apply_kernelINS1_18TensorListMetadataILi2EEENS1_14UnaryOpFunctorIdLi2ELi1ELi1EEEJNS0_3TanIdEEEEEvT_T0_DpT1_: ; @_ZN2at6native12_GLOBAL__N_125multi_tensor_apply_kernelINS1_18TensorListMetadataILi2EEENS1_14UnaryOpFunctorIdLi2ELi1ELi1EEEJNS0_3TanIdEEEEEvT_T0_DpT1_
; %bb.0:
	v_mov_b32_e32 v1, s6
	global_load_ubyte v1, v1, s[4:5] offset:1536
	s_add_u32 s0, s4, s6
	s_mul_hi_u32 s2, s6, 3
	s_mul_i32 s6, s6, 3
	s_addc_u32 s7, s5, 0
	s_add_u32 s6, s0, s6
	s_addc_u32 s7, s7, s2
	s_load_dword s6, s[6:7], 0x740
	s_mov_b32 s1, 0
	s_mov_b32 s3, s1
	s_waitcnt lgkmcnt(0)
	s_ashr_i32 s7, s6, 31
	s_lshl_b64 s[10:11], s[6:7], 19
	s_lshl_b64 s[6:7], s[6:7], 16
	s_waitcnt vmcnt(0)
	v_readfirstlane_b32 s0, v1
	s_lshl_b32 s0, s0, 3
	s_load_dwordx2 s[16:17], s[4:5], s0 offset:0x400
	s_load_dwordx2 s[12:13], s[4:5], s0 offset:0x0
	;; [unrolled: 1-line block ×3, first 2 shown]
	s_waitcnt lgkmcnt(0)
	s_add_u32 s0, s12, s10
	s_and_b32 s2, s8, 31
	s_and_b32 s0, s0, 31
	s_sub_u32 s14, s16, s6
	s_subb_u32 s15, s17, s7
	s_and_b32 s6, s16, 3
	s_mov_b32 s7, s1
	s_or_b64 s[2:3], s[2:3], s[6:7]
	s_or_b64 s[0:1], s[2:3], s[0:1]
	s_cmp_eq_u64 s[0:1], 0
	s_mov_b64 s[0:1], -1
	s_cbranch_scc0 .LBB91_21
; %bb.1:
	v_mov_b32_e32 v1, 0x10000
	v_mov_b32_e32 v2, 0
	v_cmp_lt_i64_e32 vcc, s[14:15], v[1:2]
	v_mov_b32_e32 v9, 0
	s_and_b64 s[0:1], vcc, exec
	s_cselect_b32 s17, s15, 0
	s_cselect_b32 s16, s14, 0x10000
	v_lshlrev_b32_e32 v1, 2, v0
	v_mov_b32_e32 v2, v9
	v_cmp_gt_i64_e32 vcc, s[16:17], v[1:2]
	s_and_saveexec_b64 s[18:19], vcc
	s_cbranch_execz .LBB91_20
; %bb.2:
	s_load_dword s0, s[4:5], 0xc5c
	v_mov_b32_e32 v1, v9
	v_lshlrev_b32_e32 v2, 5, v0
	v_mov_b32_e32 v3, s11
	v_add_co_u32_e32 v31, vcc, s10, v2
	s_waitcnt lgkmcnt(0)
	s_and_b32 s33, s0, 0xffff
	s_mov_b32 s22, 0
	s_mov_b32 s24, 0
	;; [unrolled: 1-line block ×21, first 2 shown]
	v_mov_b32_e32 v12, v1
	v_addc_co_u32_e32 v32, vcc, 0, v3, vcc
	s_lshl_b32 s72, s33, 5
	s_mov_b64 s[20:21], 0
	v_mov_b32_e32 v33, s13
	s_mov_b32 s23, 0x41d00000
	s_mov_b32 s25, 0x7b000000
	s_movk_i32 s73, 0xff80
	s_mov_b32 s27, 0x7ff00000
	s_mov_b32 s29, 0x3ff921fb
	;; [unrolled: 1-line block ×22, first 2 shown]
	s_movk_i32 s74, 0x1f8
	v_mov_b32_e32 v34, 0x40100000
	v_mov_b32_e32 v35, 0x3ff00000
	;; [unrolled: 1-line block ×4, first 2 shown]
	s_branch .LBB91_4
.LBB91_3:                               ;   in Loop: Header=BB91_4 Depth=1
	s_or_b64 exec, exec, s[0:1]
	v_mul_f64 v[29:30], v[21:22], v[21:22]
	v_mul_f64 v[41:42], v[17:18], v[17:18]
	;; [unrolled: 1-line block ×4, first 2 shown]
	v_add_f64 v[43:44], v[23:24], v[23:24]
	v_add_f64 v[45:46], v[19:20], v[19:20]
	;; [unrolled: 1-line block ×4, first 2 shown]
	v_fma_f64 v[51:52], v[21:22], v[21:22], -v[29:30]
	v_fma_f64 v[53:54], v[17:18], v[17:18], -v[41:42]
	;; [unrolled: 1-line block ×4, first 2 shown]
	v_add_co_u32_e32 v11, vcc, s33, v11
	v_addc_co_u32_e32 v12, vcc, 0, v12, vcc
	v_fma_f64 v[43:44], v[21:22], v[43:44], v[51:52]
	v_fma_f64 v[45:46], v[17:18], v[45:46], v[53:54]
	;; [unrolled: 1-line block ×4, first 2 shown]
	v_and_b32_e32 v10, 1, v39
	v_and_b32_e32 v39, 0x80000000, v2
	;; [unrolled: 1-line block ×3, first 2 shown]
	v_cmp_eq_u32_e64 s[6:7], 0, v40
	v_add_f64 v[29:30], v[29:30], v[43:44]
	v_add_f64 v[41:42], v[41:42], v[45:46]
	;; [unrolled: 1-line block ×4, first 2 shown]
	v_mov_b32_e32 v43, s44
	v_mov_b32_e32 v44, s45
	v_fma_f64 v[49:50], v[29:30], s[46:47], v[43:44]
	v_fma_f64 v[51:52], v[41:42], s[46:47], v[43:44]
	;; [unrolled: 1-line block ×52, first 2 shown]
	v_mul_f64 v[29:30], v[29:30], v[49:50]
	v_mul_f64 v[41:42], v[41:42], v[51:52]
	;; [unrolled: 1-line block ×8, first 2 shown]
	v_add_f64 v[55:56], v[21:22], v[47:48]
	v_add_f64 v[57:58], v[17:18], v[49:50]
	;; [unrolled: 1-line block ×4, first 2 shown]
	v_fma_f64 v[29:30], v[21:22], v[29:30], -v[47:48]
	v_fma_f64 v[41:42], v[17:18], v[41:42], -v[49:50]
	;; [unrolled: 1-line block ×4, first 2 shown]
	v_add_f64 v[21:22], v[55:56], -v[21:22]
	v_add_f64 v[17:18], v[57:58], -v[17:18]
	;; [unrolled: 1-line block ×4, first 2 shown]
	v_add_f64 v[23:24], v[23:24], v[29:30]
	v_add_f64 v[19:20], v[19:20], v[41:42]
	;; [unrolled: 1-line block ×4, first 2 shown]
	v_add_f64 v[21:22], v[47:48], -v[21:22]
	v_add_f64 v[17:18], v[49:50], -v[17:18]
	;; [unrolled: 1-line block ×4, first 2 shown]
	v_add_f64 v[21:22], v[23:24], v[21:22]
	v_add_f64 v[17:18], v[19:20], v[17:18]
	;; [unrolled: 1-line block ×8, first 2 shown]
	v_rcp_f64_e32 v[29:30], v[19:20]
	v_rcp_f64_e32 v[41:42], v[23:24]
	;; [unrolled: 1-line block ×4, first 2 shown]
	v_fma_f64 v[47:48], -v[19:20], v[29:30], 1.0
	v_fma_f64 v[49:50], -v[23:24], v[41:42], 1.0
	;; [unrolled: 1-line block ×4, first 2 shown]
	v_fma_f64 v[29:30], v[47:48], v[29:30], v[29:30]
	v_fma_f64 v[41:42], v[49:50], v[41:42], v[41:42]
	;; [unrolled: 1-line block ×4, first 2 shown]
	v_fma_f64 v[47:48], -v[19:20], v[29:30], 1.0
	v_fma_f64 v[49:50], -v[23:24], v[41:42], 1.0
	;; [unrolled: 1-line block ×4, first 2 shown]
	v_fma_f64 v[29:30], v[47:48], v[29:30], v[29:30]
	v_fma_f64 v[41:42], v[49:50], v[41:42], v[41:42]
	v_add_f64 v[47:48], v[19:20], -v[55:56]
	v_fma_f64 v[43:44], v[51:52], v[43:44], v[43:44]
	v_add_f64 v[49:50], v[23:24], -v[57:58]
	;; [unrolled: 2-line block ×3, first 2 shown]
	v_add_f64 v[57:58], v[27:28], -v[61:62]
	v_mul_f64 v[51:52], v[19:20], v[29:30]
	v_mul_f64 v[53:54], v[23:24], v[41:42]
	v_add_f64 v[21:22], v[21:22], -v[47:48]
	v_mul_f64 v[47:48], v[25:26], v[43:44]
	v_add_f64 v[17:18], v[17:18], -v[49:50]
	;; [unrolled: 2-line block ×3, first 2 shown]
	v_add_f64 v[15:16], v[15:16], -v[57:58]
	v_fma_f64 v[59:60], v[29:30], v[19:20], -v[51:52]
	v_fma_f64 v[61:62], v[41:42], v[23:24], -v[53:54]
	v_fma_f64 v[55:56], v[43:44], v[25:26], -v[47:48]
	v_fma_f64 v[57:58], v[45:46], v[27:28], -v[49:50]
	v_fma_f64 v[21:22], v[29:30], v[21:22], v[59:60]
	v_fma_f64 v[17:18], v[41:42], v[17:18], v[61:62]
	;; [unrolled: 1-line block ×4, first 2 shown]
	v_add_f64 v[55:56], v[51:52], v[21:22]
	v_add_f64 v[57:58], v[53:54], v[17:18]
	;; [unrolled: 1-line block ×4, first 2 shown]
	v_add_f64 v[63:64], -v[55:56], 1.0
	v_add_f64 v[65:66], -v[57:58], 1.0
	v_add_f64 v[51:52], v[55:56], -v[51:52]
	v_add_f64 v[67:68], -v[59:60], 1.0
	v_add_f64 v[53:54], v[57:58], -v[53:54]
	;; [unrolled: 2-line block ×3, first 2 shown]
	v_add_f64 v[49:50], v[61:62], -v[49:50]
	v_add_f64 v[71:72], -v[63:64], 1.0
	v_add_f64 v[73:74], -v[65:66], 1.0
	v_add_f64 v[21:22], v[51:52], -v[21:22]
	v_add_f64 v[51:52], -v[67:68], 1.0
	v_add_f64 v[17:18], v[53:54], -v[17:18]
	;; [unrolled: 2-line block ×3, first 2 shown]
	v_add_f64 v[15:16], v[49:50], -v[15:16]
	v_add_f64 v[55:56], v[71:72], -v[55:56]
	;; [unrolled: 1-line block ×4, first 2 shown]
	v_and_b32_e32 v51, 1, v38
	v_add_f64 v[49:50], v[53:54], -v[61:62]
	v_and_b32_e32 v52, 0x80000000, v8
	v_add_f64 v[21:22], v[21:22], v[55:56]
	v_add_f64 v[17:18], v[17:18], v[57:58]
	;; [unrolled: 1-line block ×3, first 2 shown]
	v_and_b32_e32 v47, 1, v37
	v_add_f64 v[15:16], v[15:16], v[49:50]
	v_lshlrev_b64 v[37:38], 2, v[11:12]
	v_mov_b32_e32 v50, s9
	v_add_f64 v[21:22], v[63:64], v[21:22]
	v_add_f64 v[17:18], v[65:66], v[17:18]
	v_cmp_le_i64_e32 vcc, s[16:17], v[37:38]
	v_add_f64 v[13:14], v[67:68], v[13:14]
	s_or_b64 s[20:21], vcc, s[20:21]
	v_add_f64 v[15:16], v[69:70], v[15:16]
	v_cmp_eq_u32_e32 vcc, 0, v10
	v_cmp_eq_u32_e64 s[2:3], 0, v47
	v_mul_f64 v[21:22], v[29:30], v[21:22]
	v_mul_f64 v[17:18], v[41:42], v[17:18]
	v_and_b32_e32 v48, 0x80000000, v6
	v_mul_f64 v[13:14], v[43:44], v[13:14]
	v_and_b32_e32 v49, 0x80000000, v4
	v_mul_f64 v[15:16], v[45:46], v[15:16]
	v_add_f64 v[21:22], v[29:30], v[21:22]
	v_add_f64 v[17:18], v[41:42], v[17:18]
	v_add_co_u32_e64 v29, s[0:1], s8, v31
	v_add_f64 v[13:14], v[43:44], v[13:14]
	v_add_f64 v[15:16], v[45:46], v[15:16]
	v_addc_co_u32_e64 v30, s[0:1], v50, v32, s[0:1]
	v_xor_b32_e32 v22, 0x80000000, v22
	v_xor_b32_e32 v18, 0x80000000, v18
	v_cmp_eq_u32_e64 s[0:1], 0, v51
	v_cndmask_b32_e32 v10, v21, v19, vcc
	v_xor_b32_e32 v14, 0x80000000, v14
	v_cndmask_b32_e64 v17, v17, v23, s[0:1]
	v_cndmask_b32_e64 v13, v13, v25, s[2:3]
	v_cndmask_b32_e32 v19, v22, v20, vcc
	v_cmp_class_f64_e64 vcc, v[1:2], s74
	v_cndmask_b32_e64 v2, v18, v24, s[0:1]
	v_cmp_class_f64_e64 s[0:1], v[7:8], s74
	v_cndmask_b32_e64 v8, v14, v26, s[2:3]
	v_cmp_class_f64_e64 s[2:3], v[5:6], s74
	v_xor_b32_e32 v16, 0x80000000, v16
	v_cndmask_b32_e64 v15, v15, v27, s[6:7]
	v_cndmask_b32_e64 v6, v16, v28, s[6:7]
	v_cmp_class_f64_e64 s[6:7], v[3:4], s74
	v_xor_b32_e32 v4, v19, v39
	v_cndmask_b32_e32 v1, 0, v10, vcc
	v_xor_b32_e32 v10, v2, v52
	v_cndmask_b32_e64 v5, 0, v13, s[2:3]
	v_xor_b32_e32 v13, v8, v48
	v_cndmask_b32_e32 v2, v36, v4, vcc
	v_add_co_u32_e32 v31, vcc, s72, v31
	v_cndmask_b32_e64 v7, 0, v17, s[0:1]
	v_xor_b32_e32 v14, v6, v49
	v_cndmask_b32_e64 v8, v36, v10, s[0:1]
	v_cndmask_b32_e64 v6, v36, v13, s[2:3]
	v_addc_co_u32_e32 v32, vcc, 0, v32, vcc
	v_cndmask_b32_e64 v3, 0, v15, s[6:7]
	v_cndmask_b32_e64 v4, v36, v14, s[6:7]
	global_store_dwordx4 v[29:30], v[5:8], off
	global_store_dwordx4 v[29:30], v[1:4], off offset:16
	s_andn2_b64 exec, exec, s[20:21]
	s_cbranch_execz .LBB91_20
.LBB91_4:                               ; =>This Inner Loop Header: Depth=1
	v_add_co_u32_e32 v1, vcc, s12, v31
	v_addc_co_u32_e32 v2, vcc, v33, v32, vcc
	global_load_dwordx4 v[5:8], v[1:2], off
	s_nop 0
	global_load_dwordx4 v[1:4], v[1:2], off offset:16
                                        ; implicit-def: $vgpr37
                                        ; implicit-def: $vgpr15_vgpr16
                                        ; implicit-def: $vgpr13_vgpr14
	s_waitcnt vmcnt(1)
	v_cmp_nlt_f64_e64 s[0:1], |v[5:6]|, s[22:23]
	s_and_saveexec_b64 s[2:3], s[0:1]
	s_xor_b64 s[2:3], exec, s[2:3]
	s_cbranch_execz .LBB91_6
; %bb.5:                                ;   in Loop: Header=BB91_4 Depth=1
	v_trig_preop_f64 v[13:14], |v[5:6]|, 0
	v_ldexp_f64 v[17:18], |v[5:6]|, s73
	v_cmp_ge_f64_e64 vcc, |v[5:6]|, s[24:25]
	v_trig_preop_f64 v[15:16], |v[5:6]|, 1
	v_and_b32_e32 v10, 0x7fffffff, v6
	v_trig_preop_f64 v[25:26], |v[5:6]|, 2
	s_mov_b32 s28, s30
	s_mov_b32 s37, s35
	v_cndmask_b32_e32 v18, v10, v18, vcc
	v_cndmask_b32_e32 v17, v5, v17, vcc
	v_mul_f64 v[19:20], v[13:14], v[17:18]
	v_mul_f64 v[21:22], v[15:16], v[17:18]
	;; [unrolled: 1-line block ×3, first 2 shown]
	v_fma_f64 v[13:14], v[13:14], v[17:18], -v[19:20]
	v_fma_f64 v[15:16], v[15:16], v[17:18], -v[21:22]
	;; [unrolled: 1-line block ×3, first 2 shown]
	v_add_f64 v[23:24], v[21:22], v[13:14]
	v_add_f64 v[27:28], v[23:24], -v[21:22]
	v_add_f64 v[39:40], v[19:20], v[23:24]
	v_add_f64 v[29:30], v[23:24], -v[27:28]
	v_add_f64 v[13:14], v[13:14], -v[27:28]
	v_add_f64 v[27:28], v[37:38], v[15:16]
	v_add_f64 v[19:20], v[39:40], -v[19:20]
	v_add_f64 v[21:22], v[21:22], -v[29:30]
	v_ldexp_f64 v[29:30], v[39:40], -2
	v_add_f64 v[41:42], v[27:28], -v[37:38]
	v_add_f64 v[19:20], v[23:24], -v[19:20]
	v_add_f64 v[13:14], v[13:14], v[21:22]
	v_fract_f64_e32 v[21:22], v[29:30]
	v_cmp_neq_f64_e64 vcc, |v[29:30]|, s[26:27]
	v_add_f64 v[15:16], v[15:16], -v[41:42]
	v_add_f64 v[23:24], v[27:28], v[13:14]
	v_ldexp_f64 v[21:22], v[21:22], 2
	v_add_f64 v[29:30], v[19:20], v[23:24]
	v_cndmask_b32_e32 v22, 0, v22, vcc
	v_cndmask_b32_e32 v21, 0, v21, vcc
	v_add_f64 v[43:44], v[23:24], -v[27:28]
	v_add_f64 v[39:40], v[29:30], v[21:22]
	v_add_f64 v[19:20], v[29:30], -v[19:20]
	v_add_f64 v[45:46], v[23:24], -v[43:44]
	;; [unrolled: 1-line block ×3, first 2 shown]
	v_cmp_gt_f64_e32 vcc, 0, v[39:40]
	v_add_f64 v[39:40], v[27:28], -v[41:42]
	v_add_f64 v[19:20], v[23:24], -v[19:20]
	;; [unrolled: 1-line block ×3, first 2 shown]
	v_cndmask_b32_e32 v10, 0, v34, vcc
	v_add_f64 v[21:22], v[21:22], v[9:10]
	v_add_f64 v[39:40], v[37:38], -v[39:40]
	v_add_f64 v[13:14], v[13:14], v[27:28]
	v_add_f64 v[47:48], v[29:30], v[21:22]
	;; [unrolled: 1-line block ×3, first 2 shown]
	v_cvt_i32_f64_e32 v10, v[47:48]
	v_add_f64 v[13:14], v[15:16], v[13:14]
	v_cvt_f64_i32_e32 v[41:42], v10
	v_add_f64 v[21:22], v[21:22], -v[41:42]
	v_add_f64 v[13:14], v[17:18], v[13:14]
	v_add_f64 v[15:16], v[29:30], v[21:22]
	;; [unrolled: 1-line block ×3, first 2 shown]
	v_add_f64 v[17:18], v[15:16], -v[21:22]
	v_cmp_le_f64_e32 vcc, 0.5, v[15:16]
	v_add_f64 v[17:18], v[29:30], -v[17:18]
	v_addc_co_u32_e64 v37, s[0:1], 0, v10, vcc
	v_cndmask_b32_e32 v10, 0, v35, vcc
	v_add_f64 v[15:16], v[15:16], -v[9:10]
	v_add_f64 v[13:14], v[13:14], v[17:18]
	v_add_f64 v[17:18], v[15:16], v[13:14]
	v_mul_f64 v[19:20], v[17:18], s[28:29]
	v_add_f64 v[15:16], v[17:18], -v[15:16]
	v_fma_f64 v[21:22], v[17:18], s[28:29], -v[19:20]
	v_add_f64 v[13:14], v[13:14], -v[15:16]
	v_fma_f64 v[15:16], v[17:18], s[36:37], v[21:22]
	v_fma_f64 v[13:14], v[13:14], s[28:29], v[15:16]
	v_add_f64 v[15:16], v[19:20], v[13:14]
	v_add_f64 v[17:18], v[15:16], -v[19:20]
	v_add_f64 v[13:14], v[13:14], -v[17:18]
.LBB91_6:                               ;   in Loop: Header=BB91_4 Depth=1
	s_andn2_saveexec_b64 s[0:1], s[2:3]
	s_cbranch_execz .LBB91_8
; %bb.7:                                ;   in Loop: Header=BB91_4 Depth=1
	v_mul_f64 v[13:14], |v[5:6]|, s[38:39]
	s_mov_b32 s34, s40
	v_rndne_f64_e32 v[17:18], v[13:14]
	v_fma_f64 v[13:14], v[17:18], s[30:31], |v[5:6]|
	v_mul_f64 v[15:16], v[17:18], s[40:41]
	v_cvt_i32_f64_e32 v37, v[17:18]
	v_add_f64 v[19:20], v[13:14], v[15:16]
	v_add_f64 v[21:22], v[13:14], -v[19:20]
	v_fma_f64 v[13:14], v[17:18], s[40:41], v[13:14]
	v_add_f64 v[21:22], v[21:22], v[15:16]
	v_add_f64 v[19:20], v[19:20], -v[13:14]
	v_fma_f64 v[15:16], v[17:18], s[34:35], v[15:16]
	;; [unrolled: 3-line block ×3, first 2 shown]
	v_add_f64 v[15:16], v[13:14], v[19:20]
	v_add_f64 v[13:14], v[15:16], -v[13:14]
	v_add_f64 v[13:14], v[19:20], -v[13:14]
.LBB91_8:                               ;   in Loop: Header=BB91_4 Depth=1
	s_or_b64 exec, exec, s[0:1]
	v_cmp_nlt_f64_e64 s[0:1], |v[7:8]|, s[22:23]
                                        ; implicit-def: $vgpr38
                                        ; implicit-def: $vgpr17_vgpr18
                                        ; implicit-def: $vgpr19_vgpr20
	s_and_saveexec_b64 s[2:3], s[0:1]
	s_xor_b64 s[2:3], exec, s[2:3]
	s_cbranch_execz .LBB91_10
; %bb.9:                                ;   in Loop: Header=BB91_4 Depth=1
	v_trig_preop_f64 v[17:18], |v[7:8]|, 0
	v_ldexp_f64 v[21:22], |v[7:8]|, s73
	v_cmp_ge_f64_e64 vcc, |v[7:8]|, s[24:25]
	v_trig_preop_f64 v[19:20], |v[7:8]|, 1
	v_and_b32_e32 v10, 0x7fffffff, v8
	v_trig_preop_f64 v[29:30], |v[7:8]|, 2
	s_mov_b32 s28, s30
	s_mov_b32 s37, s35
	v_cndmask_b32_e32 v22, v10, v22, vcc
	v_cndmask_b32_e32 v21, v7, v21, vcc
	v_mul_f64 v[23:24], v[17:18], v[21:22]
	v_mul_f64 v[25:26], v[19:20], v[21:22]
	;; [unrolled: 1-line block ×3, first 2 shown]
	v_fma_f64 v[17:18], v[17:18], v[21:22], -v[23:24]
	v_fma_f64 v[19:20], v[19:20], v[21:22], -v[25:26]
	;; [unrolled: 1-line block ×3, first 2 shown]
	v_add_f64 v[27:28], v[25:26], v[17:18]
	v_add_f64 v[38:39], v[27:28], -v[25:26]
	v_add_f64 v[44:45], v[23:24], v[27:28]
	v_add_f64 v[40:41], v[27:28], -v[38:39]
	v_add_f64 v[17:18], v[17:18], -v[38:39]
	v_add_f64 v[38:39], v[42:43], v[19:20]
	v_add_f64 v[23:24], v[44:45], -v[23:24]
	v_add_f64 v[25:26], v[25:26], -v[40:41]
	v_ldexp_f64 v[40:41], v[44:45], -2
	v_add_f64 v[46:47], v[38:39], -v[42:43]
	v_add_f64 v[23:24], v[27:28], -v[23:24]
	v_add_f64 v[17:18], v[17:18], v[25:26]
	v_fract_f64_e32 v[25:26], v[40:41]
	v_cmp_neq_f64_e64 vcc, |v[40:41]|, s[26:27]
	v_add_f64 v[19:20], v[19:20], -v[46:47]
	v_add_f64 v[27:28], v[38:39], v[17:18]
	v_ldexp_f64 v[25:26], v[25:26], 2
	v_add_f64 v[40:41], v[23:24], v[27:28]
	v_cndmask_b32_e32 v26, 0, v26, vcc
	v_cndmask_b32_e32 v25, 0, v25, vcc
	v_add_f64 v[48:49], v[27:28], -v[38:39]
	v_add_f64 v[44:45], v[40:41], v[25:26]
	v_add_f64 v[23:24], v[40:41], -v[23:24]
	v_add_f64 v[50:51], v[27:28], -v[48:49]
	;; [unrolled: 1-line block ×3, first 2 shown]
	v_cmp_gt_f64_e32 vcc, 0, v[44:45]
	v_add_f64 v[44:45], v[38:39], -v[46:47]
	v_add_f64 v[23:24], v[27:28], -v[23:24]
	;; [unrolled: 1-line block ×3, first 2 shown]
	v_cndmask_b32_e32 v10, 0, v34, vcc
	v_add_f64 v[25:26], v[25:26], v[9:10]
	v_add_f64 v[44:45], v[42:43], -v[44:45]
	v_add_f64 v[17:18], v[17:18], v[38:39]
	v_add_f64 v[52:53], v[40:41], v[25:26]
	;; [unrolled: 1-line block ×3, first 2 shown]
	v_cvt_i32_f64_e32 v10, v[52:53]
	v_add_f64 v[17:18], v[19:20], v[17:18]
	v_cvt_f64_i32_e32 v[46:47], v10
	v_add_f64 v[25:26], v[25:26], -v[46:47]
	v_add_f64 v[17:18], v[21:22], v[17:18]
	v_add_f64 v[19:20], v[40:41], v[25:26]
	;; [unrolled: 1-line block ×3, first 2 shown]
	v_add_f64 v[21:22], v[19:20], -v[25:26]
	v_cmp_le_f64_e32 vcc, 0.5, v[19:20]
	v_add_f64 v[21:22], v[40:41], -v[21:22]
	v_addc_co_u32_e64 v38, s[0:1], 0, v10, vcc
	v_cndmask_b32_e32 v10, 0, v35, vcc
	v_add_f64 v[19:20], v[19:20], -v[9:10]
	v_add_f64 v[17:18], v[17:18], v[21:22]
	v_add_f64 v[21:22], v[19:20], v[17:18]
	v_mul_f64 v[23:24], v[21:22], s[28:29]
	v_add_f64 v[19:20], v[21:22], -v[19:20]
	v_fma_f64 v[25:26], v[21:22], s[28:29], -v[23:24]
	v_add_f64 v[17:18], v[17:18], -v[19:20]
	v_fma_f64 v[19:20], v[21:22], s[36:37], v[25:26]
	v_fma_f64 v[19:20], v[17:18], s[28:29], v[19:20]
	v_add_f64 v[17:18], v[23:24], v[19:20]
	v_add_f64 v[21:22], v[17:18], -v[23:24]
	v_add_f64 v[19:20], v[19:20], -v[21:22]
.LBB91_10:                              ;   in Loop: Header=BB91_4 Depth=1
	s_andn2_saveexec_b64 s[0:1], s[2:3]
	s_cbranch_execz .LBB91_12
; %bb.11:                               ;   in Loop: Header=BB91_4 Depth=1
	v_mul_f64 v[17:18], |v[7:8]|, s[38:39]
	s_mov_b32 s34, s40
	v_rndne_f64_e32 v[21:22], v[17:18]
	v_fma_f64 v[17:18], v[21:22], s[30:31], |v[7:8]|
	v_mul_f64 v[19:20], v[21:22], s[40:41]
	v_cvt_i32_f64_e32 v38, v[21:22]
	v_fma_f64 v[27:28], v[21:22], s[40:41], v[17:18]
	v_add_f64 v[23:24], v[17:18], v[19:20]
	v_add_f64 v[25:26], v[17:18], -v[23:24]
	v_add_f64 v[23:24], v[23:24], -v[27:28]
	v_add_f64 v[17:18], v[25:26], v[19:20]
	v_fma_f64 v[19:20], v[21:22], s[34:35], v[19:20]
	v_add_f64 v[17:18], v[23:24], v[17:18]
	v_add_f64 v[17:18], v[17:18], -v[19:20]
	v_fma_f64 v[19:20], v[21:22], s[42:43], v[17:18]
	v_add_f64 v[17:18], v[27:28], v[19:20]
	v_add_f64 v[23:24], v[17:18], -v[27:28]
	v_add_f64 v[19:20], v[19:20], -v[23:24]
.LBB91_12:                              ;   in Loop: Header=BB91_4 Depth=1
	s_or_b64 exec, exec, s[0:1]
	s_waitcnt vmcnt(0)
	v_cmp_nlt_f64_e64 s[0:1], |v[1:2]|, s[22:23]
                                        ; implicit-def: $vgpr39
                                        ; implicit-def: $vgpr21_vgpr22
                                        ; implicit-def: $vgpr23_vgpr24
	s_and_saveexec_b64 s[2:3], s[0:1]
	s_xor_b64 s[2:3], exec, s[2:3]
	s_cbranch_execz .LBB91_14
; %bb.13:                               ;   in Loop: Header=BB91_4 Depth=1
	v_trig_preop_f64 v[21:22], |v[1:2]|, 0
	v_ldexp_f64 v[25:26], |v[1:2]|, s73
	v_cmp_ge_f64_e64 vcc, |v[1:2]|, s[24:25]
	v_trig_preop_f64 v[23:24], |v[1:2]|, 1
	v_and_b32_e32 v10, 0x7fffffff, v2
	v_trig_preop_f64 v[41:42], |v[1:2]|, 2
	s_mov_b32 s28, s30
	s_mov_b32 s37, s35
	v_cndmask_b32_e32 v26, v10, v26, vcc
	v_cndmask_b32_e32 v25, v1, v25, vcc
	v_mul_f64 v[27:28], v[21:22], v[25:26]
	v_mul_f64 v[29:30], v[23:24], v[25:26]
	;; [unrolled: 1-line block ×3, first 2 shown]
	v_fma_f64 v[21:22], v[21:22], v[25:26], -v[27:28]
	v_fma_f64 v[23:24], v[23:24], v[25:26], -v[29:30]
	;; [unrolled: 1-line block ×3, first 2 shown]
	v_add_f64 v[39:40], v[29:30], v[21:22]
	v_add_f64 v[43:44], v[39:40], -v[29:30]
	v_add_f64 v[49:50], v[27:28], v[39:40]
	v_add_f64 v[45:46], v[39:40], -v[43:44]
	v_add_f64 v[21:22], v[21:22], -v[43:44]
	v_add_f64 v[43:44], v[47:48], v[23:24]
	v_add_f64 v[27:28], v[49:50], -v[27:28]
	v_add_f64 v[29:30], v[29:30], -v[45:46]
	v_ldexp_f64 v[45:46], v[49:50], -2
	v_add_f64 v[51:52], v[43:44], -v[47:48]
	v_add_f64 v[27:28], v[39:40], -v[27:28]
	v_add_f64 v[21:22], v[21:22], v[29:30]
	v_fract_f64_e32 v[29:30], v[45:46]
	v_cmp_neq_f64_e64 vcc, |v[45:46]|, s[26:27]
	v_add_f64 v[23:24], v[23:24], -v[51:52]
	v_add_f64 v[39:40], v[43:44], v[21:22]
	v_ldexp_f64 v[29:30], v[29:30], 2
	v_add_f64 v[45:46], v[27:28], v[39:40]
	v_cndmask_b32_e32 v30, 0, v30, vcc
	v_cndmask_b32_e32 v29, 0, v29, vcc
	v_add_f64 v[53:54], v[39:40], -v[43:44]
	v_add_f64 v[49:50], v[45:46], v[29:30]
	v_add_f64 v[27:28], v[45:46], -v[27:28]
	v_add_f64 v[55:56], v[39:40], -v[53:54]
	;; [unrolled: 1-line block ×3, first 2 shown]
	v_cmp_gt_f64_e32 vcc, 0, v[49:50]
	v_add_f64 v[49:50], v[43:44], -v[51:52]
	v_add_f64 v[27:28], v[39:40], -v[27:28]
	;; [unrolled: 1-line block ×3, first 2 shown]
	v_cndmask_b32_e32 v10, 0, v34, vcc
	v_add_f64 v[29:30], v[29:30], v[9:10]
	v_add_f64 v[49:50], v[47:48], -v[49:50]
	v_add_f64 v[21:22], v[21:22], v[43:44]
	v_add_f64 v[57:58], v[45:46], v[29:30]
	;; [unrolled: 1-line block ×3, first 2 shown]
	v_cvt_i32_f64_e32 v10, v[57:58]
	v_add_f64 v[21:22], v[23:24], v[21:22]
	v_cvt_f64_i32_e32 v[51:52], v10
	v_add_f64 v[29:30], v[29:30], -v[51:52]
	v_add_f64 v[21:22], v[25:26], v[21:22]
	v_add_f64 v[23:24], v[45:46], v[29:30]
	v_add_f64 v[21:22], v[27:28], v[21:22]
	v_add_f64 v[25:26], v[23:24], -v[29:30]
	v_cmp_le_f64_e32 vcc, 0.5, v[23:24]
	v_add_f64 v[25:26], v[45:46], -v[25:26]
	v_addc_co_u32_e64 v39, s[0:1], 0, v10, vcc
	v_cndmask_b32_e32 v10, 0, v35, vcc
	v_add_f64 v[23:24], v[23:24], -v[9:10]
	v_add_f64 v[21:22], v[21:22], v[25:26]
	v_add_f64 v[25:26], v[23:24], v[21:22]
	v_mul_f64 v[27:28], v[25:26], s[28:29]
	v_add_f64 v[23:24], v[25:26], -v[23:24]
	v_fma_f64 v[29:30], v[25:26], s[28:29], -v[27:28]
	v_add_f64 v[21:22], v[21:22], -v[23:24]
	v_fma_f64 v[23:24], v[25:26], s[36:37], v[29:30]
	v_fma_f64 v[23:24], v[21:22], s[28:29], v[23:24]
	v_add_f64 v[21:22], v[27:28], v[23:24]
	v_add_f64 v[25:26], v[21:22], -v[27:28]
	v_add_f64 v[23:24], v[23:24], -v[25:26]
.LBB91_14:                              ;   in Loop: Header=BB91_4 Depth=1
	s_andn2_saveexec_b64 s[0:1], s[2:3]
	s_cbranch_execz .LBB91_16
; %bb.15:                               ;   in Loop: Header=BB91_4 Depth=1
	v_mul_f64 v[21:22], |v[1:2]|, s[38:39]
	s_mov_b32 s34, s40
	v_rndne_f64_e32 v[25:26], v[21:22]
	v_fma_f64 v[21:22], v[25:26], s[30:31], |v[1:2]|
	v_mul_f64 v[23:24], v[25:26], s[40:41]
	v_fma_f64 v[39:40], v[25:26], s[40:41], v[21:22]
	v_add_f64 v[27:28], v[21:22], v[23:24]
	v_add_f64 v[29:30], v[21:22], -v[27:28]
	v_add_f64 v[27:28], v[27:28], -v[39:40]
	v_add_f64 v[21:22], v[29:30], v[23:24]
	v_fma_f64 v[23:24], v[25:26], s[34:35], v[23:24]
	v_add_f64 v[21:22], v[27:28], v[21:22]
	v_add_f64 v[21:22], v[21:22], -v[23:24]
	v_fma_f64 v[23:24], v[25:26], s[42:43], v[21:22]
	v_add_f64 v[21:22], v[39:40], v[23:24]
	v_add_f64 v[27:28], v[21:22], -v[39:40]
	v_cvt_i32_f64_e32 v39, v[25:26]
	v_add_f64 v[23:24], v[23:24], -v[27:28]
.LBB91_16:                              ;   in Loop: Header=BB91_4 Depth=1
	s_or_b64 exec, exec, s[0:1]
	v_cmp_nlt_f64_e64 s[0:1], |v[3:4]|, s[22:23]
                                        ; implicit-def: $vgpr40
                                        ; implicit-def: $vgpr27_vgpr28
                                        ; implicit-def: $vgpr25_vgpr26
	s_and_saveexec_b64 s[2:3], s[0:1]
	s_xor_b64 s[2:3], exec, s[2:3]
	s_cbranch_execz .LBB91_18
; %bb.17:                               ;   in Loop: Header=BB91_4 Depth=1
	v_trig_preop_f64 v[25:26], |v[3:4]|, 0
	v_cmp_ge_f64_e64 vcc, |v[3:4]|, s[24:25]
	v_ldexp_f64 v[29:30], |v[3:4]|, s73
	v_trig_preop_f64 v[27:28], |v[3:4]|, 1
	v_and_b32_e32 v10, 0x7fffffff, v4
	s_mov_b32 s28, s30
	s_mov_b32 s37, s35
	v_cndmask_b32_e32 v30, v10, v30, vcc
	v_cndmask_b32_e32 v29, v3, v29, vcc
	v_mul_f64 v[42:43], v[25:26], v[29:30]
	v_mul_f64 v[40:41], v[27:28], v[29:30]
	v_fma_f64 v[25:26], v[25:26], v[29:30], -v[42:43]
	v_fma_f64 v[27:28], v[27:28], v[29:30], -v[40:41]
	v_add_f64 v[44:45], v[40:41], v[25:26]
	v_add_f64 v[52:53], v[44:45], -v[40:41]
	v_add_f64 v[46:47], v[42:43], v[44:45]
	v_add_f64 v[25:26], v[25:26], -v[52:53]
	v_add_f64 v[52:53], v[44:45], -v[52:53]
	v_ldexp_f64 v[48:49], v[46:47], -2
	v_add_f64 v[42:43], v[46:47], -v[42:43]
	v_add_f64 v[52:53], v[40:41], -v[52:53]
	v_trig_preop_f64 v[40:41], |v[3:4]|, 2
	v_fract_f64_e32 v[50:51], v[48:49]
	v_add_f64 v[42:43], v[44:45], -v[42:43]
	v_cmp_neq_f64_e64 vcc, |v[48:49]|, s[26:27]
	v_add_f64 v[25:26], v[25:26], v[52:53]
	v_mul_f64 v[52:53], v[40:41], v[29:30]
	v_add_f64 v[54:55], v[52:53], v[27:28]
	v_add_f64 v[56:57], v[54:55], v[25:26]
	v_add_f64 v[46:47], v[56:57], -v[54:55]
	v_add_f64 v[44:45], v[42:43], v[56:57]
	v_add_f64 v[25:26], v[25:26], -v[46:47]
	v_add_f64 v[46:47], v[56:57], -v[46:47]
	v_add_f64 v[42:43], v[44:45], -v[42:43]
	v_add_f64 v[46:47], v[54:55], -v[46:47]
	v_add_f64 v[42:43], v[56:57], -v[42:43]
	v_add_f64 v[25:26], v[25:26], v[46:47]
	v_add_f64 v[46:47], v[54:55], -v[52:53]
	v_add_f64 v[27:28], v[27:28], -v[46:47]
	;; [unrolled: 1-line block ×4, first 2 shown]
	v_add_f64 v[27:28], v[27:28], v[46:47]
	v_add_f64 v[25:26], v[27:28], v[25:26]
	v_fma_f64 v[27:28], v[40:41], v[29:30], -v[52:53]
	v_add_f64 v[25:26], v[27:28], v[25:26]
	v_ldexp_f64 v[27:28], v[50:51], 2
	v_add_f64 v[25:26], v[42:43], v[25:26]
	v_cndmask_b32_e32 v28, 0, v28, vcc
	v_cndmask_b32_e32 v27, 0, v27, vcc
	v_add_f64 v[29:30], v[44:45], v[27:28]
	v_cmp_gt_f64_e32 vcc, 0, v[29:30]
	v_cndmask_b32_e32 v10, 0, v34, vcc
	v_add_f64 v[27:28], v[27:28], v[9:10]
	v_add_f64 v[29:30], v[44:45], v[27:28]
	v_cvt_i32_f64_e32 v10, v[29:30]
	v_cvt_f64_i32_e32 v[29:30], v10
	v_add_f64 v[27:28], v[27:28], -v[29:30]
	v_add_f64 v[29:30], v[44:45], v[27:28]
	v_add_f64 v[27:28], v[29:30], -v[27:28]
	v_cmp_le_f64_e32 vcc, 0.5, v[29:30]
	v_add_f64 v[27:28], v[44:45], -v[27:28]
	v_addc_co_u32_e64 v40, s[0:1], 0, v10, vcc
	v_cndmask_b32_e32 v10, 0, v35, vcc
	v_add_f64 v[25:26], v[25:26], v[27:28]
	v_add_f64 v[27:28], v[29:30], -v[9:10]
	v_add_f64 v[29:30], v[27:28], v[25:26]
	v_add_f64 v[27:28], v[29:30], -v[27:28]
	v_mul_f64 v[41:42], v[29:30], s[28:29]
	v_add_f64 v[25:26], v[25:26], -v[27:28]
	v_fma_f64 v[27:28], v[29:30], s[28:29], -v[41:42]
	v_fma_f64 v[27:28], v[29:30], s[36:37], v[27:28]
	v_fma_f64 v[25:26], v[25:26], s[28:29], v[27:28]
	v_add_f64 v[27:28], v[41:42], v[25:26]
	v_add_f64 v[29:30], v[27:28], -v[41:42]
	v_add_f64 v[25:26], v[25:26], -v[29:30]
.LBB91_18:                              ;   in Loop: Header=BB91_4 Depth=1
	s_andn2_saveexec_b64 s[0:1], s[2:3]
	s_cbranch_execz .LBB91_3
; %bb.19:                               ;   in Loop: Header=BB91_4 Depth=1
	v_mul_f64 v[25:26], |v[3:4]|, s[38:39]
	s_mov_b32 s34, s40
	v_rndne_f64_e32 v[29:30], v[25:26]
	v_fma_f64 v[25:26], v[29:30], s[30:31], |v[3:4]|
	v_mul_f64 v[27:28], v[29:30], s[40:41]
	v_add_f64 v[40:41], v[25:26], v[27:28]
	v_add_f64 v[42:43], v[25:26], -v[40:41]
	v_fma_f64 v[25:26], v[29:30], s[40:41], v[25:26]
	v_add_f64 v[42:43], v[42:43], v[27:28]
	v_add_f64 v[40:41], v[40:41], -v[25:26]
	v_fma_f64 v[27:28], v[29:30], s[34:35], v[27:28]
	;; [unrolled: 3-line block ×3, first 2 shown]
	v_add_f64 v[27:28], v[25:26], v[40:41]
	v_add_f64 v[25:26], v[27:28], -v[25:26]
	v_add_f64 v[25:26], v[40:41], -v[25:26]
	v_cvt_i32_f64_e32 v40, v[29:30]
	s_branch .LBB91_3
.LBB91_20:
	s_or_b64 exec, exec, s[18:19]
	s_mov_b64 s[0:1], 0
.LBB91_21:
	s_andn2_b64 vcc, exec, s[0:1]
	s_cbranch_vccnz .LBB91_57
; %bb.22:
	v_cmp_lt_i64_e64 s[0:1], s[14:15], 1
	s_and_b64 vcc, exec, s[0:1]
	s_cbranch_vccnz .LBB91_57
; %bb.23:
	v_mov_b32_e32 v2, 0x10000
	s_load_dword s2, s[4:5], 0xc5c
	v_mov_b32_e32 v3, 0
	v_cmp_lt_i64_e32 vcc, s[14:15], v[2:3]
	v_mov_b32_e32 v1, 0
	s_and_b64 s[0:1], vcc, exec
	v_cmp_lt_u64_e32 vcc, s[14:15], v[2:3]
	s_cselect_b32 s17, s15, 0
	s_cselect_b32 s16, s14, 0x10000
	s_waitcnt lgkmcnt(0)
	s_and_b32 s2, s2, 0xffff
	v_lshlrev_b32_e32 v2, 3, v0
	s_and_b64 s[0:1], vcc, exec
	v_mov_b32_e32 v3, v1
	v_mov_b32_e32 v4, s13
	v_add_co_u32_e32 v29, vcc, s12, v2
	v_addc_co_u32_e32 v30, vcc, 0, v4, vcc
	v_mad_u64_u32 v[3:4], s[0:1], s2, 24, v[2:3]
	v_mov_b32_e32 v5, s9
	v_add_co_u32_e32 v31, vcc, s8, v2
	v_addc_co_u32_e32 v32, vcc, 0, v5, vcc
	v_mov_b32_e32 v5, s13
	v_add_co_u32_e32 v33, vcc, s12, v3
	v_addc_co_u32_e32 v34, vcc, v5, v4, vcc
	v_mov_b32_e32 v5, s9
	v_add_co_u32_e32 v35, vcc, s8, v3
	s_cselect_b32 s15, s15, 0
	s_cselect_b32 s14, s14, 0x10000
	v_addc_co_u32_e32 v36, vcc, v5, v4, vcc
	s_lshl_b32 s0, s2, 4
	v_add_co_u32_e32 v2, vcc, s0, v2
	v_addc_co_u32_e64 v3, s[0:1], 0, 0, vcc
	v_mov_b32_e32 v4, s13
	v_add_co_u32_e32 v37, vcc, s12, v2
	v_addc_co_u32_e32 v38, vcc, v4, v3, vcc
	v_mov_b32_e32 v4, s9
	v_add_co_u32_e32 v39, vcc, s8, v2
	v_addc_co_u32_e32 v40, vcc, v4, v3, vcc
	v_add_co_u32_e32 v41, vcc, s2, v0
	v_lshlrev_b32_e32 v2, 3, v41
	v_addc_co_u32_e64 v42, s[0:1], 0, 0, vcc
	v_mov_b32_e32 v3, s13
	v_add_co_u32_e32 v43, vcc, s12, v2
	v_addc_co_u32_e32 v44, vcc, 0, v3, vcc
	v_mov_b32_e32 v3, s9
	v_add_co_u32_e32 v45, vcc, s8, v2
	s_mul_i32 s4, s2, 3
	v_addc_co_u32_e32 v46, vcc, 0, v3, vcc
	s_lshl_b32 s3, s2, 1
	v_add_co_u32_e32 v47, vcc, s4, v0
	s_mov_b32 s18, 0
	s_mov_b32 s20, 0
	;; [unrolled: 1-line block ×20, first 2 shown]
	v_addc_co_u32_e64 v48, s[0:1], 0, 0, vcc
	v_add_co_u32_e32 v49, vcc, s3, v0
	s_lshl_b32 s33, s2, 2
	s_lshl_b32 s68, s2, 5
	s_mov_b64 s[12:13], 0
	s_mov_b32 s19, 0x41d00000
	s_mov_b32 s21, 0x7b000000
	s_movk_i32 s69, 0xff80
	s_mov_b32 s23, 0x7ff00000
	s_mov_b32 s25, 0x3ff921fb
	;; [unrolled: 1-line block ×21, first 2 shown]
	s_movk_i32 s70, 0x1f8
	v_mov_b32_e32 v3, 0xa9a29f71
	v_mov_b32_e32 v4, 0xbf078809
	v_addc_co_u32_e64 v50, s[0:1], 0, 0, vcc
	v_mov_b32_e32 v51, 0x40100000
	v_mov_b32_e32 v52, 0x3ff00000
	v_mov_b32_e32 v53, 0x7ff80000
	s_branch .LBB91_25
.LBB91_24:                              ;   in Loop: Header=BB91_25 Depth=1
	s_or_b64 exec, exec, s[2:3]
	v_add_co_u32_e32 v29, vcc, s68, v29
	v_addc_co_u32_e32 v30, vcc, 0, v30, vcc
	v_add_co_u32_e32 v31, vcc, s68, v31
	v_addc_co_u32_e32 v32, vcc, 0, v32, vcc
	;; [unrolled: 2-line block ×6, first 2 shown]
	s_add_u32 s12, s12, s33
	v_add_co_u32_e32 v43, vcc, s68, v43
	v_mov_b32_e32 v5, s16
	s_addc_u32 s13, s13, 0
	v_addc_co_u32_e32 v44, vcc, 0, v44, vcc
	v_mov_b32_e32 v6, s17
	v_cmp_ge_i64_e32 vcc, s[12:13], v[5:6]
	v_add_co_u32_e64 v45, s[0:1], s68, v45
	v_addc_co_u32_e64 v46, s[0:1], 0, v46, s[0:1]
	s_cbranch_vccnz .LBB91_57
.LBB91_25:                              ; =>This Inner Loop Header: Depth=1
	v_mov_b32_e32 v2, s13
	v_add_co_u32_e32 v5, vcc, s12, v0
	v_addc_co_u32_e32 v6, vcc, 0, v2, vcc
	v_cmp_gt_u64_e64 s[4:5], s[14:15], v[5:6]
	v_mov_b32_e32 v11, 0
	v_mov_b32_e32 v12, 0
	s_and_saveexec_b64 s[0:1], s[4:5]
	s_cbranch_execz .LBB91_27
; %bb.26:                               ;   in Loop: Header=BB91_25 Depth=1
	v_mov_b32_e32 v2, s11
	v_add_co_u32_e32 v5, vcc, s10, v29
	v_addc_co_u32_e32 v6, vcc, v30, v2, vcc
	global_load_dwordx2 v[11:12], v[5:6], off
.LBB91_27:                              ;   in Loop: Header=BB91_25 Depth=1
	s_or_b64 exec, exec, s[0:1]
	v_mov_b32_e32 v2, s13
	v_add_co_u32_e32 v5, vcc, s12, v41
	v_addc_co_u32_e32 v6, vcc, v42, v2, vcc
	v_cmp_gt_u64_e64 s[2:3], s[14:15], v[5:6]
	v_mov_b32_e32 v7, 0
	v_mov_b32_e32 v9, 0
	;; [unrolled: 1-line block ×3, first 2 shown]
	s_and_saveexec_b64 s[0:1], s[2:3]
	s_cbranch_execz .LBB91_29
; %bb.28:                               ;   in Loop: Header=BB91_25 Depth=1
	v_mov_b32_e32 v2, s11
	v_add_co_u32_e32 v5, vcc, s10, v43
	v_addc_co_u32_e32 v6, vcc, v44, v2, vcc
	global_load_dwordx2 v[9:10], v[5:6], off
.LBB91_29:                              ;   in Loop: Header=BB91_25 Depth=1
	s_or_b64 exec, exec, s[0:1]
	v_mov_b32_e32 v2, s13
	v_add_co_u32_e32 v5, vcc, s12, v49
	v_addc_co_u32_e32 v6, vcc, v50, v2, vcc
	v_cmp_gt_u64_e64 s[0:1], s[14:15], v[5:6]
	v_mov_b32_e32 v8, 0
	s_and_saveexec_b64 s[6:7], s[0:1]
	s_cbranch_execz .LBB91_31
; %bb.30:                               ;   in Loop: Header=BB91_25 Depth=1
	v_mov_b32_e32 v2, s11
	v_add_co_u32_e32 v5, vcc, s10, v37
	v_addc_co_u32_e32 v6, vcc, v38, v2, vcc
	global_load_dwordx2 v[7:8], v[5:6], off
.LBB91_31:                              ;   in Loop: Header=BB91_25 Depth=1
	s_or_b64 exec, exec, s[6:7]
	v_mov_b32_e32 v2, s13
	v_add_co_u32_e32 v5, vcc, s12, v47
	v_addc_co_u32_e32 v6, vcc, v48, v2, vcc
	v_cmp_gt_u64_e32 vcc, s[14:15], v[5:6]
	v_mov_b32_e32 v5, 0
	v_mov_b32_e32 v6, 0
	s_and_saveexec_b64 s[8:9], vcc
	s_cbranch_execz .LBB91_33
; %bb.32:                               ;   in Loop: Header=BB91_25 Depth=1
	v_mov_b32_e32 v2, s11
	v_add_co_u32_e64 v5, s[6:7], s10, v33
	v_addc_co_u32_e64 v6, s[6:7], v34, v2, s[6:7]
	global_load_dwordx2 v[5:6], v[5:6], off
.LBB91_33:                              ;   in Loop: Header=BB91_25 Depth=1
	s_or_b64 exec, exec, s[8:9]
	s_waitcnt vmcnt(0)
	v_cmp_nlt_f64_e64 s[6:7], |v[11:12]|, s[18:19]
                                        ; implicit-def: $vgpr54
                                        ; implicit-def: $vgpr13_vgpr14
                                        ; implicit-def: $vgpr15_vgpr16
	s_and_saveexec_b64 s[8:9], s[6:7]
	s_xor_b64 s[66:67], exec, s[8:9]
	s_cbranch_execz .LBB91_35
; %bb.34:                               ;   in Loop: Header=BB91_25 Depth=1
	v_trig_preop_f64 v[13:14], |v[11:12]|, 0
	v_ldexp_f64 v[17:18], |v[11:12]|, s69
	v_cmp_ge_f64_e64 s[6:7], |v[11:12]|, s[20:21]
	v_trig_preop_f64 v[15:16], |v[11:12]|, 1
	v_and_b32_e32 v2, 0x7fffffff, v12
	v_trig_preop_f64 v[25:26], |v[11:12]|, 2
	s_mov_b32 s24, s26
	s_mov_b32 s31, s29
	v_cndmask_b32_e64 v18, v2, v18, s[6:7]
	v_cndmask_b32_e64 v17, v11, v17, s[6:7]
	v_mul_f64 v[19:20], v[13:14], v[17:18]
	v_mul_f64 v[21:22], v[15:16], v[17:18]
	;; [unrolled: 1-line block ×3, first 2 shown]
	v_fma_f64 v[13:14], v[13:14], v[17:18], -v[19:20]
	v_fma_f64 v[15:16], v[15:16], v[17:18], -v[21:22]
	;; [unrolled: 1-line block ×3, first 2 shown]
	v_add_f64 v[23:24], v[21:22], v[13:14]
	v_add_f64 v[27:28], v[23:24], -v[21:22]
	v_add_f64 v[58:59], v[19:20], v[23:24]
	v_add_f64 v[54:55], v[23:24], -v[27:28]
	v_add_f64 v[13:14], v[13:14], -v[27:28]
	v_add_f64 v[27:28], v[56:57], v[15:16]
	v_add_f64 v[19:20], v[58:59], -v[19:20]
	v_add_f64 v[21:22], v[21:22], -v[54:55]
	v_ldexp_f64 v[54:55], v[58:59], -2
	v_add_f64 v[60:61], v[27:28], -v[56:57]
	v_add_f64 v[19:20], v[23:24], -v[19:20]
	v_add_f64 v[13:14], v[13:14], v[21:22]
	v_fract_f64_e32 v[21:22], v[54:55]
	v_cmp_neq_f64_e64 s[6:7], |v[54:55]|, s[22:23]
	v_add_f64 v[15:16], v[15:16], -v[60:61]
	v_add_f64 v[23:24], v[27:28], v[13:14]
	v_ldexp_f64 v[21:22], v[21:22], 2
	v_add_f64 v[54:55], v[19:20], v[23:24]
	v_cndmask_b32_e64 v22, 0, v22, s[6:7]
	v_cndmask_b32_e64 v21, 0, v21, s[6:7]
	v_add_f64 v[62:63], v[23:24], -v[27:28]
	v_add_f64 v[58:59], v[54:55], v[21:22]
	v_add_f64 v[19:20], v[54:55], -v[19:20]
	v_add_f64 v[64:65], v[23:24], -v[62:63]
	;; [unrolled: 1-line block ×3, first 2 shown]
	v_cmp_gt_f64_e64 s[6:7], 0, v[58:59]
	v_add_f64 v[58:59], v[27:28], -v[60:61]
	v_add_f64 v[19:20], v[23:24], -v[19:20]
	;; [unrolled: 1-line block ×3, first 2 shown]
	v_cndmask_b32_e64 v2, 0, v51, s[6:7]
	v_add_f64 v[21:22], v[21:22], v[1:2]
	v_add_f64 v[58:59], v[56:57], -v[58:59]
	v_add_f64 v[13:14], v[13:14], v[27:28]
	v_add_f64 v[66:67], v[54:55], v[21:22]
	;; [unrolled: 1-line block ×3, first 2 shown]
	v_cvt_i32_f64_e32 v2, v[66:67]
	v_add_f64 v[13:14], v[15:16], v[13:14]
	v_cvt_f64_i32_e32 v[60:61], v2
	v_add_f64 v[21:22], v[21:22], -v[60:61]
	v_add_f64 v[13:14], v[17:18], v[13:14]
	v_add_f64 v[15:16], v[54:55], v[21:22]
	v_add_f64 v[13:14], v[19:20], v[13:14]
	v_add_f64 v[17:18], v[15:16], -v[21:22]
	v_cmp_le_f64_e64 s[6:7], 0.5, v[15:16]
	v_add_f64 v[17:18], v[54:55], -v[17:18]
	v_addc_co_u32_e64 v54, s[8:9], 0, v2, s[6:7]
	v_cndmask_b32_e64 v2, 0, v52, s[6:7]
	v_add_f64 v[15:16], v[15:16], -v[1:2]
	v_add_f64 v[13:14], v[13:14], v[17:18]
	v_add_f64 v[17:18], v[15:16], v[13:14]
	v_mul_f64 v[19:20], v[17:18], s[24:25]
	v_add_f64 v[15:16], v[17:18], -v[15:16]
	v_fma_f64 v[21:22], v[17:18], s[24:25], -v[19:20]
	v_add_f64 v[13:14], v[13:14], -v[15:16]
	v_fma_f64 v[15:16], v[17:18], s[30:31], v[21:22]
	v_fma_f64 v[15:16], v[13:14], s[24:25], v[15:16]
	v_add_f64 v[13:14], v[19:20], v[15:16]
	v_add_f64 v[17:18], v[13:14], -v[19:20]
	v_add_f64 v[15:16], v[15:16], -v[17:18]
.LBB91_35:                              ;   in Loop: Header=BB91_25 Depth=1
	s_andn2_saveexec_b64 s[6:7], s[66:67]
	s_cbranch_execz .LBB91_37
; %bb.36:                               ;   in Loop: Header=BB91_25 Depth=1
	v_mul_f64 v[13:14], |v[11:12]|, s[34:35]
	s_mov_b32 s28, s36
	v_rndne_f64_e32 v[17:18], v[13:14]
	v_fma_f64 v[13:14], v[17:18], s[26:27], |v[11:12]|
	v_mul_f64 v[15:16], v[17:18], s[36:37]
	v_cvt_i32_f64_e32 v54, v[17:18]
	v_fma_f64 v[23:24], v[17:18], s[36:37], v[13:14]
	v_add_f64 v[19:20], v[13:14], v[15:16]
	v_add_f64 v[21:22], v[13:14], -v[19:20]
	v_add_f64 v[19:20], v[19:20], -v[23:24]
	v_add_f64 v[13:14], v[21:22], v[15:16]
	v_fma_f64 v[15:16], v[17:18], s[28:29], v[15:16]
	v_add_f64 v[13:14], v[19:20], v[13:14]
	v_add_f64 v[13:14], v[13:14], -v[15:16]
	v_fma_f64 v[15:16], v[17:18], s[38:39], v[13:14]
	v_add_f64 v[13:14], v[23:24], v[15:16]
	v_add_f64 v[19:20], v[13:14], -v[23:24]
	v_add_f64 v[15:16], v[15:16], -v[19:20]
.LBB91_37:                              ;   in Loop: Header=BB91_25 Depth=1
	s_or_b64 exec, exec, s[6:7]
	v_cmp_nlt_f64_e64 s[6:7], |v[9:10]|, s[18:19]
                                        ; implicit-def: $vgpr55
                                        ; implicit-def: $vgpr17_vgpr18
                                        ; implicit-def: $vgpr19_vgpr20
	s_and_saveexec_b64 s[8:9], s[6:7]
	s_xor_b64 s[66:67], exec, s[8:9]
	s_cbranch_execz .LBB91_39
; %bb.38:                               ;   in Loop: Header=BB91_25 Depth=1
	v_trig_preop_f64 v[17:18], |v[9:10]|, 0
	v_ldexp_f64 v[21:22], |v[9:10]|, s69
	v_cmp_ge_f64_e64 s[6:7], |v[9:10]|, s[20:21]
	v_trig_preop_f64 v[19:20], |v[9:10]|, 1
	v_and_b32_e32 v2, 0x7fffffff, v10
	v_trig_preop_f64 v[55:56], |v[9:10]|, 2
	s_mov_b32 s24, s26
	s_mov_b32 s31, s29
	v_cndmask_b32_e64 v22, v2, v22, s[6:7]
	v_cndmask_b32_e64 v21, v9, v21, s[6:7]
	v_mul_f64 v[23:24], v[17:18], v[21:22]
	v_mul_f64 v[25:26], v[19:20], v[21:22]
	;; [unrolled: 1-line block ×3, first 2 shown]
	v_fma_f64 v[17:18], v[17:18], v[21:22], -v[23:24]
	v_fma_f64 v[19:20], v[19:20], v[21:22], -v[25:26]
	;; [unrolled: 1-line block ×3, first 2 shown]
	v_add_f64 v[27:28], v[25:26], v[17:18]
	v_add_f64 v[57:58], v[27:28], -v[25:26]
	v_add_f64 v[63:64], v[23:24], v[27:28]
	v_add_f64 v[59:60], v[27:28], -v[57:58]
	v_add_f64 v[17:18], v[17:18], -v[57:58]
	v_add_f64 v[57:58], v[61:62], v[19:20]
	v_add_f64 v[23:24], v[63:64], -v[23:24]
	v_add_f64 v[25:26], v[25:26], -v[59:60]
	v_ldexp_f64 v[59:60], v[63:64], -2
	v_add_f64 v[65:66], v[57:58], -v[61:62]
	v_add_f64 v[23:24], v[27:28], -v[23:24]
	v_add_f64 v[17:18], v[17:18], v[25:26]
	v_fract_f64_e32 v[25:26], v[59:60]
	v_cmp_neq_f64_e64 s[6:7], |v[59:60]|, s[22:23]
	v_add_f64 v[19:20], v[19:20], -v[65:66]
	v_add_f64 v[27:28], v[57:58], v[17:18]
	v_ldexp_f64 v[25:26], v[25:26], 2
	v_add_f64 v[59:60], v[23:24], v[27:28]
	v_cndmask_b32_e64 v26, 0, v26, s[6:7]
	v_cndmask_b32_e64 v25, 0, v25, s[6:7]
	v_add_f64 v[67:68], v[27:28], -v[57:58]
	v_add_f64 v[63:64], v[59:60], v[25:26]
	v_add_f64 v[23:24], v[59:60], -v[23:24]
	v_add_f64 v[69:70], v[27:28], -v[67:68]
	;; [unrolled: 1-line block ×3, first 2 shown]
	v_cmp_gt_f64_e64 s[6:7], 0, v[63:64]
	v_add_f64 v[63:64], v[57:58], -v[65:66]
	v_add_f64 v[23:24], v[27:28], -v[23:24]
	;; [unrolled: 1-line block ×3, first 2 shown]
	v_cndmask_b32_e64 v2, 0, v51, s[6:7]
	v_add_f64 v[25:26], v[25:26], v[1:2]
	v_add_f64 v[63:64], v[61:62], -v[63:64]
	v_add_f64 v[17:18], v[17:18], v[57:58]
	v_add_f64 v[71:72], v[59:60], v[25:26]
	;; [unrolled: 1-line block ×3, first 2 shown]
	v_cvt_i32_f64_e32 v2, v[71:72]
	v_add_f64 v[17:18], v[19:20], v[17:18]
	v_cvt_f64_i32_e32 v[65:66], v2
	v_add_f64 v[25:26], v[25:26], -v[65:66]
	v_add_f64 v[17:18], v[21:22], v[17:18]
	v_add_f64 v[19:20], v[59:60], v[25:26]
	;; [unrolled: 1-line block ×3, first 2 shown]
	v_add_f64 v[21:22], v[19:20], -v[25:26]
	v_cmp_le_f64_e64 s[6:7], 0.5, v[19:20]
	v_add_f64 v[21:22], v[59:60], -v[21:22]
	v_addc_co_u32_e64 v55, s[8:9], 0, v2, s[6:7]
	v_cndmask_b32_e64 v2, 0, v52, s[6:7]
	v_add_f64 v[19:20], v[19:20], -v[1:2]
	v_add_f64 v[17:18], v[17:18], v[21:22]
	v_add_f64 v[21:22], v[19:20], v[17:18]
	v_mul_f64 v[23:24], v[21:22], s[24:25]
	v_add_f64 v[19:20], v[21:22], -v[19:20]
	v_fma_f64 v[25:26], v[21:22], s[24:25], -v[23:24]
	v_add_f64 v[17:18], v[17:18], -v[19:20]
	v_fma_f64 v[19:20], v[21:22], s[30:31], v[25:26]
	v_fma_f64 v[19:20], v[17:18], s[24:25], v[19:20]
	v_add_f64 v[17:18], v[23:24], v[19:20]
	v_add_f64 v[21:22], v[17:18], -v[23:24]
	v_add_f64 v[19:20], v[19:20], -v[21:22]
.LBB91_39:                              ;   in Loop: Header=BB91_25 Depth=1
	s_andn2_saveexec_b64 s[6:7], s[66:67]
	s_cbranch_execz .LBB91_41
; %bb.40:                               ;   in Loop: Header=BB91_25 Depth=1
	v_mul_f64 v[17:18], |v[9:10]|, s[34:35]
	s_mov_b32 s28, s36
	v_rndne_f64_e32 v[21:22], v[17:18]
	v_fma_f64 v[17:18], v[21:22], s[26:27], |v[9:10]|
	v_mul_f64 v[19:20], v[21:22], s[36:37]
	v_cvt_i32_f64_e32 v55, v[21:22]
	v_fma_f64 v[27:28], v[21:22], s[36:37], v[17:18]
	v_add_f64 v[23:24], v[17:18], v[19:20]
	v_add_f64 v[25:26], v[17:18], -v[23:24]
	v_add_f64 v[23:24], v[23:24], -v[27:28]
	v_add_f64 v[17:18], v[25:26], v[19:20]
	v_fma_f64 v[19:20], v[21:22], s[28:29], v[19:20]
	v_add_f64 v[17:18], v[23:24], v[17:18]
	v_add_f64 v[17:18], v[17:18], -v[19:20]
	v_fma_f64 v[19:20], v[21:22], s[38:39], v[17:18]
	v_add_f64 v[17:18], v[27:28], v[19:20]
	v_add_f64 v[23:24], v[17:18], -v[27:28]
	v_add_f64 v[19:20], v[19:20], -v[23:24]
.LBB91_41:                              ;   in Loop: Header=BB91_25 Depth=1
	s_or_b64 exec, exec, s[6:7]
	v_cmp_nlt_f64_e64 s[6:7], |v[7:8]|, s[18:19]
                                        ; implicit-def: $vgpr56
                                        ; implicit-def: $vgpr21_vgpr22
                                        ; implicit-def: $vgpr23_vgpr24
	s_and_saveexec_b64 s[8:9], s[6:7]
	s_xor_b64 s[66:67], exec, s[8:9]
	s_cbranch_execz .LBB91_43
; %bb.42:                               ;   in Loop: Header=BB91_25 Depth=1
	v_trig_preop_f64 v[21:22], |v[7:8]|, 0
	v_ldexp_f64 v[25:26], |v[7:8]|, s69
	v_cmp_ge_f64_e64 s[6:7], |v[7:8]|, s[20:21]
	v_trig_preop_f64 v[23:24], |v[7:8]|, 1
	v_and_b32_e32 v2, 0x7fffffff, v8
	v_trig_preop_f64 v[60:61], |v[7:8]|, 2
	s_mov_b32 s24, s26
	s_mov_b32 s31, s29
	v_cndmask_b32_e64 v26, v2, v26, s[6:7]
	v_cndmask_b32_e64 v25, v7, v25, s[6:7]
	v_mul_f64 v[27:28], v[21:22], v[25:26]
	v_mul_f64 v[56:57], v[23:24], v[25:26]
	;; [unrolled: 1-line block ×3, first 2 shown]
	v_fma_f64 v[21:22], v[21:22], v[25:26], -v[27:28]
	v_fma_f64 v[23:24], v[23:24], v[25:26], -v[56:57]
	;; [unrolled: 1-line block ×3, first 2 shown]
	v_add_f64 v[58:59], v[56:57], v[21:22]
	v_add_f64 v[62:63], v[58:59], -v[56:57]
	v_add_f64 v[68:69], v[27:28], v[58:59]
	v_add_f64 v[64:65], v[58:59], -v[62:63]
	v_add_f64 v[21:22], v[21:22], -v[62:63]
	v_add_f64 v[62:63], v[66:67], v[23:24]
	v_add_f64 v[27:28], v[68:69], -v[27:28]
	v_add_f64 v[56:57], v[56:57], -v[64:65]
	v_ldexp_f64 v[64:65], v[68:69], -2
	v_add_f64 v[70:71], v[62:63], -v[66:67]
	v_add_f64 v[27:28], v[58:59], -v[27:28]
	v_add_f64 v[21:22], v[21:22], v[56:57]
	v_fract_f64_e32 v[56:57], v[64:65]
	v_cmp_neq_f64_e64 s[6:7], |v[64:65]|, s[22:23]
	v_add_f64 v[23:24], v[23:24], -v[70:71]
	v_add_f64 v[58:59], v[62:63], v[21:22]
	v_ldexp_f64 v[56:57], v[56:57], 2
	v_add_f64 v[64:65], v[27:28], v[58:59]
	v_cndmask_b32_e64 v57, 0, v57, s[6:7]
	v_cndmask_b32_e64 v56, 0, v56, s[6:7]
	v_add_f64 v[72:73], v[58:59], -v[62:63]
	v_add_f64 v[68:69], v[64:65], v[56:57]
	v_add_f64 v[27:28], v[64:65], -v[27:28]
	v_add_f64 v[74:75], v[58:59], -v[72:73]
	;; [unrolled: 1-line block ×3, first 2 shown]
	v_cmp_gt_f64_e64 s[6:7], 0, v[68:69]
	v_add_f64 v[68:69], v[62:63], -v[70:71]
	v_add_f64 v[27:28], v[58:59], -v[27:28]
	v_add_f64 v[62:63], v[62:63], -v[74:75]
	v_cndmask_b32_e64 v2, 0, v51, s[6:7]
	v_add_f64 v[56:57], v[56:57], v[1:2]
	v_add_f64 v[68:69], v[66:67], -v[68:69]
	v_add_f64 v[21:22], v[21:22], v[62:63]
	v_add_f64 v[76:77], v[64:65], v[56:57]
	;; [unrolled: 1-line block ×3, first 2 shown]
	v_cvt_i32_f64_e32 v2, v[76:77]
	v_add_f64 v[21:22], v[23:24], v[21:22]
	v_cvt_f64_i32_e32 v[70:71], v2
	v_add_f64 v[56:57], v[56:57], -v[70:71]
	v_add_f64 v[21:22], v[25:26], v[21:22]
	v_add_f64 v[23:24], v[64:65], v[56:57]
	;; [unrolled: 1-line block ×3, first 2 shown]
	v_add_f64 v[25:26], v[23:24], -v[56:57]
	v_cmp_le_f64_e64 s[6:7], 0.5, v[23:24]
	v_add_f64 v[25:26], v[64:65], -v[25:26]
	v_addc_co_u32_e64 v56, s[8:9], 0, v2, s[6:7]
	v_cndmask_b32_e64 v2, 0, v52, s[6:7]
	v_add_f64 v[23:24], v[23:24], -v[1:2]
	v_add_f64 v[21:22], v[21:22], v[25:26]
	v_add_f64 v[25:26], v[23:24], v[21:22]
	v_mul_f64 v[27:28], v[25:26], s[24:25]
	v_add_f64 v[23:24], v[25:26], -v[23:24]
	v_fma_f64 v[57:58], v[25:26], s[24:25], -v[27:28]
	v_add_f64 v[21:22], v[21:22], -v[23:24]
	v_fma_f64 v[23:24], v[25:26], s[30:31], v[57:58]
	v_fma_f64 v[23:24], v[21:22], s[24:25], v[23:24]
	v_add_f64 v[21:22], v[27:28], v[23:24]
	v_add_f64 v[25:26], v[21:22], -v[27:28]
	v_add_f64 v[23:24], v[23:24], -v[25:26]
.LBB91_43:                              ;   in Loop: Header=BB91_25 Depth=1
	s_andn2_saveexec_b64 s[6:7], s[66:67]
	s_cbranch_execz .LBB91_45
; %bb.44:                               ;   in Loop: Header=BB91_25 Depth=1
	v_mul_f64 v[21:22], |v[7:8]|, s[34:35]
	s_mov_b32 s28, s36
	v_rndne_f64_e32 v[25:26], v[21:22]
	v_fma_f64 v[21:22], v[25:26], s[26:27], |v[7:8]|
	v_mul_f64 v[23:24], v[25:26], s[36:37]
	v_fma_f64 v[58:59], v[25:26], s[36:37], v[21:22]
	v_add_f64 v[27:28], v[21:22], v[23:24]
	v_add_f64 v[56:57], v[21:22], -v[27:28]
	v_add_f64 v[27:28], v[27:28], -v[58:59]
	v_add_f64 v[21:22], v[56:57], v[23:24]
	v_fma_f64 v[23:24], v[25:26], s[28:29], v[23:24]
	v_cvt_i32_f64_e32 v56, v[25:26]
	v_add_f64 v[21:22], v[27:28], v[21:22]
	v_add_f64 v[21:22], v[21:22], -v[23:24]
	v_fma_f64 v[23:24], v[25:26], s[38:39], v[21:22]
	v_add_f64 v[21:22], v[58:59], v[23:24]
	v_add_f64 v[27:28], v[21:22], -v[58:59]
	v_add_f64 v[23:24], v[23:24], -v[27:28]
.LBB91_45:                              ;   in Loop: Header=BB91_25 Depth=1
	s_or_b64 exec, exec, s[6:7]
	v_cmp_nlt_f64_e64 s[6:7], |v[5:6]|, s[18:19]
                                        ; implicit-def: $vgpr57
                                        ; implicit-def: $vgpr25_vgpr26
                                        ; implicit-def: $vgpr27_vgpr28
	s_and_saveexec_b64 s[8:9], s[6:7]
	s_xor_b64 s[66:67], exec, s[8:9]
	s_cbranch_execnz .LBB91_51
; %bb.46:                               ;   in Loop: Header=BB91_25 Depth=1
	s_andn2_saveexec_b64 s[6:7], s[66:67]
	s_cbranch_execnz .LBB91_52
.LBB91_47:                              ;   in Loop: Header=BB91_25 Depth=1
	s_or_b64 exec, exec, s[6:7]
	s_and_saveexec_b64 s[6:7], s[4:5]
	s_xor_b64 s[66:67], exec, s[6:7]
	s_cbranch_execnz .LBB91_53
.LBB91_48:                              ;   in Loop: Header=BB91_25 Depth=1
	s_or_b64 exec, exec, s[66:67]
	s_and_saveexec_b64 s[6:7], s[2:3]
	s_cbranch_execnz .LBB91_54
.LBB91_49:                              ;   in Loop: Header=BB91_25 Depth=1
	s_or_b64 exec, exec, s[6:7]
	s_and_saveexec_b64 s[4:5], s[0:1]
	s_cbranch_execnz .LBB91_55
.LBB91_50:                              ;   in Loop: Header=BB91_25 Depth=1
	s_or_b64 exec, exec, s[4:5]
	s_and_saveexec_b64 s[2:3], vcc
	s_cbranch_execz .LBB91_24
	s_branch .LBB91_56
.LBB91_51:                              ;   in Loop: Header=BB91_25 Depth=1
	v_trig_preop_f64 v[25:26], |v[5:6]|, 0
	v_ldexp_f64 v[57:58], |v[5:6]|, s69
	v_cmp_ge_f64_e64 s[6:7], |v[5:6]|, s[20:21]
	v_trig_preop_f64 v[27:28], |v[5:6]|, 1
	v_and_b32_e32 v2, 0x7fffffff, v6
	v_trig_preop_f64 v[65:66], |v[5:6]|, 2
	s_mov_b32 s24, s26
	s_mov_b32 s31, s29
	v_cndmask_b32_e64 v58, v2, v58, s[6:7]
	v_cndmask_b32_e64 v57, v5, v57, s[6:7]
	v_mul_f64 v[59:60], v[25:26], v[57:58]
	v_mul_f64 v[61:62], v[27:28], v[57:58]
	;; [unrolled: 1-line block ×3, first 2 shown]
	v_fma_f64 v[25:26], v[25:26], v[57:58], -v[59:60]
	v_fma_f64 v[27:28], v[27:28], v[57:58], -v[61:62]
	;; [unrolled: 1-line block ×3, first 2 shown]
	v_add_f64 v[63:64], v[61:62], v[25:26]
	v_add_f64 v[67:68], v[63:64], -v[61:62]
	v_add_f64 v[73:74], v[59:60], v[63:64]
	v_add_f64 v[69:70], v[63:64], -v[67:68]
	v_add_f64 v[25:26], v[25:26], -v[67:68]
	v_add_f64 v[67:68], v[71:72], v[27:28]
	v_add_f64 v[59:60], v[73:74], -v[59:60]
	v_add_f64 v[61:62], v[61:62], -v[69:70]
	v_ldexp_f64 v[69:70], v[73:74], -2
	v_add_f64 v[75:76], v[67:68], -v[71:72]
	v_add_f64 v[59:60], v[63:64], -v[59:60]
	v_add_f64 v[25:26], v[25:26], v[61:62]
	v_fract_f64_e32 v[61:62], v[69:70]
	v_cmp_neq_f64_e64 s[6:7], |v[69:70]|, s[22:23]
	v_add_f64 v[27:28], v[27:28], -v[75:76]
	v_add_f64 v[63:64], v[67:68], v[25:26]
	v_ldexp_f64 v[61:62], v[61:62], 2
	v_add_f64 v[69:70], v[59:60], v[63:64]
	v_cndmask_b32_e64 v62, 0, v62, s[6:7]
	v_cndmask_b32_e64 v61, 0, v61, s[6:7]
	v_add_f64 v[77:78], v[63:64], -v[67:68]
	v_add_f64 v[73:74], v[69:70], v[61:62]
	v_add_f64 v[59:60], v[69:70], -v[59:60]
	v_add_f64 v[79:80], v[63:64], -v[77:78]
	;; [unrolled: 1-line block ×3, first 2 shown]
	v_cmp_gt_f64_e64 s[6:7], 0, v[73:74]
	v_add_f64 v[73:74], v[67:68], -v[75:76]
	v_add_f64 v[59:60], v[63:64], -v[59:60]
	v_add_f64 v[67:68], v[67:68], -v[79:80]
	v_cndmask_b32_e64 v2, 0, v51, s[6:7]
	v_add_f64 v[61:62], v[61:62], v[1:2]
	v_add_f64 v[73:74], v[71:72], -v[73:74]
	v_add_f64 v[25:26], v[25:26], v[67:68]
	v_add_f64 v[81:82], v[69:70], v[61:62]
	;; [unrolled: 1-line block ×3, first 2 shown]
	v_cvt_i32_f64_e32 v2, v[81:82]
	v_add_f64 v[25:26], v[27:28], v[25:26]
	v_cvt_f64_i32_e32 v[75:76], v2
	v_add_f64 v[61:62], v[61:62], -v[75:76]
	v_add_f64 v[25:26], v[57:58], v[25:26]
	v_add_f64 v[27:28], v[69:70], v[61:62]
	;; [unrolled: 1-line block ×3, first 2 shown]
	v_add_f64 v[57:58], v[27:28], -v[61:62]
	v_cmp_le_f64_e64 s[6:7], 0.5, v[27:28]
	v_add_f64 v[58:59], v[69:70], -v[57:58]
	v_addc_co_u32_e64 v57, s[8:9], 0, v2, s[6:7]
	v_cndmask_b32_e64 v2, 0, v52, s[6:7]
	v_add_f64 v[27:28], v[27:28], -v[1:2]
	v_add_f64 v[25:26], v[25:26], v[58:59]
	v_add_f64 v[58:59], v[27:28], v[25:26]
	v_mul_f64 v[60:61], v[58:59], s[24:25]
	v_add_f64 v[27:28], v[58:59], -v[27:28]
	v_fma_f64 v[62:63], v[58:59], s[24:25], -v[60:61]
	v_add_f64 v[25:26], v[25:26], -v[27:28]
	v_fma_f64 v[27:28], v[58:59], s[30:31], v[62:63]
	v_fma_f64 v[27:28], v[25:26], s[24:25], v[27:28]
	v_add_f64 v[25:26], v[60:61], v[27:28]
	v_add_f64 v[58:59], v[25:26], -v[60:61]
	v_add_f64 v[27:28], v[27:28], -v[58:59]
	s_andn2_saveexec_b64 s[6:7], s[66:67]
	s_cbranch_execz .LBB91_47
.LBB91_52:                              ;   in Loop: Header=BB91_25 Depth=1
	v_mul_f64 v[25:26], |v[5:6]|, s[34:35]
	s_mov_b32 s28, s36
	v_rndne_f64_e32 v[57:58], v[25:26]
	v_fma_f64 v[25:26], v[57:58], s[26:27], |v[5:6]|
	v_mul_f64 v[27:28], v[57:58], s[36:37]
	v_fma_f64 v[63:64], v[57:58], s[36:37], v[25:26]
	v_add_f64 v[59:60], v[25:26], v[27:28]
	v_add_f64 v[61:62], v[25:26], -v[59:60]
	v_add_f64 v[59:60], v[59:60], -v[63:64]
	v_add_f64 v[25:26], v[61:62], v[27:28]
	v_fma_f64 v[27:28], v[57:58], s[28:29], v[27:28]
	v_add_f64 v[25:26], v[59:60], v[25:26]
	v_add_f64 v[25:26], v[25:26], -v[27:28]
	v_fma_f64 v[27:28], v[57:58], s[38:39], v[25:26]
	v_cvt_i32_f64_e32 v57, v[57:58]
	v_add_f64 v[25:26], v[63:64], v[27:28]
	v_add_f64 v[59:60], v[25:26], -v[63:64]
	v_add_f64 v[27:28], v[27:28], -v[59:60]
	s_or_b64 exec, exec, s[6:7]
	s_and_saveexec_b64 s[6:7], s[4:5]
	s_xor_b64 s[66:67], exec, s[6:7]
	s_cbranch_execz .LBB91_48
.LBB91_53:                              ;   in Loop: Header=BB91_25 Depth=1
	v_mul_f64 v[58:59], v[13:14], v[13:14]
	v_add_f64 v[60:61], v[15:16], v[15:16]
	v_cmp_class_f64_e64 s[4:5], v[11:12], s70
	v_and_b32_e32 v2, 1, v54
	v_cmp_eq_u32_e64 s[8:9], 0, v2
	v_and_b32_e32 v12, 0x80000000, v12
	v_mov_b32_e32 v54, s11
	v_add_co_u32_e64 v11, s[6:7], s10, v31
	v_fma_f64 v[62:63], v[13:14], v[13:14], -v[58:59]
	v_fma_f64 v[60:61], v[13:14], v[60:61], v[62:63]
	v_add_f64 v[58:59], v[58:59], v[60:61]
	v_fma_f64 v[60:61], v[58:59], s[40:41], v[3:4]
	v_fma_f64 v[60:61], v[58:59], v[60:61], s[42:43]
	;; [unrolled: 1-line block ×13, first 2 shown]
	v_mul_f64 v[58:59], v[58:59], v[60:61]
	v_mul_f64 v[60:61], v[13:14], v[58:59]
	v_add_f64 v[62:63], v[13:14], v[60:61]
	v_fma_f64 v[58:59], v[13:14], v[58:59], -v[60:61]
	v_add_f64 v[13:14], v[62:63], -v[13:14]
	v_add_f64 v[15:16], v[15:16], v[58:59]
	v_add_f64 v[13:14], v[60:61], -v[13:14]
	v_add_f64 v[13:14], v[15:16], v[13:14]
	v_add_f64 v[15:16], v[62:63], v[13:14]
	v_rcp_f64_e32 v[58:59], v[15:16]
	v_fma_f64 v[60:61], -v[15:16], v[58:59], 1.0
	v_fma_f64 v[58:59], v[60:61], v[58:59], v[58:59]
	v_fma_f64 v[60:61], -v[15:16], v[58:59], 1.0
	v_fma_f64 v[58:59], v[60:61], v[58:59], v[58:59]
	v_add_f64 v[60:61], v[15:16], -v[62:63]
	v_mul_f64 v[62:63], v[15:16], v[58:59]
	v_add_f64 v[13:14], v[13:14], -v[60:61]
	v_fma_f64 v[60:61], v[58:59], v[15:16], -v[62:63]
	v_fma_f64 v[13:14], v[58:59], v[13:14], v[60:61]
	v_add_f64 v[60:61], v[62:63], v[13:14]
	v_add_f64 v[64:65], -v[60:61], 1.0
	v_add_f64 v[62:63], v[60:61], -v[62:63]
	v_add_f64 v[66:67], -v[64:65], 1.0
	v_add_f64 v[13:14], v[62:63], -v[13:14]
	v_add_f64 v[60:61], v[66:67], -v[60:61]
	v_add_f64 v[13:14], v[13:14], v[60:61]
	v_add_f64 v[13:14], v[64:65], v[13:14]
	v_mul_f64 v[13:14], v[58:59], v[13:14]
	v_add_f64 v[13:14], v[58:59], v[13:14]
	v_cndmask_b32_e64 v2, v13, v15, s[8:9]
	v_xor_b32_e32 v13, 0x80000000, v14
	v_cndmask_b32_e64 v14, v13, v16, s[8:9]
	v_cndmask_b32_e64 v13, 0, v2, s[4:5]
	v_xor_b32_e32 v2, v14, v12
	v_cndmask_b32_e64 v14, v53, v2, s[4:5]
	v_addc_co_u32_e64 v12, s[4:5], v32, v54, s[6:7]
	global_store_dwordx2 v[11:12], v[13:14], off
	s_or_b64 exec, exec, s[66:67]
	s_and_saveexec_b64 s[6:7], s[2:3]
	s_cbranch_execz .LBB91_49
.LBB91_54:                              ;   in Loop: Header=BB91_25 Depth=1
	v_mul_f64 v[11:12], v[17:18], v[17:18]
	v_add_f64 v[13:14], v[19:20], v[19:20]
	v_cmp_class_f64_e64 s[4:5], v[9:10], s70
	v_and_b32_e32 v2, 1, v55
	v_cmp_eq_u32_e64 s[2:3], 0, v2
	v_and_b32_e32 v10, 0x80000000, v10
	v_fma_f64 v[15:16], v[17:18], v[17:18], -v[11:12]
	v_fma_f64 v[13:14], v[17:18], v[13:14], v[15:16]
	v_add_f64 v[11:12], v[11:12], v[13:14]
	v_fma_f64 v[13:14], v[11:12], s[40:41], v[3:4]
	v_fma_f64 v[13:14], v[11:12], v[13:14], s[42:43]
	;; [unrolled: 1-line block ×13, first 2 shown]
	v_mul_f64 v[11:12], v[11:12], v[13:14]
	v_mul_f64 v[13:14], v[17:18], v[11:12]
	v_add_f64 v[15:16], v[17:18], v[13:14]
	v_fma_f64 v[11:12], v[17:18], v[11:12], -v[13:14]
	v_add_f64 v[17:18], v[15:16], -v[17:18]
	v_add_f64 v[11:12], v[19:20], v[11:12]
	v_add_f64 v[13:14], v[13:14], -v[17:18]
	v_add_f64 v[11:12], v[11:12], v[13:14]
	v_add_f64 v[13:14], v[15:16], v[11:12]
	v_rcp_f64_e32 v[17:18], v[13:14]
	v_add_f64 v[15:16], v[13:14], -v[15:16]
	v_add_f64 v[11:12], v[11:12], -v[15:16]
	v_fma_f64 v[19:20], -v[13:14], v[17:18], 1.0
	v_fma_f64 v[17:18], v[19:20], v[17:18], v[17:18]
	v_fma_f64 v[19:20], -v[13:14], v[17:18], 1.0
	v_fma_f64 v[17:18], v[19:20], v[17:18], v[17:18]
	v_mul_f64 v[19:20], v[13:14], v[17:18]
	v_fma_f64 v[15:16], v[17:18], v[13:14], -v[19:20]
	v_fma_f64 v[11:12], v[17:18], v[11:12], v[15:16]
	v_add_f64 v[15:16], v[19:20], v[11:12]
	v_add_f64 v[58:59], -v[15:16], 1.0
	v_add_f64 v[19:20], v[15:16], -v[19:20]
	v_add_f64 v[60:61], -v[58:59], 1.0
	v_add_f64 v[11:12], v[19:20], -v[11:12]
	v_add_f64 v[15:16], v[60:61], -v[15:16]
	v_add_f64 v[11:12], v[11:12], v[15:16]
	v_add_f64 v[11:12], v[58:59], v[11:12]
	v_mul_f64 v[11:12], v[17:18], v[11:12]
	v_add_f64 v[11:12], v[17:18], v[11:12]
	v_xor_b32_e32 v9, 0x80000000, v12
	v_cndmask_b32_e64 v2, v11, v13, s[2:3]
	v_cndmask_b32_e64 v11, v9, v14, s[2:3]
	v_mov_b32_e32 v13, s11
	v_cndmask_b32_e64 v9, 0, v2, s[4:5]
	v_xor_b32_e32 v2, v11, v10
	v_add_co_u32_e64 v11, s[2:3], s10, v45
	v_cndmask_b32_e64 v10, v53, v2, s[4:5]
	v_addc_co_u32_e64 v12, s[2:3], v46, v13, s[2:3]
	global_store_dwordx2 v[11:12], v[9:10], off
	s_or_b64 exec, exec, s[6:7]
	s_and_saveexec_b64 s[4:5], s[0:1]
	s_cbranch_execz .LBB91_50
.LBB91_55:                              ;   in Loop: Header=BB91_25 Depth=1
	v_mul_f64 v[9:10], v[21:22], v[21:22]
	v_add_f64 v[11:12], v[23:24], v[23:24]
	v_cmp_class_f64_e64 s[2:3], v[7:8], s70
	v_and_b32_e32 v2, 1, v56
	v_cmp_eq_u32_e64 s[0:1], 0, v2
	v_and_b32_e32 v8, 0x80000000, v8
	v_fma_f64 v[13:14], v[21:22], v[21:22], -v[9:10]
	v_fma_f64 v[11:12], v[21:22], v[11:12], v[13:14]
	v_add_f64 v[9:10], v[9:10], v[11:12]
	v_fma_f64 v[11:12], v[9:10], s[40:41], v[3:4]
	v_fma_f64 v[11:12], v[9:10], v[11:12], s[42:43]
	;; [unrolled: 1-line block ×13, first 2 shown]
	v_mul_f64 v[9:10], v[9:10], v[11:12]
	v_mul_f64 v[11:12], v[21:22], v[9:10]
	v_add_f64 v[13:14], v[21:22], v[11:12]
	v_fma_f64 v[9:10], v[21:22], v[9:10], -v[11:12]
	v_add_f64 v[15:16], v[13:14], -v[21:22]
	v_add_f64 v[9:10], v[23:24], v[9:10]
	v_add_f64 v[11:12], v[11:12], -v[15:16]
	v_add_f64 v[9:10], v[9:10], v[11:12]
	v_add_f64 v[11:12], v[13:14], v[9:10]
	v_rcp_f64_e32 v[15:16], v[11:12]
	v_add_f64 v[13:14], v[11:12], -v[13:14]
	v_add_f64 v[9:10], v[9:10], -v[13:14]
	v_fma_f64 v[17:18], -v[11:12], v[15:16], 1.0
	v_fma_f64 v[15:16], v[17:18], v[15:16], v[15:16]
	v_fma_f64 v[17:18], -v[11:12], v[15:16], 1.0
	v_fma_f64 v[15:16], v[17:18], v[15:16], v[15:16]
	v_mul_f64 v[17:18], v[11:12], v[15:16]
	v_fma_f64 v[13:14], v[15:16], v[11:12], -v[17:18]
	v_fma_f64 v[9:10], v[15:16], v[9:10], v[13:14]
	v_add_f64 v[13:14], v[17:18], v[9:10]
	v_add_f64 v[19:20], -v[13:14], 1.0
	v_add_f64 v[17:18], v[13:14], -v[17:18]
	v_add_f64 v[21:22], -v[19:20], 1.0
	v_add_f64 v[9:10], v[17:18], -v[9:10]
	v_add_f64 v[13:14], v[21:22], -v[13:14]
	v_add_f64 v[9:10], v[9:10], v[13:14]
	v_add_f64 v[9:10], v[19:20], v[9:10]
	v_mul_f64 v[9:10], v[15:16], v[9:10]
	v_add_f64 v[9:10], v[15:16], v[9:10]
	v_xor_b32_e32 v7, 0x80000000, v10
	v_cndmask_b32_e64 v2, v9, v11, s[0:1]
	v_cndmask_b32_e64 v9, v7, v12, s[0:1]
	v_mov_b32_e32 v11, s11
	v_cndmask_b32_e64 v7, 0, v2, s[2:3]
	v_xor_b32_e32 v2, v9, v8
	v_add_co_u32_e64 v9, s[0:1], s10, v39
	v_cndmask_b32_e64 v8, v53, v2, s[2:3]
	v_addc_co_u32_e64 v10, s[0:1], v40, v11, s[0:1]
	global_store_dwordx2 v[9:10], v[7:8], off
	s_or_b64 exec, exec, s[4:5]
	s_and_saveexec_b64 s[2:3], vcc
	s_cbranch_execz .LBB91_24
.LBB91_56:                              ;   in Loop: Header=BB91_25 Depth=1
	v_mul_f64 v[7:8], v[25:26], v[25:26]
	v_add_f64 v[9:10], v[27:28], v[27:28]
	v_cmp_class_f64_e64 s[0:1], v[5:6], s70
	v_and_b32_e32 v2, 1, v57
	v_cmp_eq_u32_e32 vcc, 0, v2
	v_and_b32_e32 v6, 0x80000000, v6
	v_fma_f64 v[11:12], v[25:26], v[25:26], -v[7:8]
	v_fma_f64 v[9:10], v[25:26], v[9:10], v[11:12]
	v_add_f64 v[7:8], v[7:8], v[9:10]
	v_fma_f64 v[9:10], v[7:8], s[40:41], v[3:4]
	v_fma_f64 v[9:10], v[7:8], v[9:10], s[42:43]
	;; [unrolled: 1-line block ×13, first 2 shown]
	v_mul_f64 v[7:8], v[7:8], v[9:10]
	v_mul_f64 v[9:10], v[25:26], v[7:8]
	v_add_f64 v[11:12], v[25:26], v[9:10]
	v_fma_f64 v[7:8], v[25:26], v[7:8], -v[9:10]
	v_add_f64 v[13:14], v[11:12], -v[25:26]
	v_add_f64 v[7:8], v[27:28], v[7:8]
	v_add_f64 v[9:10], v[9:10], -v[13:14]
	v_add_f64 v[7:8], v[7:8], v[9:10]
	v_add_f64 v[9:10], v[11:12], v[7:8]
	v_rcp_f64_e32 v[13:14], v[9:10]
	v_add_f64 v[11:12], v[9:10], -v[11:12]
	v_add_f64 v[7:8], v[7:8], -v[11:12]
	v_fma_f64 v[15:16], -v[9:10], v[13:14], 1.0
	v_fma_f64 v[13:14], v[15:16], v[13:14], v[13:14]
	v_fma_f64 v[15:16], -v[9:10], v[13:14], 1.0
	v_fma_f64 v[13:14], v[15:16], v[13:14], v[13:14]
	v_mul_f64 v[15:16], v[9:10], v[13:14]
	v_fma_f64 v[11:12], v[13:14], v[9:10], -v[15:16]
	v_fma_f64 v[7:8], v[13:14], v[7:8], v[11:12]
	v_add_f64 v[11:12], v[15:16], v[7:8]
	v_add_f64 v[17:18], -v[11:12], 1.0
	v_add_f64 v[15:16], v[11:12], -v[15:16]
	v_add_f64 v[19:20], -v[17:18], 1.0
	v_add_f64 v[7:8], v[15:16], -v[7:8]
	v_add_f64 v[11:12], v[19:20], -v[11:12]
	v_add_f64 v[7:8], v[7:8], v[11:12]
	v_add_f64 v[7:8], v[17:18], v[7:8]
	v_mul_f64 v[7:8], v[13:14], v[7:8]
	v_add_f64 v[7:8], v[13:14], v[7:8]
	v_xor_b32_e32 v5, 0x80000000, v8
	v_cndmask_b32_e32 v2, v7, v9, vcc
	v_cndmask_b32_e32 v7, v5, v10, vcc
	v_mov_b32_e32 v9, s11
	v_cndmask_b32_e64 v5, 0, v2, s[0:1]
	v_xor_b32_e32 v2, v7, v6
	v_add_co_u32_e32 v7, vcc, s10, v35
	v_cndmask_b32_e64 v6, v53, v2, s[0:1]
	v_addc_co_u32_e32 v8, vcc, v36, v9, vcc
	global_store_dwordx2 v[7:8], v[5:6], off
	s_branch .LBB91_24
.LBB91_57:
	s_endpgm
	.section	.rodata,"a",@progbits
	.p2align	6, 0x0
	.amdhsa_kernel _ZN2at6native12_GLOBAL__N_125multi_tensor_apply_kernelINS1_18TensorListMetadataILi2EEENS1_14UnaryOpFunctorIdLi2ELi1ELi1EEEJNS0_3TanIdEEEEEvT_T0_DpT1_
		.amdhsa_group_segment_fixed_size 0
		.amdhsa_private_segment_fixed_size 0
		.amdhsa_kernarg_size 3408
		.amdhsa_user_sgpr_count 6
		.amdhsa_user_sgpr_private_segment_buffer 1
		.amdhsa_user_sgpr_dispatch_ptr 0
		.amdhsa_user_sgpr_queue_ptr 0
		.amdhsa_user_sgpr_kernarg_segment_ptr 1
		.amdhsa_user_sgpr_dispatch_id 0
		.amdhsa_user_sgpr_flat_scratch_init 0
		.amdhsa_user_sgpr_private_segment_size 0
		.amdhsa_uses_dynamic_stack 0
		.amdhsa_system_sgpr_private_segment_wavefront_offset 0
		.amdhsa_system_sgpr_workgroup_id_x 1
		.amdhsa_system_sgpr_workgroup_id_y 0
		.amdhsa_system_sgpr_workgroup_id_z 0
		.amdhsa_system_sgpr_workgroup_info 0
		.amdhsa_system_vgpr_workitem_id 0
		.amdhsa_next_free_vgpr 83
		.amdhsa_next_free_sgpr 75
		.amdhsa_reserve_vcc 1
		.amdhsa_reserve_flat_scratch 0
		.amdhsa_float_round_mode_32 0
		.amdhsa_float_round_mode_16_64 0
		.amdhsa_float_denorm_mode_32 3
		.amdhsa_float_denorm_mode_16_64 3
		.amdhsa_dx10_clamp 1
		.amdhsa_ieee_mode 1
		.amdhsa_fp16_overflow 0
		.amdhsa_exception_fp_ieee_invalid_op 0
		.amdhsa_exception_fp_denorm_src 0
		.amdhsa_exception_fp_ieee_div_zero 0
		.amdhsa_exception_fp_ieee_overflow 0
		.amdhsa_exception_fp_ieee_underflow 0
		.amdhsa_exception_fp_ieee_inexact 0
		.amdhsa_exception_int_div_zero 0
	.end_amdhsa_kernel
	.section	.text._ZN2at6native12_GLOBAL__N_125multi_tensor_apply_kernelINS1_18TensorListMetadataILi2EEENS1_14UnaryOpFunctorIdLi2ELi1ELi1EEEJNS0_3TanIdEEEEEvT_T0_DpT1_,"axG",@progbits,_ZN2at6native12_GLOBAL__N_125multi_tensor_apply_kernelINS1_18TensorListMetadataILi2EEENS1_14UnaryOpFunctorIdLi2ELi1ELi1EEEJNS0_3TanIdEEEEEvT_T0_DpT1_,comdat
.Lfunc_end91:
	.size	_ZN2at6native12_GLOBAL__N_125multi_tensor_apply_kernelINS1_18TensorListMetadataILi2EEENS1_14UnaryOpFunctorIdLi2ELi1ELi1EEEJNS0_3TanIdEEEEEvT_T0_DpT1_, .Lfunc_end91-_ZN2at6native12_GLOBAL__N_125multi_tensor_apply_kernelINS1_18TensorListMetadataILi2EEENS1_14UnaryOpFunctorIdLi2ELi1ELi1EEEJNS0_3TanIdEEEEEvT_T0_DpT1_
                                        ; -- End function
	.set _ZN2at6native12_GLOBAL__N_125multi_tensor_apply_kernelINS1_18TensorListMetadataILi2EEENS1_14UnaryOpFunctorIdLi2ELi1ELi1EEEJNS0_3TanIdEEEEEvT_T0_DpT1_.num_vgpr, 83
	.set _ZN2at6native12_GLOBAL__N_125multi_tensor_apply_kernelINS1_18TensorListMetadataILi2EEENS1_14UnaryOpFunctorIdLi2ELi1ELi1EEEJNS0_3TanIdEEEEEvT_T0_DpT1_.num_agpr, 0
	.set _ZN2at6native12_GLOBAL__N_125multi_tensor_apply_kernelINS1_18TensorListMetadataILi2EEENS1_14UnaryOpFunctorIdLi2ELi1ELi1EEEJNS0_3TanIdEEEEEvT_T0_DpT1_.numbered_sgpr, 75
	.set _ZN2at6native12_GLOBAL__N_125multi_tensor_apply_kernelINS1_18TensorListMetadataILi2EEENS1_14UnaryOpFunctorIdLi2ELi1ELi1EEEJNS0_3TanIdEEEEEvT_T0_DpT1_.num_named_barrier, 0
	.set _ZN2at6native12_GLOBAL__N_125multi_tensor_apply_kernelINS1_18TensorListMetadataILi2EEENS1_14UnaryOpFunctorIdLi2ELi1ELi1EEEJNS0_3TanIdEEEEEvT_T0_DpT1_.private_seg_size, 0
	.set _ZN2at6native12_GLOBAL__N_125multi_tensor_apply_kernelINS1_18TensorListMetadataILi2EEENS1_14UnaryOpFunctorIdLi2ELi1ELi1EEEJNS0_3TanIdEEEEEvT_T0_DpT1_.uses_vcc, 1
	.set _ZN2at6native12_GLOBAL__N_125multi_tensor_apply_kernelINS1_18TensorListMetadataILi2EEENS1_14UnaryOpFunctorIdLi2ELi1ELi1EEEJNS0_3TanIdEEEEEvT_T0_DpT1_.uses_flat_scratch, 0
	.set _ZN2at6native12_GLOBAL__N_125multi_tensor_apply_kernelINS1_18TensorListMetadataILi2EEENS1_14UnaryOpFunctorIdLi2ELi1ELi1EEEJNS0_3TanIdEEEEEvT_T0_DpT1_.has_dyn_sized_stack, 0
	.set _ZN2at6native12_GLOBAL__N_125multi_tensor_apply_kernelINS1_18TensorListMetadataILi2EEENS1_14UnaryOpFunctorIdLi2ELi1ELi1EEEJNS0_3TanIdEEEEEvT_T0_DpT1_.has_recursion, 0
	.set _ZN2at6native12_GLOBAL__N_125multi_tensor_apply_kernelINS1_18TensorListMetadataILi2EEENS1_14UnaryOpFunctorIdLi2ELi1ELi1EEEJNS0_3TanIdEEEEEvT_T0_DpT1_.has_indirect_call, 0
	.section	.AMDGPU.csdata,"",@progbits
; Kernel info:
; codeLenInByte = 11376
; TotalNumSgprs: 79
; NumVgprs: 83
; ScratchSize: 0
; MemoryBound: 0
; FloatMode: 240
; IeeeMode: 1
; LDSByteSize: 0 bytes/workgroup (compile time only)
; SGPRBlocks: 9
; VGPRBlocks: 20
; NumSGPRsForWavesPerEU: 79
; NumVGPRsForWavesPerEU: 83
; Occupancy: 3
; WaveLimiterHint : 0
; COMPUTE_PGM_RSRC2:SCRATCH_EN: 0
; COMPUTE_PGM_RSRC2:USER_SGPR: 6
; COMPUTE_PGM_RSRC2:TRAP_HANDLER: 0
; COMPUTE_PGM_RSRC2:TGID_X_EN: 1
; COMPUTE_PGM_RSRC2:TGID_Y_EN: 0
; COMPUTE_PGM_RSRC2:TGID_Z_EN: 0
; COMPUTE_PGM_RSRC2:TIDIG_COMP_CNT: 0
	.section	.text._ZN2at6native12_GLOBAL__N_125multi_tensor_apply_kernelINS1_18TensorListMetadataILi2EEENS1_14UnaryOpFunctorIfLi2ELi1ELi1EEEJNS0_3TanIfEEEEEvT_T0_DpT1_,"axG",@progbits,_ZN2at6native12_GLOBAL__N_125multi_tensor_apply_kernelINS1_18TensorListMetadataILi2EEENS1_14UnaryOpFunctorIfLi2ELi1ELi1EEEJNS0_3TanIfEEEEEvT_T0_DpT1_,comdat
	.globl	_ZN2at6native12_GLOBAL__N_125multi_tensor_apply_kernelINS1_18TensorListMetadataILi2EEENS1_14UnaryOpFunctorIfLi2ELi1ELi1EEEJNS0_3TanIfEEEEEvT_T0_DpT1_ ; -- Begin function _ZN2at6native12_GLOBAL__N_125multi_tensor_apply_kernelINS1_18TensorListMetadataILi2EEENS1_14UnaryOpFunctorIfLi2ELi1ELi1EEEJNS0_3TanIfEEEEEvT_T0_DpT1_
	.p2align	8
	.type	_ZN2at6native12_GLOBAL__N_125multi_tensor_apply_kernelINS1_18TensorListMetadataILi2EEENS1_14UnaryOpFunctorIfLi2ELi1ELi1EEEJNS0_3TanIfEEEEEvT_T0_DpT1_,@function
_ZN2at6native12_GLOBAL__N_125multi_tensor_apply_kernelINS1_18TensorListMetadataILi2EEENS1_14UnaryOpFunctorIfLi2ELi1ELi1EEEJNS0_3TanIfEEEEEvT_T0_DpT1_: ; @_ZN2at6native12_GLOBAL__N_125multi_tensor_apply_kernelINS1_18TensorListMetadataILi2EEENS1_14UnaryOpFunctorIfLi2ELi1ELi1EEEJNS0_3TanIfEEEEEvT_T0_DpT1_
; %bb.0:
	v_mov_b32_e32 v1, s6
	global_load_ubyte v1, v1, s[4:5] offset:1536
	s_add_u32 s0, s4, s6
	s_mul_hi_u32 s2, s6, 3
	s_mul_i32 s6, s6, 3
	s_addc_u32 s7, s5, 0
	s_add_u32 s6, s0, s6
	s_addc_u32 s7, s7, s2
	s_load_dword s6, s[6:7], 0x740
	s_mov_b32 s1, 0
	s_mov_b32 s3, s1
	s_waitcnt lgkmcnt(0)
	s_ashr_i32 s7, s6, 31
	s_lshl_b64 s[14:15], s[6:7], 18
	s_lshl_b64 s[6:7], s[6:7], 16
	s_waitcnt vmcnt(0)
	v_readfirstlane_b32 s0, v1
	s_lshl_b32 s0, s0, 3
	s_load_dwordx2 s[16:17], s[4:5], s0 offset:0x400
	s_load_dwordx2 s[10:11], s[4:5], s0 offset:0x0
	;; [unrolled: 1-line block ×3, first 2 shown]
	s_waitcnt lgkmcnt(0)
	s_add_u32 s0, s10, s14
	s_and_b32 s2, s8, 15
	s_and_b32 s0, s0, 15
	s_sub_u32 s12, s16, s6
	s_subb_u32 s13, s17, s7
	s_and_b32 s6, s16, 3
	s_mov_b32 s7, s1
	s_or_b64 s[2:3], s[2:3], s[6:7]
	s_or_b64 s[0:1], s[2:3], s[0:1]
	s_cmp_eq_u64 s[0:1], 0
	s_mov_b64 s[0:1], -1
	s_cbranch_scc0 .LBB92_21
; %bb.1:
	v_mov_b32_e32 v1, 0x10000
	v_mov_b32_e32 v2, 0
	v_cmp_lt_i64_e32 vcc, s[12:13], v[1:2]
	v_mov_b32_e32 v6, 0
	s_and_b64 s[0:1], vcc, exec
	s_cselect_b32 s17, s13, 0
	s_cselect_b32 s16, s12, 0x10000
	v_lshlrev_b32_e32 v5, 2, v0
	v_cmp_gt_i64_e32 vcc, s[16:17], v[5:6]
	s_and_saveexec_b64 s[18:19], vcc
	s_cbranch_execz .LBB92_20
; %bb.2:
	s_load_dword s0, s[4:5], 0xc5c
	v_mov_b32_e32 v1, v6
	v_lshlrev_b32_e32 v2, 4, v0
	v_mov_b32_e32 v3, s15
	v_add_co_u32_e32 v9, vcc, s14, v2
	s_waitcnt lgkmcnt(0)
	s_and_b32 s24, s0, 0xffff
	v_mov_b32_e32 v8, v1
	v_addc_co_u32_e32 v10, vcc, 0, v3, vcc
	s_lshl_b32 s25, s24, 4
	s_mov_b64 s[20:21], 0
	v_mov_b32_e32 v11, s11
	s_brev_b32 s26, 18
	s_mov_b32 s27, 0xfe5163ab
	s_mov_b32 s28, 0x3c439041
	;; [unrolled: 1-line block ×10, first 2 shown]
	v_mov_b32_e32 v12, 0x3f93f425
	s_movk_i32 s38, 0x1f8
	v_not_b32_e32 v13, 63
	v_not_b32_e32 v14, 31
	v_mov_b32_e32 v15, 0x7fc00000
	v_mov_b32_e32 v7, v0
	s_branch .LBB92_4
.LBB92_3:                               ;   in Loop: Header=BB92_4 Depth=1
	s_or_b64 exec, exec, s[0:1]
	v_mul_f32_e32 v27, v24, v24
	v_mov_b32_e32 v28, 0xbf039337
	v_fmac_f32_e32 v28, 0x3c971480, v27
	v_fma_f32 v28, v27, v28, v12
	v_rcp_f32_e32 v28, v28
	v_mov_b32_e32 v29, 0x3ec54587
	v_fmac_f32_e32 v29, 0xbc8cedd3, v27
	v_and_b32_e32 v25, 1, v25
	v_mul_f32_e32 v28, v29, v28
	v_mul_f32_e32 v27, v27, v28
	v_fma_f32 v28, v27, v24, v24
	v_rcp_f32_e32 v29, v28
	v_sub_f32_e32 v30, v28, v24
	v_fma_f32 v24, v27, v24, -v30
	v_cmp_eq_u32_e32 vcc, 0, v25
	v_fma_f32 v27, v28, -v29, 1.0
	v_fma_f32 v24, v24, -v29, v27
	v_fma_f32 v24, v24, -v29, -v29
	v_cndmask_b32_e32 v24, v24, v28, vcc
	v_xor_b32_e32 v22, v22, v3
	v_xor_b32_e32 v22, v22, v24
	v_mul_f32_e32 v24, v20, v20
	v_mov_b32_e32 v25, 0xbf039337
	v_fmac_f32_e32 v25, 0x3c971480, v24
	v_fma_f32 v25, v24, v25, v12
	v_rcp_f32_e32 v25, v25
	v_cmp_class_f32_e64 vcc, v3, s38
	v_cndmask_b32_e32 v3, v15, v22, vcc
	v_mov_b32_e32 v22, 0x3ec54587
	v_fmac_f32_e32 v22, 0xbc8cedd3, v24
	v_mul_f32_e32 v22, v22, v25
	v_mul_f32_e32 v22, v24, v22
	v_fma_f32 v24, v22, v20, v20
	v_rcp_f32_e32 v25, v24
	v_sub_f32_e32 v27, v24, v20
	v_fma_f32 v20, v22, v20, -v27
	v_and_b32_e32 v21, 1, v21
	v_fma_f32 v22, v24, -v25, 1.0
	v_fma_f32 v20, v20, -v25, v22
	v_fma_f32 v20, v20, -v25, -v25
	v_cmp_eq_u32_e32 vcc, 0, v21
	v_cndmask_b32_e32 v20, v20, v24, vcc
	v_xor_b32_e32 v19, v19, v2
	v_xor_b32_e32 v19, v19, v20
	v_mul_f32_e32 v20, v17, v17
	v_mov_b32_e32 v21, 0xbf039337
	v_fmac_f32_e32 v21, 0x3c971480, v20
	v_fma_f32 v21, v20, v21, v12
	v_rcp_f32_e32 v21, v21
	v_cmp_class_f32_e64 vcc, v2, s38
	v_cndmask_b32_e32 v2, v15, v19, vcc
	v_mov_b32_e32 v19, 0x3ec54587
	v_fmac_f32_e32 v19, 0xbc8cedd3, v20
	v_mul_f32_e32 v19, v19, v21
	v_mul_f32_e32 v19, v20, v19
	v_fma_f32 v20, v19, v17, v17
	v_rcp_f32_e32 v21, v20
	v_sub_f32_e32 v22, v20, v17
	v_fma_f32 v17, v19, v17, -v22
	v_and_b32_e32 v18, 1, v18
	v_fma_f32 v19, v20, -v21, 1.0
	v_fma_f32 v17, v17, -v21, v19
	v_fma_f32 v17, v17, -v21, -v21
	v_cmp_eq_u32_e32 vcc, 0, v18
	;; [unrolled: 23-line block ×3, first 2 shown]
	v_cndmask_b32_e32 v5, v5, v17, vcc
	v_xor_b32_e32 v16, v23, v4
	v_xor_b32_e32 v5, v16, v5
	v_cmp_class_f32_e64 vcc, v4, s38
	v_cndmask_b32_e32 v4, v15, v5, vcc
	v_add_co_u32_e32 v7, vcc, s24, v7
	v_addc_co_u32_e32 v8, vcc, 0, v8, vcc
	v_mov_b32_e32 v5, s9
	v_lshlrev_b64 v[16:17], 2, v[7:8]
	v_add_co_u32_e32 v18, vcc, s8, v9
	v_addc_co_u32_e32 v19, vcc, v5, v10, vcc
	v_cmp_le_i64_e32 vcc, s[16:17], v[16:17]
	global_store_dwordx4 v[18:19], v[1:4], off
	s_or_b64 s[20:21], vcc, s[20:21]
	v_add_co_u32_e32 v9, vcc, s25, v9
	v_addc_co_u32_e32 v10, vcc, 0, v10, vcc
	s_andn2_b64 exec, exec, s[20:21]
	s_cbranch_execz .LBB92_20
.LBB92_4:                               ; =>This Inner Loop Header: Depth=1
	v_add_co_u32_e32 v1, vcc, s10, v9
	v_addc_co_u32_e32 v2, vcc, v11, v10, vcc
	global_load_dwordx4 v[1:4], v[1:2], off
                                        ; implicit-def: $vgpr18
                                        ; implicit-def: $vgpr17
	s_waitcnt vmcnt(0)
	v_and_b32_e32 v16, 0x7fffffff, v1
	v_cmp_nlt_f32_e64 s[0:1], |v1|, s26
	s_and_saveexec_b64 s[2:3], s[0:1]
	s_xor_b64 s[22:23], exec, s[2:3]
	s_cbranch_execz .LBB92_6
; %bb.5:                                ;   in Loop: Header=BB92_4 Depth=1
	v_and_b32_e32 v5, 0x7fffff, v16
	v_or_b32_e32 v24, 0x800000, v5
	v_mad_u64_u32 v[17:18], s[0:1], v24, s27, 0
	v_mov_b32_e32 v5, v18
	v_mad_u64_u32 v[18:19], s[0:1], v24, s28, v[5:6]
	v_mov_b32_e32 v5, v19
	;; [unrolled: 2-line block ×3, first 2 shown]
	v_mad_u64_u32 v[20:21], s[0:1], v24, s30, v[5:6]
	v_lshrrev_b32_e32 v5, 23, v16
	v_add_u32_e32 v23, 0xffffff88, v5
	v_mov_b32_e32 v5, v21
	v_mad_u64_u32 v[21:22], s[0:1], v24, s31, v[5:6]
	v_cmp_lt_u32_e32 vcc, 63, v23
	v_cndmask_b32_e32 v5, 0, v13, vcc
	v_add_u32_e32 v25, v5, v23
	v_mov_b32_e32 v5, v22
	v_mad_u64_u32 v[22:23], s[0:1], v24, s33, v[5:6]
	v_cmp_lt_u32_e64 s[0:1], 31, v25
	v_cndmask_b32_e64 v5, 0, v14, s[0:1]
	v_add_u32_e32 v25, v5, v25
	v_mov_b32_e32 v5, v23
	v_mad_u64_u32 v[23:24], s[2:3], v24, s34, v[5:6]
	v_cmp_lt_u32_e64 s[2:3], 31, v25
	v_cndmask_b32_e64 v5, 0, v14, s[2:3]
	v_add_u32_e32 v5, v5, v25
	v_cndmask_b32_e32 v25, v22, v20, vcc
	v_cndmask_b32_e32 v23, v23, v21, vcc
	;; [unrolled: 1-line block ×4, first 2 shown]
	v_cndmask_b32_e64 v24, v23, v25, s[0:1]
	v_cndmask_b32_e64 v22, v22, v23, s[0:1]
	;; [unrolled: 1-line block ×3, first 2 shown]
	v_cndmask_b32_e32 v18, v20, v18, vcc
	v_cndmask_b32_e64 v22, v22, v24, s[2:3]
	v_cndmask_b32_e64 v24, v24, v23, s[2:3]
	v_sub_u32_e32 v25, 32, v5
	v_cndmask_b32_e64 v20, v21, v18, s[0:1]
	v_alignbit_b32 v26, v22, v24, v25
	v_cmp_eq_u32_e64 s[6:7], 0, v5
	v_cndmask_b32_e64 v21, v23, v20, s[2:3]
	v_cndmask_b32_e64 v5, v26, v22, s[6:7]
	v_alignbit_b32 v22, v24, v21, v25
	v_cndmask_b32_e32 v17, v19, v17, vcc
	v_cndmask_b32_e64 v22, v22, v24, s[6:7]
	v_bfe_u32 v26, v5, 29, 1
	v_cndmask_b32_e64 v17, v18, v17, s[0:1]
	v_alignbit_b32 v23, v5, v22, 30
	v_sub_u32_e32 v27, 0, v26
	v_cndmask_b32_e64 v17, v20, v17, s[2:3]
	v_xor_b32_e32 v23, v23, v27
	v_alignbit_b32 v18, v21, v17, v25
	v_cndmask_b32_e64 v18, v18, v21, s[6:7]
	v_ffbh_u32_e32 v20, v23
	v_alignbit_b32 v19, v22, v18, 30
	v_min_u32_e32 v20, 32, v20
	v_alignbit_b32 v17, v18, v17, 30
	v_xor_b32_e32 v19, v19, v27
	v_sub_u32_e32 v21, 31, v20
	v_xor_b32_e32 v17, v17, v27
	v_alignbit_b32 v22, v23, v19, v21
	v_alignbit_b32 v17, v19, v17, v21
	;; [unrolled: 1-line block ×3, first 2 shown]
	v_ffbh_u32_e32 v19, v18
	v_min_u32_e32 v19, 32, v19
	v_lshrrev_b32_e32 v24, 29, v5
	v_not_b32_e32 v21, v19
	v_alignbit_b32 v17, v18, v17, v21
	v_lshlrev_b32_e32 v18, 31, v24
	v_or_b32_e32 v21, 0x33000000, v18
	v_add_lshl_u32 v19, v19, v20, 23
	v_lshrrev_b32_e32 v17, 9, v17
	v_sub_u32_e32 v19, v21, v19
	v_or_b32_e32 v18, 0.5, v18
	v_lshlrev_b32_e32 v20, 23, v20
	v_or_b32_e32 v17, v19, v17
	v_lshrrev_b32_e32 v19, 9, v22
	v_sub_u32_e32 v18, v18, v20
	v_or_b32_e32 v18, v19, v18
	v_mul_f32_e32 v19, 0x3fc90fda, v18
	v_fma_f32 v20, v18, s35, -v19
	v_fmac_f32_e32 v20, 0x33a22168, v18
	v_fmac_f32_e32 v20, 0x3fc90fda, v17
	v_lshrrev_b32_e32 v5, 30, v5
	v_add_f32_e32 v17, v19, v20
	v_add_u32_e32 v18, v26, v5
.LBB92_6:                               ;   in Loop: Header=BB92_4 Depth=1
	s_andn2_saveexec_b64 s[0:1], s[22:23]
; %bb.7:                                ;   in Loop: Header=BB92_4 Depth=1
	v_mul_f32_e64 v5, |v1|, s36
	v_rndne_f32_e32 v5, v5
	v_cvt_i32_f32_e32 v18, v5
	v_fma_f32 v17, v5, s37, |v1|
	v_fmac_f32_e32 v17, 0xb3a22168, v5
	v_fmac_f32_e32 v17, 0xa7c234c4, v5
; %bb.8:                                ;   in Loop: Header=BB92_4 Depth=1
	s_or_b64 exec, exec, s[0:1]
	v_and_b32_e32 v19, 0x7fffffff, v2
	v_cmp_nlt_f32_e64 s[0:1], |v2|, s26
                                        ; implicit-def: $vgpr21
                                        ; implicit-def: $vgpr20
	s_and_saveexec_b64 s[2:3], s[0:1]
	s_xor_b64 s[22:23], exec, s[2:3]
	s_cbranch_execz .LBB92_10
; %bb.9:                                ;   in Loop: Header=BB92_4 Depth=1
	v_and_b32_e32 v5, 0x7fffff, v19
	v_or_b32_e32 v27, 0x800000, v5
	v_mad_u64_u32 v[20:21], s[0:1], v27, s27, 0
	v_mov_b32_e32 v5, v21
	v_mad_u64_u32 v[21:22], s[0:1], v27, s28, v[5:6]
	v_mov_b32_e32 v5, v22
	v_mad_u64_u32 v[22:23], s[0:1], v27, s29, v[5:6]
	v_mov_b32_e32 v5, v23
	v_mad_u64_u32 v[23:24], s[0:1], v27, s30, v[5:6]
	v_lshrrev_b32_e32 v5, 23, v19
	v_add_u32_e32 v26, 0xffffff88, v5
	v_mov_b32_e32 v5, v24
	v_mad_u64_u32 v[24:25], s[0:1], v27, s31, v[5:6]
	v_cmp_lt_u32_e32 vcc, 63, v26
	v_cndmask_b32_e32 v5, 0, v13, vcc
	v_add_u32_e32 v28, v5, v26
	v_mov_b32_e32 v5, v25
	v_mad_u64_u32 v[25:26], s[0:1], v27, s33, v[5:6]
	v_cmp_lt_u32_e64 s[0:1], 31, v28
	v_cndmask_b32_e64 v5, 0, v14, s[0:1]
	v_add_u32_e32 v28, v5, v28
	v_mov_b32_e32 v5, v26
	v_mad_u64_u32 v[26:27], s[2:3], v27, s34, v[5:6]
	v_cmp_lt_u32_e64 s[2:3], 31, v28
	v_cndmask_b32_e64 v5, 0, v14, s[2:3]
	v_add_u32_e32 v5, v5, v28
	v_cndmask_b32_e32 v28, v25, v23, vcc
	v_cndmask_b32_e32 v26, v26, v24, vcc
	;; [unrolled: 1-line block ×4, first 2 shown]
	v_cndmask_b32_e64 v27, v26, v28, s[0:1]
	v_cndmask_b32_e64 v25, v25, v26, s[0:1]
	;; [unrolled: 1-line block ×3, first 2 shown]
	v_cndmask_b32_e32 v21, v23, v21, vcc
	v_cndmask_b32_e64 v25, v25, v27, s[2:3]
	v_cndmask_b32_e64 v27, v27, v26, s[2:3]
	v_sub_u32_e32 v28, 32, v5
	v_cndmask_b32_e64 v23, v24, v21, s[0:1]
	v_alignbit_b32 v29, v25, v27, v28
	v_cmp_eq_u32_e64 s[6:7], 0, v5
	v_cndmask_b32_e64 v24, v26, v23, s[2:3]
	v_cndmask_b32_e64 v5, v29, v25, s[6:7]
	v_alignbit_b32 v25, v27, v24, v28
	v_cndmask_b32_e32 v20, v22, v20, vcc
	v_cndmask_b32_e64 v25, v25, v27, s[6:7]
	v_bfe_u32 v29, v5, 29, 1
	v_cndmask_b32_e64 v20, v21, v20, s[0:1]
	v_alignbit_b32 v26, v5, v25, 30
	v_sub_u32_e32 v30, 0, v29
	v_cndmask_b32_e64 v20, v23, v20, s[2:3]
	v_xor_b32_e32 v26, v26, v30
	v_alignbit_b32 v21, v24, v20, v28
	v_cndmask_b32_e64 v21, v21, v24, s[6:7]
	v_ffbh_u32_e32 v23, v26
	v_alignbit_b32 v22, v25, v21, 30
	v_min_u32_e32 v23, 32, v23
	v_alignbit_b32 v20, v21, v20, 30
	v_xor_b32_e32 v22, v22, v30
	v_sub_u32_e32 v24, 31, v23
	v_xor_b32_e32 v20, v20, v30
	v_alignbit_b32 v25, v26, v22, v24
	v_alignbit_b32 v20, v22, v20, v24
	;; [unrolled: 1-line block ×3, first 2 shown]
	v_ffbh_u32_e32 v22, v21
	v_min_u32_e32 v22, 32, v22
	v_lshrrev_b32_e32 v27, 29, v5
	v_not_b32_e32 v24, v22
	v_alignbit_b32 v20, v21, v20, v24
	v_lshlrev_b32_e32 v21, 31, v27
	v_or_b32_e32 v24, 0x33000000, v21
	v_add_lshl_u32 v22, v22, v23, 23
	v_lshrrev_b32_e32 v20, 9, v20
	v_sub_u32_e32 v22, v24, v22
	v_or_b32_e32 v21, 0.5, v21
	v_lshlrev_b32_e32 v23, 23, v23
	v_or_b32_e32 v20, v22, v20
	v_lshrrev_b32_e32 v22, 9, v25
	v_sub_u32_e32 v21, v21, v23
	v_or_b32_e32 v21, v22, v21
	v_mul_f32_e32 v22, 0x3fc90fda, v21
	v_fma_f32 v23, v21, s35, -v22
	v_fmac_f32_e32 v23, 0x33a22168, v21
	v_fmac_f32_e32 v23, 0x3fc90fda, v20
	v_lshrrev_b32_e32 v5, 30, v5
	v_add_f32_e32 v20, v22, v23
	v_add_u32_e32 v21, v29, v5
.LBB92_10:                              ;   in Loop: Header=BB92_4 Depth=1
	s_andn2_saveexec_b64 s[0:1], s[22:23]
; %bb.11:                               ;   in Loop: Header=BB92_4 Depth=1
	v_mul_f32_e64 v5, |v2|, s36
	v_rndne_f32_e32 v5, v5
	v_cvt_i32_f32_e32 v21, v5
	v_fma_f32 v20, v5, s37, |v2|
	v_fmac_f32_e32 v20, 0xb3a22168, v5
	v_fmac_f32_e32 v20, 0xa7c234c4, v5
; %bb.12:                               ;   in Loop: Header=BB92_4 Depth=1
	s_or_b64 exec, exec, s[0:1]
	v_and_b32_e32 v22, 0x7fffffff, v3
	v_cmp_nlt_f32_e64 s[0:1], |v3|, s26
                                        ; implicit-def: $vgpr25
                                        ; implicit-def: $vgpr24
	s_and_saveexec_b64 s[2:3], s[0:1]
	s_xor_b64 s[22:23], exec, s[2:3]
	s_cbranch_execz .LBB92_14
; %bb.13:                               ;   in Loop: Header=BB92_4 Depth=1
	v_and_b32_e32 v5, 0x7fffff, v22
	v_or_b32_e32 v30, 0x800000, v5
	v_mad_u64_u32 v[23:24], s[0:1], v30, s27, 0
	v_mov_b32_e32 v5, v24
	v_mad_u64_u32 v[24:25], s[0:1], v30, s28, v[5:6]
	v_mov_b32_e32 v5, v25
	;; [unrolled: 2-line block ×3, first 2 shown]
	v_mad_u64_u32 v[26:27], s[0:1], v30, s30, v[5:6]
	v_lshrrev_b32_e32 v5, 23, v22
	v_add_u32_e32 v29, 0xffffff88, v5
	v_mov_b32_e32 v5, v27
	v_mad_u64_u32 v[27:28], s[0:1], v30, s31, v[5:6]
	v_cmp_lt_u32_e32 vcc, 63, v29
	v_cndmask_b32_e32 v5, 0, v13, vcc
	v_add_u32_e32 v31, v5, v29
	v_mov_b32_e32 v5, v28
	v_mad_u64_u32 v[28:29], s[0:1], v30, s33, v[5:6]
	v_cmp_lt_u32_e64 s[0:1], 31, v31
	v_cndmask_b32_e64 v5, 0, v14, s[0:1]
	v_add_u32_e32 v31, v5, v31
	v_mov_b32_e32 v5, v29
	v_mad_u64_u32 v[29:30], s[2:3], v30, s34, v[5:6]
	v_cmp_lt_u32_e64 s[2:3], 31, v31
	v_cndmask_b32_e64 v5, 0, v14, s[2:3]
	v_add_u32_e32 v5, v5, v31
	v_cndmask_b32_e32 v31, v28, v26, vcc
	v_cndmask_b32_e32 v29, v29, v27, vcc
	;; [unrolled: 1-line block ×4, first 2 shown]
	v_cndmask_b32_e64 v30, v29, v31, s[0:1]
	v_cndmask_b32_e64 v28, v28, v29, s[0:1]
	;; [unrolled: 1-line block ×3, first 2 shown]
	v_cndmask_b32_e32 v24, v26, v24, vcc
	v_cndmask_b32_e64 v28, v28, v30, s[2:3]
	v_cndmask_b32_e64 v30, v30, v29, s[2:3]
	v_sub_u32_e32 v31, 32, v5
	v_cndmask_b32_e64 v26, v27, v24, s[0:1]
	v_alignbit_b32 v32, v28, v30, v31
	v_cmp_eq_u32_e64 s[6:7], 0, v5
	v_cndmask_b32_e64 v27, v29, v26, s[2:3]
	v_cndmask_b32_e64 v5, v32, v28, s[6:7]
	v_alignbit_b32 v28, v30, v27, v31
	v_cndmask_b32_e32 v23, v25, v23, vcc
	v_cndmask_b32_e64 v28, v28, v30, s[6:7]
	v_bfe_u32 v32, v5, 29, 1
	v_cndmask_b32_e64 v23, v24, v23, s[0:1]
	v_alignbit_b32 v29, v5, v28, 30
	v_sub_u32_e32 v33, 0, v32
	v_cndmask_b32_e64 v23, v26, v23, s[2:3]
	v_xor_b32_e32 v29, v29, v33
	v_alignbit_b32 v24, v27, v23, v31
	v_cndmask_b32_e64 v24, v24, v27, s[6:7]
	v_ffbh_u32_e32 v26, v29
	v_alignbit_b32 v25, v28, v24, 30
	v_min_u32_e32 v26, 32, v26
	v_alignbit_b32 v23, v24, v23, 30
	v_xor_b32_e32 v25, v25, v33
	v_sub_u32_e32 v27, 31, v26
	v_xor_b32_e32 v23, v23, v33
	v_alignbit_b32 v28, v29, v25, v27
	v_alignbit_b32 v23, v25, v23, v27
	;; [unrolled: 1-line block ×3, first 2 shown]
	v_ffbh_u32_e32 v25, v24
	v_min_u32_e32 v25, 32, v25
	v_lshrrev_b32_e32 v30, 29, v5
	v_not_b32_e32 v27, v25
	v_alignbit_b32 v23, v24, v23, v27
	v_lshlrev_b32_e32 v24, 31, v30
	v_or_b32_e32 v27, 0x33000000, v24
	v_add_lshl_u32 v25, v25, v26, 23
	v_lshrrev_b32_e32 v23, 9, v23
	v_sub_u32_e32 v25, v27, v25
	v_or_b32_e32 v24, 0.5, v24
	v_lshlrev_b32_e32 v26, 23, v26
	v_or_b32_e32 v23, v25, v23
	v_lshrrev_b32_e32 v25, 9, v28
	v_sub_u32_e32 v24, v24, v26
	v_or_b32_e32 v24, v25, v24
	v_mul_f32_e32 v25, 0x3fc90fda, v24
	v_fma_f32 v26, v24, s35, -v25
	v_fmac_f32_e32 v26, 0x33a22168, v24
	v_fmac_f32_e32 v26, 0x3fc90fda, v23
	v_lshrrev_b32_e32 v5, 30, v5
	v_add_f32_e32 v24, v25, v26
	v_add_u32_e32 v25, v32, v5
.LBB92_14:                              ;   in Loop: Header=BB92_4 Depth=1
	s_andn2_saveexec_b64 s[0:1], s[22:23]
; %bb.15:                               ;   in Loop: Header=BB92_4 Depth=1
	v_mul_f32_e64 v5, |v3|, s36
	v_rndne_f32_e32 v5, v5
	v_cvt_i32_f32_e32 v25, v5
	v_fma_f32 v24, v5, s37, |v3|
	v_fmac_f32_e32 v24, 0xb3a22168, v5
	v_fmac_f32_e32 v24, 0xa7c234c4, v5
; %bb.16:                               ;   in Loop: Header=BB92_4 Depth=1
	s_or_b64 exec, exec, s[0:1]
	v_and_b32_e32 v23, 0x7fffffff, v4
	v_cmp_nlt_f32_e64 s[0:1], |v4|, s26
                                        ; implicit-def: $vgpr26
                                        ; implicit-def: $vgpr5
	s_and_saveexec_b64 s[2:3], s[0:1]
	s_xor_b64 s[22:23], exec, s[2:3]
	s_cbranch_execz .LBB92_18
; %bb.17:                               ;   in Loop: Header=BB92_4 Depth=1
	v_and_b32_e32 v5, 0x7fffff, v23
	v_or_b32_e32 v33, 0x800000, v5
	v_mad_u64_u32 v[26:27], s[0:1], v33, s27, 0
	v_mov_b32_e32 v5, v27
	v_mad_u64_u32 v[27:28], s[0:1], v33, s28, v[5:6]
	v_mov_b32_e32 v5, v28
	;; [unrolled: 2-line block ×3, first 2 shown]
	v_mad_u64_u32 v[29:30], s[0:1], v33, s30, v[5:6]
	v_lshrrev_b32_e32 v5, 23, v23
	v_add_u32_e32 v32, 0xffffff88, v5
	v_mov_b32_e32 v5, v30
	v_mad_u64_u32 v[30:31], s[0:1], v33, s31, v[5:6]
	v_cmp_lt_u32_e32 vcc, 63, v32
	v_cndmask_b32_e32 v5, 0, v13, vcc
	v_add_u32_e32 v34, v5, v32
	v_mov_b32_e32 v5, v31
	v_mad_u64_u32 v[31:32], s[0:1], v33, s33, v[5:6]
	v_cmp_lt_u32_e64 s[0:1], 31, v34
	v_cndmask_b32_e64 v5, 0, v14, s[0:1]
	v_add_u32_e32 v34, v5, v34
	v_mov_b32_e32 v5, v32
	v_mad_u64_u32 v[32:33], s[2:3], v33, s34, v[5:6]
	v_cmp_lt_u32_e64 s[2:3], 31, v34
	v_cndmask_b32_e64 v5, 0, v14, s[2:3]
	v_add_u32_e32 v5, v5, v34
	v_cndmask_b32_e32 v34, v31, v29, vcc
	v_cndmask_b32_e32 v32, v32, v30, vcc
	;; [unrolled: 1-line block ×4, first 2 shown]
	v_cndmask_b32_e64 v33, v32, v34, s[0:1]
	v_cndmask_b32_e64 v31, v31, v32, s[0:1]
	;; [unrolled: 1-line block ×3, first 2 shown]
	v_sub_u32_e32 v34, 32, v5
	v_cmp_eq_u32_e64 s[6:7], 0, v5
	v_cndmask_b32_e32 v5, v29, v27, vcc
	v_cndmask_b32_e64 v31, v31, v33, s[2:3]
	v_cndmask_b32_e64 v33, v33, v32, s[2:3]
	;; [unrolled: 1-line block ×3, first 2 shown]
	v_alignbit_b32 v35, v31, v33, v34
	v_cndmask_b32_e64 v29, v32, v27, s[2:3]
	v_cndmask_b32_e64 v31, v35, v31, s[6:7]
	v_alignbit_b32 v30, v33, v29, v34
	v_cndmask_b32_e32 v26, v28, v26, vcc
	v_cndmask_b32_e64 v30, v30, v33, s[6:7]
	v_bfe_u32 v35, v31, 29, 1
	v_cndmask_b32_e64 v5, v5, v26, s[0:1]
	v_alignbit_b32 v32, v31, v30, 30
	v_sub_u32_e32 v36, 0, v35
	v_cndmask_b32_e64 v5, v27, v5, s[2:3]
	v_xor_b32_e32 v32, v32, v36
	v_alignbit_b32 v26, v29, v5, v34
	v_cndmask_b32_e64 v26, v26, v29, s[6:7]
	v_ffbh_u32_e32 v28, v32
	v_alignbit_b32 v27, v30, v26, 30
	v_min_u32_e32 v28, 32, v28
	v_alignbit_b32 v5, v26, v5, 30
	v_xor_b32_e32 v27, v27, v36
	v_sub_u32_e32 v29, 31, v28
	v_xor_b32_e32 v5, v5, v36
	v_alignbit_b32 v30, v32, v27, v29
	v_alignbit_b32 v5, v27, v5, v29
	;; [unrolled: 1-line block ×3, first 2 shown]
	v_ffbh_u32_e32 v27, v26
	v_min_u32_e32 v27, 32, v27
	v_lshrrev_b32_e32 v33, 29, v31
	v_not_b32_e32 v29, v27
	v_alignbit_b32 v5, v26, v5, v29
	v_lshlrev_b32_e32 v26, 31, v33
	v_or_b32_e32 v29, 0x33000000, v26
	v_add_lshl_u32 v27, v27, v28, 23
	v_lshrrev_b32_e32 v5, 9, v5
	v_sub_u32_e32 v27, v29, v27
	v_or_b32_e32 v26, 0.5, v26
	v_lshlrev_b32_e32 v28, 23, v28
	v_or_b32_e32 v5, v27, v5
	v_lshrrev_b32_e32 v27, 9, v30
	v_sub_u32_e32 v26, v26, v28
	v_or_b32_e32 v26, v27, v26
	v_mul_f32_e32 v27, 0x3fc90fda, v26
	v_fma_f32 v28, v26, s35, -v27
	v_fmac_f32_e32 v28, 0x33a22168, v26
	v_fmac_f32_e32 v28, 0x3fc90fda, v5
	v_lshrrev_b32_e32 v26, 30, v31
	v_add_f32_e32 v5, v27, v28
	v_add_u32_e32 v26, v35, v26
.LBB92_18:                              ;   in Loop: Header=BB92_4 Depth=1
	s_andn2_saveexec_b64 s[0:1], s[22:23]
	s_cbranch_execz .LBB92_3
; %bb.19:                               ;   in Loop: Header=BB92_4 Depth=1
	v_mul_f32_e64 v5, |v4|, s36
	v_rndne_f32_e32 v27, v5
	v_cvt_i32_f32_e32 v26, v27
	v_fma_f32 v5, v27, s37, |v4|
	v_fmac_f32_e32 v5, 0xb3a22168, v27
	v_fmac_f32_e32 v5, 0xa7c234c4, v27
	s_branch .LBB92_3
.LBB92_20:
	s_or_b64 exec, exec, s[18:19]
	s_mov_b64 s[0:1], 0
.LBB92_21:
	s_andn2_b64 vcc, exec, s[0:1]
	s_cbranch_vccnz .LBB92_57
; %bb.22:
	v_cmp_lt_i64_e64 s[0:1], s[12:13], 1
	s_and_b64 vcc, exec, s[0:1]
	s_cbranch_vccnz .LBB92_57
; %bb.23:
	v_mov_b32_e32 v3, 0x10000
	s_load_dword s2, s[4:5], 0xc5c
	v_mov_b32_e32 v4, 0
	v_cmp_lt_i64_e32 vcc, s[12:13], v[3:4]
	v_mov_b32_e32 v2, 0
	s_and_b64 s[0:1], vcc, exec
	v_cmp_lt_u64_e32 vcc, s[12:13], v[3:4]
	s_cselect_b32 s17, s13, 0
	s_cselect_b32 s16, s12, 0x10000
	s_waitcnt lgkmcnt(0)
	s_and_b32 s2, s2, 0xffff
	v_lshlrev_b32_e32 v1, 2, v0
	s_and_b64 s[0:1], vcc, exec
	v_mov_b32_e32 v4, s11
	v_add_co_u32_e32 v3, vcc, s10, v1
	v_mad_u64_u32 v[9:10], s[0:1], s2, 12, v[1:2]
	v_addc_co_u32_e32 v4, vcc, 0, v4, vcc
	v_mov_b32_e32 v6, s9
	v_add_co_u32_e32 v5, vcc, s8, v1
	v_addc_co_u32_e32 v6, vcc, 0, v6, vcc
	v_mov_b32_e32 v8, s11
	v_add_co_u32_e32 v7, vcc, s10, v9
	;; [unrolled: 3-line block ×3, first 2 shown]
	s_cselect_b32 s19, s13, 0
	s_cselect_b32 s18, s12, 0x10000
	v_addc_co_u32_e32 v10, vcc, v11, v10, vcc
	s_lshl_b32 s0, s2, 3
	v_add_co_u32_e32 v1, vcc, s0, v1
	v_addc_co_u32_e64 v14, s[0:1], 0, 0, vcc
	v_mov_b32_e32 v12, s11
	v_add_co_u32_e32 v11, vcc, s10, v1
	v_addc_co_u32_e32 v12, vcc, v12, v14, vcc
	v_mov_b32_e32 v15, s9
	v_add_co_u32_e32 v13, vcc, s8, v1
	v_addc_co_u32_e32 v14, vcc, v15, v14, vcc
	v_add_co_u32_e32 v15, vcc, s2, v0
	v_lshlrev_b32_e32 v1, 2, v15
	v_addc_co_u32_e64 v16, s[0:1], 0, 0, vcc
	v_mov_b32_e32 v18, s11
	v_add_co_u32_e32 v17, vcc, s10, v1
	v_addc_co_u32_e32 v18, vcc, 0, v18, vcc
	v_mov_b32_e32 v20, s9
	v_add_co_u32_e32 v19, vcc, s8, v1
	s_mul_i32 s4, s2, 3
	v_addc_co_u32_e32 v20, vcc, 0, v20, vcc
	s_lshl_b32 s3, s2, 1
	v_add_co_u32_e32 v21, vcc, s4, v0
	v_addc_co_u32_e64 v22, s[0:1], 0, 0, vcc
	v_add_co_u32_e32 v23, vcc, s3, v0
	s_lshl_b32 s24, s2, 2
	s_lshl_b32 s25, s2, 4
	s_mov_b64 s[20:21], 0
	s_brev_b32 s26, 18
	s_mov_b32 s27, 0xfe5163ab
	s_mov_b32 s28, 0x3c439041
	;; [unrolled: 1-line block ×10, first 2 shown]
	s_movk_i32 s38, 0x1f8
	v_addc_co_u32_e64 v24, s[0:1], 0, 0, vcc
	v_mov_b32_e32 v25, 0x3f93f425
	v_not_b32_e32 v26, 63
	v_not_b32_e32 v27, 31
	v_mov_b32_e32 v28, 0x7fc00000
	s_branch .LBB92_25
.LBB92_24:                              ;   in Loop: Header=BB92_25 Depth=1
	s_or_b64 exec, exec, s[0:1]
	v_add_co_u32_e32 v3, vcc, s25, v3
	v_addc_co_u32_e32 v4, vcc, 0, v4, vcc
	v_add_co_u32_e32 v5, vcc, s25, v5
	v_addc_co_u32_e32 v6, vcc, 0, v6, vcc
	;; [unrolled: 2-line block ×6, first 2 shown]
	s_add_u32 s20, s20, s24
	v_add_co_u32_e32 v17, vcc, s25, v17
	v_mov_b32_e32 v30, s17
	s_addc_u32 s21, s21, 0
	v_addc_co_u32_e32 v18, vcc, 0, v18, vcc
	v_mov_b32_e32 v29, s16
	v_cmp_ge_i64_e32 vcc, s[20:21], v[29:30]
	v_add_co_u32_e64 v19, s[0:1], s25, v19
	v_addc_co_u32_e64 v20, s[0:1], 0, v20, s[0:1]
	s_cbranch_vccnz .LBB92_57
.LBB92_25:                              ; =>This Inner Loop Header: Depth=1
	v_mov_b32_e32 v1, s21
	v_add_co_u32_e32 v29, vcc, s20, v0
	v_addc_co_u32_e32 v30, vcc, 0, v1, vcc
	v_cmp_gt_u64_e64 s[4:5], s[18:19], v[29:30]
	v_mov_b32_e32 v32, 0
	s_and_saveexec_b64 s[0:1], s[4:5]
	s_cbranch_execz .LBB92_27
; %bb.26:                               ;   in Loop: Header=BB92_25 Depth=1
	v_mov_b32_e32 v1, s15
	v_add_co_u32_e32 v29, vcc, s14, v3
	v_addc_co_u32_e32 v30, vcc, v4, v1, vcc
	global_load_dword v32, v[29:30], off
.LBB92_27:                              ;   in Loop: Header=BB92_25 Depth=1
	s_or_b64 exec, exec, s[0:1]
	v_mov_b32_e32 v1, s21
	v_add_co_u32_e32 v29, vcc, s20, v15
	v_addc_co_u32_e32 v30, vcc, v16, v1, vcc
	v_cmp_gt_u64_e64 s[2:3], s[18:19], v[29:30]
	v_mov_b32_e32 v29, 0
	v_mov_b32_e32 v31, 0
	s_and_saveexec_b64 s[0:1], s[2:3]
	s_cbranch_execz .LBB92_29
; %bb.28:                               ;   in Loop: Header=BB92_25 Depth=1
	v_mov_b32_e32 v1, s15
	v_add_co_u32_e32 v30, vcc, s14, v17
	v_addc_co_u32_e32 v31, vcc, v18, v1, vcc
	global_load_dword v31, v[30:31], off
.LBB92_29:                              ;   in Loop: Header=BB92_25 Depth=1
	s_or_b64 exec, exec, s[0:1]
	v_mov_b32_e32 v1, s21
	v_add_co_u32_e32 v33, vcc, s20, v23
	v_addc_co_u32_e32 v34, vcc, v24, v1, vcc
	v_cmp_gt_u64_e64 s[0:1], s[18:19], v[33:34]
	s_and_saveexec_b64 s[6:7], s[0:1]
	s_cbranch_execz .LBB92_31
; %bb.30:                               ;   in Loop: Header=BB92_25 Depth=1
	v_mov_b32_e32 v1, s15
	v_add_co_u32_e32 v29, vcc, s14, v11
	v_addc_co_u32_e32 v30, vcc, v12, v1, vcc
	global_load_dword v29, v[29:30], off
.LBB92_31:                              ;   in Loop: Header=BB92_25 Depth=1
	s_or_b64 exec, exec, s[6:7]
	v_mov_b32_e32 v1, s21
	v_add_co_u32_e32 v33, vcc, s20, v21
	v_addc_co_u32_e32 v34, vcc, v22, v1, vcc
	v_cmp_gt_u64_e32 vcc, s[18:19], v[33:34]
	v_mov_b32_e32 v30, 0
	s_and_saveexec_b64 s[8:9], vcc
	s_cbranch_execz .LBB92_33
; %bb.32:                               ;   in Loop: Header=BB92_25 Depth=1
	v_mov_b32_e32 v1, s15
	v_add_co_u32_e64 v33, s[6:7], s14, v7
	v_addc_co_u32_e64 v34, s[6:7], v8, v1, s[6:7]
	global_load_dword v30, v[33:34], off
.LBB92_33:                              ;   in Loop: Header=BB92_25 Depth=1
	s_or_b64 exec, exec, s[8:9]
	s_waitcnt vmcnt(0)
	v_and_b32_e32 v33, 0x7fffffff, v32
	v_cmp_nlt_f32_e64 s[6:7], |v32|, s26
                                        ; implicit-def: $vgpr36
                                        ; implicit-def: $vgpr35
	s_and_saveexec_b64 s[8:9], s[6:7]
	s_xor_b64 s[22:23], exec, s[8:9]
	s_cbranch_execz .LBB92_35
; %bb.34:                               ;   in Loop: Header=BB92_25 Depth=1
	v_and_b32_e32 v1, 0x7fffff, v33
	v_or_b32_e32 v41, 0x800000, v1
	v_mad_u64_u32 v[34:35], s[6:7], v41, s27, 0
	v_mov_b32_e32 v1, v35
	v_mad_u64_u32 v[35:36], s[6:7], v41, s28, v[1:2]
	v_mov_b32_e32 v1, v36
	;; [unrolled: 2-line block ×3, first 2 shown]
	v_mad_u64_u32 v[37:38], s[6:7], v41, s30, v[1:2]
	v_lshrrev_b32_e32 v1, 23, v33
	v_add_u32_e32 v40, 0xffffff88, v1
	v_mov_b32_e32 v1, v38
	v_mad_u64_u32 v[38:39], s[6:7], v41, s31, v[1:2]
	v_cmp_lt_u32_e64 s[6:7], 63, v40
	v_cndmask_b32_e64 v1, 0, v26, s[6:7]
	v_add_u32_e32 v42, v1, v40
	v_mov_b32_e32 v1, v39
	v_mad_u64_u32 v[39:40], s[8:9], v41, s33, v[1:2]
	v_cmp_lt_u32_e64 s[8:9], 31, v42
	v_cndmask_b32_e64 v1, 0, v27, s[8:9]
	;; [unrolled: 5-line block ×3, first 2 shown]
	v_add_u32_e32 v1, v1, v42
	v_cndmask_b32_e64 v42, v39, v37, s[6:7]
	v_cndmask_b32_e64 v40, v40, v38, s[6:7]
	;; [unrolled: 1-line block ×10, first 2 shown]
	v_sub_u32_e32 v42, 32, v1
	v_cndmask_b32_e64 v37, v38, v35, s[8:9]
	v_alignbit_b32 v43, v39, v41, v42
	v_cmp_eq_u32_e64 s[12:13], 0, v1
	v_cndmask_b32_e64 v38, v40, v37, s[10:11]
	v_cndmask_b32_e64 v1, v43, v39, s[12:13]
	v_alignbit_b32 v39, v41, v38, v42
	v_cndmask_b32_e64 v34, v36, v34, s[6:7]
	v_cndmask_b32_e64 v39, v39, v41, s[12:13]
	v_bfe_u32 v43, v1, 29, 1
	v_cndmask_b32_e64 v34, v35, v34, s[8:9]
	v_alignbit_b32 v40, v1, v39, 30
	v_sub_u32_e32 v44, 0, v43
	v_cndmask_b32_e64 v34, v37, v34, s[10:11]
	v_xor_b32_e32 v40, v40, v44
	v_alignbit_b32 v35, v38, v34, v42
	v_cndmask_b32_e64 v35, v35, v38, s[12:13]
	v_ffbh_u32_e32 v37, v40
	v_alignbit_b32 v36, v39, v35, 30
	v_min_u32_e32 v37, 32, v37
	v_alignbit_b32 v34, v35, v34, 30
	v_xor_b32_e32 v36, v36, v44
	v_sub_u32_e32 v38, 31, v37
	v_xor_b32_e32 v34, v34, v44
	v_alignbit_b32 v39, v40, v36, v38
	v_alignbit_b32 v34, v36, v34, v38
	;; [unrolled: 1-line block ×3, first 2 shown]
	v_ffbh_u32_e32 v36, v35
	v_min_u32_e32 v36, 32, v36
	v_lshrrev_b32_e32 v41, 29, v1
	v_not_b32_e32 v38, v36
	v_alignbit_b32 v34, v35, v34, v38
	v_lshlrev_b32_e32 v35, 31, v41
	v_or_b32_e32 v38, 0x33000000, v35
	v_add_lshl_u32 v36, v36, v37, 23
	v_lshrrev_b32_e32 v34, 9, v34
	v_sub_u32_e32 v36, v38, v36
	v_or_b32_e32 v35, 0.5, v35
	v_lshlrev_b32_e32 v37, 23, v37
	v_or_b32_e32 v34, v36, v34
	v_lshrrev_b32_e32 v36, 9, v39
	v_sub_u32_e32 v35, v35, v37
	v_or_b32_e32 v35, v36, v35
	v_mul_f32_e32 v36, 0x3fc90fda, v35
	v_fma_f32 v37, v35, s35, -v36
	v_fmac_f32_e32 v37, 0x33a22168, v35
	v_fmac_f32_e32 v37, 0x3fc90fda, v34
	v_lshrrev_b32_e32 v1, 30, v1
	v_add_f32_e32 v35, v36, v37
	v_add_u32_e32 v36, v43, v1
.LBB92_35:                              ;   in Loop: Header=BB92_25 Depth=1
	s_andn2_saveexec_b64 s[6:7], s[22:23]
; %bb.36:                               ;   in Loop: Header=BB92_25 Depth=1
	v_mul_f32_e64 v1, |v32|, s36
	v_rndne_f32_e32 v1, v1
	v_cvt_i32_f32_e32 v36, v1
	v_fma_f32 v35, v1, s37, |v32|
	v_fmac_f32_e32 v35, 0xb3a22168, v1
	v_fmac_f32_e32 v35, 0xa7c234c4, v1
; %bb.37:                               ;   in Loop: Header=BB92_25 Depth=1
	s_or_b64 exec, exec, s[6:7]
	v_and_b32_e32 v34, 0x7fffffff, v31
	v_cmp_nlt_f32_e64 s[6:7], |v31|, s26
                                        ; implicit-def: $vgpr39
                                        ; implicit-def: $vgpr38
	s_and_saveexec_b64 s[8:9], s[6:7]
	s_xor_b64 s[22:23], exec, s[8:9]
	s_cbranch_execz .LBB92_39
; %bb.38:                               ;   in Loop: Header=BB92_25 Depth=1
	v_and_b32_e32 v1, 0x7fffff, v34
	v_or_b32_e32 v44, 0x800000, v1
	v_mad_u64_u32 v[37:38], s[6:7], v44, s27, 0
	v_mov_b32_e32 v1, v38
	v_mad_u64_u32 v[38:39], s[6:7], v44, s28, v[1:2]
	v_mov_b32_e32 v1, v39
	;; [unrolled: 2-line block ×3, first 2 shown]
	v_mad_u64_u32 v[40:41], s[6:7], v44, s30, v[1:2]
	v_lshrrev_b32_e32 v1, 23, v34
	v_add_u32_e32 v43, 0xffffff88, v1
	v_mov_b32_e32 v1, v41
	v_mad_u64_u32 v[41:42], s[8:9], v44, s31, v[1:2]
	v_cmp_lt_u32_e64 s[6:7], 63, v43
	v_cndmask_b32_e64 v1, 0, v26, s[6:7]
	v_add_u32_e32 v45, v1, v43
	v_mov_b32_e32 v1, v42
	v_mad_u64_u32 v[42:43], s[10:11], v44, s33, v[1:2]
	v_cmp_lt_u32_e64 s[8:9], 31, v45
	v_cndmask_b32_e64 v1, 0, v27, s[8:9]
	;; [unrolled: 5-line block ×3, first 2 shown]
	v_add_u32_e32 v1, v1, v45
	v_cndmask_b32_e64 v45, v42, v40, s[6:7]
	v_cndmask_b32_e64 v43, v43, v41, s[6:7]
	;; [unrolled: 1-line block ×10, first 2 shown]
	v_sub_u32_e32 v45, 32, v1
	v_cndmask_b32_e64 v40, v41, v38, s[8:9]
	v_alignbit_b32 v46, v42, v44, v45
	v_cmp_eq_u32_e64 s[12:13], 0, v1
	v_cndmask_b32_e64 v41, v43, v40, s[10:11]
	v_cndmask_b32_e64 v1, v46, v42, s[12:13]
	v_alignbit_b32 v42, v44, v41, v45
	v_cndmask_b32_e64 v37, v39, v37, s[6:7]
	v_cndmask_b32_e64 v42, v42, v44, s[12:13]
	v_bfe_u32 v46, v1, 29, 1
	v_cndmask_b32_e64 v37, v38, v37, s[8:9]
	v_alignbit_b32 v43, v1, v42, 30
	v_sub_u32_e32 v47, 0, v46
	v_cndmask_b32_e64 v37, v40, v37, s[10:11]
	v_xor_b32_e32 v43, v43, v47
	v_alignbit_b32 v38, v41, v37, v45
	v_cndmask_b32_e64 v38, v38, v41, s[12:13]
	v_ffbh_u32_e32 v40, v43
	v_alignbit_b32 v39, v42, v38, 30
	v_min_u32_e32 v40, 32, v40
	v_alignbit_b32 v37, v38, v37, 30
	v_xor_b32_e32 v39, v39, v47
	v_sub_u32_e32 v41, 31, v40
	v_xor_b32_e32 v37, v37, v47
	v_alignbit_b32 v42, v43, v39, v41
	v_alignbit_b32 v37, v39, v37, v41
	;; [unrolled: 1-line block ×3, first 2 shown]
	v_ffbh_u32_e32 v39, v38
	v_min_u32_e32 v39, 32, v39
	v_lshrrev_b32_e32 v44, 29, v1
	v_not_b32_e32 v41, v39
	v_alignbit_b32 v37, v38, v37, v41
	v_lshlrev_b32_e32 v38, 31, v44
	v_or_b32_e32 v41, 0x33000000, v38
	v_add_lshl_u32 v39, v39, v40, 23
	v_lshrrev_b32_e32 v37, 9, v37
	v_sub_u32_e32 v39, v41, v39
	v_or_b32_e32 v38, 0.5, v38
	v_lshlrev_b32_e32 v40, 23, v40
	v_or_b32_e32 v37, v39, v37
	v_lshrrev_b32_e32 v39, 9, v42
	v_sub_u32_e32 v38, v38, v40
	v_or_b32_e32 v38, v39, v38
	v_mul_f32_e32 v39, 0x3fc90fda, v38
	v_fma_f32 v40, v38, s35, -v39
	v_fmac_f32_e32 v40, 0x33a22168, v38
	v_fmac_f32_e32 v40, 0x3fc90fda, v37
	v_lshrrev_b32_e32 v1, 30, v1
	v_add_f32_e32 v38, v39, v40
	v_add_u32_e32 v39, v46, v1
.LBB92_39:                              ;   in Loop: Header=BB92_25 Depth=1
	s_andn2_saveexec_b64 s[6:7], s[22:23]
; %bb.40:                               ;   in Loop: Header=BB92_25 Depth=1
	v_mul_f32_e64 v1, |v31|, s36
	v_rndne_f32_e32 v1, v1
	v_cvt_i32_f32_e32 v39, v1
	v_fma_f32 v38, v1, s37, |v31|
	v_fmac_f32_e32 v38, 0xb3a22168, v1
	v_fmac_f32_e32 v38, 0xa7c234c4, v1
; %bb.41:                               ;   in Loop: Header=BB92_25 Depth=1
	s_or_b64 exec, exec, s[6:7]
	v_and_b32_e32 v37, 0x7fffffff, v29
	v_cmp_nlt_f32_e64 s[6:7], |v29|, s26
                                        ; implicit-def: $vgpr42
                                        ; implicit-def: $vgpr41
	s_and_saveexec_b64 s[8:9], s[6:7]
	s_xor_b64 s[22:23], exec, s[8:9]
	s_cbranch_execz .LBB92_43
; %bb.42:                               ;   in Loop: Header=BB92_25 Depth=1
	v_and_b32_e32 v1, 0x7fffff, v37
	v_or_b32_e32 v47, 0x800000, v1
	v_mad_u64_u32 v[40:41], s[6:7], v47, s27, 0
	v_mov_b32_e32 v1, v41
	v_mad_u64_u32 v[41:42], s[6:7], v47, s28, v[1:2]
	v_mov_b32_e32 v1, v42
	;; [unrolled: 2-line block ×3, first 2 shown]
	v_mad_u64_u32 v[43:44], s[6:7], v47, s30, v[1:2]
	v_lshrrev_b32_e32 v1, 23, v37
	v_add_u32_e32 v46, 0xffffff88, v1
	v_mov_b32_e32 v1, v44
	v_mad_u64_u32 v[44:45], s[6:7], v47, s31, v[1:2]
	v_cmp_lt_u32_e64 s[6:7], 63, v46
	v_cndmask_b32_e64 v1, 0, v26, s[6:7]
	v_add_u32_e32 v48, v1, v46
	v_mov_b32_e32 v1, v45
	v_mad_u64_u32 v[45:46], s[8:9], v47, s33, v[1:2]
	v_cmp_lt_u32_e64 s[8:9], 31, v48
	v_cndmask_b32_e64 v1, 0, v27, s[8:9]
	;; [unrolled: 5-line block ×3, first 2 shown]
	v_add_u32_e32 v1, v1, v48
	v_cndmask_b32_e64 v48, v45, v43, s[6:7]
	v_cndmask_b32_e64 v46, v46, v44, s[6:7]
	;; [unrolled: 1-line block ×10, first 2 shown]
	v_sub_u32_e32 v48, 32, v1
	v_cndmask_b32_e64 v43, v44, v41, s[8:9]
	v_alignbit_b32 v49, v45, v47, v48
	v_cmp_eq_u32_e64 s[12:13], 0, v1
	v_cndmask_b32_e64 v44, v46, v43, s[10:11]
	v_cndmask_b32_e64 v1, v49, v45, s[12:13]
	v_alignbit_b32 v45, v47, v44, v48
	v_cndmask_b32_e64 v40, v42, v40, s[6:7]
	v_cndmask_b32_e64 v45, v45, v47, s[12:13]
	v_bfe_u32 v49, v1, 29, 1
	v_cndmask_b32_e64 v40, v41, v40, s[8:9]
	v_alignbit_b32 v46, v1, v45, 30
	v_sub_u32_e32 v50, 0, v49
	v_cndmask_b32_e64 v40, v43, v40, s[10:11]
	v_xor_b32_e32 v46, v46, v50
	v_alignbit_b32 v41, v44, v40, v48
	v_cndmask_b32_e64 v41, v41, v44, s[12:13]
	v_ffbh_u32_e32 v43, v46
	v_alignbit_b32 v42, v45, v41, 30
	v_min_u32_e32 v43, 32, v43
	v_alignbit_b32 v40, v41, v40, 30
	v_xor_b32_e32 v42, v42, v50
	v_sub_u32_e32 v44, 31, v43
	v_xor_b32_e32 v40, v40, v50
	v_alignbit_b32 v45, v46, v42, v44
	v_alignbit_b32 v40, v42, v40, v44
	;; [unrolled: 1-line block ×3, first 2 shown]
	v_ffbh_u32_e32 v42, v41
	v_min_u32_e32 v42, 32, v42
	v_lshrrev_b32_e32 v47, 29, v1
	v_not_b32_e32 v44, v42
	v_alignbit_b32 v40, v41, v40, v44
	v_lshlrev_b32_e32 v41, 31, v47
	v_or_b32_e32 v44, 0x33000000, v41
	v_add_lshl_u32 v42, v42, v43, 23
	v_lshrrev_b32_e32 v40, 9, v40
	v_sub_u32_e32 v42, v44, v42
	v_or_b32_e32 v41, 0.5, v41
	v_lshlrev_b32_e32 v43, 23, v43
	v_or_b32_e32 v40, v42, v40
	v_lshrrev_b32_e32 v42, 9, v45
	v_sub_u32_e32 v41, v41, v43
	v_or_b32_e32 v41, v42, v41
	v_mul_f32_e32 v42, 0x3fc90fda, v41
	v_fma_f32 v43, v41, s35, -v42
	v_fmac_f32_e32 v43, 0x33a22168, v41
	v_fmac_f32_e32 v43, 0x3fc90fda, v40
	v_lshrrev_b32_e32 v1, 30, v1
	v_add_f32_e32 v41, v42, v43
	v_add_u32_e32 v42, v49, v1
.LBB92_43:                              ;   in Loop: Header=BB92_25 Depth=1
	s_andn2_saveexec_b64 s[6:7], s[22:23]
; %bb.44:                               ;   in Loop: Header=BB92_25 Depth=1
	v_mul_f32_e64 v1, |v29|, s36
	v_rndne_f32_e32 v1, v1
	v_cvt_i32_f32_e32 v42, v1
	v_fma_f32 v41, v1, s37, |v29|
	v_fmac_f32_e32 v41, 0xb3a22168, v1
	v_fmac_f32_e32 v41, 0xa7c234c4, v1
; %bb.45:                               ;   in Loop: Header=BB92_25 Depth=1
	s_or_b64 exec, exec, s[6:7]
	v_and_b32_e32 v40, 0x7fffffff, v30
	v_cmp_nlt_f32_e64 s[6:7], |v30|, s26
                                        ; implicit-def: $vgpr43
                                        ; implicit-def: $vgpr1
	s_and_saveexec_b64 s[8:9], s[6:7]
	s_xor_b64 s[22:23], exec, s[8:9]
	s_cbranch_execnz .LBB92_51
; %bb.46:                               ;   in Loop: Header=BB92_25 Depth=1
	s_andn2_saveexec_b64 s[6:7], s[22:23]
	s_cbranch_execnz .LBB92_52
.LBB92_47:                              ;   in Loop: Header=BB92_25 Depth=1
	s_or_b64 exec, exec, s[6:7]
	s_and_saveexec_b64 s[6:7], s[4:5]
	s_xor_b64 s[6:7], exec, s[6:7]
	s_cbranch_execnz .LBB92_53
.LBB92_48:                              ;   in Loop: Header=BB92_25 Depth=1
	s_or_b64 exec, exec, s[6:7]
	s_and_saveexec_b64 s[4:5], s[2:3]
	s_cbranch_execnz .LBB92_54
.LBB92_49:                              ;   in Loop: Header=BB92_25 Depth=1
	s_or_b64 exec, exec, s[4:5]
	s_and_saveexec_b64 s[2:3], s[0:1]
	s_cbranch_execnz .LBB92_55
.LBB92_50:                              ;   in Loop: Header=BB92_25 Depth=1
	s_or_b64 exec, exec, s[2:3]
	s_and_saveexec_b64 s[0:1], vcc
	s_cbranch_execz .LBB92_24
	s_branch .LBB92_56
.LBB92_51:                              ;   in Loop: Header=BB92_25 Depth=1
	v_and_b32_e32 v1, 0x7fffff, v40
	v_or_b32_e32 v50, 0x800000, v1
	v_mad_u64_u32 v[43:44], s[6:7], v50, s27, 0
	v_mov_b32_e32 v1, v44
	v_mad_u64_u32 v[44:45], s[6:7], v50, s28, v[1:2]
	v_mov_b32_e32 v1, v45
	;; [unrolled: 2-line block ×3, first 2 shown]
	v_mad_u64_u32 v[46:47], s[6:7], v50, s30, v[1:2]
	v_lshrrev_b32_e32 v1, 23, v40
	v_add_u32_e32 v49, 0xffffff88, v1
	v_mov_b32_e32 v1, v47
	v_mad_u64_u32 v[47:48], s[6:7], v50, s31, v[1:2]
	v_cmp_lt_u32_e64 s[6:7], 63, v49
	v_cndmask_b32_e64 v1, 0, v26, s[6:7]
	v_add_u32_e32 v51, v1, v49
	v_mov_b32_e32 v1, v48
	v_mad_u64_u32 v[48:49], s[8:9], v50, s33, v[1:2]
	v_cmp_lt_u32_e64 s[8:9], 31, v51
	v_cndmask_b32_e64 v1, 0, v27, s[8:9]
	;; [unrolled: 5-line block ×3, first 2 shown]
	v_add_u32_e32 v1, v1, v51
	v_cndmask_b32_e64 v51, v48, v46, s[6:7]
	v_cndmask_b32_e64 v49, v49, v47, s[6:7]
	;; [unrolled: 1-line block ×7, first 2 shown]
	v_sub_u32_e32 v51, 32, v1
	v_cmp_eq_u32_e64 s[12:13], 0, v1
	v_cndmask_b32_e64 v1, v46, v44, s[6:7]
	v_cndmask_b32_e64 v48, v48, v50, s[10:11]
	;; [unrolled: 1-line block ×4, first 2 shown]
	v_alignbit_b32 v52, v48, v50, v51
	v_cndmask_b32_e64 v46, v49, v44, s[10:11]
	v_cndmask_b32_e64 v48, v52, v48, s[12:13]
	v_alignbit_b32 v47, v50, v46, v51
	v_cndmask_b32_e64 v43, v45, v43, s[6:7]
	v_cndmask_b32_e64 v47, v47, v50, s[12:13]
	v_bfe_u32 v52, v48, 29, 1
	v_cndmask_b32_e64 v1, v1, v43, s[8:9]
	v_alignbit_b32 v49, v48, v47, 30
	v_sub_u32_e32 v53, 0, v52
	v_cndmask_b32_e64 v1, v44, v1, s[10:11]
	v_xor_b32_e32 v49, v49, v53
	v_alignbit_b32 v43, v46, v1, v51
	v_cndmask_b32_e64 v43, v43, v46, s[12:13]
	v_ffbh_u32_e32 v45, v49
	v_alignbit_b32 v44, v47, v43, 30
	v_min_u32_e32 v45, 32, v45
	v_alignbit_b32 v1, v43, v1, 30
	v_xor_b32_e32 v44, v44, v53
	v_sub_u32_e32 v46, 31, v45
	v_xor_b32_e32 v1, v1, v53
	v_alignbit_b32 v47, v49, v44, v46
	v_alignbit_b32 v1, v44, v1, v46
	;; [unrolled: 1-line block ×3, first 2 shown]
	v_ffbh_u32_e32 v44, v43
	v_min_u32_e32 v44, 32, v44
	v_lshrrev_b32_e32 v50, 29, v48
	v_not_b32_e32 v46, v44
	v_alignbit_b32 v1, v43, v1, v46
	v_lshlrev_b32_e32 v43, 31, v50
	v_or_b32_e32 v46, 0x33000000, v43
	v_add_lshl_u32 v44, v44, v45, 23
	v_lshrrev_b32_e32 v1, 9, v1
	v_sub_u32_e32 v44, v46, v44
	v_or_b32_e32 v43, 0.5, v43
	v_lshlrev_b32_e32 v45, 23, v45
	v_or_b32_e32 v1, v44, v1
	v_lshrrev_b32_e32 v44, 9, v47
	v_sub_u32_e32 v43, v43, v45
	v_or_b32_e32 v43, v44, v43
	v_mul_f32_e32 v44, 0x3fc90fda, v43
	v_fma_f32 v45, v43, s35, -v44
	v_fmac_f32_e32 v45, 0x33a22168, v43
	v_fmac_f32_e32 v45, 0x3fc90fda, v1
	v_lshrrev_b32_e32 v43, 30, v48
	v_add_f32_e32 v1, v44, v45
	v_add_u32_e32 v43, v52, v43
	s_andn2_saveexec_b64 s[6:7], s[22:23]
	s_cbranch_execz .LBB92_47
.LBB92_52:                              ;   in Loop: Header=BB92_25 Depth=1
	v_mul_f32_e64 v1, |v30|, s36
	v_rndne_f32_e32 v44, v1
	v_cvt_i32_f32_e32 v43, v44
	v_fma_f32 v1, v44, s37, |v30|
	v_fmac_f32_e32 v1, 0xb3a22168, v44
	v_fmac_f32_e32 v1, 0xa7c234c4, v44
	s_or_b64 exec, exec, s[6:7]
	s_and_saveexec_b64 s[6:7], s[4:5]
	s_xor_b64 s[6:7], exec, s[6:7]
	s_cbranch_execz .LBB92_48
.LBB92_53:                              ;   in Loop: Header=BB92_25 Depth=1
	v_mul_f32_e32 v44, v35, v35
	v_mov_b32_e32 v46, 0xbf039337
	v_fmac_f32_e32 v46, 0x3c971480, v44
	v_fma_f32 v46, v44, v46, v25
	v_rcp_f32_e32 v46, v46
	v_mov_b32_e32 v45, 0x3ec54587
	v_fmac_f32_e32 v45, 0xbc8cedd3, v44
	v_and_b32_e32 v36, 1, v36
	v_mul_f32_e32 v45, v45, v46
	v_mul_f32_e32 v44, v44, v45
	v_fma_f32 v45, v44, v35, v35
	v_sub_f32_e32 v46, v45, v35
	v_fma_f32 v35, v44, v35, -v46
	v_rcp_f32_e32 v44, v45
	v_cmp_eq_u32_e64 s[4:5], 0, v36
	v_xor_b32_e32 v33, v33, v32
	v_fma_f32 v46, v45, -v44, 1.0
	v_fma_f32 v35, v35, -v44, v46
	v_fma_f32 v35, v35, -v44, -v44
	v_cndmask_b32_e64 v35, v35, v45, s[4:5]
	v_xor_b32_e32 v33, v33, v35
	v_cmp_class_f32_e64 s[4:5], v32, s38
	v_cndmask_b32_e64 v35, v28, v33, s[4:5]
	v_add_co_u32_e64 v32, s[4:5], s14, v5
	v_mov_b32_e32 v33, s15
	v_addc_co_u32_e64 v33, s[4:5], v6, v33, s[4:5]
	global_store_dword v[32:33], v35, off
	s_or_b64 exec, exec, s[6:7]
	s_and_saveexec_b64 s[4:5], s[2:3]
	s_cbranch_execz .LBB92_49
.LBB92_54:                              ;   in Loop: Header=BB92_25 Depth=1
	v_mul_f32_e32 v32, v38, v38
	v_mov_b32_e32 v33, 0xbf039337
	v_fmac_f32_e32 v33, 0x3c971480, v32
	v_fma_f32 v33, v32, v33, v25
	v_rcp_f32_e32 v33, v33
	v_mov_b32_e32 v35, 0x3ec54587
	v_fmac_f32_e32 v35, 0xbc8cedd3, v32
	v_and_b32_e32 v36, 1, v39
	v_mul_f32_e32 v33, v35, v33
	v_mul_f32_e32 v32, v32, v33
	v_fma_f32 v33, v32, v38, v38
	v_rcp_f32_e32 v35, v33
	v_sub_f32_e32 v39, v33, v38
	v_fma_f32 v32, v32, v38, -v39
	v_cmp_eq_u32_e64 s[2:3], 0, v36
	v_fma_f32 v38, v33, -v35, 1.0
	v_fma_f32 v32, v32, -v35, v38
	v_fma_f32 v32, v32, -v35, -v35
	v_cndmask_b32_e64 v32, v32, v33, s[2:3]
	v_xor_b32_e32 v33, v34, v31
	v_xor_b32_e32 v32, v33, v32
	v_cmp_class_f32_e64 s[2:3], v31, s38
	v_cndmask_b32_e64 v33, v28, v32, s[2:3]
	v_mov_b32_e32 v32, s15
	v_add_co_u32_e64 v31, s[2:3], s14, v19
	v_addc_co_u32_e64 v32, s[2:3], v20, v32, s[2:3]
	global_store_dword v[31:32], v33, off
	s_or_b64 exec, exec, s[4:5]
	s_and_saveexec_b64 s[2:3], s[0:1]
	s_cbranch_execz .LBB92_50
.LBB92_55:                              ;   in Loop: Header=BB92_25 Depth=1
	v_mul_f32_e32 v31, v41, v41
	v_mov_b32_e32 v32, 0xbf039337
	v_fmac_f32_e32 v32, 0x3c971480, v31
	v_fma_f32 v32, v31, v32, v25
	v_rcp_f32_e32 v32, v32
	v_mov_b32_e32 v33, 0x3ec54587
	v_fmac_f32_e32 v33, 0xbc8cedd3, v31
	v_and_b32_e32 v34, 1, v42
	v_mul_f32_e32 v32, v33, v32
	v_mul_f32_e32 v31, v31, v32
	v_fma_f32 v32, v31, v41, v41
	v_rcp_f32_e32 v33, v32
	v_sub_f32_e32 v35, v32, v41
	v_fma_f32 v31, v31, v41, -v35
	v_cmp_eq_u32_e64 s[0:1], 0, v34
	v_fma_f32 v35, v32, -v33, 1.0
	v_fma_f32 v31, v31, -v33, v35
	v_fma_f32 v31, v31, -v33, -v33
	v_cndmask_b32_e64 v31, v31, v32, s[0:1]
	v_xor_b32_e32 v32, v37, v29
	v_xor_b32_e32 v31, v32, v31
	v_cmp_class_f32_e64 s[0:1], v29, s38
	v_cndmask_b32_e64 v29, v28, v31, s[0:1]
	v_mov_b32_e32 v32, s15
	v_add_co_u32_e64 v31, s[0:1], s14, v13
	v_addc_co_u32_e64 v32, s[0:1], v14, v32, s[0:1]
	global_store_dword v[31:32], v29, off
	s_or_b64 exec, exec, s[2:3]
	s_and_saveexec_b64 s[0:1], vcc
	s_cbranch_execz .LBB92_24
.LBB92_56:                              ;   in Loop: Header=BB92_25 Depth=1
	v_mul_f32_e32 v29, v1, v1
	v_mov_b32_e32 v31, 0xbf039337
	v_fmac_f32_e32 v31, 0x3c971480, v29
	v_fma_f32 v31, v29, v31, v25
	v_rcp_f32_e32 v31, v31
	v_mov_b32_e32 v32, 0x3ec54587
	v_fmac_f32_e32 v32, 0xbc8cedd3, v29
	v_and_b32_e32 v33, 1, v43
	v_mul_f32_e32 v31, v32, v31
	v_mul_f32_e32 v29, v29, v31
	v_fma_f32 v31, v29, v1, v1
	v_rcp_f32_e32 v32, v31
	v_sub_f32_e32 v34, v31, v1
	v_fma_f32 v1, v29, v1, -v34
	v_cmp_eq_u32_e32 vcc, 0, v33
	v_fma_f32 v29, v31, -v32, 1.0
	v_fma_f32 v1, v1, -v32, v29
	v_fma_f32 v1, v1, -v32, -v32
	v_cndmask_b32_e32 v1, v1, v31, vcc
	v_xor_b32_e32 v29, v40, v30
	v_xor_b32_e32 v1, v29, v1
	v_cmp_class_f32_e64 vcc, v30, s38
	v_cndmask_b32_e32 v1, v28, v1, vcc
	v_mov_b32_e32 v30, s15
	v_add_co_u32_e32 v29, vcc, s14, v9
	v_addc_co_u32_e32 v30, vcc, v10, v30, vcc
	global_store_dword v[29:30], v1, off
	s_branch .LBB92_24
.LBB92_57:
	s_endpgm
	.section	.rodata,"a",@progbits
	.p2align	6, 0x0
	.amdhsa_kernel _ZN2at6native12_GLOBAL__N_125multi_tensor_apply_kernelINS1_18TensorListMetadataILi2EEENS1_14UnaryOpFunctorIfLi2ELi1ELi1EEEJNS0_3TanIfEEEEEvT_T0_DpT1_
		.amdhsa_group_segment_fixed_size 0
		.amdhsa_private_segment_fixed_size 0
		.amdhsa_kernarg_size 3408
		.amdhsa_user_sgpr_count 6
		.amdhsa_user_sgpr_private_segment_buffer 1
		.amdhsa_user_sgpr_dispatch_ptr 0
		.amdhsa_user_sgpr_queue_ptr 0
		.amdhsa_user_sgpr_kernarg_segment_ptr 1
		.amdhsa_user_sgpr_dispatch_id 0
		.amdhsa_user_sgpr_flat_scratch_init 0
		.amdhsa_user_sgpr_private_segment_size 0
		.amdhsa_uses_dynamic_stack 0
		.amdhsa_system_sgpr_private_segment_wavefront_offset 0
		.amdhsa_system_sgpr_workgroup_id_x 1
		.amdhsa_system_sgpr_workgroup_id_y 0
		.amdhsa_system_sgpr_workgroup_id_z 0
		.amdhsa_system_sgpr_workgroup_info 0
		.amdhsa_system_vgpr_workitem_id 0
		.amdhsa_next_free_vgpr 54
		.amdhsa_next_free_sgpr 39
		.amdhsa_reserve_vcc 1
		.amdhsa_reserve_flat_scratch 0
		.amdhsa_float_round_mode_32 0
		.amdhsa_float_round_mode_16_64 0
		.amdhsa_float_denorm_mode_32 3
		.amdhsa_float_denorm_mode_16_64 3
		.amdhsa_dx10_clamp 1
		.amdhsa_ieee_mode 1
		.amdhsa_fp16_overflow 0
		.amdhsa_exception_fp_ieee_invalid_op 0
		.amdhsa_exception_fp_denorm_src 0
		.amdhsa_exception_fp_ieee_div_zero 0
		.amdhsa_exception_fp_ieee_overflow 0
		.amdhsa_exception_fp_ieee_underflow 0
		.amdhsa_exception_fp_ieee_inexact 0
		.amdhsa_exception_int_div_zero 0
	.end_amdhsa_kernel
	.section	.text._ZN2at6native12_GLOBAL__N_125multi_tensor_apply_kernelINS1_18TensorListMetadataILi2EEENS1_14UnaryOpFunctorIfLi2ELi1ELi1EEEJNS0_3TanIfEEEEEvT_T0_DpT1_,"axG",@progbits,_ZN2at6native12_GLOBAL__N_125multi_tensor_apply_kernelINS1_18TensorListMetadataILi2EEENS1_14UnaryOpFunctorIfLi2ELi1ELi1EEEJNS0_3TanIfEEEEEvT_T0_DpT1_,comdat
.Lfunc_end92:
	.size	_ZN2at6native12_GLOBAL__N_125multi_tensor_apply_kernelINS1_18TensorListMetadataILi2EEENS1_14UnaryOpFunctorIfLi2ELi1ELi1EEEJNS0_3TanIfEEEEEvT_T0_DpT1_, .Lfunc_end92-_ZN2at6native12_GLOBAL__N_125multi_tensor_apply_kernelINS1_18TensorListMetadataILi2EEENS1_14UnaryOpFunctorIfLi2ELi1ELi1EEEJNS0_3TanIfEEEEEvT_T0_DpT1_
                                        ; -- End function
	.set _ZN2at6native12_GLOBAL__N_125multi_tensor_apply_kernelINS1_18TensorListMetadataILi2EEENS1_14UnaryOpFunctorIfLi2ELi1ELi1EEEJNS0_3TanIfEEEEEvT_T0_DpT1_.num_vgpr, 54
	.set _ZN2at6native12_GLOBAL__N_125multi_tensor_apply_kernelINS1_18TensorListMetadataILi2EEENS1_14UnaryOpFunctorIfLi2ELi1ELi1EEEJNS0_3TanIfEEEEEvT_T0_DpT1_.num_agpr, 0
	.set _ZN2at6native12_GLOBAL__N_125multi_tensor_apply_kernelINS1_18TensorListMetadataILi2EEENS1_14UnaryOpFunctorIfLi2ELi1ELi1EEEJNS0_3TanIfEEEEEvT_T0_DpT1_.numbered_sgpr, 39
	.set _ZN2at6native12_GLOBAL__N_125multi_tensor_apply_kernelINS1_18TensorListMetadataILi2EEENS1_14UnaryOpFunctorIfLi2ELi1ELi1EEEJNS0_3TanIfEEEEEvT_T0_DpT1_.num_named_barrier, 0
	.set _ZN2at6native12_GLOBAL__N_125multi_tensor_apply_kernelINS1_18TensorListMetadataILi2EEENS1_14UnaryOpFunctorIfLi2ELi1ELi1EEEJNS0_3TanIfEEEEEvT_T0_DpT1_.private_seg_size, 0
	.set _ZN2at6native12_GLOBAL__N_125multi_tensor_apply_kernelINS1_18TensorListMetadataILi2EEENS1_14UnaryOpFunctorIfLi2ELi1ELi1EEEJNS0_3TanIfEEEEEvT_T0_DpT1_.uses_vcc, 1
	.set _ZN2at6native12_GLOBAL__N_125multi_tensor_apply_kernelINS1_18TensorListMetadataILi2EEENS1_14UnaryOpFunctorIfLi2ELi1ELi1EEEJNS0_3TanIfEEEEEvT_T0_DpT1_.uses_flat_scratch, 0
	.set _ZN2at6native12_GLOBAL__N_125multi_tensor_apply_kernelINS1_18TensorListMetadataILi2EEENS1_14UnaryOpFunctorIfLi2ELi1ELi1EEEJNS0_3TanIfEEEEEvT_T0_DpT1_.has_dyn_sized_stack, 0
	.set _ZN2at6native12_GLOBAL__N_125multi_tensor_apply_kernelINS1_18TensorListMetadataILi2EEENS1_14UnaryOpFunctorIfLi2ELi1ELi1EEEJNS0_3TanIfEEEEEvT_T0_DpT1_.has_recursion, 0
	.set _ZN2at6native12_GLOBAL__N_125multi_tensor_apply_kernelINS1_18TensorListMetadataILi2EEENS1_14UnaryOpFunctorIfLi2ELi1ELi1EEEJNS0_3TanIfEEEEEvT_T0_DpT1_.has_indirect_call, 0
	.section	.AMDGPU.csdata,"",@progbits
; Kernel info:
; codeLenInByte = 7460
; TotalNumSgprs: 43
; NumVgprs: 54
; ScratchSize: 0
; MemoryBound: 0
; FloatMode: 240
; IeeeMode: 1
; LDSByteSize: 0 bytes/workgroup (compile time only)
; SGPRBlocks: 5
; VGPRBlocks: 13
; NumSGPRsForWavesPerEU: 43
; NumVGPRsForWavesPerEU: 54
; Occupancy: 4
; WaveLimiterHint : 0
; COMPUTE_PGM_RSRC2:SCRATCH_EN: 0
; COMPUTE_PGM_RSRC2:USER_SGPR: 6
; COMPUTE_PGM_RSRC2:TRAP_HANDLER: 0
; COMPUTE_PGM_RSRC2:TGID_X_EN: 1
; COMPUTE_PGM_RSRC2:TGID_Y_EN: 0
; COMPUTE_PGM_RSRC2:TGID_Z_EN: 0
; COMPUTE_PGM_RSRC2:TIDIG_COMP_CNT: 0
	.section	.text._ZN2at6native12_GLOBAL__N_125multi_tensor_apply_kernelINS1_18TensorListMetadataILi2EEENS1_14UnaryOpFunctorIN3c107complexIdEELi2ELi1ELi1EEEJNS0_3TanIS8_EEEEEvT_T0_DpT1_,"axG",@progbits,_ZN2at6native12_GLOBAL__N_125multi_tensor_apply_kernelINS1_18TensorListMetadataILi2EEENS1_14UnaryOpFunctorIN3c107complexIdEELi2ELi1ELi1EEEJNS0_3TanIS8_EEEEEvT_T0_DpT1_,comdat
	.globl	_ZN2at6native12_GLOBAL__N_125multi_tensor_apply_kernelINS1_18TensorListMetadataILi2EEENS1_14UnaryOpFunctorIN3c107complexIdEELi2ELi1ELi1EEEJNS0_3TanIS8_EEEEEvT_T0_DpT1_ ; -- Begin function _ZN2at6native12_GLOBAL__N_125multi_tensor_apply_kernelINS1_18TensorListMetadataILi2EEENS1_14UnaryOpFunctorIN3c107complexIdEELi2ELi1ELi1EEEJNS0_3TanIS8_EEEEEvT_T0_DpT1_
	.p2align	8
	.type	_ZN2at6native12_GLOBAL__N_125multi_tensor_apply_kernelINS1_18TensorListMetadataILi2EEENS1_14UnaryOpFunctorIN3c107complexIdEELi2ELi1ELi1EEEJNS0_3TanIS8_EEEEEvT_T0_DpT1_,@function
_ZN2at6native12_GLOBAL__N_125multi_tensor_apply_kernelINS1_18TensorListMetadataILi2EEENS1_14UnaryOpFunctorIN3c107complexIdEELi2ELi1ELi1EEEJNS0_3TanIS8_EEEEEvT_T0_DpT1_: ; @_ZN2at6native12_GLOBAL__N_125multi_tensor_apply_kernelINS1_18TensorListMetadataILi2EEENS1_14UnaryOpFunctorIN3c107complexIdEELi2ELi1ELi1EEEJNS0_3TanIS8_EEEEEvT_T0_DpT1_
; %bb.0:
	v_mov_b32_e32 v1, s6
	global_load_ubyte v1, v1, s[4:5] offset:1536
	s_add_u32 s0, s4, s6
	s_mul_hi_u32 s3, s6, 3
	s_mul_i32 s6, s6, 3
	s_addc_u32 s8, s5, 0
	s_add_u32 s2, s0, s6
	s_addc_u32 s3, s8, s3
	s_load_dword s2, s[2:3], 0x740
	s_mov_b32 s1, 0
	s_mov_b32 s7, s1
	s_waitcnt lgkmcnt(0)
	s_ashr_i32 s3, s2, 31
	s_lshl_b64 s[14:15], s[2:3], 20
	s_waitcnt vmcnt(0)
	v_readfirstlane_b32 s0, v1
	s_lshl_b32 s0, s0, 3
	s_load_dwordx2 s[8:9], s[4:5], s0 offset:0x0
	s_load_dwordx2 s[10:11], s[4:5], s0 offset:0x400
	;; [unrolled: 1-line block ×3, first 2 shown]
	s_waitcnt lgkmcnt(0)
	s_add_u32 s74, s8, s14
	s_addc_u32 s75, s9, s15
	s_and_b32 s0, s74, 63
	s_add_u32 s62, s12, s14
	s_addc_u32 s63, s13, s15
	s_lshl_b64 s[2:3], s[2:3], 16
	s_and_b32 s6, s62, 63
	s_sub_u32 s2, s10, s2
	s_subb_u32 s3, s11, s3
	s_and_b32 s8, s10, 3
	s_mov_b32 s9, s1
	s_or_b64 s[6:7], s[6:7], s[8:9]
	s_or_b64 s[0:1], s[6:7], s[0:1]
	s_cmp_eq_u64 s[0:1], 0
	s_mov_b64 s[0:1], -1
	s_cbranch_scc0 .LBB93_157
; %bb.1:
	v_mov_b32_e32 v1, 0x10000
	v_mov_b32_e32 v2, 0
	v_cmp_lt_i64_e32 vcc, s[2:3], v[1:2]
	v_mov_b32_e32 v21, 0
	s_and_b64 s[0:1], vcc, exec
	s_cselect_b32 s7, s3, 0
	s_cselect_b32 s6, s2, 0x10000
	v_lshlrev_b32_e32 v1, 2, v0
	v_mov_b32_e32 v2, v21
	v_cmp_gt_i64_e32 vcc, s[6:7], v[1:2]
	s_mov_b64 s[0:1], exec
                                        ; implicit-def: $vgpr81 : SGPR spill to VGPR lane
	v_writelane_b32 v81, s0, 0
	v_writelane_b32 v81, s1, 1
	s_and_b64 s[0:1], s[0:1], vcc
	s_mov_b64 exec, s[0:1]
	s_cbranch_execz .LBB93_156
; %bb.2:
	s_load_dword s0, s[4:5], 0xc5c
	v_mov_b32_e32 v1, v21
	s_mov_b32 s30, 0x54442d18
	s_mov_b32 s16, 0x6dc9c883
	;; [unrolled: 1-line block ×3, first 2 shown]
	s_waitcnt lgkmcnt(0)
	s_and_b32 s33, s0, 0xffff
	s_mov_b32 s20, 0x252049c0
	s_mov_b32 s42, 0xfefa39ef
	;; [unrolled: 1-line block ×15, first 2 shown]
	v_mov_b32_e32 v28, v1
	s_mov_b32 s24, 0
	s_mov_b32 s26, 0
	;; [unrolled: 1-line block ×3, first 2 shown]
	v_lshlrev_b32_e32 v41, 6, v0
	s_mov_b32 s31, 0xbff921fb
	s_mov_b32 s17, 0x3fe45f30
	;; [unrolled: 1-line block ×7, first 2 shown]
	v_mov_b32_e32 v42, 0x260
	s_mov_b32 s77, 0x3e21eeb6
	s_mov_b32 s79, 0xbda907db
	;; [unrolled: 1-line block ×11, first 2 shown]
	v_mov_b32_e32 v43, 0x40100000
	v_mov_b32_e32 v44, 0x3ff00000
	v_mov_b32_e32 v23, 0xa9a29f71
	v_mov_b32_e32 v24, 0xbf078809
	v_mov_b32_e32 v25, 0xfca7ab0c
	v_mov_b32_e32 v26, 0x3e928af3
	v_mov_b32_e32 v45, 0x7ff00000
	v_mov_b32_e32 v46, 0x100
	v_mov_b32_e32 v47, 0xffffff80
	v_mov_b32_e32 v48, 0x7ff80000
	v_mov_b32_e32 v27, v0
	s_brev_b32 s54, -2
	s_lshl_b32 s55, s33, 6
	s_mov_b32 s64, 0x7ff00000
	s_movk_i32 s65, 0x1f8
	s_mov_b32 s66, 0x40360000
	s_movk_i32 s67, 0xff80
	s_mov_b32 s70, 0xfffff
	s_mov_b64 s[22:23], 0
	s_mov_b32 s25, 0x41d00000
	s_mov_b32 s27, 0x7b000000
	;; [unrolled: 1-line block ×12, first 2 shown]
	s_mov_b64 s[10:11], s[74:75]
	s_mov_b64 s[12:13], s[62:63]
	s_branch .LBB93_7
.LBB93_3:                               ;   in Loop: Header=BB93_7 Depth=1
	s_or_b64 exec, exec, s[0:1]
	v_mul_f64 v[29:30], v[3:4], v[3:4]
	v_mul_f64 v[33:34], v[31:32], v[31:32]
	v_mov_b32_e32 v35, s86
	v_mov_b32_e32 v36, s87
	;; [unrolled: 1-line block ×4, first 2 shown]
	v_mul_f64 v[60:61], v[9:10], 0.5
	v_mul_f64 v[68:69], v[39:40], 0.5
	v_fma_f64 v[37:38], v[29:30], s[88:89], v[35:36]
	v_fma_f64 v[35:36], v[33:34], s[88:89], v[35:36]
	;; [unrolled: 1-line block ×3, first 2 shown]
	v_mul_f64 v[54:55], v[29:30], 0.5
	v_fma_f64 v[50:51], v[33:34], s[78:79], v[50:51]
	v_mul_f64 v[56:57], v[33:34], 0.5
	v_mul_f64 v[62:63], v[3:4], -v[29:30]
	v_mul_f64 v[70:71], v[31:32], -v[33:34]
	v_fma_f64 v[37:38], v[29:30], v[37:38], s[90:91]
	v_fma_f64 v[35:36], v[33:34], v[35:36], s[90:91]
	;; [unrolled: 1-line block ×3, first 2 shown]
	v_add_f64 v[58:59], -v[54:55], 1.0
	v_fma_f64 v[50:51], v[33:34], v[50:51], s[80:81]
	v_add_f64 v[64:65], -v[56:57], 1.0
	s_mov_b32 s46, s56
	v_cmp_class_f64_e64 s[0:1], v[1:2], s65
	v_fma_f64 v[37:38], v[29:30], v[37:38], s[92:93]
	v_fma_f64 v[35:36], v[33:34], v[35:36], s[92:93]
	;; [unrolled: 1-line block ×3, first 2 shown]
	v_add_f64 v[66:67], -v[58:59], 1.0
	v_fma_f64 v[50:51], v[33:34], v[50:51], s[82:83]
	v_add_f64 v[72:73], -v[64:65], 1.0
	v_fma_f64 v[37:38], v[29:30], v[37:38], s[44:45]
	v_fma_f64 v[35:36], v[33:34], v[35:36], s[44:45]
	v_fma_f64 v[52:53], v[29:30], v[52:53], s[84:85]
	v_add_f64 v[54:55], v[66:67], -v[54:55]
	v_fma_f64 v[50:51], v[33:34], v[50:51], s[84:85]
	v_add_f64 v[56:57], v[72:73], -v[56:57]
	v_fma_f64 v[37:38], v[62:63], v[37:38], v[60:61]
	v_fma_f64 v[35:36], v[70:71], v[35:36], v[68:69]
	v_mul_f64 v[60:61], v[29:30], v[29:30]
	v_fma_f64 v[52:53], v[29:30], v[52:53], s[56:57]
	v_fma_f64 v[54:55], v[3:4], -v[9:10], v[54:55]
	v_fma_f64 v[9:10], v[29:30], v[37:38], -v[9:10]
	v_fma_f64 v[35:36], v[33:34], v[35:36], -v[39:40]
	v_mul_f64 v[29:30], v[33:34], v[33:34]
	v_fma_f64 v[33:34], v[33:34], v[50:51], s[56:57]
	v_fma_f64 v[37:38], v[31:32], -v[39:40], v[56:57]
	v_fma_f64 v[39:40], v[60:61], v[52:53], v[54:55]
	v_and_b32_e32 v50, 1, v49
	v_lshlrev_b32_e32 v49, 30, v49
	v_fma_f64 v[9:10], v[62:63], s[46:47], v[9:10]
	v_fma_f64 v[35:36], v[70:71], s[46:47], v[35:36]
	v_cmp_eq_u32_e32 vcc, 0, v50
	v_fma_f64 v[29:30], v[29:30], v[33:34], v[37:38]
	v_add_f64 v[33:34], v[58:59], v[39:40]
	v_and_b32_e32 v37, 1, v22
	v_lshlrev_b32_e32 v22, 30, v22
	v_add_f64 v[3:4], v[3:4], -v[9:10]
	v_add_f64 v[9:10], v[31:32], -v[35:36]
	v_xor_b32_e32 v38, v49, v2
	v_and_b32_e32 v22, 0x80000000, v22
	v_add_f64 v[29:30], v[64:65], v[29:30]
	v_and_b32_e32 v31, 0x80000000, v38
	v_cndmask_b32_e32 v3, v33, v3, vcc
	v_cndmask_b32_e32 v1, v34, v4, vcc
	v_xor_b32_e32 v2, 0x80000000, v10
	v_cmp_eq_u32_e32 vcc, 0, v37
	v_cndmask_b32_e32 v2, v2, v30, vcc
	v_cndmask_b32_e32 v4, v9, v29, vcc
	v_xor_b32_e32 v9, v1, v31
	v_xor_b32_e32 v10, v2, v22
	v_cndmask_b32_e64 v1, 0, v3, s[0:1]
	v_cndmask_b32_e64 v2, v48, v9, s[0:1]
	;; [unrolled: 1-line block ×4, first 2 shown]
	v_mul_f64 v[1:2], v[1:2], v[3:4]
.LBB93_4:                               ;   in Loop: Header=BB93_7 Depth=1
	s_or_b64 exec, exec, s[58:59]
	v_bfi_b32 v22, s54, 0, v2
	v_mov_b32_e32 v9, v21
	v_add_u32_e32 v12, -2.0, v12
	v_mov_b32_e32 v10, v22
.LBB93_5:                               ;   in Loop: Header=BB93_7 Depth=1
	s_or_b64 exec, exec, s[52:53]
.LBB93_6:                               ;   in Loop: Header=BB93_7 Depth=1
	s_or_b64 exec, exec, s[48:49]
	v_mov_b32_e32 v2, s13
	v_add_co_u32_e32 v1, vcc, s12, v41
	v_addc_co_u32_e32 v2, vcc, 0, v2, vcc
	v_add_co_u32_e32 v27, vcc, s33, v27
	v_addc_co_u32_e32 v28, vcc, 0, v28, vcc
	v_lshlrev_b64 v[3:4], 2, v[27:28]
	s_add_u32 s12, s12, s55
	s_addc_u32 s13, s13, 0
	s_add_u32 s10, s10, s55
	v_cmp_le_i64_e32 vcc, s[6:7], v[3:4]
	s_addc_u32 s11, s11, 0
	v_xor_b32_e32 v8, 0x80000000, v8
	v_xor_b32_e32 v12, 0x80000000, v12
	s_or_b64 s[22:23], vcc, s[22:23]
	v_xor_b32_e32 v20, 0x80000000, v20
	v_xor_b32_e32 v16, 0x80000000, v16
	global_store_dwordx4 v[1:2], v[5:8], off
	global_store_dwordx4 v[1:2], v[13:16], off offset:16
	global_store_dwordx4 v[1:2], v[17:20], off offset:32
	;; [unrolled: 1-line block ×3, first 2 shown]
	s_andn2_b64 exec, exec, s[22:23]
	s_cbranch_execz .LBB93_156
.LBB93_7:                               ; =>This Inner Loop Header: Depth=1
	v_mov_b32_e32 v1, s11
	v_add_co_u32_e32 v5, vcc, s10, v41
	v_addc_co_u32_e32 v6, vcc, 0, v1, vcc
	global_load_dwordx4 v[13:16], v[5:6], off
	global_load_dwordx4 v[17:20], v[5:6], off offset:16
	global_load_dwordx4 v[1:4], v[5:6], off offset:48
	;; [unrolled: 1-line block ×3, first 2 shown]
	s_waitcnt vmcnt(3)
	v_xor_b32_e32 v8, 0x80000000, v16
	v_and_b32_e32 v22, 0x7fffffff, v8
	v_mov_b32_e32 v7, v15
	v_cmp_gt_u32_e32 vcc, s64, v22
	s_and_saveexec_b64 s[0:1], vcc
	s_xor_b64 s[48:49], exec, s[0:1]
	s_cbranch_execz .LBB93_29
; %bb.8:                                ;   in Loop: Header=BB93_7 Depth=1
	v_cmp_class_f64_e64 s[0:1], v[13:14], s65
                                        ; implicit-def: $vgpr5_vgpr6
	s_and_saveexec_b64 s[52:53], s[0:1]
	s_xor_b64 s[52:53], exec, s[52:53]
	s_cbranch_execz .LBB93_26
; %bb.9:                                ;   in Loop: Header=BB93_7 Depth=1
	v_cmp_gt_u32_e32 vcc, s66, v22
                                        ; implicit-def: $vgpr5_vgpr6
	s_and_saveexec_b64 s[0:1], vcc
	s_xor_b64 s[58:59], exec, s[0:1]
	s_cbranch_execz .LBB93_15
; %bb.10:                               ;   in Loop: Header=BB93_7 Depth=1
	v_cmp_nlt_f64_e64 s[0:1], |v[13:14]|, s[24:25]
                                        ; implicit-def: $vgpr22
                                        ; implicit-def: $vgpr5_vgpr6
                                        ; implicit-def: $vgpr7_vgpr8
	s_and_saveexec_b64 s[60:61], s[0:1]
	s_xor_b64 s[0:1], exec, s[60:61]
	s_cbranch_execz .LBB93_12
; %bb.11:                               ;   in Loop: Header=BB93_7 Depth=1
	v_trig_preop_f64 v[5:6], |v[13:14]|, 0
	v_ldexp_f64 v[7:8], |v[13:14]|, s67
	v_cmp_ge_f64_e64 vcc, |v[13:14]|, s[26:27]
	v_trig_preop_f64 v[29:30], |v[13:14]|, 1
	v_and_b32_e32 v22, 0x7fffffff, v14
	v_trig_preop_f64 v[37:38], |v[13:14]|, 2
	s_mov_b32 s14, s30
	s_mov_b32 s37, s19
	v_cndmask_b32_e32 v8, v22, v8, vcc
	v_cndmask_b32_e32 v7, v13, v7, vcc
	v_mul_f64 v[31:32], v[5:6], v[7:8]
	v_mul_f64 v[33:34], v[29:30], v[7:8]
	;; [unrolled: 1-line block ×3, first 2 shown]
	v_fma_f64 v[5:6], v[5:6], v[7:8], -v[31:32]
	v_fma_f64 v[29:30], v[29:30], v[7:8], -v[33:34]
	;; [unrolled: 1-line block ×3, first 2 shown]
	v_add_f64 v[35:36], v[33:34], v[5:6]
	v_add_f64 v[39:40], v[35:36], -v[33:34]
	v_add_f64 v[53:54], v[31:32], v[35:36]
	v_add_f64 v[49:50], v[35:36], -v[39:40]
	v_add_f64 v[5:6], v[5:6], -v[39:40]
	v_add_f64 v[39:40], v[51:52], v[29:30]
	v_add_f64 v[31:32], v[53:54], -v[31:32]
	v_add_f64 v[33:34], v[33:34], -v[49:50]
	v_ldexp_f64 v[49:50], v[53:54], -2
	v_add_f64 v[55:56], v[39:40], -v[51:52]
	v_add_f64 v[31:32], v[35:36], -v[31:32]
	v_add_f64 v[5:6], v[5:6], v[33:34]
	v_fract_f64_e32 v[33:34], v[49:50]
	v_cmp_neq_f64_e64 vcc, |v[49:50]|, s[28:29]
	v_add_f64 v[29:30], v[29:30], -v[55:56]
	v_add_f64 v[35:36], v[39:40], v[5:6]
	v_ldexp_f64 v[33:34], v[33:34], 2
	v_add_f64 v[49:50], v[31:32], v[35:36]
	v_cndmask_b32_e32 v34, 0, v34, vcc
	v_cndmask_b32_e32 v33, 0, v33, vcc
	v_add_f64 v[57:58], v[35:36], -v[39:40]
	v_add_f64 v[53:54], v[49:50], v[33:34]
	v_add_f64 v[31:32], v[49:50], -v[31:32]
	v_add_f64 v[59:60], v[35:36], -v[57:58]
	;; [unrolled: 1-line block ×3, first 2 shown]
	v_cmp_gt_f64_e32 vcc, 0, v[53:54]
	v_add_f64 v[53:54], v[39:40], -v[55:56]
	v_add_f64 v[31:32], v[35:36], -v[31:32]
	;; [unrolled: 1-line block ×3, first 2 shown]
	v_cndmask_b32_e32 v22, 0, v43, vcc
	v_add_f64 v[33:34], v[33:34], v[21:22]
	v_add_f64 v[53:54], v[51:52], -v[53:54]
	v_add_f64 v[5:6], v[5:6], v[39:40]
	v_add_f64 v[61:62], v[49:50], v[33:34]
	v_add_f64 v[29:30], v[29:30], v[53:54]
	v_cvt_i32_f64_e32 v57, v[61:62]
	v_add_f64 v[5:6], v[29:30], v[5:6]
	v_cvt_f64_i32_e32 v[55:56], v57
	v_add_f64 v[33:34], v[33:34], -v[55:56]
	v_add_f64 v[5:6], v[7:8], v[5:6]
	v_add_f64 v[29:30], v[49:50], v[33:34]
	v_add_f64 v[5:6], v[31:32], v[5:6]
	v_add_f64 v[7:8], v[29:30], -v[33:34]
	v_cmp_le_f64_e32 vcc, 0.5, v[29:30]
	v_add_f64 v[7:8], v[49:50], -v[7:8]
	v_cndmask_b32_e32 v22, 0, v44, vcc
	v_add_f64 v[5:6], v[5:6], v[7:8]
	v_add_f64 v[7:8], v[29:30], -v[21:22]
	v_addc_co_u32_e32 v22, vcc, 0, v57, vcc
	v_add_f64 v[29:30], v[7:8], v[5:6]
	v_mul_f64 v[31:32], v[29:30], s[14:15]
	v_add_f64 v[7:8], v[29:30], -v[7:8]
	v_fma_f64 v[33:34], v[29:30], s[14:15], -v[31:32]
	v_add_f64 v[5:6], v[5:6], -v[7:8]
	v_fma_f64 v[7:8], v[29:30], s[36:37], v[33:34]
	v_fma_f64 v[7:8], v[5:6], s[14:15], v[7:8]
	v_add_f64 v[5:6], v[31:32], v[7:8]
	v_add_f64 v[29:30], v[5:6], -v[31:32]
	v_add_f64 v[7:8], v[7:8], -v[29:30]
.LBB93_12:                              ;   in Loop: Header=BB93_7 Depth=1
	s_andn2_saveexec_b64 s[0:1], s[0:1]
	s_cbranch_execz .LBB93_14
; %bb.13:                               ;   in Loop: Header=BB93_7 Depth=1
	v_mul_f64 v[5:6], |v[13:14]|, s[16:17]
	s_mov_b32 s18, s34
	v_rndne_f64_e32 v[29:30], v[5:6]
	v_fma_f64 v[5:6], v[29:30], s[30:31], |v[13:14]|
	v_mul_f64 v[7:8], v[29:30], s[34:35]
	v_cvt_i32_f64_e32 v22, v[29:30]
	v_fma_f64 v[35:36], v[29:30], s[34:35], v[5:6]
	v_add_f64 v[31:32], v[5:6], v[7:8]
	v_add_f64 v[33:34], v[5:6], -v[31:32]
	v_add_f64 v[31:32], v[31:32], -v[35:36]
	v_add_f64 v[5:6], v[33:34], v[7:8]
	v_fma_f64 v[7:8], v[29:30], s[18:19], v[7:8]
	v_add_f64 v[5:6], v[31:32], v[5:6]
	v_add_f64 v[5:6], v[5:6], -v[7:8]
	v_fma_f64 v[7:8], v[29:30], s[20:21], v[5:6]
	v_add_f64 v[5:6], v[35:36], v[7:8]
	v_add_f64 v[31:32], v[5:6], -v[35:36]
	v_add_f64 v[7:8], v[7:8], -v[31:32]
.LBB93_14:                              ;   in Loop: Header=BB93_7 Depth=1
	s_or_b64 exec, exec, s[0:1]
	v_add_f64 v[29:30], |v[15:16]|, s[42:43]
	s_mov_b32 s50, s42
	s_mov_b32 s0, 0x3b39803f
	;; [unrolled: 1-line block ×7, first 2 shown]
	v_add_f64 v[31:32], v[29:30], -|v[15:16]|
	v_and_b32_e32 v14, 0x80000000, v14
	v_add_f64 v[33:34], v[31:32], -v[29:30]
	v_add_f64 v[31:32], v[31:32], s[50:51]
	v_add_f64 v[33:34], |v[15:16]|, v[33:34]
	v_add_f64 v[31:32], v[33:34], -v[31:32]
	v_add_f64 v[31:32], v[31:32], s[0:1]
	s_mov_b32 s0, 0xf278e000
	s_mov_b32 s1, 0xbd53de6a
	v_add_f64 v[33:34], v[29:30], v[31:32]
	v_mul_f64 v[35:36], v[33:34], s[8:9]
	v_add_f64 v[29:30], v[29:30], -v[33:34]
	v_rndne_f64_e32 v[35:36], v[35:36]
	v_add_f64 v[29:30], v[31:32], v[29:30]
	v_fma_f64 v[31:32], v[35:36], s[38:39], v[33:34]
	v_mul_f64 v[33:34], v[35:36], s[0:1]
	s_mov_b32 s0, 0xf97b57a0
	s_mov_b32 s1, 0xbac9cc01
	v_cvt_i32_f64_e32 v13, v[35:36]
	v_add_f64 v[37:38], v[29:30], v[31:32]
	v_add_f64 v[39:40], v[37:38], v[33:34]
	v_add_f64 v[31:32], v[31:32], -v[37:38]
	v_add_f64 v[37:38], v[37:38], -v[39:40]
	v_add_f64 v[29:30], v[29:30], v[31:32]
	v_add_f64 v[31:32], v[37:38], v[33:34]
	;; [unrolled: 1-line block ×3, first 2 shown]
	v_mul_f64 v[31:32], v[35:36], s[0:1]
	s_mov_b32 s0, 0x6a5dcb37
	s_mov_b32 s1, 0x3e5ade15
	v_add_f64 v[33:34], v[39:40], v[29:30]
	v_add_f64 v[37:38], v[33:34], v[31:32]
	v_add_f64 v[39:40], v[39:40], -v[33:34]
	v_add_f64 v[33:34], v[33:34], -v[37:38]
	v_add_f64 v[29:30], v[29:30], v[39:40]
	v_add_f64 v[31:32], v[33:34], v[31:32]
	;; [unrolled: 1-line block ×4, first 2 shown]
	v_fma_f64 v[33:34], v[31:32], s[0:1], v[25:26]
	s_mov_b32 s0, 0x623fde64
	s_mov_b32 s1, 0x3ec71dee
	v_add_f64 v[37:38], v[37:38], -v[31:32]
	v_mul_f64 v[39:40], v[31:32], v[31:32]
	v_fma_f64 v[33:34], v[31:32], v[33:34], s[0:1]
	s_mov_b32 s0, 0x7c89e6b0
	s_mov_b32 s1, 0x3efa0199
	v_add_f64 v[29:30], v[29:30], v[37:38]
	v_fma_f64 v[37:38], v[31:32], v[31:32], -v[39:40]
	v_fma_f64 v[33:34], v[31:32], v[33:34], s[0:1]
	s_mov_b32 s0, 0x14761f6e
	s_mov_b32 s1, 0x3f2a01a0
	v_add_f64 v[49:50], v[29:30], v[29:30]
	v_fma_f64 v[33:34], v[31:32], v[33:34], s[0:1]
	s_mov_b32 s0, 0x1852b7b0
	s_mov_b32 s1, 0x3f56c16c
	v_fma_f64 v[37:38], v[31:32], v[49:50], v[37:38]
	v_fma_f64 v[33:34], v[31:32], v[33:34], s[0:1]
	s_mov_b32 s0, 0x55555511
	s_mov_b32 s1, 0x3fc55555
	v_add_f64 v[49:50], v[39:40], v[37:38]
	v_fma_f64 v[33:34], v[31:32], v[33:34], s[94:95]
	v_add_f64 v[39:40], v[49:50], -v[39:40]
	v_fma_f64 v[33:34], v[31:32], v[33:34], s[68:69]
	v_add_f64 v[37:38], v[37:38], -v[39:40]
	v_fma_f64 v[33:34], v[31:32], v[33:34], s[0:1]
	s_mov_b32 s0, 0xc751c08c
	s_mov_b32 s1, 0x3ef5e089
	v_fma_f64 v[33:34], v[31:32], v[33:34], s[72:73]
	v_mul_f64 v[51:52], v[49:50], v[33:34]
	v_fma_f64 v[39:40], v[49:50], v[33:34], -v[51:52]
	v_fma_f64 v[33:34], v[37:38], v[33:34], v[39:40]
	v_add_f64 v[37:38], v[51:52], v[33:34]
	v_add_f64 v[39:40], v[31:32], v[37:38]
	v_add_f64 v[49:50], v[37:38], -v[51:52]
	v_add_f64 v[31:32], v[39:40], -v[31:32]
	;; [unrolled: 1-line block ×3, first 2 shown]
	v_add_f64 v[49:50], v[7:8], v[7:8]
	v_add_f64 v[31:32], v[37:38], -v[31:32]
	v_add_f64 v[29:30], v[29:30], v[33:34]
	v_add_f64 v[29:30], v[29:30], v[31:32]
	;; [unrolled: 1-line block ×3, first 2 shown]
	v_add_f64 v[33:34], v[31:32], 1.0
	v_add_f64 v[37:38], v[31:32], -v[39:40]
	v_add_f64 v[39:40], v[33:34], -1.0
	v_add_f64 v[29:30], v[29:30], -v[37:38]
	v_add_f64 v[31:32], v[31:32], -v[39:40]
	v_add_f64 v[29:30], v[29:30], v[31:32]
	v_add_f64 v[31:32], v[33:34], v[29:30]
	v_ldexp_f64 v[35:36], v[31:32], v13
	v_add_f64 v[31:32], v[31:32], -v[33:34]
	v_rcp_f64_e32 v[37:38], v[35:36]
	v_add_f64 v[29:30], v[29:30], -v[31:32]
	v_ldexp_f64 v[29:30], v[29:30], v13
	v_fma_f64 v[39:40], -v[35:36], v[37:38], 1.0
	v_fma_f64 v[37:38], v[39:40], v[37:38], v[37:38]
	v_fma_f64 v[39:40], -v[35:36], v[37:38], 1.0
	v_fma_f64 v[33:34], v[39:40], v[37:38], v[37:38]
	v_mul_f64 v[37:38], v[5:6], v[5:6]
	v_mul_f64 v[31:32], v[35:36], v[33:34]
	v_fma_f64 v[51:52], v[5:6], v[5:6], -v[37:38]
	v_fma_f64 v[39:40], v[33:34], v[35:36], -v[31:32]
	v_fma_f64 v[49:50], v[5:6], v[49:50], v[51:52]
	v_fma_f64 v[39:40], v[33:34], v[29:30], v[39:40]
	v_add_f64 v[37:38], v[37:38], v[49:50]
	v_add_f64 v[51:52], v[31:32], v[39:40]
	v_fma_f64 v[53:54], v[37:38], s[0:1], v[23:24]
	s_mov_b32 s0, 0x90a8aae0
	s_mov_b32 s1, 0x3f17746f
	v_add_f64 v[49:50], -v[51:52], 1.0
	v_add_f64 v[31:32], v[51:52], -v[31:32]
	v_fma_f64 v[53:54], v[37:38], v[53:54], s[0:1]
	s_mov_b32 s0, 0xa6fbf144
	s_mov_b32 s1, 0xbefbb44d
	v_add_f64 v[55:56], -v[49:50], 1.0
	v_add_f64 v[31:32], v[31:32], -v[39:40]
	v_add_f64 v[39:40], v[55:56], -v[51:52]
	v_fma_f64 v[51:52], v[37:38], v[53:54], s[0:1]
	s_mov_b32 s0, 0xa7943acf
	s_mov_b32 s1, 0x3f21e634
	v_add_f64 v[31:32], v[31:32], v[39:40]
	v_fma_f64 v[39:40], v[37:38], v[51:52], s[0:1]
	s_mov_b32 s0, 0xdeb68feb
	s_mov_b32 s1, 0x3f2d250f
	v_add_f64 v[51:52], v[49:50], v[31:32]
	v_fma_f64 v[39:40], v[37:38], v[39:40], s[0:1]
	s_mov_b32 s0, 0xb58c4d95
	s_mov_b32 s1, 0x3f437fd9
	v_mul_f64 v[53:54], v[33:34], v[51:52]
	v_fma_f64 v[39:40], v[37:38], v[39:40], s[0:1]
	s_mov_b32 s0, 0x15120e2c
	s_mov_b32 s1, 0x3f57d5af
	v_add_f64 v[49:50], v[49:50], -v[51:52]
	v_mul_f64 v[55:56], v[35:36], v[53:54]
	v_fma_f64 v[39:40], v[37:38], v[39:40], s[0:1]
	s_mov_b32 s0, 0xe09491df
	s_mov_b32 s1, 0x3f6d6d93
	v_add_f64 v[31:32], v[31:32], v[49:50]
	v_fma_f64 v[57:58], v[53:54], v[35:36], -v[55:56]
	v_fma_f64 v[39:40], v[37:38], v[39:40], s[0:1]
	s_mov_b32 s0, 0x2033784d
	s_mov_b32 s1, 0x3f8226e1
	v_fma_f64 v[57:58], v[53:54], v[29:30], v[57:58]
	v_fma_f64 v[39:40], v[37:38], v[39:40], s[0:1]
	s_mov_b32 s0, 0x9ac36ae2
	s_mov_b32 s1, 0x3f9664f4
	v_add_f64 v[59:60], v[55:56], v[57:58]
	v_fma_f64 v[39:40], v[37:38], v[39:40], s[0:1]
	s_mov_b32 s0, 0x1b451c21
	s_mov_b32 s1, 0x3faba1ba
	v_add_f64 v[61:62], v[51:52], -v[59:60]
	v_fma_f64 v[39:40], v[37:38], v[39:40], s[0:1]
	s_mov_b32 s0, 0x111185b7
	s_mov_b32 s1, 0x3fc11111
	v_add_f64 v[49:50], v[59:60], -v[55:56]
	v_add_f64 v[51:52], v[51:52], -v[61:62]
	v_fma_f64 v[39:40], v[37:38], v[39:40], s[0:1]
	s_mov_b32 s0, 0x555554ee
	s_mov_b32 s1, 0x3fd55555
	v_add_f64 v[49:50], v[49:50], -v[57:58]
	v_add_f64 v[51:52], v[51:52], -v[59:60]
	v_fma_f64 v[39:40], v[37:38], v[39:40], s[0:1]
	s_mov_b32 s0, 0x8fb9f87e
	s_mov_b32 s1, 0x408633ce
	v_cmp_nge_f64_e64 vcc, |v[15:16]|, s[0:1]
	s_mov_b32 s0, 0
	s_mov_b32 s1, 0x3e400000
	v_add_f64 v[31:32], v[31:32], v[51:52]
	v_mul_f64 v[37:38], v[37:38], v[39:40]
	v_add_f64 v[39:40], v[33:34], v[53:54]
	v_add_f64 v[31:32], v[49:50], v[31:32]
	v_mul_f64 v[49:50], v[5:6], v[37:38]
	v_add_f64 v[51:52], v[39:40], -v[33:34]
	v_add_f64 v[31:32], v[61:62], v[31:32]
	v_add_f64 v[55:56], v[5:6], v[49:50]
	v_add_f64 v[51:52], v[53:54], -v[51:52]
	v_mul_f64 v[31:32], v[33:34], v[31:32]
	v_fma_f64 v[33:34], v[5:6], v[37:38], -v[49:50]
	v_add_f64 v[5:6], v[55:56], -v[5:6]
	v_add_f64 v[31:32], v[51:52], v[31:32]
	v_add_f64 v[7:8], v[7:8], v[33:34]
	v_add_f64 v[5:6], v[49:50], -v[5:6]
	v_add_f64 v[33:34], v[39:40], v[31:32]
	v_add_f64 v[5:6], v[7:8], v[5:6]
	v_ldexp_f64 v[7:8], v[33:34], -2
	v_add_f64 v[33:34], v[33:34], -v[39:40]
	v_add_f64 v[37:38], v[55:56], v[5:6]
	v_add_f64 v[49:50], v[35:36], -v[7:8]
	v_add_f64 v[31:32], v[31:32], -v[33:34]
	v_rcp_f64_e32 v[51:52], v[37:38]
	v_add_f64 v[35:36], v[35:36], -v[49:50]
	v_ldexp_f64 v[31:32], v[31:32], -2
	v_add_f64 v[7:8], v[35:36], -v[7:8]
	v_fma_f64 v[33:34], -v[37:38], v[51:52], 1.0
	v_add_f64 v[7:8], v[29:30], v[7:8]
	v_fma_f64 v[29:30], v[33:34], v[51:52], v[51:52]
	v_and_b32_e32 v34, 0x7fffffff, v16
	v_add_f64 v[7:8], v[7:8], -v[31:32]
	v_fma_f64 v[31:32], -v[37:38], v[29:30], 1.0
	v_add_f64 v[7:8], v[49:50], v[7:8]
	v_fma_f64 v[29:30], v[31:32], v[29:30], v[29:30]
	v_cndmask_b32_e32 v13, v45, v8, vcc
	v_cndmask_b32_e32 v33, 0, v7, vcc
	v_cmp_lt_f64_e64 vcc, |v[15:16]|, s[0:1]
	v_xor_b32_e32 v16, 0x80000000, v16
	s_mov_b32 s0, 0
	v_add_f64 v[7:8], v[37:38], -v[55:56]
	v_mul_f64 v[31:32], v[37:38], v[29:30]
	s_brev_b32 s1, 8
	v_cndmask_b32_e32 v13, v13, v34, vcc
	v_cndmask_b32_e32 v15, v33, v15, vcc
	v_bfi_b32 v16, s54, v13, v16
	v_fma_f64 v[33:34], v[15:16], v[15:16], 1.0
	v_add_f64 v[5:6], v[5:6], -v[7:8]
	v_fma_f64 v[7:8], v[29:30], v[37:38], -v[31:32]
	v_cmp_gt_f64_e32 vcc, s[0:1], v[33:34]
	v_fma_f64 v[5:6], v[29:30], v[5:6], v[7:8]
	v_cndmask_b32_e32 v13, 0, v46, vcc
	v_ldexp_f64 v[33:34], v[33:34], v13
	v_add_f64 v[35:36], v[31:32], v[5:6]
	v_and_b32_e32 v13, 1, v22
	v_cmp_eq_u32_e64 s[0:1], 0, v13
	v_cndmask_b32_e32 v22, 0, v47, vcc
	v_rsq_f64_e32 v[7:8], v[33:34]
	v_add_f64 v[39:40], -v[35:36], 1.0
	v_add_f64 v[31:32], v[35:36], -v[31:32]
	v_cmp_class_f64_e32 vcc, v[33:34], v42
	v_add_f64 v[51:52], -v[39:40], 1.0
	v_add_f64 v[5:6], v[31:32], -v[5:6]
	v_mul_f64 v[49:50], v[33:34], v[7:8]
	v_mul_f64 v[7:8], v[7:8], 0.5
	v_add_f64 v[35:36], v[51:52], -v[35:36]
	v_fma_f64 v[31:32], -v[7:8], v[49:50], 0.5
	v_add_f64 v[5:6], v[5:6], v[35:36]
	v_fma_f64 v[49:50], v[49:50], v[31:32], v[49:50]
	v_fma_f64 v[7:8], v[7:8], v[31:32], v[7:8]
	v_add_f64 v[5:6], v[39:40], v[5:6]
	v_fma_f64 v[31:32], -v[49:50], v[49:50], v[33:34]
	v_mul_f64 v[5:6], v[29:30], v[5:6]
	v_fma_f64 v[31:32], v[31:32], v[7:8], v[49:50]
	v_add_f64 v[5:6], v[29:30], v[5:6]
	v_fma_f64 v[35:36], -v[31:32], v[31:32], v[33:34]
	v_xor_b32_e32 v6, 0x80000000, v6
	v_cndmask_b32_e64 v6, v6, v38, s[0:1]
	v_cndmask_b32_e64 v5, v5, v37, s[0:1]
	v_xor_b32_e32 v6, v6, v14
	v_fma_f64 v[13:14], v[5:6], v[5:6], 1.0
	v_fma_f64 v[7:8], v[35:36], v[7:8], v[31:32]
	v_mul_f64 v[29:30], v[15:16], v[13:14]
	v_ldexp_f64 v[7:8], v[7:8], v22
	v_cndmask_b32_e32 v8, v8, v34, vcc
	v_cndmask_b32_e32 v7, v7, v33, vcc
	v_mul_f64 v[7:8], v[7:8], v[13:14]
	v_fma_f64 v[13:14], v[15:16], v[29:30], 1.0
	v_mul_f64 v[7:8], v[15:16], v[7:8]
	v_div_scale_f64 v[29:30], s[0:1], v[13:14], v[13:14], v[5:6]
	v_div_scale_f64 v[15:16], s[0:1], v[13:14], v[13:14], v[7:8]
	;; [unrolled: 1-line block ×3, first 2 shown]
	v_rcp_f64_e32 v[33:34], v[29:30]
	v_rcp_f64_e32 v[31:32], v[15:16]
	v_fma_f64 v[37:38], -v[29:30], v[33:34], 1.0
	v_fma_f64 v[35:36], -v[15:16], v[31:32], 1.0
	v_fma_f64 v[33:34], v[33:34], v[37:38], v[33:34]
	v_fma_f64 v[31:32], v[31:32], v[35:36], v[31:32]
	v_div_scale_f64 v[35:36], vcc, v[7:8], v[13:14], v[7:8]
	v_fma_f64 v[49:50], -v[29:30], v[33:34], 1.0
	v_fma_f64 v[37:38], -v[15:16], v[31:32], 1.0
	v_fma_f64 v[33:34], v[33:34], v[49:50], v[33:34]
	v_fma_f64 v[31:32], v[31:32], v[37:38], v[31:32]
	v_mul_f64 v[49:50], v[39:40], v[33:34]
	v_mul_f64 v[37:38], v[35:36], v[31:32]
	v_fma_f64 v[29:30], -v[29:30], v[49:50], v[39:40]
	v_fma_f64 v[15:16], -v[15:16], v[37:38], v[35:36]
	v_div_fmas_f64 v[15:16], v[15:16], v[31:32], v[37:38]
	s_mov_b64 vcc, s[0:1]
	v_div_fmas_f64 v[29:30], v[29:30], v[33:34], v[49:50]
	v_div_fixup_f64 v[7:8], v[15:16], v[13:14], v[7:8]
	v_div_fixup_f64 v[5:6], v[29:30], v[13:14], v[5:6]
                                        ; implicit-def: $vgpr13_vgpr14
.LBB93_15:                              ;   in Loop: Header=BB93_7 Depth=1
	s_andn2_saveexec_b64 s[0:1], s[58:59]
	s_cbranch_execz .LBB93_18
; %bb.16:                               ;   in Loop: Header=BB93_7 Depth=1
	v_cmp_nlt_f64_e64 s[58:59], |v[13:14]|, s[24:25]
                                        ; implicit-def: $vgpr33
                                        ; implicit-def: $vgpr5_vgpr6
                                        ; implicit-def: $vgpr7_vgpr8
	s_and_saveexec_b64 s[60:61], s[58:59]
	s_xor_b64 s[60:61], exec, s[60:61]
	s_cbranch_execz .LBB93_19
; %bb.17:                               ;   in Loop: Header=BB93_7 Depth=1
	v_trig_preop_f64 v[5:6], |v[13:14]|, 0
	v_ldexp_f64 v[7:8], |v[13:14]|, s67
	v_cmp_ge_f64_e64 vcc, |v[13:14]|, s[26:27]
	v_trig_preop_f64 v[29:30], |v[13:14]|, 1
	v_and_b32_e32 v22, 0x7fffffff, v14
	v_trig_preop_f64 v[37:38], |v[13:14]|, 2
	s_mov_b32 s14, s30
	s_mov_b32 s37, s19
	v_cndmask_b32_e32 v8, v22, v8, vcc
	v_cndmask_b32_e32 v7, v13, v7, vcc
	v_mul_f64 v[31:32], v[5:6], v[7:8]
	v_mul_f64 v[33:34], v[29:30], v[7:8]
	v_mul_f64 v[51:52], v[37:38], v[7:8]
	v_fma_f64 v[5:6], v[5:6], v[7:8], -v[31:32]
	v_fma_f64 v[29:30], v[29:30], v[7:8], -v[33:34]
	v_fma_f64 v[7:8], v[37:38], v[7:8], -v[51:52]
	v_add_f64 v[35:36], v[33:34], v[5:6]
	v_add_f64 v[39:40], v[35:36], -v[33:34]
	v_add_f64 v[53:54], v[31:32], v[35:36]
	v_add_f64 v[49:50], v[35:36], -v[39:40]
	v_add_f64 v[5:6], v[5:6], -v[39:40]
	v_add_f64 v[39:40], v[51:52], v[29:30]
	v_add_f64 v[31:32], v[53:54], -v[31:32]
	v_add_f64 v[33:34], v[33:34], -v[49:50]
	v_ldexp_f64 v[49:50], v[53:54], -2
	v_add_f64 v[55:56], v[39:40], -v[51:52]
	v_add_f64 v[31:32], v[35:36], -v[31:32]
	v_add_f64 v[5:6], v[5:6], v[33:34]
	v_fract_f64_e32 v[33:34], v[49:50]
	v_cmp_neq_f64_e64 vcc, |v[49:50]|, s[28:29]
	v_add_f64 v[29:30], v[29:30], -v[55:56]
	v_add_f64 v[35:36], v[39:40], v[5:6]
	v_ldexp_f64 v[33:34], v[33:34], 2
	v_add_f64 v[49:50], v[31:32], v[35:36]
	v_cndmask_b32_e32 v34, 0, v34, vcc
	v_cndmask_b32_e32 v33, 0, v33, vcc
	v_add_f64 v[57:58], v[35:36], -v[39:40]
	v_add_f64 v[53:54], v[49:50], v[33:34]
	v_add_f64 v[31:32], v[49:50], -v[31:32]
	v_add_f64 v[59:60], v[35:36], -v[57:58]
	v_add_f64 v[5:6], v[5:6], -v[57:58]
	v_cmp_gt_f64_e32 vcc, 0, v[53:54]
	v_add_f64 v[53:54], v[39:40], -v[55:56]
	v_add_f64 v[31:32], v[35:36], -v[31:32]
	;; [unrolled: 1-line block ×3, first 2 shown]
	v_cndmask_b32_e32 v22, 0, v43, vcc
	v_add_f64 v[33:34], v[33:34], v[21:22]
	v_add_f64 v[53:54], v[51:52], -v[53:54]
	v_add_f64 v[5:6], v[5:6], v[39:40]
	v_add_f64 v[61:62], v[49:50], v[33:34]
	;; [unrolled: 1-line block ×3, first 2 shown]
	v_cvt_i32_f64_e32 v57, v[61:62]
	v_add_f64 v[5:6], v[29:30], v[5:6]
	v_cvt_f64_i32_e32 v[55:56], v57
	v_add_f64 v[33:34], v[33:34], -v[55:56]
	v_add_f64 v[5:6], v[7:8], v[5:6]
	v_add_f64 v[29:30], v[49:50], v[33:34]
	;; [unrolled: 1-line block ×3, first 2 shown]
	v_add_f64 v[7:8], v[29:30], -v[33:34]
	v_cmp_le_f64_e32 vcc, 0.5, v[29:30]
	v_add_f64 v[7:8], v[49:50], -v[7:8]
	v_cndmask_b32_e32 v22, 0, v44, vcc
	v_add_f64 v[5:6], v[5:6], v[7:8]
	v_add_f64 v[7:8], v[29:30], -v[21:22]
	v_add_f64 v[29:30], v[7:8], v[5:6]
	v_mul_f64 v[31:32], v[29:30], s[14:15]
	v_add_f64 v[7:8], v[29:30], -v[7:8]
	v_fma_f64 v[33:34], v[29:30], s[14:15], -v[31:32]
	v_add_f64 v[5:6], v[5:6], -v[7:8]
	v_fma_f64 v[7:8], v[29:30], s[36:37], v[33:34]
	v_addc_co_u32_e32 v33, vcc, 0, v57, vcc
	v_fma_f64 v[7:8], v[5:6], s[14:15], v[7:8]
	v_add_f64 v[5:6], v[31:32], v[7:8]
	v_add_f64 v[29:30], v[5:6], -v[31:32]
	v_add_f64 v[7:8], v[7:8], -v[29:30]
	s_andn2_saveexec_b64 s[60:61], s[60:61]
	s_cbranch_execz .LBB93_21
	s_branch .LBB93_20
.LBB93_18:                              ;   in Loop: Header=BB93_7 Depth=1
	s_or_b64 exec, exec, s[0:1]
                                        ; implicit-def: $vgpr13_vgpr14
	s_andn2_saveexec_b64 s[0:1], s[52:53]
	s_cbranch_execnz .LBB93_27
	s_branch .LBB93_28
.LBB93_19:                              ;   in Loop: Header=BB93_7 Depth=1
	s_andn2_saveexec_b64 s[60:61], s[60:61]
	s_cbranch_execz .LBB93_21
.LBB93_20:                              ;   in Loop: Header=BB93_7 Depth=1
	v_mul_f64 v[5:6], |v[13:14]|, s[16:17]
	s_mov_b32 s18, s34
	v_rndne_f64_e32 v[29:30], v[5:6]
	v_fma_f64 v[5:6], v[29:30], s[30:31], |v[13:14]|
	v_mul_f64 v[7:8], v[29:30], s[34:35]
	v_fma_f64 v[35:36], v[29:30], s[34:35], v[5:6]
	v_add_f64 v[31:32], v[5:6], v[7:8]
	v_add_f64 v[33:34], v[5:6], -v[31:32]
	v_add_f64 v[31:32], v[31:32], -v[35:36]
	v_add_f64 v[5:6], v[33:34], v[7:8]
	v_fma_f64 v[7:8], v[29:30], s[18:19], v[7:8]
	v_cvt_i32_f64_e32 v33, v[29:30]
	v_add_f64 v[5:6], v[31:32], v[5:6]
	v_add_f64 v[5:6], v[5:6], -v[7:8]
	v_fma_f64 v[7:8], v[29:30], s[20:21], v[5:6]
	v_add_f64 v[5:6], v[35:36], v[7:8]
	v_add_f64 v[31:32], v[5:6], -v[35:36]
	v_add_f64 v[7:8], v[7:8], -v[31:32]
.LBB93_21:                              ;   in Loop: Header=BB93_7 Depth=1
	s_or_b64 exec, exec, s[60:61]
                                        ; implicit-def: $vgpr22
                                        ; implicit-def: $vgpr29_vgpr30
                                        ; implicit-def: $vgpr31_vgpr32
	s_and_saveexec_b64 s[60:61], s[58:59]
	s_xor_b64 s[58:59], exec, s[60:61]
	s_cbranch_execz .LBB93_23
; %bb.22:                               ;   in Loop: Header=BB93_7 Depth=1
	v_trig_preop_f64 v[29:30], |v[13:14]|, 0
	v_ldexp_f64 v[31:32], |v[13:14]|, s67
	v_cmp_ge_f64_e64 vcc, |v[13:14]|, s[26:27]
	v_trig_preop_f64 v[34:35], |v[13:14]|, 1
	v_and_b32_e32 v22, 0x7fffffff, v14
	v_trig_preop_f64 v[51:52], |v[13:14]|, 2
	s_mov_b32 s14, s30
	s_mov_b32 s37, s19
	v_cndmask_b32_e32 v32, v22, v32, vcc
	v_cndmask_b32_e32 v31, v13, v31, vcc
	v_mul_f64 v[36:37], v[29:30], v[31:32]
	v_mul_f64 v[38:39], v[34:35], v[31:32]
	;; [unrolled: 1-line block ×3, first 2 shown]
	v_fma_f64 v[29:30], v[29:30], v[31:32], -v[36:37]
	v_fma_f64 v[34:35], v[34:35], v[31:32], -v[38:39]
	;; [unrolled: 1-line block ×3, first 2 shown]
	v_add_f64 v[49:50], v[38:39], v[29:30]
	v_add_f64 v[53:54], v[49:50], -v[38:39]
	v_add_f64 v[59:60], v[36:37], v[49:50]
	v_add_f64 v[55:56], v[49:50], -v[53:54]
	v_add_f64 v[29:30], v[29:30], -v[53:54]
	v_add_f64 v[53:54], v[57:58], v[34:35]
	v_add_f64 v[36:37], v[59:60], -v[36:37]
	v_add_f64 v[38:39], v[38:39], -v[55:56]
	v_ldexp_f64 v[55:56], v[59:60], -2
	v_add_f64 v[61:62], v[53:54], -v[57:58]
	v_add_f64 v[36:37], v[49:50], -v[36:37]
	v_add_f64 v[29:30], v[29:30], v[38:39]
	v_fract_f64_e32 v[38:39], v[55:56]
	v_cmp_neq_f64_e64 vcc, |v[55:56]|, s[28:29]
	v_add_f64 v[34:35], v[34:35], -v[61:62]
	v_add_f64 v[49:50], v[53:54], v[29:30]
	v_ldexp_f64 v[38:39], v[38:39], 2
	v_add_f64 v[55:56], v[36:37], v[49:50]
	v_cndmask_b32_e32 v39, 0, v39, vcc
	v_cndmask_b32_e32 v38, 0, v38, vcc
	v_add_f64 v[63:64], v[49:50], -v[53:54]
	v_add_f64 v[59:60], v[55:56], v[38:39]
	v_add_f64 v[36:37], v[55:56], -v[36:37]
	v_add_f64 v[65:66], v[49:50], -v[63:64]
	;; [unrolled: 1-line block ×3, first 2 shown]
	v_cmp_gt_f64_e32 vcc, 0, v[59:60]
	v_add_f64 v[59:60], v[53:54], -v[61:62]
	v_add_f64 v[36:37], v[49:50], -v[36:37]
	;; [unrolled: 1-line block ×3, first 2 shown]
	v_cndmask_b32_e32 v22, 0, v43, vcc
	v_add_f64 v[38:39], v[38:39], v[21:22]
	v_add_f64 v[59:60], v[57:58], -v[59:60]
	v_add_f64 v[29:30], v[29:30], v[53:54]
	v_add_f64 v[67:68], v[55:56], v[38:39]
	;; [unrolled: 1-line block ×3, first 2 shown]
	v_cvt_i32_f64_e32 v40, v[67:68]
	v_add_f64 v[29:30], v[34:35], v[29:30]
	v_cvt_f64_i32_e32 v[61:62], v40
	v_add_f64 v[38:39], v[38:39], -v[61:62]
	v_add_f64 v[29:30], v[31:32], v[29:30]
	v_add_f64 v[34:35], v[55:56], v[38:39]
	;; [unrolled: 1-line block ×3, first 2 shown]
	v_add_f64 v[31:32], v[34:35], -v[38:39]
	v_cmp_le_f64_e32 vcc, 0.5, v[34:35]
	v_add_f64 v[31:32], v[55:56], -v[31:32]
	v_cndmask_b32_e32 v22, 0, v44, vcc
	v_add_f64 v[29:30], v[29:30], v[31:32]
	v_add_f64 v[31:32], v[34:35], -v[21:22]
	v_addc_co_u32_e32 v22, vcc, 0, v40, vcc
	v_add_f64 v[34:35], v[31:32], v[29:30]
	v_mul_f64 v[36:37], v[34:35], s[14:15]
	v_add_f64 v[31:32], v[34:35], -v[31:32]
	v_fma_f64 v[38:39], v[34:35], s[14:15], -v[36:37]
	v_add_f64 v[29:30], v[29:30], -v[31:32]
	v_fma_f64 v[31:32], v[34:35], s[36:37], v[38:39]
	v_fma_f64 v[31:32], v[29:30], s[14:15], v[31:32]
	v_add_f64 v[29:30], v[36:37], v[31:32]
	v_add_f64 v[34:35], v[29:30], -v[36:37]
	v_add_f64 v[31:32], v[31:32], -v[34:35]
	s_andn2_saveexec_b64 s[58:59], s[58:59]
	s_cbranch_execnz .LBB93_24
	s_branch .LBB93_25
.LBB93_23:                              ;   in Loop: Header=BB93_7 Depth=1
	s_andn2_saveexec_b64 s[58:59], s[58:59]
	s_cbranch_execz .LBB93_25
.LBB93_24:                              ;   in Loop: Header=BB93_7 Depth=1
	v_mul_f64 v[29:30], |v[13:14]|, s[16:17]
	s_mov_b32 s18, s34
	v_rndne_f64_e32 v[34:35], v[29:30]
	v_fma_f64 v[29:30], v[34:35], s[30:31], |v[13:14]|
	v_mul_f64 v[31:32], v[34:35], s[34:35]
	v_cvt_i32_f64_e32 v22, v[34:35]
	v_fma_f64 v[49:50], v[34:35], s[34:35], v[29:30]
	v_add_f64 v[36:37], v[29:30], v[31:32]
	v_add_f64 v[38:39], v[29:30], -v[36:37]
	v_add_f64 v[36:37], v[36:37], -v[49:50]
	v_add_f64 v[29:30], v[38:39], v[31:32]
	v_fma_f64 v[31:32], v[34:35], s[18:19], v[31:32]
	v_add_f64 v[29:30], v[36:37], v[29:30]
	v_add_f64 v[29:30], v[29:30], -v[31:32]
	v_fma_f64 v[31:32], v[34:35], s[20:21], v[29:30]
	v_add_f64 v[29:30], v[49:50], v[31:32]
	v_add_f64 v[36:37], v[29:30], -v[49:50]
	v_add_f64 v[31:32], v[31:32], -v[36:37]
.LBB93_25:                              ;   in Loop: Header=BB93_7 Depth=1
	s_or_b64 exec, exec, s[58:59]
	v_mul_f64 v[34:35], |v[15:16]|, s[40:41]
	s_mov_b32 s58, 0x3b39803f
	s_mov_b32 s59, 0xbc7abc9e
	v_mul_f64 v[49:50], v[5:6], v[5:6]
	v_mov_b32_e32 v53, s86
	v_mov_b32_e32 v54, s87
	v_mul_f64 v[55:56], v[29:30], v[29:30]
	v_mov_b32_e32 v51, s76
	v_rndne_f64_e32 v[34:35], v[34:35]
	v_mov_b32_e32 v52, s77
	v_mul_f64 v[57:58], v[7:8], 0.5
	v_fma_f64 v[59:60], v[49:50], s[88:89], v[53:54]
	v_fma_f64 v[61:62], v[49:50], s[78:79], v[51:52]
	v_mul_f64 v[63:64], v[49:50], 0.5
	v_fma_f64 v[53:54], v[55:56], s[88:89], v[53:54]
	v_mul_f64 v[67:68], v[55:56], 0.5
	v_fma_f64 v[36:37], v[34:35], s[42:43], -|v[15:16]|
	v_fma_f64 v[51:52], v[55:56], s[78:79], v[51:52]
	s_mov_b32 s95, s45
	v_fma_f64 v[59:60], v[49:50], v[59:60], s[90:91]
	v_fma_f64 v[61:62], v[49:50], v[61:62], s[80:81]
	v_add_f64 v[69:70], -v[63:64], 1.0
	v_fma_f64 v[53:54], v[55:56], v[53:54], s[90:91]
	v_mul_f64 v[71:72], v[5:6], -v[49:50]
	v_fma_f64 v[36:37], v[34:35], s[58:59], v[36:37]
	s_mov_b32 s58, 0x6a5dcb37
	s_mov_b32 s59, 0x3e5ade15
	v_fma_f64 v[59:60], v[49:50], v[59:60], s[92:93]
	v_add_f64 v[73:74], -v[67:68], 1.0
	v_fma_f64 v[51:52], v[55:56], v[51:52], s[80:81]
	v_fma_f64 v[53:54], v[55:56], v[53:54], s[92:93]
	;; [unrolled: 1-line block ×4, first 2 shown]
	s_mov_b32 s58, 0x623fde64
	s_mov_b32 s59, 0x3ec71dee
	v_add_f64 v[75:76], -v[69:70], 1.0
	v_fma_f64 v[59:60], v[49:50], v[59:60], s[44:45]
	v_mul_f64 v[65:66], v[31:32], 0.5
	v_mul_f64 v[77:78], v[29:30], -v[55:56]
	v_fma_f64 v[53:54], v[55:56], v[53:54], s[44:45]
	v_fma_f64 v[38:39], v[36:37], v[38:39], s[58:59]
	s_mov_b32 s58, 0x7c89e6b0
	s_mov_b32 s59, 0x3efa0199
	;; [unrolled: 1-line block ×3, first 2 shown]
	v_add_f64 v[79:80], -v[73:74], 1.0
	v_fma_f64 v[51:52], v[55:56], v[51:52], s[82:83]
	v_fma_f64 v[61:62], v[49:50], v[61:62], s[84:85]
	v_add_f64 v[63:64], v[75:76], -v[63:64]
	v_fma_f64 v[38:39], v[36:37], v[38:39], s[58:59]
	s_mov_b32 s58, 0x14761f6e
	s_mov_b32 s59, 0x3f2a01a0
	v_fma_f64 v[57:58], v[71:72], v[59:60], v[57:58]
	v_fma_f64 v[53:54], v[77:78], v[53:54], v[65:66]
	v_mul_f64 v[59:60], v[49:50], v[49:50]
	v_add_f64 v[67:68], v[79:80], -v[67:68]
	v_fma_f64 v[51:52], v[55:56], v[51:52], s[84:85]
	v_fma_f64 v[38:39], v[36:37], v[38:39], s[58:59]
	s_mov_b32 s58, 0x1852b7b0
	s_mov_b32 s59, 0x3f56c16c
	v_fma_f64 v[61:62], v[49:50], v[61:62], s[56:57]
	v_fma_f64 v[63:64], v[5:6], -v[7:8], v[63:64]
	v_fma_f64 v[7:8], v[49:50], v[57:58], -v[7:8]
	s_mov_b32 s46, s56
	v_fma_f64 v[53:54], v[55:56], v[53:54], -v[31:32]
	v_fma_f64 v[38:39], v[36:37], v[38:39], s[58:59]
	s_mov_b32 s58, 0x55555511
	s_mov_b32 s59, 0x3fc55555
	v_mul_f64 v[49:50], v[55:56], v[55:56]
	v_fma_f64 v[51:52], v[55:56], v[51:52], s[56:57]
	v_fma_f64 v[31:32], v[29:30], -v[31:32], v[67:68]
	v_fma_f64 v[55:56], v[59:60], v[61:62], v[63:64]
	v_fma_f64 v[7:8], v[71:72], s[46:47], v[7:8]
	;; [unrolled: 1-line block ×3, first 2 shown]
	v_lshlrev_b32_e32 v13, 30, v33
	v_xor_b32_e32 v57, v13, v14
	v_fma_f64 v[13:14], v[77:78], s[46:47], v[53:54]
	v_and_b32_e32 v40, 1, v33
	v_fma_f64 v[31:32], v[49:50], v[51:52], v[31:32]
	v_add_f64 v[49:50], v[69:70], v[55:56]
	v_add_f64 v[5:6], v[5:6], -v[7:8]
	v_fma_f64 v[38:39], v[36:37], v[38:39], s[68:69]
	v_cmp_eq_u32_e32 vcc, 0, v40
	v_cvt_i32_f64_e32 v34, v[34:35]
	v_add_f64 v[13:14], v[29:30], -v[13:14]
	v_and_b32_e32 v33, 1, v22
	v_add_f64 v[29:30], v[73:74], v[31:32]
	v_lshlrev_b32_e32 v22, 30, v22
	v_cndmask_b32_e32 v6, v50, v6, vcc
	v_fma_f64 v[38:39], v[36:37], v[38:39], s[58:59]
	v_cndmask_b32_e32 v5, v49, v5, vcc
	v_cmp_eq_u32_e32 vcc, 0, v33
	v_xor_b32_e32 v14, 0x80000000, v14
	s_mov_b32 s58, 0
	v_and_b32_e32 v22, 0x80000000, v22
	v_cndmask_b32_e32 v14, v14, v30, vcc
	s_mov_b32 s59, 0x4090cc00
	v_fma_f64 v[38:39], v[36:37], v[38:39], s[72:73]
	v_cndmask_b32_e32 v13, v13, v29, vcc
	v_xor_b32_e32 v14, v14, v22
	v_cmp_ngt_f64_e64 vcc, |v[15:16]|, s[58:59]
	v_fma_f64 v[7:8], v[36:37], v[38:39], 1.0
	v_and_b32_e32 v38, 0x80000000, v57
	v_xor_b32_e32 v6, v6, v38
	v_mul_f64 v[5:6], v[5:6], 4.0
	v_fma_f64 v[7:8], v[36:37], v[7:8], 1.0
	v_mul_f64 v[5:6], v[5:6], v[13:14]
	v_ldexp_f64 v[7:8], v[7:8], v34
	v_cndmask_b32_e32 v8, 0, v8, vcc
	v_cndmask_b32_e32 v7, 0, v7, vcc
	v_mul_f64 v[5:6], v[7:8], v[5:6]
	v_mul_f64 v[5:6], v[7:8], v[5:6]
	v_xor_b32_e32 v7, 0x80000000, v16
	v_bfi_b32 v22, s54, v44, v7
	v_mov_b32_e32 v7, v21
	v_mov_b32_e32 v8, v22
	s_or_b64 exec, exec, s[0:1]
                                        ; implicit-def: $vgpr13_vgpr14
.LBB93_26:                              ;   in Loop: Header=BB93_7 Depth=1
	s_andn2_saveexec_b64 s[0:1], s[52:53]
	s_cbranch_execz .LBB93_28
.LBB93_27:                              ;   in Loop: Header=BB93_7 Depth=1
	v_add_f64 v[5:6], v[13:14], -v[13:14]
	v_mov_b32_e32 v8, v6
	v_mov_b32_e32 v7, v5
.LBB93_28:                              ;   in Loop: Header=BB93_7 Depth=1
	s_or_b64 exec, exec, s[0:1]
                                        ; implicit-def: $vgpr13_vgpr14
.LBB93_29:                              ;   in Loop: Header=BB93_7 Depth=1
	s_andn2_saveexec_b64 s[48:49], s[48:49]
	s_cbranch_execz .LBB93_45
; %bb.30:                               ;   in Loop: Header=BB93_7 Depth=1
	v_and_or_b32 v5, v8, s70, v7
	v_cmp_ne_u32_e32 vcc, 0, v5
	s_and_saveexec_b64 s[0:1], vcc
	s_xor_b64 s[0:1], exec, s[0:1]
	s_cbranch_execz .LBB93_32
; %bb.31:                               ;   in Loop: Header=BB93_7 Depth=1
	v_mul_f64 v[5:6], v[13:14], -v[15:16]
	v_cmp_eq_f64_e32 vcc, 0, v[13:14]
	v_cndmask_b32_e32 v6, v6, v14, vcc
	v_cndmask_b32_e32 v5, v5, v13, vcc
                                        ; implicit-def: $vgpr13_vgpr14
.LBB93_32:                              ;   in Loop: Header=BB93_7 Depth=1
	s_andn2_saveexec_b64 s[52:53], s[0:1]
	s_cbranch_execz .LBB93_44
; %bb.33:                               ;   in Loop: Header=BB93_7 Depth=1
	v_cmp_neq_f64_e64 s[0:1], |v[13:14]|, s[28:29]
	s_and_saveexec_b64 s[58:59], s[0:1]
	s_cbranch_execz .LBB93_43
; %bb.34:                               ;   in Loop: Header=BB93_7 Depth=1
	v_trig_preop_f64 v[35:36], |v[13:14]|, 0
	v_trig_preop_f64 v[33:34], |v[13:14]|, 1
	;; [unrolled: 1-line block ×3, first 2 shown]
	v_cmp_nlt_f64_e64 s[0:1], |v[13:14]|, s[24:25]
	v_ldexp_f64 v[37:38], |v[13:14]|, s67
	v_and_b32_e32 v50, 0x7fffffff, v14
                                        ; implicit-def: $vgpr49
                                        ; implicit-def: $vgpr5_vgpr6
                                        ; implicit-def: $vgpr15_vgpr16
	s_and_saveexec_b64 s[60:61], s[0:1]
	s_xor_b64 s[60:61], exec, s[60:61]
	s_cbranch_execz .LBB93_36
; %bb.35:                               ;   in Loop: Header=BB93_7 Depth=1
	v_cmp_ge_f64_e64 vcc, |v[13:14]|, s[26:27]
	s_mov_b32 s14, s30
	s_mov_b32 s37, s19
	v_cndmask_b32_e32 v6, v50, v38, vcc
	v_cndmask_b32_e32 v5, v13, v37, vcc
	v_mul_f64 v[15:16], v[35:36], v[5:6]
	v_mul_f64 v[31:32], v[33:34], v[5:6]
	;; [unrolled: 1-line block ×3, first 2 shown]
	v_fma_f64 v[39:40], v[35:36], v[5:6], -v[15:16]
	v_fma_f64 v[59:60], v[33:34], v[5:6], -v[31:32]
	;; [unrolled: 1-line block ×3, first 2 shown]
	v_add_f64 v[51:52], v[31:32], v[39:40]
	v_add_f64 v[53:54], v[51:52], -v[31:32]
	v_add_f64 v[61:62], v[15:16], v[51:52]
	v_add_f64 v[55:56], v[51:52], -v[53:54]
	v_add_f64 v[39:40], v[39:40], -v[53:54]
	v_add_f64 v[53:54], v[57:58], v[59:60]
	v_add_f64 v[15:16], v[61:62], -v[15:16]
	v_add_f64 v[31:32], v[31:32], -v[55:56]
	v_ldexp_f64 v[55:56], v[61:62], -2
	v_add_f64 v[63:64], v[53:54], -v[57:58]
	v_add_f64 v[15:16], v[51:52], -v[15:16]
	v_add_f64 v[31:32], v[39:40], v[31:32]
	v_fract_f64_e32 v[39:40], v[55:56]
	v_cmp_neq_f64_e64 vcc, |v[55:56]|, s[28:29]
	v_add_f64 v[59:60], v[59:60], -v[63:64]
	v_add_f64 v[51:52], v[53:54], v[31:32]
	v_ldexp_f64 v[39:40], v[39:40], 2
	v_add_f64 v[55:56], v[15:16], v[51:52]
	v_cndmask_b32_e32 v40, 0, v40, vcc
	v_cndmask_b32_e32 v39, 0, v39, vcc
	v_add_f64 v[65:66], v[51:52], -v[53:54]
	v_add_f64 v[61:62], v[55:56], v[39:40]
	v_add_f64 v[15:16], v[55:56], -v[15:16]
	v_add_f64 v[67:68], v[51:52], -v[65:66]
	v_add_f64 v[31:32], v[31:32], -v[65:66]
	v_cmp_gt_f64_e32 vcc, 0, v[61:62]
	v_add_f64 v[61:62], v[53:54], -v[63:64]
	v_add_f64 v[15:16], v[51:52], -v[15:16]
	;; [unrolled: 1-line block ×3, first 2 shown]
	v_cndmask_b32_e32 v22, 0, v43, vcc
	v_add_f64 v[39:40], v[39:40], v[21:22]
	v_add_f64 v[61:62], v[57:58], -v[61:62]
	v_add_f64 v[31:32], v[31:32], v[53:54]
	v_add_f64 v[69:70], v[55:56], v[39:40]
	;; [unrolled: 1-line block ×3, first 2 shown]
	v_cvt_i32_f64_e32 v49, v[69:70]
	v_add_f64 v[31:32], v[59:60], v[31:32]
	v_cvt_f64_i32_e32 v[63:64], v49
	v_add_f64 v[39:40], v[39:40], -v[63:64]
	v_add_f64 v[5:6], v[5:6], v[31:32]
	v_add_f64 v[53:54], v[55:56], v[39:40]
	;; [unrolled: 1-line block ×3, first 2 shown]
	v_add_f64 v[31:32], v[53:54], -v[39:40]
	v_cmp_le_f64_e32 vcc, 0.5, v[53:54]
	v_add_f64 v[15:16], v[55:56], -v[31:32]
	v_cndmask_b32_e32 v22, 0, v44, vcc
	v_addc_co_u32_e32 v49, vcc, 0, v49, vcc
	v_add_f64 v[5:6], v[5:6], v[15:16]
	v_add_f64 v[15:16], v[53:54], -v[21:22]
	v_add_f64 v[31:32], v[15:16], v[5:6]
	v_mul_f64 v[39:40], v[31:32], s[14:15]
	v_add_f64 v[15:16], v[31:32], -v[15:16]
	v_fma_f64 v[51:52], v[31:32], s[14:15], -v[39:40]
	v_add_f64 v[5:6], v[5:6], -v[15:16]
	v_fma_f64 v[15:16], v[31:32], s[36:37], v[51:52]
	v_fma_f64 v[15:16], v[5:6], s[14:15], v[15:16]
	v_add_f64 v[5:6], v[39:40], v[15:16]
	v_add_f64 v[31:32], v[5:6], -v[39:40]
	v_add_f64 v[15:16], v[15:16], -v[31:32]
	s_andn2_saveexec_b64 s[60:61], s[60:61]
	s_cbranch_execz .LBB93_38
	s_branch .LBB93_37
.LBB93_36:                              ;   in Loop: Header=BB93_7 Depth=1
	s_andn2_saveexec_b64 s[60:61], s[60:61]
	s_cbranch_execz .LBB93_38
.LBB93_37:                              ;   in Loop: Header=BB93_7 Depth=1
	v_mul_f64 v[5:6], |v[13:14]|, s[16:17]
	s_mov_b32 s18, s34
	v_rndne_f64_e32 v[31:32], v[5:6]
	v_fma_f64 v[5:6], v[31:32], s[30:31], |v[13:14]|
	v_mul_f64 v[15:16], v[31:32], s[34:35]
	v_cvt_i32_f64_e32 v49, v[31:32]
	v_fma_f64 v[53:54], v[31:32], s[34:35], v[5:6]
	v_add_f64 v[39:40], v[5:6], v[15:16]
	v_add_f64 v[51:52], v[5:6], -v[39:40]
	v_add_f64 v[39:40], v[39:40], -v[53:54]
	v_add_f64 v[5:6], v[51:52], v[15:16]
	v_fma_f64 v[15:16], v[31:32], s[18:19], v[15:16]
	v_add_f64 v[5:6], v[39:40], v[5:6]
	v_add_f64 v[5:6], v[5:6], -v[15:16]
	v_fma_f64 v[15:16], v[31:32], s[20:21], v[5:6]
	v_add_f64 v[5:6], v[53:54], v[15:16]
	v_add_f64 v[39:40], v[5:6], -v[53:54]
	v_add_f64 v[15:16], v[15:16], -v[39:40]
.LBB93_38:                              ;   in Loop: Header=BB93_7 Depth=1
	s_or_b64 exec, exec, s[60:61]
                                        ; implicit-def: $vgpr22
                                        ; implicit-def: $vgpr31_vgpr32
                                        ; implicit-def: $vgpr39_vgpr40
	s_and_saveexec_b64 s[60:61], s[0:1]
	s_xor_b64 s[0:1], exec, s[60:61]
	s_cbranch_execz .LBB93_40
; %bb.39:                               ;   in Loop: Header=BB93_7 Depth=1
	v_cmp_ge_f64_e64 vcc, |v[13:14]|, s[26:27]
	s_mov_b32 s14, s30
	s_mov_b32 s37, s19
	v_cndmask_b32_e32 v32, v50, v38, vcc
	v_cndmask_b32_e32 v31, v13, v37, vcc
	v_mul_f64 v[37:38], v[35:36], v[31:32]
	v_mul_f64 v[39:40], v[33:34], v[31:32]
	;; [unrolled: 1-line block ×3, first 2 shown]
	v_fma_f64 v[35:36], v[35:36], v[31:32], -v[37:38]
	v_fma_f64 v[33:34], v[33:34], v[31:32], -v[39:40]
	;; [unrolled: 1-line block ×3, first 2 shown]
	v_add_f64 v[50:51], v[39:40], v[35:36]
	v_add_f64 v[52:53], v[50:51], -v[39:40]
	v_add_f64 v[58:59], v[37:38], v[50:51]
	v_add_f64 v[54:55], v[50:51], -v[52:53]
	v_add_f64 v[35:36], v[35:36], -v[52:53]
	v_add_f64 v[52:53], v[56:57], v[33:34]
	v_add_f64 v[37:38], v[58:59], -v[37:38]
	v_add_f64 v[39:40], v[39:40], -v[54:55]
	v_ldexp_f64 v[54:55], v[58:59], -2
	v_add_f64 v[60:61], v[52:53], -v[56:57]
	v_add_f64 v[37:38], v[50:51], -v[37:38]
	v_add_f64 v[35:36], v[35:36], v[39:40]
	v_fract_f64_e32 v[39:40], v[54:55]
	v_cmp_neq_f64_e64 vcc, |v[54:55]|, s[28:29]
	v_add_f64 v[33:34], v[33:34], -v[60:61]
	v_add_f64 v[50:51], v[52:53], v[35:36]
	v_ldexp_f64 v[39:40], v[39:40], 2
	v_add_f64 v[54:55], v[37:38], v[50:51]
	v_cndmask_b32_e32 v40, 0, v40, vcc
	v_cndmask_b32_e32 v39, 0, v39, vcc
	v_add_f64 v[62:63], v[50:51], -v[52:53]
	v_add_f64 v[58:59], v[54:55], v[39:40]
	v_add_f64 v[31:32], v[54:55], -v[37:38]
	v_add_f64 v[64:65], v[50:51], -v[62:63]
	;; [unrolled: 1-line block ×3, first 2 shown]
	v_cmp_gt_f64_e32 vcc, 0, v[58:59]
	v_add_f64 v[58:59], v[52:53], -v[60:61]
	v_add_f64 v[31:32], v[50:51], -v[31:32]
	;; [unrolled: 1-line block ×3, first 2 shown]
	v_cndmask_b32_e32 v22, 0, v43, vcc
	v_add_f64 v[39:40], v[39:40], v[21:22]
	v_add_f64 v[58:59], v[56:57], -v[58:59]
	v_add_f64 v[35:36], v[35:36], v[52:53]
	v_add_f64 v[66:67], v[54:55], v[39:40]
	;; [unrolled: 1-line block ×3, first 2 shown]
	v_cvt_i32_f64_e32 v62, v[66:67]
	v_add_f64 v[33:34], v[33:34], v[35:36]
	v_cvt_f64_i32_e32 v[60:61], v62
	v_add_f64 v[39:40], v[39:40], -v[60:61]
	v_add_f64 v[29:30], v[29:30], v[33:34]
	v_add_f64 v[35:36], v[54:55], v[39:40]
	;; [unrolled: 1-line block ×3, first 2 shown]
	v_add_f64 v[33:34], v[35:36], -v[39:40]
	v_cmp_le_f64_e32 vcc, 0.5, v[35:36]
	v_add_f64 v[31:32], v[54:55], -v[33:34]
	v_cndmask_b32_e32 v22, 0, v44, vcc
	v_add_f64 v[29:30], v[29:30], v[31:32]
	v_add_f64 v[31:32], v[35:36], -v[21:22]
	v_addc_co_u32_e32 v22, vcc, 0, v62, vcc
	v_add_f64 v[33:34], v[31:32], v[29:30]
	v_mul_f64 v[35:36], v[33:34], s[14:15]
	v_add_f64 v[31:32], v[33:34], -v[31:32]
	v_fma_f64 v[37:38], v[33:34], s[14:15], -v[35:36]
	v_add_f64 v[29:30], v[29:30], -v[31:32]
	v_fma_f64 v[31:32], v[33:34], s[36:37], v[37:38]
	v_fma_f64 v[29:30], v[29:30], s[14:15], v[31:32]
	v_add_f64 v[31:32], v[35:36], v[29:30]
	v_add_f64 v[33:34], v[31:32], -v[35:36]
	v_add_f64 v[39:40], v[29:30], -v[33:34]
	s_andn2_saveexec_b64 s[0:1], s[0:1]
	s_cbranch_execnz .LBB93_41
	s_branch .LBB93_42
.LBB93_40:                              ;   in Loop: Header=BB93_7 Depth=1
	s_andn2_saveexec_b64 s[0:1], s[0:1]
	s_cbranch_execz .LBB93_42
.LBB93_41:                              ;   in Loop: Header=BB93_7 Depth=1
	v_mul_f64 v[29:30], |v[13:14]|, s[16:17]
	s_mov_b32 s18, s34
	v_rndne_f64_e32 v[29:30], v[29:30]
	v_fma_f64 v[31:32], v[29:30], s[30:31], |v[13:14]|
	v_mul_f64 v[33:34], v[29:30], s[34:35]
	v_cvt_i32_f64_e32 v22, v[29:30]
	v_fma_f64 v[39:40], v[29:30], s[34:35], v[31:32]
	v_add_f64 v[35:36], v[31:32], v[33:34]
	v_add_f64 v[37:38], v[31:32], -v[35:36]
	v_add_f64 v[35:36], v[35:36], -v[39:40]
	v_add_f64 v[31:32], v[37:38], v[33:34]
	v_fma_f64 v[33:34], v[29:30], s[18:19], v[33:34]
	v_add_f64 v[31:32], v[35:36], v[31:32]
	v_add_f64 v[31:32], v[31:32], -v[33:34]
	v_fma_f64 v[33:34], v[29:30], s[20:21], v[31:32]
	v_add_f64 v[31:32], v[39:40], v[33:34]
	v_add_f64 v[35:36], v[31:32], -v[39:40]
	v_add_f64 v[39:40], v[33:34], -v[35:36]
.LBB93_42:                              ;   in Loop: Header=BB93_7 Depth=1
	s_or_b64 exec, exec, s[0:1]
	v_mul_f64 v[29:30], v[5:6], v[5:6]
	v_mul_f64 v[33:34], v[31:32], v[31:32]
	v_mov_b32_e32 v35, s86
	v_mov_b32_e32 v36, s87
	;; [unrolled: 1-line block ×4, first 2 shown]
	v_mul_f64 v[60:61], v[15:16], 0.5
	v_mul_f64 v[68:69], v[39:40], 0.5
	v_fma_f64 v[37:38], v[29:30], s[88:89], v[35:36]
	v_fma_f64 v[35:36], v[33:34], s[88:89], v[35:36]
	;; [unrolled: 1-line block ×3, first 2 shown]
	v_mul_f64 v[54:55], v[29:30], 0.5
	v_fma_f64 v[50:51], v[33:34], s[78:79], v[50:51]
	v_mul_f64 v[56:57], v[33:34], 0.5
	v_mul_f64 v[62:63], v[5:6], -v[29:30]
	v_mul_f64 v[70:71], v[31:32], -v[33:34]
	v_fma_f64 v[37:38], v[29:30], v[37:38], s[90:91]
	v_fma_f64 v[35:36], v[33:34], v[35:36], s[90:91]
	;; [unrolled: 1-line block ×3, first 2 shown]
	v_add_f64 v[58:59], -v[54:55], 1.0
	v_fma_f64 v[50:51], v[33:34], v[50:51], s[80:81]
	v_add_f64 v[64:65], -v[56:57], 1.0
	s_mov_b32 s46, s56
	v_cmp_class_f64_e64 s[0:1], v[13:14], s65
	v_fma_f64 v[37:38], v[29:30], v[37:38], s[92:93]
	v_fma_f64 v[35:36], v[33:34], v[35:36], s[92:93]
	;; [unrolled: 1-line block ×3, first 2 shown]
	v_add_f64 v[66:67], -v[58:59], 1.0
	v_fma_f64 v[50:51], v[33:34], v[50:51], s[82:83]
	v_add_f64 v[72:73], -v[64:65], 1.0
	v_fma_f64 v[37:38], v[29:30], v[37:38], s[44:45]
	v_fma_f64 v[35:36], v[33:34], v[35:36], s[44:45]
	;; [unrolled: 1-line block ×3, first 2 shown]
	v_add_f64 v[54:55], v[66:67], -v[54:55]
	v_fma_f64 v[50:51], v[33:34], v[50:51], s[84:85]
	v_add_f64 v[56:57], v[72:73], -v[56:57]
	v_fma_f64 v[37:38], v[62:63], v[37:38], v[60:61]
	v_fma_f64 v[35:36], v[70:71], v[35:36], v[68:69]
	v_mul_f64 v[60:61], v[29:30], v[29:30]
	v_fma_f64 v[52:53], v[29:30], v[52:53], s[56:57]
	v_fma_f64 v[54:55], v[5:6], -v[15:16], v[54:55]
	v_fma_f64 v[15:16], v[29:30], v[37:38], -v[15:16]
	v_fma_f64 v[35:36], v[33:34], v[35:36], -v[39:40]
	v_mul_f64 v[29:30], v[33:34], v[33:34]
	v_fma_f64 v[33:34], v[33:34], v[50:51], s[56:57]
	v_fma_f64 v[37:38], v[31:32], -v[39:40], v[56:57]
	v_fma_f64 v[39:40], v[60:61], v[52:53], v[54:55]
	v_and_b32_e32 v50, 1, v49
	v_lshlrev_b32_e32 v49, 30, v49
	v_fma_f64 v[15:16], v[62:63], s[46:47], v[15:16]
	v_fma_f64 v[35:36], v[70:71], s[46:47], v[35:36]
	v_cmp_eq_u32_e32 vcc, 0, v50
	v_fma_f64 v[29:30], v[29:30], v[33:34], v[37:38]
	v_add_f64 v[33:34], v[58:59], v[39:40]
	v_and_b32_e32 v37, 1, v22
	v_lshlrev_b32_e32 v22, 30, v22
	v_add_f64 v[5:6], v[5:6], -v[15:16]
	v_add_f64 v[15:16], v[31:32], -v[35:36]
	v_xor_b32_e32 v38, v49, v14
	v_and_b32_e32 v22, 0x80000000, v22
	v_add_f64 v[29:30], v[64:65], v[29:30]
	v_and_b32_e32 v31, 0x80000000, v38
	v_cndmask_b32_e32 v5, v33, v5, vcc
	v_cndmask_b32_e32 v6, v34, v6, vcc
	v_xor_b32_e32 v13, 0x80000000, v16
	v_cmp_eq_u32_e32 vcc, 0, v37
	v_cndmask_b32_e32 v13, v13, v30, vcc
	v_cndmask_b32_e32 v14, v15, v29, vcc
	v_xor_b32_e32 v6, v6, v31
	v_xor_b32_e32 v15, v13, v22
	v_cndmask_b32_e64 v5, 0, v5, s[0:1]
	v_cndmask_b32_e64 v6, v48, v6, s[0:1]
	;; [unrolled: 1-line block ×4, first 2 shown]
	v_mul_f64 v[13:14], v[5:6], v[13:14]
.LBB93_43:                              ;   in Loop: Header=BB93_7 Depth=1
	s_or_b64 exec, exec, s[58:59]
	v_bfi_b32 v22, s54, 0, v14
	v_mov_b32_e32 v5, v21
	v_add_u32_e32 v8, -2.0, v8
	v_mov_b32_e32 v6, v22
.LBB93_44:                              ;   in Loop: Header=BB93_7 Depth=1
	s_or_b64 exec, exec, s[52:53]
.LBB93_45:                              ;   in Loop: Header=BB93_7 Depth=1
	s_or_b64 exec, exec, s[48:49]
	s_waitcnt vmcnt(2)
	v_xor_b32_e32 v16, 0x80000000, v20
	v_and_b32_e32 v22, 0x7fffffff, v16
	v_mov_b32_e32 v15, v19
	v_cmp_gt_u32_e32 vcc, s64, v22
	s_and_saveexec_b64 s[0:1], vcc
	s_xor_b64 s[48:49], exec, s[0:1]
	s_cbranch_execz .LBB93_67
; %bb.46:                               ;   in Loop: Header=BB93_7 Depth=1
	v_cmp_class_f64_e64 s[0:1], v[17:18], s65
                                        ; implicit-def: $vgpr13_vgpr14
	s_and_saveexec_b64 s[52:53], s[0:1]
	s_xor_b64 s[52:53], exec, s[52:53]
	s_cbranch_execz .LBB93_64
; %bb.47:                               ;   in Loop: Header=BB93_7 Depth=1
	v_cmp_gt_u32_e32 vcc, s66, v22
                                        ; implicit-def: $vgpr13_vgpr14
	s_and_saveexec_b64 s[0:1], vcc
	s_xor_b64 s[58:59], exec, s[0:1]
	s_cbranch_execz .LBB93_53
; %bb.48:                               ;   in Loop: Header=BB93_7 Depth=1
	v_cmp_nlt_f64_e64 s[0:1], |v[17:18]|, s[24:25]
                                        ; implicit-def: $vgpr22
                                        ; implicit-def: $vgpr13_vgpr14
                                        ; implicit-def: $vgpr15_vgpr16
	s_and_saveexec_b64 s[60:61], s[0:1]
	s_xor_b64 s[0:1], exec, s[60:61]
	s_cbranch_execz .LBB93_50
; %bb.49:                               ;   in Loop: Header=BB93_7 Depth=1
	v_trig_preop_f64 v[13:14], |v[17:18]|, 0
	v_ldexp_f64 v[15:16], |v[17:18]|, s67
	v_cmp_ge_f64_e64 vcc, |v[17:18]|, s[26:27]
	v_trig_preop_f64 v[29:30], |v[17:18]|, 1
	v_and_b32_e32 v22, 0x7fffffff, v18
	v_trig_preop_f64 v[37:38], |v[17:18]|, 2
	s_mov_b32 s14, s30
	s_mov_b32 s37, s19
	v_cndmask_b32_e32 v16, v22, v16, vcc
	v_cndmask_b32_e32 v15, v17, v15, vcc
	v_mul_f64 v[31:32], v[13:14], v[15:16]
	v_mul_f64 v[33:34], v[29:30], v[15:16]
	;; [unrolled: 1-line block ×3, first 2 shown]
	v_fma_f64 v[13:14], v[13:14], v[15:16], -v[31:32]
	v_fma_f64 v[29:30], v[29:30], v[15:16], -v[33:34]
	;; [unrolled: 1-line block ×3, first 2 shown]
	v_add_f64 v[35:36], v[33:34], v[13:14]
	v_add_f64 v[39:40], v[35:36], -v[33:34]
	v_add_f64 v[53:54], v[31:32], v[35:36]
	v_add_f64 v[49:50], v[35:36], -v[39:40]
	v_add_f64 v[13:14], v[13:14], -v[39:40]
	v_add_f64 v[39:40], v[51:52], v[29:30]
	v_add_f64 v[31:32], v[53:54], -v[31:32]
	v_add_f64 v[33:34], v[33:34], -v[49:50]
	v_ldexp_f64 v[49:50], v[53:54], -2
	v_add_f64 v[55:56], v[39:40], -v[51:52]
	v_add_f64 v[31:32], v[35:36], -v[31:32]
	v_add_f64 v[13:14], v[13:14], v[33:34]
	v_fract_f64_e32 v[33:34], v[49:50]
	v_cmp_neq_f64_e64 vcc, |v[49:50]|, s[28:29]
	v_add_f64 v[29:30], v[29:30], -v[55:56]
	v_add_f64 v[35:36], v[39:40], v[13:14]
	v_ldexp_f64 v[33:34], v[33:34], 2
	v_add_f64 v[49:50], v[31:32], v[35:36]
	v_cndmask_b32_e32 v34, 0, v34, vcc
	v_cndmask_b32_e32 v33, 0, v33, vcc
	v_add_f64 v[57:58], v[35:36], -v[39:40]
	v_add_f64 v[53:54], v[49:50], v[33:34]
	v_add_f64 v[31:32], v[49:50], -v[31:32]
	v_add_f64 v[59:60], v[35:36], -v[57:58]
	;; [unrolled: 1-line block ×3, first 2 shown]
	v_cmp_gt_f64_e32 vcc, 0, v[53:54]
	v_add_f64 v[53:54], v[39:40], -v[55:56]
	v_add_f64 v[31:32], v[35:36], -v[31:32]
	;; [unrolled: 1-line block ×3, first 2 shown]
	v_cndmask_b32_e32 v22, 0, v43, vcc
	v_add_f64 v[33:34], v[33:34], v[21:22]
	v_add_f64 v[53:54], v[51:52], -v[53:54]
	v_add_f64 v[13:14], v[13:14], v[39:40]
	v_add_f64 v[61:62], v[49:50], v[33:34]
	;; [unrolled: 1-line block ×3, first 2 shown]
	v_cvt_i32_f64_e32 v57, v[61:62]
	v_add_f64 v[13:14], v[29:30], v[13:14]
	v_cvt_f64_i32_e32 v[55:56], v57
	v_add_f64 v[33:34], v[33:34], -v[55:56]
	v_add_f64 v[13:14], v[15:16], v[13:14]
	v_add_f64 v[29:30], v[49:50], v[33:34]
	;; [unrolled: 1-line block ×3, first 2 shown]
	v_add_f64 v[15:16], v[29:30], -v[33:34]
	v_cmp_le_f64_e32 vcc, 0.5, v[29:30]
	v_add_f64 v[15:16], v[49:50], -v[15:16]
	v_cndmask_b32_e32 v22, 0, v44, vcc
	v_add_f64 v[13:14], v[13:14], v[15:16]
	v_add_f64 v[15:16], v[29:30], -v[21:22]
	v_addc_co_u32_e32 v22, vcc, 0, v57, vcc
	v_add_f64 v[29:30], v[15:16], v[13:14]
	v_mul_f64 v[31:32], v[29:30], s[14:15]
	v_add_f64 v[15:16], v[29:30], -v[15:16]
	v_fma_f64 v[33:34], v[29:30], s[14:15], -v[31:32]
	v_add_f64 v[13:14], v[13:14], -v[15:16]
	v_fma_f64 v[15:16], v[29:30], s[36:37], v[33:34]
	v_fma_f64 v[15:16], v[13:14], s[14:15], v[15:16]
	v_add_f64 v[13:14], v[31:32], v[15:16]
	v_add_f64 v[29:30], v[13:14], -v[31:32]
	v_add_f64 v[15:16], v[15:16], -v[29:30]
.LBB93_50:                              ;   in Loop: Header=BB93_7 Depth=1
	s_andn2_saveexec_b64 s[0:1], s[0:1]
	s_cbranch_execz .LBB93_52
; %bb.51:                               ;   in Loop: Header=BB93_7 Depth=1
	v_mul_f64 v[13:14], |v[17:18]|, s[16:17]
	s_mov_b32 s18, s34
	v_rndne_f64_e32 v[29:30], v[13:14]
	v_fma_f64 v[13:14], v[29:30], s[30:31], |v[17:18]|
	v_mul_f64 v[15:16], v[29:30], s[34:35]
	v_cvt_i32_f64_e32 v22, v[29:30]
	v_fma_f64 v[35:36], v[29:30], s[34:35], v[13:14]
	v_add_f64 v[31:32], v[13:14], v[15:16]
	v_add_f64 v[33:34], v[13:14], -v[31:32]
	v_add_f64 v[31:32], v[31:32], -v[35:36]
	v_add_f64 v[13:14], v[33:34], v[15:16]
	v_fma_f64 v[15:16], v[29:30], s[18:19], v[15:16]
	v_add_f64 v[13:14], v[31:32], v[13:14]
	v_add_f64 v[13:14], v[13:14], -v[15:16]
	v_fma_f64 v[15:16], v[29:30], s[20:21], v[13:14]
	v_add_f64 v[13:14], v[35:36], v[15:16]
	v_add_f64 v[31:32], v[13:14], -v[35:36]
	v_add_f64 v[15:16], v[15:16], -v[31:32]
.LBB93_52:                              ;   in Loop: Header=BB93_7 Depth=1
	s_or_b64 exec, exec, s[0:1]
	v_add_f64 v[29:30], |v[19:20]|, s[42:43]
	s_mov_b32 s50, s42
	s_mov_b32 s0, 0x3b39803f
	;; [unrolled: 1-line block ×7, first 2 shown]
	v_add_f64 v[31:32], v[29:30], -|v[19:20]|
	v_and_b32_e32 v18, 0x80000000, v18
	v_add_f64 v[33:34], v[31:32], -v[29:30]
	v_add_f64 v[31:32], v[31:32], s[50:51]
	v_add_f64 v[33:34], |v[19:20]|, v[33:34]
	v_add_f64 v[31:32], v[33:34], -v[31:32]
	v_add_f64 v[31:32], v[31:32], s[0:1]
	s_mov_b32 s0, 0xf278e000
	s_mov_b32 s1, 0xbd53de6a
	v_add_f64 v[33:34], v[29:30], v[31:32]
	v_mul_f64 v[35:36], v[33:34], s[8:9]
	v_add_f64 v[29:30], v[29:30], -v[33:34]
	v_rndne_f64_e32 v[35:36], v[35:36]
	v_add_f64 v[29:30], v[31:32], v[29:30]
	v_fma_f64 v[31:32], v[35:36], s[38:39], v[33:34]
	v_mul_f64 v[33:34], v[35:36], s[0:1]
	s_mov_b32 s0, 0xf97b57a0
	s_mov_b32 s1, 0xbac9cc01
	v_cvt_i32_f64_e32 v17, v[35:36]
	v_add_f64 v[37:38], v[29:30], v[31:32]
	v_add_f64 v[39:40], v[37:38], v[33:34]
	v_add_f64 v[31:32], v[31:32], -v[37:38]
	v_add_f64 v[37:38], v[37:38], -v[39:40]
	v_add_f64 v[29:30], v[29:30], v[31:32]
	v_add_f64 v[31:32], v[37:38], v[33:34]
	;; [unrolled: 1-line block ×3, first 2 shown]
	v_mul_f64 v[31:32], v[35:36], s[0:1]
	s_mov_b32 s0, 0x6a5dcb37
	s_mov_b32 s1, 0x3e5ade15
	v_add_f64 v[33:34], v[39:40], v[29:30]
	v_add_f64 v[37:38], v[33:34], v[31:32]
	v_add_f64 v[39:40], v[39:40], -v[33:34]
	v_add_f64 v[33:34], v[33:34], -v[37:38]
	v_add_f64 v[29:30], v[29:30], v[39:40]
	v_add_f64 v[31:32], v[33:34], v[31:32]
	;; [unrolled: 1-line block ×4, first 2 shown]
	v_fma_f64 v[33:34], v[31:32], s[0:1], v[25:26]
	s_mov_b32 s0, 0x623fde64
	s_mov_b32 s1, 0x3ec71dee
	v_add_f64 v[37:38], v[37:38], -v[31:32]
	v_mul_f64 v[39:40], v[31:32], v[31:32]
	v_fma_f64 v[33:34], v[31:32], v[33:34], s[0:1]
	s_mov_b32 s0, 0x7c89e6b0
	s_mov_b32 s1, 0x3efa0199
	v_add_f64 v[29:30], v[29:30], v[37:38]
	v_fma_f64 v[37:38], v[31:32], v[31:32], -v[39:40]
	v_fma_f64 v[33:34], v[31:32], v[33:34], s[0:1]
	s_mov_b32 s0, 0x14761f6e
	s_mov_b32 s1, 0x3f2a01a0
	v_add_f64 v[49:50], v[29:30], v[29:30]
	v_fma_f64 v[33:34], v[31:32], v[33:34], s[0:1]
	s_mov_b32 s0, 0x1852b7b0
	s_mov_b32 s1, 0x3f56c16c
	v_fma_f64 v[37:38], v[31:32], v[49:50], v[37:38]
	v_fma_f64 v[33:34], v[31:32], v[33:34], s[0:1]
	s_mov_b32 s0, 0x55555511
	s_mov_b32 s1, 0x3fc55555
	v_add_f64 v[49:50], v[39:40], v[37:38]
	v_fma_f64 v[33:34], v[31:32], v[33:34], s[94:95]
	v_add_f64 v[39:40], v[49:50], -v[39:40]
	v_fma_f64 v[33:34], v[31:32], v[33:34], s[68:69]
	v_add_f64 v[37:38], v[37:38], -v[39:40]
	v_fma_f64 v[33:34], v[31:32], v[33:34], s[0:1]
	s_mov_b32 s0, 0xc751c08c
	s_mov_b32 s1, 0x3ef5e089
	v_fma_f64 v[33:34], v[31:32], v[33:34], s[72:73]
	v_mul_f64 v[51:52], v[49:50], v[33:34]
	v_fma_f64 v[39:40], v[49:50], v[33:34], -v[51:52]
	v_fma_f64 v[33:34], v[37:38], v[33:34], v[39:40]
	v_add_f64 v[37:38], v[51:52], v[33:34]
	v_add_f64 v[39:40], v[31:32], v[37:38]
	v_add_f64 v[49:50], v[37:38], -v[51:52]
	v_add_f64 v[31:32], v[39:40], -v[31:32]
	;; [unrolled: 1-line block ×3, first 2 shown]
	v_add_f64 v[49:50], v[15:16], v[15:16]
	v_add_f64 v[31:32], v[37:38], -v[31:32]
	v_add_f64 v[29:30], v[29:30], v[33:34]
	v_add_f64 v[29:30], v[29:30], v[31:32]
	v_add_f64 v[31:32], v[39:40], v[29:30]
	v_add_f64 v[33:34], v[31:32], 1.0
	v_add_f64 v[37:38], v[31:32], -v[39:40]
	v_add_f64 v[39:40], v[33:34], -1.0
	v_add_f64 v[29:30], v[29:30], -v[37:38]
	v_add_f64 v[31:32], v[31:32], -v[39:40]
	v_add_f64 v[29:30], v[29:30], v[31:32]
	v_add_f64 v[31:32], v[33:34], v[29:30]
	v_ldexp_f64 v[35:36], v[31:32], v17
	v_add_f64 v[31:32], v[31:32], -v[33:34]
	v_rcp_f64_e32 v[37:38], v[35:36]
	v_add_f64 v[29:30], v[29:30], -v[31:32]
	v_ldexp_f64 v[29:30], v[29:30], v17
	v_fma_f64 v[39:40], -v[35:36], v[37:38], 1.0
	v_fma_f64 v[37:38], v[39:40], v[37:38], v[37:38]
	v_fma_f64 v[39:40], -v[35:36], v[37:38], 1.0
	v_fma_f64 v[33:34], v[39:40], v[37:38], v[37:38]
	v_mul_f64 v[37:38], v[13:14], v[13:14]
	v_mul_f64 v[31:32], v[35:36], v[33:34]
	v_fma_f64 v[51:52], v[13:14], v[13:14], -v[37:38]
	v_fma_f64 v[39:40], v[33:34], v[35:36], -v[31:32]
	v_fma_f64 v[49:50], v[13:14], v[49:50], v[51:52]
	v_fma_f64 v[39:40], v[33:34], v[29:30], v[39:40]
	v_add_f64 v[37:38], v[37:38], v[49:50]
	v_add_f64 v[51:52], v[31:32], v[39:40]
	v_fma_f64 v[53:54], v[37:38], s[0:1], v[23:24]
	s_mov_b32 s0, 0x90a8aae0
	s_mov_b32 s1, 0x3f17746f
	v_add_f64 v[49:50], -v[51:52], 1.0
	v_add_f64 v[31:32], v[51:52], -v[31:32]
	v_fma_f64 v[53:54], v[37:38], v[53:54], s[0:1]
	s_mov_b32 s0, 0xa6fbf144
	s_mov_b32 s1, 0xbefbb44d
	v_add_f64 v[55:56], -v[49:50], 1.0
	v_add_f64 v[31:32], v[31:32], -v[39:40]
	v_add_f64 v[39:40], v[55:56], -v[51:52]
	v_fma_f64 v[51:52], v[37:38], v[53:54], s[0:1]
	s_mov_b32 s0, 0xa7943acf
	s_mov_b32 s1, 0x3f21e634
	v_add_f64 v[31:32], v[31:32], v[39:40]
	v_fma_f64 v[39:40], v[37:38], v[51:52], s[0:1]
	s_mov_b32 s0, 0xdeb68feb
	s_mov_b32 s1, 0x3f2d250f
	v_add_f64 v[51:52], v[49:50], v[31:32]
	v_fma_f64 v[39:40], v[37:38], v[39:40], s[0:1]
	s_mov_b32 s0, 0xb58c4d95
	s_mov_b32 s1, 0x3f437fd9
	v_mul_f64 v[53:54], v[33:34], v[51:52]
	v_fma_f64 v[39:40], v[37:38], v[39:40], s[0:1]
	s_mov_b32 s0, 0x15120e2c
	s_mov_b32 s1, 0x3f57d5af
	v_add_f64 v[49:50], v[49:50], -v[51:52]
	v_mul_f64 v[55:56], v[35:36], v[53:54]
	v_fma_f64 v[39:40], v[37:38], v[39:40], s[0:1]
	s_mov_b32 s0, 0xe09491df
	s_mov_b32 s1, 0x3f6d6d93
	v_add_f64 v[31:32], v[31:32], v[49:50]
	v_fma_f64 v[57:58], v[53:54], v[35:36], -v[55:56]
	v_fma_f64 v[39:40], v[37:38], v[39:40], s[0:1]
	s_mov_b32 s0, 0x2033784d
	s_mov_b32 s1, 0x3f8226e1
	v_fma_f64 v[57:58], v[53:54], v[29:30], v[57:58]
	v_fma_f64 v[39:40], v[37:38], v[39:40], s[0:1]
	s_mov_b32 s0, 0x9ac36ae2
	s_mov_b32 s1, 0x3f9664f4
	v_add_f64 v[59:60], v[55:56], v[57:58]
	v_fma_f64 v[39:40], v[37:38], v[39:40], s[0:1]
	s_mov_b32 s0, 0x1b451c21
	s_mov_b32 s1, 0x3faba1ba
	v_add_f64 v[61:62], v[51:52], -v[59:60]
	v_fma_f64 v[39:40], v[37:38], v[39:40], s[0:1]
	s_mov_b32 s0, 0x111185b7
	s_mov_b32 s1, 0x3fc11111
	v_add_f64 v[49:50], v[59:60], -v[55:56]
	v_add_f64 v[51:52], v[51:52], -v[61:62]
	v_fma_f64 v[39:40], v[37:38], v[39:40], s[0:1]
	s_mov_b32 s0, 0x555554ee
	s_mov_b32 s1, 0x3fd55555
	v_add_f64 v[49:50], v[49:50], -v[57:58]
	v_add_f64 v[51:52], v[51:52], -v[59:60]
	v_fma_f64 v[39:40], v[37:38], v[39:40], s[0:1]
	s_mov_b32 s0, 0x8fb9f87e
	s_mov_b32 s1, 0x408633ce
	v_cmp_nge_f64_e64 vcc, |v[19:20]|, s[0:1]
	s_mov_b32 s0, 0
	s_mov_b32 s1, 0x3e400000
	v_add_f64 v[31:32], v[31:32], v[51:52]
	v_mul_f64 v[37:38], v[37:38], v[39:40]
	v_add_f64 v[39:40], v[33:34], v[53:54]
	v_add_f64 v[31:32], v[49:50], v[31:32]
	v_mul_f64 v[49:50], v[13:14], v[37:38]
	v_add_f64 v[51:52], v[39:40], -v[33:34]
	v_add_f64 v[31:32], v[61:62], v[31:32]
	v_add_f64 v[55:56], v[13:14], v[49:50]
	v_add_f64 v[51:52], v[53:54], -v[51:52]
	v_mul_f64 v[31:32], v[33:34], v[31:32]
	v_fma_f64 v[33:34], v[13:14], v[37:38], -v[49:50]
	v_add_f64 v[13:14], v[55:56], -v[13:14]
	v_add_f64 v[31:32], v[51:52], v[31:32]
	v_add_f64 v[15:16], v[15:16], v[33:34]
	v_add_f64 v[13:14], v[49:50], -v[13:14]
	v_add_f64 v[33:34], v[39:40], v[31:32]
	v_add_f64 v[13:14], v[15:16], v[13:14]
	v_ldexp_f64 v[15:16], v[33:34], -2
	v_add_f64 v[33:34], v[33:34], -v[39:40]
	v_add_f64 v[37:38], v[55:56], v[13:14]
	v_add_f64 v[49:50], v[35:36], -v[15:16]
	v_add_f64 v[31:32], v[31:32], -v[33:34]
	v_rcp_f64_e32 v[51:52], v[37:38]
	v_add_f64 v[35:36], v[35:36], -v[49:50]
	v_ldexp_f64 v[31:32], v[31:32], -2
	v_add_f64 v[15:16], v[35:36], -v[15:16]
	v_fma_f64 v[33:34], -v[37:38], v[51:52], 1.0
	v_add_f64 v[15:16], v[29:30], v[15:16]
	v_fma_f64 v[29:30], v[33:34], v[51:52], v[51:52]
	v_and_b32_e32 v34, 0x7fffffff, v20
	v_add_f64 v[15:16], v[15:16], -v[31:32]
	v_fma_f64 v[31:32], -v[37:38], v[29:30], 1.0
	v_add_f64 v[15:16], v[49:50], v[15:16]
	v_fma_f64 v[29:30], v[31:32], v[29:30], v[29:30]
	v_cndmask_b32_e32 v17, v45, v16, vcc
	v_cndmask_b32_e32 v33, 0, v15, vcc
	v_cmp_lt_f64_e64 vcc, |v[19:20]|, s[0:1]
	v_xor_b32_e32 v20, 0x80000000, v20
	s_mov_b32 s0, 0
	v_add_f64 v[15:16], v[37:38], -v[55:56]
	v_mul_f64 v[31:32], v[37:38], v[29:30]
	s_brev_b32 s1, 8
	v_cndmask_b32_e32 v17, v17, v34, vcc
	v_cndmask_b32_e32 v19, v33, v19, vcc
	v_bfi_b32 v20, s54, v17, v20
	v_fma_f64 v[33:34], v[19:20], v[19:20], 1.0
	v_add_f64 v[13:14], v[13:14], -v[15:16]
	v_fma_f64 v[15:16], v[29:30], v[37:38], -v[31:32]
	v_cmp_gt_f64_e32 vcc, s[0:1], v[33:34]
	v_fma_f64 v[13:14], v[29:30], v[13:14], v[15:16]
	v_cndmask_b32_e32 v17, 0, v46, vcc
	v_ldexp_f64 v[33:34], v[33:34], v17
	v_add_f64 v[35:36], v[31:32], v[13:14]
	v_and_b32_e32 v17, 1, v22
	v_cmp_eq_u32_e64 s[0:1], 0, v17
	v_cndmask_b32_e32 v22, 0, v47, vcc
	v_rsq_f64_e32 v[15:16], v[33:34]
	v_add_f64 v[39:40], -v[35:36], 1.0
	v_add_f64 v[31:32], v[35:36], -v[31:32]
	v_cmp_class_f64_e32 vcc, v[33:34], v42
	v_add_f64 v[51:52], -v[39:40], 1.0
	v_add_f64 v[13:14], v[31:32], -v[13:14]
	v_mul_f64 v[49:50], v[33:34], v[15:16]
	v_mul_f64 v[15:16], v[15:16], 0.5
	v_add_f64 v[35:36], v[51:52], -v[35:36]
	v_fma_f64 v[31:32], -v[15:16], v[49:50], 0.5
	v_add_f64 v[13:14], v[13:14], v[35:36]
	v_fma_f64 v[49:50], v[49:50], v[31:32], v[49:50]
	v_fma_f64 v[15:16], v[15:16], v[31:32], v[15:16]
	v_add_f64 v[13:14], v[39:40], v[13:14]
	v_fma_f64 v[31:32], -v[49:50], v[49:50], v[33:34]
	v_mul_f64 v[13:14], v[29:30], v[13:14]
	v_fma_f64 v[31:32], v[31:32], v[15:16], v[49:50]
	v_add_f64 v[13:14], v[29:30], v[13:14]
	v_fma_f64 v[35:36], -v[31:32], v[31:32], v[33:34]
	v_xor_b32_e32 v14, 0x80000000, v14
	v_cndmask_b32_e64 v14, v14, v38, s[0:1]
	v_cndmask_b32_e64 v13, v13, v37, s[0:1]
	v_xor_b32_e32 v14, v14, v18
	v_fma_f64 v[17:18], v[13:14], v[13:14], 1.0
	v_fma_f64 v[15:16], v[35:36], v[15:16], v[31:32]
	v_mul_f64 v[29:30], v[19:20], v[17:18]
	v_ldexp_f64 v[15:16], v[15:16], v22
	v_cndmask_b32_e32 v16, v16, v34, vcc
	v_cndmask_b32_e32 v15, v15, v33, vcc
	v_mul_f64 v[15:16], v[15:16], v[17:18]
	v_fma_f64 v[17:18], v[19:20], v[29:30], 1.0
	v_mul_f64 v[15:16], v[19:20], v[15:16]
	v_div_scale_f64 v[29:30], s[0:1], v[17:18], v[17:18], v[13:14]
	v_div_scale_f64 v[19:20], s[0:1], v[17:18], v[17:18], v[15:16]
	;; [unrolled: 1-line block ×3, first 2 shown]
	v_rcp_f64_e32 v[33:34], v[29:30]
	v_rcp_f64_e32 v[31:32], v[19:20]
	v_fma_f64 v[37:38], -v[29:30], v[33:34], 1.0
	v_fma_f64 v[35:36], -v[19:20], v[31:32], 1.0
	v_fma_f64 v[33:34], v[33:34], v[37:38], v[33:34]
	v_fma_f64 v[31:32], v[31:32], v[35:36], v[31:32]
	v_div_scale_f64 v[35:36], vcc, v[15:16], v[17:18], v[15:16]
	v_fma_f64 v[49:50], -v[29:30], v[33:34], 1.0
	v_fma_f64 v[37:38], -v[19:20], v[31:32], 1.0
	v_fma_f64 v[33:34], v[33:34], v[49:50], v[33:34]
	v_fma_f64 v[31:32], v[31:32], v[37:38], v[31:32]
	v_mul_f64 v[49:50], v[39:40], v[33:34]
	v_mul_f64 v[37:38], v[35:36], v[31:32]
	v_fma_f64 v[29:30], -v[29:30], v[49:50], v[39:40]
	v_fma_f64 v[19:20], -v[19:20], v[37:38], v[35:36]
	v_div_fmas_f64 v[19:20], v[19:20], v[31:32], v[37:38]
	s_mov_b64 vcc, s[0:1]
	v_div_fmas_f64 v[29:30], v[29:30], v[33:34], v[49:50]
	v_div_fixup_f64 v[15:16], v[19:20], v[17:18], v[15:16]
	v_div_fixup_f64 v[13:14], v[29:30], v[17:18], v[13:14]
                                        ; implicit-def: $vgpr17_vgpr18
.LBB93_53:                              ;   in Loop: Header=BB93_7 Depth=1
	s_andn2_saveexec_b64 s[0:1], s[58:59]
	s_cbranch_execz .LBB93_63
; %bb.54:                               ;   in Loop: Header=BB93_7 Depth=1
	v_cmp_nlt_f64_e64 s[58:59], |v[17:18]|, s[24:25]
                                        ; implicit-def: $vgpr33
                                        ; implicit-def: $vgpr13_vgpr14
                                        ; implicit-def: $vgpr15_vgpr16
	s_and_saveexec_b64 s[60:61], s[58:59]
	s_xor_b64 s[60:61], exec, s[60:61]
	s_cbranch_execz .LBB93_56
; %bb.55:                               ;   in Loop: Header=BB93_7 Depth=1
	v_trig_preop_f64 v[13:14], |v[17:18]|, 0
	v_ldexp_f64 v[15:16], |v[17:18]|, s67
	v_cmp_ge_f64_e64 vcc, |v[17:18]|, s[26:27]
	v_trig_preop_f64 v[29:30], |v[17:18]|, 1
	v_and_b32_e32 v22, 0x7fffffff, v18
	v_trig_preop_f64 v[37:38], |v[17:18]|, 2
	s_mov_b32 s14, s30
	s_mov_b32 s37, s19
	v_cndmask_b32_e32 v16, v22, v16, vcc
	v_cndmask_b32_e32 v15, v17, v15, vcc
	v_mul_f64 v[31:32], v[13:14], v[15:16]
	v_mul_f64 v[33:34], v[29:30], v[15:16]
	v_mul_f64 v[51:52], v[37:38], v[15:16]
	v_fma_f64 v[13:14], v[13:14], v[15:16], -v[31:32]
	v_fma_f64 v[29:30], v[29:30], v[15:16], -v[33:34]
	;; [unrolled: 1-line block ×3, first 2 shown]
	v_add_f64 v[35:36], v[33:34], v[13:14]
	v_add_f64 v[39:40], v[35:36], -v[33:34]
	v_add_f64 v[53:54], v[31:32], v[35:36]
	v_add_f64 v[49:50], v[35:36], -v[39:40]
	v_add_f64 v[13:14], v[13:14], -v[39:40]
	v_add_f64 v[39:40], v[51:52], v[29:30]
	v_add_f64 v[31:32], v[53:54], -v[31:32]
	v_add_f64 v[33:34], v[33:34], -v[49:50]
	v_ldexp_f64 v[49:50], v[53:54], -2
	v_add_f64 v[55:56], v[39:40], -v[51:52]
	v_add_f64 v[31:32], v[35:36], -v[31:32]
	v_add_f64 v[13:14], v[13:14], v[33:34]
	v_fract_f64_e32 v[33:34], v[49:50]
	v_cmp_neq_f64_e64 vcc, |v[49:50]|, s[28:29]
	v_add_f64 v[29:30], v[29:30], -v[55:56]
	v_add_f64 v[35:36], v[39:40], v[13:14]
	v_ldexp_f64 v[33:34], v[33:34], 2
	v_add_f64 v[49:50], v[31:32], v[35:36]
	v_cndmask_b32_e32 v34, 0, v34, vcc
	v_cndmask_b32_e32 v33, 0, v33, vcc
	v_add_f64 v[57:58], v[35:36], -v[39:40]
	v_add_f64 v[53:54], v[49:50], v[33:34]
	v_add_f64 v[31:32], v[49:50], -v[31:32]
	v_add_f64 v[59:60], v[35:36], -v[57:58]
	;; [unrolled: 1-line block ×3, first 2 shown]
	v_cmp_gt_f64_e32 vcc, 0, v[53:54]
	v_add_f64 v[53:54], v[39:40], -v[55:56]
	v_add_f64 v[31:32], v[35:36], -v[31:32]
	;; [unrolled: 1-line block ×3, first 2 shown]
	v_cndmask_b32_e32 v22, 0, v43, vcc
	v_add_f64 v[33:34], v[33:34], v[21:22]
	v_add_f64 v[53:54], v[51:52], -v[53:54]
	v_add_f64 v[13:14], v[13:14], v[39:40]
	v_add_f64 v[61:62], v[49:50], v[33:34]
	;; [unrolled: 1-line block ×3, first 2 shown]
	v_cvt_i32_f64_e32 v57, v[61:62]
	v_add_f64 v[13:14], v[29:30], v[13:14]
	v_cvt_f64_i32_e32 v[55:56], v57
	v_add_f64 v[33:34], v[33:34], -v[55:56]
	v_add_f64 v[13:14], v[15:16], v[13:14]
	v_add_f64 v[29:30], v[49:50], v[33:34]
	;; [unrolled: 1-line block ×3, first 2 shown]
	v_add_f64 v[15:16], v[29:30], -v[33:34]
	v_cmp_le_f64_e32 vcc, 0.5, v[29:30]
	v_add_f64 v[15:16], v[49:50], -v[15:16]
	v_cndmask_b32_e32 v22, 0, v44, vcc
	v_add_f64 v[13:14], v[13:14], v[15:16]
	v_add_f64 v[15:16], v[29:30], -v[21:22]
	v_add_f64 v[29:30], v[15:16], v[13:14]
	v_mul_f64 v[31:32], v[29:30], s[14:15]
	v_add_f64 v[15:16], v[29:30], -v[15:16]
	v_fma_f64 v[33:34], v[29:30], s[14:15], -v[31:32]
	v_add_f64 v[13:14], v[13:14], -v[15:16]
	v_fma_f64 v[15:16], v[29:30], s[36:37], v[33:34]
	v_addc_co_u32_e32 v33, vcc, 0, v57, vcc
	v_fma_f64 v[15:16], v[13:14], s[14:15], v[15:16]
	v_add_f64 v[13:14], v[31:32], v[15:16]
	v_add_f64 v[29:30], v[13:14], -v[31:32]
	v_add_f64 v[15:16], v[15:16], -v[29:30]
	s_andn2_saveexec_b64 s[60:61], s[60:61]
	s_cbranch_execz .LBB93_58
	s_branch .LBB93_57
.LBB93_56:                              ;   in Loop: Header=BB93_7 Depth=1
	s_andn2_saveexec_b64 s[60:61], s[60:61]
	s_cbranch_execz .LBB93_58
.LBB93_57:                              ;   in Loop: Header=BB93_7 Depth=1
	v_mul_f64 v[13:14], |v[17:18]|, s[16:17]
	s_mov_b32 s18, s34
	v_rndne_f64_e32 v[29:30], v[13:14]
	v_fma_f64 v[13:14], v[29:30], s[30:31], |v[17:18]|
	v_mul_f64 v[15:16], v[29:30], s[34:35]
	v_fma_f64 v[35:36], v[29:30], s[34:35], v[13:14]
	v_add_f64 v[31:32], v[13:14], v[15:16]
	v_add_f64 v[33:34], v[13:14], -v[31:32]
	v_add_f64 v[31:32], v[31:32], -v[35:36]
	v_add_f64 v[13:14], v[33:34], v[15:16]
	v_fma_f64 v[15:16], v[29:30], s[18:19], v[15:16]
	v_cvt_i32_f64_e32 v33, v[29:30]
	v_add_f64 v[13:14], v[31:32], v[13:14]
	v_add_f64 v[13:14], v[13:14], -v[15:16]
	v_fma_f64 v[15:16], v[29:30], s[20:21], v[13:14]
	v_add_f64 v[13:14], v[35:36], v[15:16]
	v_add_f64 v[31:32], v[13:14], -v[35:36]
	v_add_f64 v[15:16], v[15:16], -v[31:32]
.LBB93_58:                              ;   in Loop: Header=BB93_7 Depth=1
	s_or_b64 exec, exec, s[60:61]
                                        ; implicit-def: $vgpr22
                                        ; implicit-def: $vgpr29_vgpr30
                                        ; implicit-def: $vgpr31_vgpr32
	s_and_saveexec_b64 s[60:61], s[58:59]
	s_xor_b64 s[58:59], exec, s[60:61]
	s_cbranch_execz .LBB93_60
; %bb.59:                               ;   in Loop: Header=BB93_7 Depth=1
	v_trig_preop_f64 v[29:30], |v[17:18]|, 0
	v_ldexp_f64 v[31:32], |v[17:18]|, s67
	v_cmp_ge_f64_e64 vcc, |v[17:18]|, s[26:27]
	v_trig_preop_f64 v[34:35], |v[17:18]|, 1
	v_and_b32_e32 v22, 0x7fffffff, v18
	v_trig_preop_f64 v[51:52], |v[17:18]|, 2
	s_mov_b32 s14, s30
	s_mov_b32 s37, s19
	v_cndmask_b32_e32 v32, v22, v32, vcc
	v_cndmask_b32_e32 v31, v17, v31, vcc
	v_mul_f64 v[36:37], v[29:30], v[31:32]
	v_mul_f64 v[38:39], v[34:35], v[31:32]
	;; [unrolled: 1-line block ×3, first 2 shown]
	v_fma_f64 v[29:30], v[29:30], v[31:32], -v[36:37]
	v_fma_f64 v[34:35], v[34:35], v[31:32], -v[38:39]
	;; [unrolled: 1-line block ×3, first 2 shown]
	v_add_f64 v[49:50], v[38:39], v[29:30]
	v_add_f64 v[53:54], v[49:50], -v[38:39]
	v_add_f64 v[59:60], v[36:37], v[49:50]
	v_add_f64 v[55:56], v[49:50], -v[53:54]
	v_add_f64 v[29:30], v[29:30], -v[53:54]
	v_add_f64 v[53:54], v[57:58], v[34:35]
	v_add_f64 v[36:37], v[59:60], -v[36:37]
	v_add_f64 v[38:39], v[38:39], -v[55:56]
	v_ldexp_f64 v[55:56], v[59:60], -2
	v_add_f64 v[61:62], v[53:54], -v[57:58]
	v_add_f64 v[36:37], v[49:50], -v[36:37]
	v_add_f64 v[29:30], v[29:30], v[38:39]
	v_fract_f64_e32 v[38:39], v[55:56]
	v_cmp_neq_f64_e64 vcc, |v[55:56]|, s[28:29]
	v_add_f64 v[34:35], v[34:35], -v[61:62]
	v_add_f64 v[49:50], v[53:54], v[29:30]
	v_ldexp_f64 v[38:39], v[38:39], 2
	v_add_f64 v[55:56], v[36:37], v[49:50]
	v_cndmask_b32_e32 v39, 0, v39, vcc
	v_cndmask_b32_e32 v38, 0, v38, vcc
	v_add_f64 v[63:64], v[49:50], -v[53:54]
	v_add_f64 v[59:60], v[55:56], v[38:39]
	v_add_f64 v[36:37], v[55:56], -v[36:37]
	v_add_f64 v[65:66], v[49:50], -v[63:64]
	;; [unrolled: 1-line block ×3, first 2 shown]
	v_cmp_gt_f64_e32 vcc, 0, v[59:60]
	v_add_f64 v[59:60], v[53:54], -v[61:62]
	v_add_f64 v[36:37], v[49:50], -v[36:37]
	;; [unrolled: 1-line block ×3, first 2 shown]
	v_cndmask_b32_e32 v22, 0, v43, vcc
	v_add_f64 v[38:39], v[38:39], v[21:22]
	v_add_f64 v[59:60], v[57:58], -v[59:60]
	v_add_f64 v[29:30], v[29:30], v[53:54]
	v_add_f64 v[67:68], v[55:56], v[38:39]
	;; [unrolled: 1-line block ×3, first 2 shown]
	v_cvt_i32_f64_e32 v40, v[67:68]
	v_add_f64 v[29:30], v[34:35], v[29:30]
	v_cvt_f64_i32_e32 v[61:62], v40
	v_add_f64 v[38:39], v[38:39], -v[61:62]
	v_add_f64 v[29:30], v[31:32], v[29:30]
	v_add_f64 v[34:35], v[55:56], v[38:39]
	;; [unrolled: 1-line block ×3, first 2 shown]
	v_add_f64 v[31:32], v[34:35], -v[38:39]
	v_cmp_le_f64_e32 vcc, 0.5, v[34:35]
	v_add_f64 v[31:32], v[55:56], -v[31:32]
	v_cndmask_b32_e32 v22, 0, v44, vcc
	v_add_f64 v[29:30], v[29:30], v[31:32]
	v_add_f64 v[31:32], v[34:35], -v[21:22]
	v_addc_co_u32_e32 v22, vcc, 0, v40, vcc
	v_add_f64 v[34:35], v[31:32], v[29:30]
	v_mul_f64 v[36:37], v[34:35], s[14:15]
	v_add_f64 v[31:32], v[34:35], -v[31:32]
	v_fma_f64 v[38:39], v[34:35], s[14:15], -v[36:37]
	v_add_f64 v[29:30], v[29:30], -v[31:32]
	v_fma_f64 v[31:32], v[34:35], s[36:37], v[38:39]
	v_fma_f64 v[31:32], v[29:30], s[14:15], v[31:32]
	v_add_f64 v[29:30], v[36:37], v[31:32]
	v_add_f64 v[34:35], v[29:30], -v[36:37]
	v_add_f64 v[31:32], v[31:32], -v[34:35]
	s_andn2_saveexec_b64 s[58:59], s[58:59]
	s_cbranch_execnz .LBB93_61
	s_branch .LBB93_62
.LBB93_60:                              ;   in Loop: Header=BB93_7 Depth=1
	s_andn2_saveexec_b64 s[58:59], s[58:59]
	s_cbranch_execz .LBB93_62
.LBB93_61:                              ;   in Loop: Header=BB93_7 Depth=1
	v_mul_f64 v[29:30], |v[17:18]|, s[16:17]
	s_mov_b32 s18, s34
	v_rndne_f64_e32 v[34:35], v[29:30]
	v_fma_f64 v[29:30], v[34:35], s[30:31], |v[17:18]|
	v_mul_f64 v[31:32], v[34:35], s[34:35]
	v_cvt_i32_f64_e32 v22, v[34:35]
	v_fma_f64 v[49:50], v[34:35], s[34:35], v[29:30]
	v_add_f64 v[36:37], v[29:30], v[31:32]
	v_add_f64 v[38:39], v[29:30], -v[36:37]
	v_add_f64 v[36:37], v[36:37], -v[49:50]
	v_add_f64 v[29:30], v[38:39], v[31:32]
	v_fma_f64 v[31:32], v[34:35], s[18:19], v[31:32]
	v_add_f64 v[29:30], v[36:37], v[29:30]
	v_add_f64 v[29:30], v[29:30], -v[31:32]
	v_fma_f64 v[31:32], v[34:35], s[20:21], v[29:30]
	v_add_f64 v[29:30], v[49:50], v[31:32]
	v_add_f64 v[36:37], v[29:30], -v[49:50]
	v_add_f64 v[31:32], v[31:32], -v[36:37]
.LBB93_62:                              ;   in Loop: Header=BB93_7 Depth=1
	s_or_b64 exec, exec, s[58:59]
	v_mul_f64 v[34:35], |v[19:20]|, s[40:41]
	s_mov_b32 s58, 0x3b39803f
	s_mov_b32 s59, 0xbc7abc9e
	v_mul_f64 v[49:50], v[13:14], v[13:14]
	v_mov_b32_e32 v53, s86
	v_mov_b32_e32 v54, s87
	v_mul_f64 v[55:56], v[29:30], v[29:30]
	v_mov_b32_e32 v51, s76
	v_rndne_f64_e32 v[34:35], v[34:35]
	v_mov_b32_e32 v52, s77
	v_mul_f64 v[57:58], v[15:16], 0.5
	v_fma_f64 v[59:60], v[49:50], s[88:89], v[53:54]
	v_fma_f64 v[61:62], v[49:50], s[78:79], v[51:52]
	v_mul_f64 v[63:64], v[49:50], 0.5
	v_fma_f64 v[53:54], v[55:56], s[88:89], v[53:54]
	v_mul_f64 v[67:68], v[55:56], 0.5
	v_fma_f64 v[36:37], v[34:35], s[42:43], -|v[19:20]|
	v_fma_f64 v[51:52], v[55:56], s[78:79], v[51:52]
	s_mov_b32 s95, s45
	v_fma_f64 v[59:60], v[49:50], v[59:60], s[90:91]
	v_fma_f64 v[61:62], v[49:50], v[61:62], s[80:81]
	v_add_f64 v[69:70], -v[63:64], 1.0
	v_fma_f64 v[53:54], v[55:56], v[53:54], s[90:91]
	v_mul_f64 v[71:72], v[13:14], -v[49:50]
	v_fma_f64 v[36:37], v[34:35], s[58:59], v[36:37]
	s_mov_b32 s58, 0x6a5dcb37
	s_mov_b32 s59, 0x3e5ade15
	v_fma_f64 v[59:60], v[49:50], v[59:60], s[92:93]
	v_add_f64 v[73:74], -v[67:68], 1.0
	v_fma_f64 v[51:52], v[55:56], v[51:52], s[80:81]
	v_fma_f64 v[53:54], v[55:56], v[53:54], s[92:93]
	;; [unrolled: 1-line block ×4, first 2 shown]
	s_mov_b32 s58, 0x623fde64
	s_mov_b32 s59, 0x3ec71dee
	v_add_f64 v[75:76], -v[69:70], 1.0
	v_fma_f64 v[59:60], v[49:50], v[59:60], s[44:45]
	v_mul_f64 v[65:66], v[31:32], 0.5
	v_mul_f64 v[77:78], v[29:30], -v[55:56]
	v_fma_f64 v[53:54], v[55:56], v[53:54], s[44:45]
	v_fma_f64 v[38:39], v[36:37], v[38:39], s[58:59]
	s_mov_b32 s58, 0x7c89e6b0
	s_mov_b32 s59, 0x3efa0199
	s_mov_b32 s69, s57
	v_add_f64 v[79:80], -v[73:74], 1.0
	v_fma_f64 v[51:52], v[55:56], v[51:52], s[82:83]
	v_fma_f64 v[61:62], v[49:50], v[61:62], s[84:85]
	v_add_f64 v[63:64], v[75:76], -v[63:64]
	v_fma_f64 v[38:39], v[36:37], v[38:39], s[58:59]
	s_mov_b32 s58, 0x14761f6e
	s_mov_b32 s59, 0x3f2a01a0
	v_fma_f64 v[57:58], v[71:72], v[59:60], v[57:58]
	v_fma_f64 v[53:54], v[77:78], v[53:54], v[65:66]
	v_mul_f64 v[59:60], v[49:50], v[49:50]
	v_add_f64 v[67:68], v[79:80], -v[67:68]
	v_fma_f64 v[51:52], v[55:56], v[51:52], s[84:85]
	v_fma_f64 v[38:39], v[36:37], v[38:39], s[58:59]
	s_mov_b32 s58, 0x1852b7b0
	s_mov_b32 s59, 0x3f56c16c
	v_fma_f64 v[61:62], v[49:50], v[61:62], s[56:57]
	v_fma_f64 v[63:64], v[13:14], -v[15:16], v[63:64]
	v_fma_f64 v[15:16], v[49:50], v[57:58], -v[15:16]
	s_mov_b32 s46, s56
	v_fma_f64 v[53:54], v[55:56], v[53:54], -v[31:32]
	v_fma_f64 v[38:39], v[36:37], v[38:39], s[58:59]
	s_mov_b32 s58, 0x55555511
	s_mov_b32 s59, 0x3fc55555
	v_mul_f64 v[49:50], v[55:56], v[55:56]
	v_fma_f64 v[51:52], v[55:56], v[51:52], s[56:57]
	v_fma_f64 v[31:32], v[29:30], -v[31:32], v[67:68]
	v_fma_f64 v[55:56], v[59:60], v[61:62], v[63:64]
	v_fma_f64 v[15:16], v[71:72], s[46:47], v[15:16]
	;; [unrolled: 1-line block ×3, first 2 shown]
	v_lshlrev_b32_e32 v17, 30, v33
	v_xor_b32_e32 v57, v17, v18
	v_fma_f64 v[17:18], v[77:78], s[46:47], v[53:54]
	v_and_b32_e32 v40, 1, v33
	v_fma_f64 v[31:32], v[49:50], v[51:52], v[31:32]
	v_add_f64 v[49:50], v[69:70], v[55:56]
	v_add_f64 v[13:14], v[13:14], -v[15:16]
	v_fma_f64 v[38:39], v[36:37], v[38:39], s[68:69]
	v_cmp_eq_u32_e32 vcc, 0, v40
	v_cvt_i32_f64_e32 v34, v[34:35]
	v_add_f64 v[17:18], v[29:30], -v[17:18]
	v_and_b32_e32 v33, 1, v22
	v_add_f64 v[29:30], v[73:74], v[31:32]
	v_lshlrev_b32_e32 v22, 30, v22
	v_cndmask_b32_e32 v14, v50, v14, vcc
	v_fma_f64 v[38:39], v[36:37], v[38:39], s[58:59]
	v_cndmask_b32_e32 v13, v49, v13, vcc
	v_cmp_eq_u32_e32 vcc, 0, v33
	v_xor_b32_e32 v18, 0x80000000, v18
	s_mov_b32 s58, 0
	v_and_b32_e32 v22, 0x80000000, v22
	v_cndmask_b32_e32 v18, v18, v30, vcc
	s_mov_b32 s59, 0x4090cc00
	v_fma_f64 v[38:39], v[36:37], v[38:39], s[72:73]
	v_cndmask_b32_e32 v17, v17, v29, vcc
	v_xor_b32_e32 v18, v18, v22
	v_cmp_ngt_f64_e64 vcc, |v[19:20]|, s[58:59]
	v_fma_f64 v[15:16], v[36:37], v[38:39], 1.0
	v_and_b32_e32 v38, 0x80000000, v57
	v_xor_b32_e32 v14, v14, v38
	v_mul_f64 v[13:14], v[13:14], 4.0
	v_fma_f64 v[15:16], v[36:37], v[15:16], 1.0
	v_mul_f64 v[13:14], v[13:14], v[17:18]
	v_ldexp_f64 v[15:16], v[15:16], v34
	v_cndmask_b32_e32 v16, 0, v16, vcc
	v_cndmask_b32_e32 v15, 0, v15, vcc
	v_mul_f64 v[13:14], v[15:16], v[13:14]
	v_mul_f64 v[13:14], v[15:16], v[13:14]
	v_xor_b32_e32 v15, 0x80000000, v20
	v_bfi_b32 v22, s54, v44, v15
	v_mov_b32_e32 v15, v21
	v_mov_b32_e32 v16, v22
.LBB93_63:                              ;   in Loop: Header=BB93_7 Depth=1
	s_or_b64 exec, exec, s[0:1]
                                        ; implicit-def: $vgpr17_vgpr18
.LBB93_64:                              ;   in Loop: Header=BB93_7 Depth=1
	s_andn2_saveexec_b64 s[0:1], s[52:53]
	s_cbranch_execz .LBB93_66
; %bb.65:                               ;   in Loop: Header=BB93_7 Depth=1
	v_add_f64 v[13:14], v[17:18], -v[17:18]
	v_mov_b32_e32 v16, v14
	v_mov_b32_e32 v15, v13
.LBB93_66:                              ;   in Loop: Header=BB93_7 Depth=1
	s_or_b64 exec, exec, s[0:1]
                                        ; implicit-def: $vgpr17_vgpr18
.LBB93_67:                              ;   in Loop: Header=BB93_7 Depth=1
	s_andn2_saveexec_b64 s[48:49], s[48:49]
	s_cbranch_execz .LBB93_83
; %bb.68:                               ;   in Loop: Header=BB93_7 Depth=1
	v_and_or_b32 v13, v16, s70, v15
	v_cmp_ne_u32_e32 vcc, 0, v13
	s_and_saveexec_b64 s[0:1], vcc
	s_xor_b64 s[0:1], exec, s[0:1]
	s_cbranch_execz .LBB93_70
; %bb.69:                               ;   in Loop: Header=BB93_7 Depth=1
	v_mul_f64 v[13:14], v[17:18], -v[19:20]
	v_cmp_eq_f64_e32 vcc, 0, v[17:18]
	v_cndmask_b32_e32 v14, v14, v18, vcc
	v_cndmask_b32_e32 v13, v13, v17, vcc
                                        ; implicit-def: $vgpr17_vgpr18
.LBB93_70:                              ;   in Loop: Header=BB93_7 Depth=1
	s_andn2_saveexec_b64 s[52:53], s[0:1]
	s_cbranch_execz .LBB93_82
; %bb.71:                               ;   in Loop: Header=BB93_7 Depth=1
	v_cmp_neq_f64_e64 s[0:1], |v[17:18]|, s[28:29]
	s_and_saveexec_b64 s[58:59], s[0:1]
	s_cbranch_execz .LBB93_81
; %bb.72:                               ;   in Loop: Header=BB93_7 Depth=1
	v_trig_preop_f64 v[35:36], |v[17:18]|, 0
	v_trig_preop_f64 v[33:34], |v[17:18]|, 1
	;; [unrolled: 1-line block ×3, first 2 shown]
	v_cmp_nlt_f64_e64 s[0:1], |v[17:18]|, s[24:25]
	v_ldexp_f64 v[37:38], |v[17:18]|, s67
	v_and_b32_e32 v50, 0x7fffffff, v18
                                        ; implicit-def: $vgpr49
                                        ; implicit-def: $vgpr13_vgpr14
                                        ; implicit-def: $vgpr19_vgpr20
	s_and_saveexec_b64 s[60:61], s[0:1]
	s_xor_b64 s[60:61], exec, s[60:61]
	s_cbranch_execz .LBB93_74
; %bb.73:                               ;   in Loop: Header=BB93_7 Depth=1
	v_cmp_ge_f64_e64 vcc, |v[17:18]|, s[26:27]
	s_mov_b32 s14, s30
	s_mov_b32 s37, s19
	v_cndmask_b32_e32 v14, v50, v38, vcc
	v_cndmask_b32_e32 v13, v17, v37, vcc
	v_mul_f64 v[19:20], v[35:36], v[13:14]
	v_mul_f64 v[31:32], v[33:34], v[13:14]
	;; [unrolled: 1-line block ×3, first 2 shown]
	v_fma_f64 v[39:40], v[35:36], v[13:14], -v[19:20]
	v_fma_f64 v[59:60], v[33:34], v[13:14], -v[31:32]
	;; [unrolled: 1-line block ×3, first 2 shown]
	v_add_f64 v[51:52], v[31:32], v[39:40]
	v_add_f64 v[53:54], v[51:52], -v[31:32]
	v_add_f64 v[61:62], v[19:20], v[51:52]
	v_add_f64 v[55:56], v[51:52], -v[53:54]
	v_add_f64 v[39:40], v[39:40], -v[53:54]
	v_add_f64 v[53:54], v[57:58], v[59:60]
	v_add_f64 v[19:20], v[61:62], -v[19:20]
	v_add_f64 v[31:32], v[31:32], -v[55:56]
	v_ldexp_f64 v[55:56], v[61:62], -2
	v_add_f64 v[63:64], v[53:54], -v[57:58]
	v_add_f64 v[19:20], v[51:52], -v[19:20]
	v_add_f64 v[31:32], v[39:40], v[31:32]
	v_fract_f64_e32 v[39:40], v[55:56]
	v_cmp_neq_f64_e64 vcc, |v[55:56]|, s[28:29]
	v_add_f64 v[59:60], v[59:60], -v[63:64]
	v_add_f64 v[51:52], v[53:54], v[31:32]
	v_ldexp_f64 v[39:40], v[39:40], 2
	v_add_f64 v[55:56], v[19:20], v[51:52]
	v_cndmask_b32_e32 v40, 0, v40, vcc
	v_cndmask_b32_e32 v39, 0, v39, vcc
	v_add_f64 v[65:66], v[51:52], -v[53:54]
	v_add_f64 v[61:62], v[55:56], v[39:40]
	v_add_f64 v[19:20], v[55:56], -v[19:20]
	v_add_f64 v[67:68], v[51:52], -v[65:66]
	;; [unrolled: 1-line block ×3, first 2 shown]
	v_cmp_gt_f64_e32 vcc, 0, v[61:62]
	v_add_f64 v[61:62], v[53:54], -v[63:64]
	v_add_f64 v[19:20], v[51:52], -v[19:20]
	;; [unrolled: 1-line block ×3, first 2 shown]
	v_cndmask_b32_e32 v22, 0, v43, vcc
	v_add_f64 v[39:40], v[39:40], v[21:22]
	v_add_f64 v[61:62], v[57:58], -v[61:62]
	v_add_f64 v[31:32], v[31:32], v[53:54]
	v_add_f64 v[69:70], v[55:56], v[39:40]
	;; [unrolled: 1-line block ×3, first 2 shown]
	v_cvt_i32_f64_e32 v49, v[69:70]
	v_add_f64 v[31:32], v[59:60], v[31:32]
	v_cvt_f64_i32_e32 v[63:64], v49
	v_add_f64 v[39:40], v[39:40], -v[63:64]
	v_add_f64 v[13:14], v[13:14], v[31:32]
	v_add_f64 v[53:54], v[55:56], v[39:40]
	;; [unrolled: 1-line block ×3, first 2 shown]
	v_add_f64 v[31:32], v[53:54], -v[39:40]
	v_cmp_le_f64_e32 vcc, 0.5, v[53:54]
	v_add_f64 v[19:20], v[55:56], -v[31:32]
	v_cndmask_b32_e32 v22, 0, v44, vcc
	v_addc_co_u32_e32 v49, vcc, 0, v49, vcc
	v_add_f64 v[13:14], v[13:14], v[19:20]
	v_add_f64 v[19:20], v[53:54], -v[21:22]
	v_add_f64 v[31:32], v[19:20], v[13:14]
	v_mul_f64 v[39:40], v[31:32], s[14:15]
	v_add_f64 v[19:20], v[31:32], -v[19:20]
	v_fma_f64 v[51:52], v[31:32], s[14:15], -v[39:40]
	v_add_f64 v[13:14], v[13:14], -v[19:20]
	v_fma_f64 v[19:20], v[31:32], s[36:37], v[51:52]
	v_fma_f64 v[19:20], v[13:14], s[14:15], v[19:20]
	v_add_f64 v[13:14], v[39:40], v[19:20]
	v_add_f64 v[31:32], v[13:14], -v[39:40]
	v_add_f64 v[19:20], v[19:20], -v[31:32]
	s_andn2_saveexec_b64 s[60:61], s[60:61]
	s_cbranch_execz .LBB93_76
	s_branch .LBB93_75
.LBB93_74:                              ;   in Loop: Header=BB93_7 Depth=1
	s_andn2_saveexec_b64 s[60:61], s[60:61]
	s_cbranch_execz .LBB93_76
.LBB93_75:                              ;   in Loop: Header=BB93_7 Depth=1
	v_mul_f64 v[13:14], |v[17:18]|, s[16:17]
	s_mov_b32 s18, s34
	v_rndne_f64_e32 v[31:32], v[13:14]
	v_fma_f64 v[13:14], v[31:32], s[30:31], |v[17:18]|
	v_mul_f64 v[19:20], v[31:32], s[34:35]
	v_cvt_i32_f64_e32 v49, v[31:32]
	v_fma_f64 v[53:54], v[31:32], s[34:35], v[13:14]
	v_add_f64 v[39:40], v[13:14], v[19:20]
	v_add_f64 v[51:52], v[13:14], -v[39:40]
	v_add_f64 v[39:40], v[39:40], -v[53:54]
	v_add_f64 v[13:14], v[51:52], v[19:20]
	v_fma_f64 v[19:20], v[31:32], s[18:19], v[19:20]
	v_add_f64 v[13:14], v[39:40], v[13:14]
	v_add_f64 v[13:14], v[13:14], -v[19:20]
	v_fma_f64 v[19:20], v[31:32], s[20:21], v[13:14]
	v_add_f64 v[13:14], v[53:54], v[19:20]
	v_add_f64 v[39:40], v[13:14], -v[53:54]
	v_add_f64 v[19:20], v[19:20], -v[39:40]
.LBB93_76:                              ;   in Loop: Header=BB93_7 Depth=1
	s_or_b64 exec, exec, s[60:61]
                                        ; implicit-def: $vgpr22
                                        ; implicit-def: $vgpr31_vgpr32
                                        ; implicit-def: $vgpr39_vgpr40
	s_and_saveexec_b64 s[60:61], s[0:1]
	s_xor_b64 s[0:1], exec, s[60:61]
	s_cbranch_execz .LBB93_78
; %bb.77:                               ;   in Loop: Header=BB93_7 Depth=1
	v_cmp_ge_f64_e64 vcc, |v[17:18]|, s[26:27]
	s_mov_b32 s14, s30
	s_mov_b32 s37, s19
	v_cndmask_b32_e32 v32, v50, v38, vcc
	v_cndmask_b32_e32 v31, v17, v37, vcc
	v_mul_f64 v[37:38], v[35:36], v[31:32]
	v_mul_f64 v[39:40], v[33:34], v[31:32]
	;; [unrolled: 1-line block ×3, first 2 shown]
	v_fma_f64 v[35:36], v[35:36], v[31:32], -v[37:38]
	v_fma_f64 v[33:34], v[33:34], v[31:32], -v[39:40]
	v_fma_f64 v[29:30], v[29:30], v[31:32], -v[56:57]
	v_add_f64 v[50:51], v[39:40], v[35:36]
	v_add_f64 v[52:53], v[50:51], -v[39:40]
	v_add_f64 v[58:59], v[37:38], v[50:51]
	v_add_f64 v[54:55], v[50:51], -v[52:53]
	v_add_f64 v[35:36], v[35:36], -v[52:53]
	v_add_f64 v[52:53], v[56:57], v[33:34]
	v_add_f64 v[37:38], v[58:59], -v[37:38]
	v_add_f64 v[39:40], v[39:40], -v[54:55]
	v_ldexp_f64 v[54:55], v[58:59], -2
	v_add_f64 v[60:61], v[52:53], -v[56:57]
	v_add_f64 v[37:38], v[50:51], -v[37:38]
	v_add_f64 v[35:36], v[35:36], v[39:40]
	v_fract_f64_e32 v[39:40], v[54:55]
	v_cmp_neq_f64_e64 vcc, |v[54:55]|, s[28:29]
	v_add_f64 v[33:34], v[33:34], -v[60:61]
	v_add_f64 v[50:51], v[52:53], v[35:36]
	v_ldexp_f64 v[39:40], v[39:40], 2
	v_add_f64 v[54:55], v[37:38], v[50:51]
	v_cndmask_b32_e32 v40, 0, v40, vcc
	v_cndmask_b32_e32 v39, 0, v39, vcc
	v_add_f64 v[62:63], v[50:51], -v[52:53]
	v_add_f64 v[58:59], v[54:55], v[39:40]
	v_add_f64 v[31:32], v[54:55], -v[37:38]
	v_add_f64 v[64:65], v[50:51], -v[62:63]
	;; [unrolled: 1-line block ×3, first 2 shown]
	v_cmp_gt_f64_e32 vcc, 0, v[58:59]
	v_add_f64 v[58:59], v[52:53], -v[60:61]
	v_add_f64 v[31:32], v[50:51], -v[31:32]
	v_add_f64 v[52:53], v[52:53], -v[64:65]
	v_cndmask_b32_e32 v22, 0, v43, vcc
	v_add_f64 v[39:40], v[39:40], v[21:22]
	v_add_f64 v[58:59], v[56:57], -v[58:59]
	v_add_f64 v[35:36], v[35:36], v[52:53]
	v_add_f64 v[66:67], v[54:55], v[39:40]
	;; [unrolled: 1-line block ×3, first 2 shown]
	v_cvt_i32_f64_e32 v62, v[66:67]
	v_add_f64 v[33:34], v[33:34], v[35:36]
	v_cvt_f64_i32_e32 v[60:61], v62
	v_add_f64 v[39:40], v[39:40], -v[60:61]
	v_add_f64 v[29:30], v[29:30], v[33:34]
	v_add_f64 v[35:36], v[54:55], v[39:40]
	;; [unrolled: 1-line block ×3, first 2 shown]
	v_add_f64 v[33:34], v[35:36], -v[39:40]
	v_cmp_le_f64_e32 vcc, 0.5, v[35:36]
	v_add_f64 v[31:32], v[54:55], -v[33:34]
	v_cndmask_b32_e32 v22, 0, v44, vcc
	v_add_f64 v[29:30], v[29:30], v[31:32]
	v_add_f64 v[31:32], v[35:36], -v[21:22]
	v_addc_co_u32_e32 v22, vcc, 0, v62, vcc
	v_add_f64 v[33:34], v[31:32], v[29:30]
	v_mul_f64 v[35:36], v[33:34], s[14:15]
	v_add_f64 v[31:32], v[33:34], -v[31:32]
	v_fma_f64 v[37:38], v[33:34], s[14:15], -v[35:36]
	v_add_f64 v[29:30], v[29:30], -v[31:32]
	v_fma_f64 v[31:32], v[33:34], s[36:37], v[37:38]
	v_fma_f64 v[29:30], v[29:30], s[14:15], v[31:32]
	v_add_f64 v[31:32], v[35:36], v[29:30]
	v_add_f64 v[33:34], v[31:32], -v[35:36]
	v_add_f64 v[39:40], v[29:30], -v[33:34]
	s_andn2_saveexec_b64 s[0:1], s[0:1]
	s_cbranch_execnz .LBB93_79
	s_branch .LBB93_80
.LBB93_78:                              ;   in Loop: Header=BB93_7 Depth=1
	s_andn2_saveexec_b64 s[0:1], s[0:1]
	s_cbranch_execz .LBB93_80
.LBB93_79:                              ;   in Loop: Header=BB93_7 Depth=1
	v_mul_f64 v[29:30], |v[17:18]|, s[16:17]
	s_mov_b32 s18, s34
	v_rndne_f64_e32 v[29:30], v[29:30]
	v_fma_f64 v[31:32], v[29:30], s[30:31], |v[17:18]|
	v_mul_f64 v[33:34], v[29:30], s[34:35]
	v_cvt_i32_f64_e32 v22, v[29:30]
	v_fma_f64 v[39:40], v[29:30], s[34:35], v[31:32]
	v_add_f64 v[35:36], v[31:32], v[33:34]
	v_add_f64 v[37:38], v[31:32], -v[35:36]
	v_add_f64 v[35:36], v[35:36], -v[39:40]
	v_add_f64 v[31:32], v[37:38], v[33:34]
	v_fma_f64 v[33:34], v[29:30], s[18:19], v[33:34]
	v_add_f64 v[31:32], v[35:36], v[31:32]
	v_add_f64 v[31:32], v[31:32], -v[33:34]
	v_fma_f64 v[33:34], v[29:30], s[20:21], v[31:32]
	v_add_f64 v[31:32], v[39:40], v[33:34]
	v_add_f64 v[35:36], v[31:32], -v[39:40]
	v_add_f64 v[39:40], v[33:34], -v[35:36]
.LBB93_80:                              ;   in Loop: Header=BB93_7 Depth=1
	s_or_b64 exec, exec, s[0:1]
	v_mul_f64 v[29:30], v[13:14], v[13:14]
	v_mul_f64 v[33:34], v[31:32], v[31:32]
	v_mov_b32_e32 v35, s86
	v_mov_b32_e32 v36, s87
	;; [unrolled: 1-line block ×4, first 2 shown]
	v_mul_f64 v[60:61], v[19:20], 0.5
	v_mul_f64 v[68:69], v[39:40], 0.5
	v_fma_f64 v[37:38], v[29:30], s[88:89], v[35:36]
	v_fma_f64 v[35:36], v[33:34], s[88:89], v[35:36]
	;; [unrolled: 1-line block ×3, first 2 shown]
	v_mul_f64 v[54:55], v[29:30], 0.5
	v_fma_f64 v[50:51], v[33:34], s[78:79], v[50:51]
	v_mul_f64 v[56:57], v[33:34], 0.5
	v_mul_f64 v[62:63], v[13:14], -v[29:30]
	v_mul_f64 v[70:71], v[31:32], -v[33:34]
	v_fma_f64 v[37:38], v[29:30], v[37:38], s[90:91]
	v_fma_f64 v[35:36], v[33:34], v[35:36], s[90:91]
	;; [unrolled: 1-line block ×3, first 2 shown]
	v_add_f64 v[58:59], -v[54:55], 1.0
	v_fma_f64 v[50:51], v[33:34], v[50:51], s[80:81]
	v_add_f64 v[64:65], -v[56:57], 1.0
	s_mov_b32 s46, s56
	v_cmp_class_f64_e64 s[0:1], v[17:18], s65
	v_fma_f64 v[37:38], v[29:30], v[37:38], s[92:93]
	v_fma_f64 v[35:36], v[33:34], v[35:36], s[92:93]
	v_fma_f64 v[52:53], v[29:30], v[52:53], s[82:83]
	v_add_f64 v[66:67], -v[58:59], 1.0
	v_fma_f64 v[50:51], v[33:34], v[50:51], s[82:83]
	v_add_f64 v[72:73], -v[64:65], 1.0
	v_fma_f64 v[37:38], v[29:30], v[37:38], s[44:45]
	v_fma_f64 v[35:36], v[33:34], v[35:36], s[44:45]
	;; [unrolled: 1-line block ×3, first 2 shown]
	v_add_f64 v[54:55], v[66:67], -v[54:55]
	v_fma_f64 v[50:51], v[33:34], v[50:51], s[84:85]
	v_add_f64 v[56:57], v[72:73], -v[56:57]
	v_fma_f64 v[37:38], v[62:63], v[37:38], v[60:61]
	v_fma_f64 v[35:36], v[70:71], v[35:36], v[68:69]
	v_mul_f64 v[60:61], v[29:30], v[29:30]
	v_fma_f64 v[52:53], v[29:30], v[52:53], s[56:57]
	v_fma_f64 v[54:55], v[13:14], -v[19:20], v[54:55]
	v_fma_f64 v[19:20], v[29:30], v[37:38], -v[19:20]
	v_fma_f64 v[35:36], v[33:34], v[35:36], -v[39:40]
	v_mul_f64 v[29:30], v[33:34], v[33:34]
	v_fma_f64 v[33:34], v[33:34], v[50:51], s[56:57]
	v_fma_f64 v[37:38], v[31:32], -v[39:40], v[56:57]
	v_fma_f64 v[39:40], v[60:61], v[52:53], v[54:55]
	v_and_b32_e32 v50, 1, v49
	v_lshlrev_b32_e32 v49, 30, v49
	v_fma_f64 v[19:20], v[62:63], s[46:47], v[19:20]
	v_fma_f64 v[35:36], v[70:71], s[46:47], v[35:36]
	v_cmp_eq_u32_e32 vcc, 0, v50
	v_fma_f64 v[29:30], v[29:30], v[33:34], v[37:38]
	v_add_f64 v[33:34], v[58:59], v[39:40]
	v_and_b32_e32 v37, 1, v22
	v_lshlrev_b32_e32 v22, 30, v22
	v_add_f64 v[13:14], v[13:14], -v[19:20]
	v_add_f64 v[19:20], v[31:32], -v[35:36]
	v_xor_b32_e32 v38, v49, v18
	v_and_b32_e32 v22, 0x80000000, v22
	v_add_f64 v[29:30], v[64:65], v[29:30]
	v_and_b32_e32 v31, 0x80000000, v38
	v_cndmask_b32_e32 v13, v33, v13, vcc
	v_cndmask_b32_e32 v14, v34, v14, vcc
	v_xor_b32_e32 v17, 0x80000000, v20
	v_cmp_eq_u32_e32 vcc, 0, v37
	v_cndmask_b32_e32 v17, v17, v30, vcc
	v_cndmask_b32_e32 v18, v19, v29, vcc
	v_xor_b32_e32 v14, v14, v31
	v_xor_b32_e32 v19, v17, v22
	v_cndmask_b32_e64 v13, 0, v13, s[0:1]
	v_cndmask_b32_e64 v14, v48, v14, s[0:1]
	;; [unrolled: 1-line block ×4, first 2 shown]
	v_mul_f64 v[17:18], v[13:14], v[17:18]
.LBB93_81:                              ;   in Loop: Header=BB93_7 Depth=1
	s_or_b64 exec, exec, s[58:59]
	v_bfi_b32 v22, s54, 0, v18
	v_mov_b32_e32 v13, v21
	v_add_u32_e32 v16, -2.0, v16
	v_mov_b32_e32 v14, v22
.LBB93_82:                              ;   in Loop: Header=BB93_7 Depth=1
	s_or_b64 exec, exec, s[52:53]
.LBB93_83:                              ;   in Loop: Header=BB93_7 Depth=1
	s_or_b64 exec, exec, s[48:49]
	s_waitcnt vmcnt(0)
	v_xor_b32_e32 v20, 0x80000000, v12
	v_and_b32_e32 v22, 0x7fffffff, v20
	v_mov_b32_e32 v19, v11
	v_cmp_gt_u32_e32 vcc, s64, v22
	s_and_saveexec_b64 s[0:1], vcc
	s_xor_b64 s[48:49], exec, s[0:1]
	s_cbranch_execz .LBB93_105
; %bb.84:                               ;   in Loop: Header=BB93_7 Depth=1
	v_cmp_class_f64_e64 s[0:1], v[9:10], s65
                                        ; implicit-def: $vgpr17_vgpr18
	s_and_saveexec_b64 s[52:53], s[0:1]
	s_xor_b64 s[52:53], exec, s[52:53]
	s_cbranch_execz .LBB93_102
; %bb.85:                               ;   in Loop: Header=BB93_7 Depth=1
	v_cmp_gt_u32_e32 vcc, s66, v22
                                        ; implicit-def: $vgpr17_vgpr18
	s_and_saveexec_b64 s[0:1], vcc
	s_xor_b64 s[58:59], exec, s[0:1]
	s_cbranch_execz .LBB93_91
; %bb.86:                               ;   in Loop: Header=BB93_7 Depth=1
	v_cmp_nlt_f64_e64 s[0:1], |v[9:10]|, s[24:25]
                                        ; implicit-def: $vgpr22
                                        ; implicit-def: $vgpr17_vgpr18
                                        ; implicit-def: $vgpr19_vgpr20
	s_and_saveexec_b64 s[60:61], s[0:1]
	s_xor_b64 s[0:1], exec, s[60:61]
	s_cbranch_execz .LBB93_88
; %bb.87:                               ;   in Loop: Header=BB93_7 Depth=1
	v_trig_preop_f64 v[17:18], |v[9:10]|, 0
	v_ldexp_f64 v[19:20], |v[9:10]|, s67
	v_cmp_ge_f64_e64 vcc, |v[9:10]|, s[26:27]
	v_trig_preop_f64 v[29:30], |v[9:10]|, 1
	v_and_b32_e32 v22, 0x7fffffff, v10
	v_trig_preop_f64 v[37:38], |v[9:10]|, 2
	s_mov_b32 s14, s30
	s_mov_b32 s37, s19
	v_cndmask_b32_e32 v20, v22, v20, vcc
	v_cndmask_b32_e32 v19, v9, v19, vcc
	v_mul_f64 v[31:32], v[17:18], v[19:20]
	v_mul_f64 v[33:34], v[29:30], v[19:20]
	;; [unrolled: 1-line block ×3, first 2 shown]
	v_fma_f64 v[17:18], v[17:18], v[19:20], -v[31:32]
	v_fma_f64 v[29:30], v[29:30], v[19:20], -v[33:34]
	;; [unrolled: 1-line block ×3, first 2 shown]
	v_add_f64 v[35:36], v[33:34], v[17:18]
	v_add_f64 v[39:40], v[35:36], -v[33:34]
	v_add_f64 v[53:54], v[31:32], v[35:36]
	v_add_f64 v[49:50], v[35:36], -v[39:40]
	v_add_f64 v[17:18], v[17:18], -v[39:40]
	v_add_f64 v[39:40], v[51:52], v[29:30]
	v_add_f64 v[31:32], v[53:54], -v[31:32]
	v_add_f64 v[33:34], v[33:34], -v[49:50]
	v_ldexp_f64 v[49:50], v[53:54], -2
	v_add_f64 v[55:56], v[39:40], -v[51:52]
	v_add_f64 v[31:32], v[35:36], -v[31:32]
	v_add_f64 v[17:18], v[17:18], v[33:34]
	v_fract_f64_e32 v[33:34], v[49:50]
	v_cmp_neq_f64_e64 vcc, |v[49:50]|, s[28:29]
	v_add_f64 v[29:30], v[29:30], -v[55:56]
	v_add_f64 v[35:36], v[39:40], v[17:18]
	v_ldexp_f64 v[33:34], v[33:34], 2
	v_add_f64 v[49:50], v[31:32], v[35:36]
	v_cndmask_b32_e32 v34, 0, v34, vcc
	v_cndmask_b32_e32 v33, 0, v33, vcc
	v_add_f64 v[57:58], v[35:36], -v[39:40]
	v_add_f64 v[53:54], v[49:50], v[33:34]
	v_add_f64 v[31:32], v[49:50], -v[31:32]
	v_add_f64 v[59:60], v[35:36], -v[57:58]
	;; [unrolled: 1-line block ×3, first 2 shown]
	v_cmp_gt_f64_e32 vcc, 0, v[53:54]
	v_add_f64 v[53:54], v[39:40], -v[55:56]
	v_add_f64 v[31:32], v[35:36], -v[31:32]
	;; [unrolled: 1-line block ×3, first 2 shown]
	v_cndmask_b32_e32 v22, 0, v43, vcc
	v_add_f64 v[33:34], v[33:34], v[21:22]
	v_add_f64 v[53:54], v[51:52], -v[53:54]
	v_add_f64 v[17:18], v[17:18], v[39:40]
	v_add_f64 v[61:62], v[49:50], v[33:34]
	;; [unrolled: 1-line block ×3, first 2 shown]
	v_cvt_i32_f64_e32 v57, v[61:62]
	v_add_f64 v[17:18], v[29:30], v[17:18]
	v_cvt_f64_i32_e32 v[55:56], v57
	v_add_f64 v[33:34], v[33:34], -v[55:56]
	v_add_f64 v[17:18], v[19:20], v[17:18]
	v_add_f64 v[29:30], v[49:50], v[33:34]
	;; [unrolled: 1-line block ×3, first 2 shown]
	v_add_f64 v[19:20], v[29:30], -v[33:34]
	v_cmp_le_f64_e32 vcc, 0.5, v[29:30]
	v_add_f64 v[19:20], v[49:50], -v[19:20]
	v_cndmask_b32_e32 v22, 0, v44, vcc
	v_add_f64 v[17:18], v[17:18], v[19:20]
	v_add_f64 v[19:20], v[29:30], -v[21:22]
	v_addc_co_u32_e32 v22, vcc, 0, v57, vcc
	v_add_f64 v[29:30], v[19:20], v[17:18]
	v_mul_f64 v[31:32], v[29:30], s[14:15]
	v_add_f64 v[19:20], v[29:30], -v[19:20]
	v_fma_f64 v[33:34], v[29:30], s[14:15], -v[31:32]
	v_add_f64 v[17:18], v[17:18], -v[19:20]
	v_fma_f64 v[19:20], v[29:30], s[36:37], v[33:34]
	v_fma_f64 v[19:20], v[17:18], s[14:15], v[19:20]
	v_add_f64 v[17:18], v[31:32], v[19:20]
	v_add_f64 v[29:30], v[17:18], -v[31:32]
	v_add_f64 v[19:20], v[19:20], -v[29:30]
.LBB93_88:                              ;   in Loop: Header=BB93_7 Depth=1
	s_andn2_saveexec_b64 s[0:1], s[0:1]
	s_cbranch_execz .LBB93_90
; %bb.89:                               ;   in Loop: Header=BB93_7 Depth=1
	v_mul_f64 v[17:18], |v[9:10]|, s[16:17]
	s_mov_b32 s18, s34
	v_rndne_f64_e32 v[29:30], v[17:18]
	v_fma_f64 v[17:18], v[29:30], s[30:31], |v[9:10]|
	v_mul_f64 v[19:20], v[29:30], s[34:35]
	v_cvt_i32_f64_e32 v22, v[29:30]
	v_fma_f64 v[35:36], v[29:30], s[34:35], v[17:18]
	v_add_f64 v[31:32], v[17:18], v[19:20]
	v_add_f64 v[33:34], v[17:18], -v[31:32]
	v_add_f64 v[31:32], v[31:32], -v[35:36]
	v_add_f64 v[17:18], v[33:34], v[19:20]
	v_fma_f64 v[19:20], v[29:30], s[18:19], v[19:20]
	v_add_f64 v[17:18], v[31:32], v[17:18]
	v_add_f64 v[17:18], v[17:18], -v[19:20]
	v_fma_f64 v[19:20], v[29:30], s[20:21], v[17:18]
	v_add_f64 v[17:18], v[35:36], v[19:20]
	v_add_f64 v[31:32], v[17:18], -v[35:36]
	v_add_f64 v[19:20], v[19:20], -v[31:32]
.LBB93_90:                              ;   in Loop: Header=BB93_7 Depth=1
	s_or_b64 exec, exec, s[0:1]
	v_add_f64 v[29:30], |v[11:12]|, s[42:43]
	s_mov_b32 s50, s42
	s_mov_b32 s0, 0x3b39803f
	;; [unrolled: 1-line block ×7, first 2 shown]
	v_add_f64 v[31:32], v[29:30], -|v[11:12]|
	v_and_b32_e32 v22, 1, v22
	v_add_f64 v[33:34], v[31:32], -v[29:30]
	v_add_f64 v[31:32], v[31:32], s[50:51]
	v_add_f64 v[33:34], |v[11:12]|, v[33:34]
	v_add_f64 v[31:32], v[33:34], -v[31:32]
	v_add_f64 v[31:32], v[31:32], s[0:1]
	s_mov_b32 s0, 0xf278e000
	s_mov_b32 s1, 0xbd53de6a
	v_add_f64 v[33:34], v[29:30], v[31:32]
	v_mul_f64 v[35:36], v[33:34], s[8:9]
	v_add_f64 v[29:30], v[29:30], -v[33:34]
	v_rndne_f64_e32 v[35:36], v[35:36]
	v_add_f64 v[29:30], v[31:32], v[29:30]
	v_fma_f64 v[31:32], v[35:36], s[38:39], v[33:34]
	v_mul_f64 v[33:34], v[35:36], s[0:1]
	s_mov_b32 s0, 0xf97b57a0
	s_mov_b32 s1, 0xbac9cc01
	v_cvt_i32_f64_e32 v9, v[35:36]
	v_add_f64 v[37:38], v[29:30], v[31:32]
	v_add_f64 v[39:40], v[37:38], v[33:34]
	v_add_f64 v[31:32], v[31:32], -v[37:38]
	v_add_f64 v[37:38], v[37:38], -v[39:40]
	v_add_f64 v[29:30], v[29:30], v[31:32]
	v_add_f64 v[31:32], v[37:38], v[33:34]
	;; [unrolled: 1-line block ×3, first 2 shown]
	v_mul_f64 v[31:32], v[35:36], s[0:1]
	s_mov_b32 s0, 0x6a5dcb37
	s_mov_b32 s1, 0x3e5ade15
	v_add_f64 v[33:34], v[39:40], v[29:30]
	v_add_f64 v[37:38], v[33:34], v[31:32]
	v_add_f64 v[39:40], v[39:40], -v[33:34]
	v_add_f64 v[33:34], v[33:34], -v[37:38]
	v_add_f64 v[29:30], v[29:30], v[39:40]
	v_add_f64 v[31:32], v[33:34], v[31:32]
	;; [unrolled: 1-line block ×4, first 2 shown]
	v_fma_f64 v[33:34], v[31:32], s[0:1], v[25:26]
	s_mov_b32 s0, 0x623fde64
	s_mov_b32 s1, 0x3ec71dee
	v_add_f64 v[37:38], v[37:38], -v[31:32]
	v_mul_f64 v[39:40], v[31:32], v[31:32]
	v_fma_f64 v[33:34], v[31:32], v[33:34], s[0:1]
	s_mov_b32 s0, 0x7c89e6b0
	s_mov_b32 s1, 0x3efa0199
	v_add_f64 v[29:30], v[29:30], v[37:38]
	v_fma_f64 v[37:38], v[31:32], v[31:32], -v[39:40]
	v_fma_f64 v[33:34], v[31:32], v[33:34], s[0:1]
	s_mov_b32 s0, 0x14761f6e
	s_mov_b32 s1, 0x3f2a01a0
	v_add_f64 v[49:50], v[29:30], v[29:30]
	v_fma_f64 v[33:34], v[31:32], v[33:34], s[0:1]
	s_mov_b32 s0, 0x1852b7b0
	s_mov_b32 s1, 0x3f56c16c
	v_fma_f64 v[37:38], v[31:32], v[49:50], v[37:38]
	v_fma_f64 v[33:34], v[31:32], v[33:34], s[0:1]
	s_mov_b32 s0, 0x55555511
	s_mov_b32 s1, 0x3fc55555
	v_add_f64 v[49:50], v[39:40], v[37:38]
	v_fma_f64 v[33:34], v[31:32], v[33:34], s[94:95]
	v_add_f64 v[39:40], v[49:50], -v[39:40]
	v_fma_f64 v[33:34], v[31:32], v[33:34], s[68:69]
	v_add_f64 v[37:38], v[37:38], -v[39:40]
	v_fma_f64 v[33:34], v[31:32], v[33:34], s[0:1]
	s_mov_b32 s0, 0xc751c08c
	s_mov_b32 s1, 0x3ef5e089
	v_fma_f64 v[33:34], v[31:32], v[33:34], s[72:73]
	v_mul_f64 v[51:52], v[49:50], v[33:34]
	v_fma_f64 v[39:40], v[49:50], v[33:34], -v[51:52]
	v_fma_f64 v[33:34], v[37:38], v[33:34], v[39:40]
	v_add_f64 v[37:38], v[51:52], v[33:34]
	v_add_f64 v[39:40], v[31:32], v[37:38]
	v_add_f64 v[49:50], v[37:38], -v[51:52]
	v_add_f64 v[31:32], v[39:40], -v[31:32]
	;; [unrolled: 1-line block ×3, first 2 shown]
	v_add_f64 v[49:50], v[19:20], v[19:20]
	v_add_f64 v[31:32], v[37:38], -v[31:32]
	v_add_f64 v[29:30], v[29:30], v[33:34]
	v_add_f64 v[29:30], v[29:30], v[31:32]
	v_add_f64 v[31:32], v[39:40], v[29:30]
	v_add_f64 v[33:34], v[31:32], 1.0
	v_add_f64 v[37:38], v[31:32], -v[39:40]
	v_add_f64 v[39:40], v[33:34], -1.0
	v_add_f64 v[29:30], v[29:30], -v[37:38]
	v_add_f64 v[31:32], v[31:32], -v[39:40]
	v_add_f64 v[29:30], v[29:30], v[31:32]
	v_add_f64 v[31:32], v[33:34], v[29:30]
	v_ldexp_f64 v[35:36], v[31:32], v9
	v_add_f64 v[31:32], v[31:32], -v[33:34]
	v_rcp_f64_e32 v[37:38], v[35:36]
	v_add_f64 v[29:30], v[29:30], -v[31:32]
	v_ldexp_f64 v[29:30], v[29:30], v9
	v_fma_f64 v[39:40], -v[35:36], v[37:38], 1.0
	v_fma_f64 v[37:38], v[39:40], v[37:38], v[37:38]
	v_fma_f64 v[39:40], -v[35:36], v[37:38], 1.0
	v_fma_f64 v[33:34], v[39:40], v[37:38], v[37:38]
	v_mul_f64 v[37:38], v[17:18], v[17:18]
	v_mul_f64 v[31:32], v[35:36], v[33:34]
	v_fma_f64 v[51:52], v[17:18], v[17:18], -v[37:38]
	v_fma_f64 v[39:40], v[33:34], v[35:36], -v[31:32]
	v_fma_f64 v[49:50], v[17:18], v[49:50], v[51:52]
	v_fma_f64 v[39:40], v[33:34], v[29:30], v[39:40]
	v_add_f64 v[37:38], v[37:38], v[49:50]
	v_add_f64 v[51:52], v[31:32], v[39:40]
	v_fma_f64 v[53:54], v[37:38], s[0:1], v[23:24]
	s_mov_b32 s0, 0x90a8aae0
	s_mov_b32 s1, 0x3f17746f
	v_add_f64 v[49:50], -v[51:52], 1.0
	v_add_f64 v[31:32], v[51:52], -v[31:32]
	v_fma_f64 v[53:54], v[37:38], v[53:54], s[0:1]
	s_mov_b32 s0, 0xa6fbf144
	s_mov_b32 s1, 0xbefbb44d
	v_add_f64 v[55:56], -v[49:50], 1.0
	v_add_f64 v[31:32], v[31:32], -v[39:40]
	v_add_f64 v[39:40], v[55:56], -v[51:52]
	v_fma_f64 v[51:52], v[37:38], v[53:54], s[0:1]
	s_mov_b32 s0, 0xa7943acf
	s_mov_b32 s1, 0x3f21e634
	v_add_f64 v[31:32], v[31:32], v[39:40]
	v_fma_f64 v[39:40], v[37:38], v[51:52], s[0:1]
	s_mov_b32 s0, 0xdeb68feb
	s_mov_b32 s1, 0x3f2d250f
	v_add_f64 v[51:52], v[49:50], v[31:32]
	v_fma_f64 v[39:40], v[37:38], v[39:40], s[0:1]
	s_mov_b32 s0, 0xb58c4d95
	s_mov_b32 s1, 0x3f437fd9
	v_mul_f64 v[53:54], v[33:34], v[51:52]
	v_fma_f64 v[39:40], v[37:38], v[39:40], s[0:1]
	s_mov_b32 s0, 0x15120e2c
	s_mov_b32 s1, 0x3f57d5af
	v_add_f64 v[49:50], v[49:50], -v[51:52]
	v_mul_f64 v[55:56], v[35:36], v[53:54]
	v_fma_f64 v[39:40], v[37:38], v[39:40], s[0:1]
	s_mov_b32 s0, 0xe09491df
	s_mov_b32 s1, 0x3f6d6d93
	v_add_f64 v[31:32], v[31:32], v[49:50]
	v_fma_f64 v[57:58], v[53:54], v[35:36], -v[55:56]
	v_fma_f64 v[39:40], v[37:38], v[39:40], s[0:1]
	s_mov_b32 s0, 0x2033784d
	s_mov_b32 s1, 0x3f8226e1
	v_fma_f64 v[57:58], v[53:54], v[29:30], v[57:58]
	v_fma_f64 v[39:40], v[37:38], v[39:40], s[0:1]
	s_mov_b32 s0, 0x9ac36ae2
	s_mov_b32 s1, 0x3f9664f4
	v_add_f64 v[59:60], v[55:56], v[57:58]
	v_fma_f64 v[39:40], v[37:38], v[39:40], s[0:1]
	s_mov_b32 s0, 0x1b451c21
	s_mov_b32 s1, 0x3faba1ba
	v_add_f64 v[61:62], v[51:52], -v[59:60]
	v_fma_f64 v[39:40], v[37:38], v[39:40], s[0:1]
	s_mov_b32 s0, 0x111185b7
	s_mov_b32 s1, 0x3fc11111
	v_add_f64 v[49:50], v[59:60], -v[55:56]
	v_add_f64 v[51:52], v[51:52], -v[61:62]
	v_fma_f64 v[39:40], v[37:38], v[39:40], s[0:1]
	s_mov_b32 s0, 0x555554ee
	s_mov_b32 s1, 0x3fd55555
	v_add_f64 v[49:50], v[49:50], -v[57:58]
	v_add_f64 v[51:52], v[51:52], -v[59:60]
	v_fma_f64 v[39:40], v[37:38], v[39:40], s[0:1]
	s_mov_b32 s0, 0x8fb9f87e
	s_mov_b32 s1, 0x408633ce
	v_cmp_nge_f64_e64 vcc, |v[11:12]|, s[0:1]
	s_mov_b32 s0, 0
	s_mov_b32 s1, 0x3e400000
	v_add_f64 v[31:32], v[31:32], v[51:52]
	v_mul_f64 v[37:38], v[37:38], v[39:40]
	v_add_f64 v[39:40], v[33:34], v[53:54]
	v_add_f64 v[31:32], v[49:50], v[31:32]
	v_mul_f64 v[49:50], v[17:18], v[37:38]
	v_add_f64 v[51:52], v[39:40], -v[33:34]
	v_add_f64 v[31:32], v[61:62], v[31:32]
	v_add_f64 v[55:56], v[17:18], v[49:50]
	v_add_f64 v[51:52], v[53:54], -v[51:52]
	v_mul_f64 v[31:32], v[33:34], v[31:32]
	v_fma_f64 v[33:34], v[17:18], v[37:38], -v[49:50]
	v_add_f64 v[17:18], v[55:56], -v[17:18]
	v_add_f64 v[31:32], v[51:52], v[31:32]
	v_add_f64 v[19:20], v[19:20], v[33:34]
	v_add_f64 v[17:18], v[49:50], -v[17:18]
	v_add_f64 v[33:34], v[39:40], v[31:32]
	v_add_f64 v[17:18], v[19:20], v[17:18]
	v_ldexp_f64 v[19:20], v[33:34], -2
	v_add_f64 v[33:34], v[33:34], -v[39:40]
	v_add_f64 v[37:38], v[55:56], v[17:18]
	v_add_f64 v[49:50], v[35:36], -v[19:20]
	v_add_f64 v[31:32], v[31:32], -v[33:34]
	v_rcp_f64_e32 v[51:52], v[37:38]
	v_add_f64 v[35:36], v[35:36], -v[49:50]
	v_ldexp_f64 v[31:32], v[31:32], -2
	v_add_f64 v[19:20], v[35:36], -v[19:20]
	v_fma_f64 v[33:34], -v[37:38], v[51:52], 1.0
	v_add_f64 v[19:20], v[29:30], v[19:20]
	v_fma_f64 v[29:30], v[33:34], v[51:52], v[51:52]
	v_and_b32_e32 v34, 0x7fffffff, v12
	v_add_f64 v[19:20], v[19:20], -v[31:32]
	v_fma_f64 v[31:32], -v[37:38], v[29:30], 1.0
	v_add_f64 v[19:20], v[49:50], v[19:20]
	v_fma_f64 v[29:30], v[31:32], v[29:30], v[29:30]
	v_cndmask_b32_e32 v9, v45, v20, vcc
	v_cndmask_b32_e32 v33, 0, v19, vcc
	v_cmp_lt_f64_e64 vcc, |v[11:12]|, s[0:1]
	v_xor_b32_e32 v12, 0x80000000, v12
	s_mov_b32 s0, 0
	v_add_f64 v[19:20], v[37:38], -v[55:56]
	v_mul_f64 v[31:32], v[37:38], v[29:30]
	s_brev_b32 s1, 8
	v_cndmask_b32_e32 v9, v9, v34, vcc
	v_cndmask_b32_e32 v11, v33, v11, vcc
	v_bfi_b32 v12, s54, v9, v12
	v_fma_f64 v[33:34], v[11:12], v[11:12], 1.0
	v_add_f64 v[17:18], v[17:18], -v[19:20]
	v_fma_f64 v[19:20], v[29:30], v[37:38], -v[31:32]
	v_cmp_gt_f64_e32 vcc, s[0:1], v[33:34]
	v_cmp_eq_u32_e64 s[0:1], 0, v22
	v_fma_f64 v[17:18], v[29:30], v[17:18], v[19:20]
	v_cndmask_b32_e32 v9, 0, v46, vcc
	v_ldexp_f64 v[33:34], v[33:34], v9
	v_add_f64 v[35:36], v[31:32], v[17:18]
	v_cndmask_b32_e32 v22, 0, v47, vcc
	v_rsq_f64_e32 v[19:20], v[33:34]
	v_add_f64 v[39:40], -v[35:36], 1.0
	v_add_f64 v[31:32], v[35:36], -v[31:32]
	v_cmp_class_f64_e32 vcc, v[33:34], v42
	v_add_f64 v[51:52], -v[39:40], 1.0
	v_add_f64 v[17:18], v[31:32], -v[17:18]
	v_mul_f64 v[49:50], v[33:34], v[19:20]
	v_mul_f64 v[19:20], v[19:20], 0.5
	v_add_f64 v[35:36], v[51:52], -v[35:36]
	v_fma_f64 v[31:32], -v[19:20], v[49:50], 0.5
	v_add_f64 v[17:18], v[17:18], v[35:36]
	v_fma_f64 v[49:50], v[49:50], v[31:32], v[49:50]
	v_fma_f64 v[19:20], v[19:20], v[31:32], v[19:20]
	v_add_f64 v[17:18], v[39:40], v[17:18]
	v_fma_f64 v[31:32], -v[49:50], v[49:50], v[33:34]
	v_mul_f64 v[17:18], v[29:30], v[17:18]
	v_fma_f64 v[31:32], v[31:32], v[19:20], v[49:50]
	v_add_f64 v[17:18], v[29:30], v[17:18]
	v_and_b32_e32 v29, 0x80000000, v10
	v_fma_f64 v[35:36], -v[31:32], v[31:32], v[33:34]
	v_xor_b32_e32 v18, 0x80000000, v18
	v_cndmask_b32_e64 v18, v18, v38, s[0:1]
	v_cndmask_b32_e64 v17, v17, v37, s[0:1]
	v_xor_b32_e32 v18, v18, v29
	v_fma_f64 v[9:10], v[35:36], v[19:20], v[31:32]
	v_fma_f64 v[19:20], v[17:18], v[17:18], 1.0
	v_ldexp_f64 v[9:10], v[9:10], v22
	v_mul_f64 v[29:30], v[11:12], v[19:20]
	v_cndmask_b32_e32 v10, v10, v34, vcc
	v_cndmask_b32_e32 v9, v9, v33, vcc
	v_mul_f64 v[9:10], v[9:10], v[19:20]
	v_fma_f64 v[29:30], v[11:12], v[29:30], 1.0
	v_mul_f64 v[9:10], v[11:12], v[9:10]
	v_div_scale_f64 v[19:20], s[0:1], v[29:30], v[29:30], v[17:18]
	v_div_scale_f64 v[11:12], s[0:1], v[29:30], v[29:30], v[9:10]
	;; [unrolled: 1-line block ×3, first 2 shown]
	v_rcp_f64_e32 v[33:34], v[19:20]
	v_rcp_f64_e32 v[31:32], v[11:12]
	v_fma_f64 v[37:38], -v[19:20], v[33:34], 1.0
	v_fma_f64 v[35:36], -v[11:12], v[31:32], 1.0
	v_fma_f64 v[33:34], v[33:34], v[37:38], v[33:34]
	v_fma_f64 v[31:32], v[31:32], v[35:36], v[31:32]
	v_div_scale_f64 v[35:36], vcc, v[9:10], v[29:30], v[9:10]
	v_fma_f64 v[49:50], -v[19:20], v[33:34], 1.0
	v_fma_f64 v[37:38], -v[11:12], v[31:32], 1.0
	v_fma_f64 v[33:34], v[33:34], v[49:50], v[33:34]
	v_fma_f64 v[31:32], v[31:32], v[37:38], v[31:32]
	v_mul_f64 v[49:50], v[39:40], v[33:34]
	v_mul_f64 v[37:38], v[35:36], v[31:32]
	v_fma_f64 v[19:20], -v[19:20], v[49:50], v[39:40]
	v_fma_f64 v[11:12], -v[11:12], v[37:38], v[35:36]
	v_div_fmas_f64 v[11:12], v[11:12], v[31:32], v[37:38]
	s_mov_b64 vcc, s[0:1]
	v_div_fmas_f64 v[31:32], v[19:20], v[33:34], v[49:50]
	v_div_fixup_f64 v[19:20], v[11:12], v[29:30], v[9:10]
                                        ; implicit-def: $vgpr9_vgpr10
	v_div_fixup_f64 v[17:18], v[31:32], v[29:30], v[17:18]
.LBB93_91:                              ;   in Loop: Header=BB93_7 Depth=1
	s_andn2_saveexec_b64 s[0:1], s[58:59]
	s_cbranch_execz .LBB93_101
; %bb.92:                               ;   in Loop: Header=BB93_7 Depth=1
	v_cmp_nlt_f64_e64 s[58:59], |v[9:10]|, s[24:25]
                                        ; implicit-def: $vgpr33
                                        ; implicit-def: $vgpr17_vgpr18
                                        ; implicit-def: $vgpr19_vgpr20
	s_and_saveexec_b64 s[60:61], s[58:59]
	s_xor_b64 s[60:61], exec, s[60:61]
	s_cbranch_execz .LBB93_94
; %bb.93:                               ;   in Loop: Header=BB93_7 Depth=1
	v_trig_preop_f64 v[17:18], |v[9:10]|, 0
	v_ldexp_f64 v[19:20], |v[9:10]|, s67
	v_cmp_ge_f64_e64 vcc, |v[9:10]|, s[26:27]
	v_trig_preop_f64 v[29:30], |v[9:10]|, 1
	v_and_b32_e32 v22, 0x7fffffff, v10
	v_trig_preop_f64 v[37:38], |v[9:10]|, 2
	s_mov_b32 s14, s30
	s_mov_b32 s37, s19
	v_cndmask_b32_e32 v20, v22, v20, vcc
	v_cndmask_b32_e32 v19, v9, v19, vcc
	v_mul_f64 v[31:32], v[17:18], v[19:20]
	v_mul_f64 v[33:34], v[29:30], v[19:20]
	;; [unrolled: 1-line block ×3, first 2 shown]
	v_fma_f64 v[17:18], v[17:18], v[19:20], -v[31:32]
	v_fma_f64 v[29:30], v[29:30], v[19:20], -v[33:34]
	;; [unrolled: 1-line block ×3, first 2 shown]
	v_add_f64 v[35:36], v[33:34], v[17:18]
	v_add_f64 v[39:40], v[35:36], -v[33:34]
	v_add_f64 v[53:54], v[31:32], v[35:36]
	v_add_f64 v[49:50], v[35:36], -v[39:40]
	v_add_f64 v[17:18], v[17:18], -v[39:40]
	v_add_f64 v[39:40], v[51:52], v[29:30]
	v_add_f64 v[31:32], v[53:54], -v[31:32]
	v_add_f64 v[33:34], v[33:34], -v[49:50]
	v_ldexp_f64 v[49:50], v[53:54], -2
	v_add_f64 v[55:56], v[39:40], -v[51:52]
	v_add_f64 v[31:32], v[35:36], -v[31:32]
	v_add_f64 v[17:18], v[17:18], v[33:34]
	v_fract_f64_e32 v[33:34], v[49:50]
	v_cmp_neq_f64_e64 vcc, |v[49:50]|, s[28:29]
	v_add_f64 v[29:30], v[29:30], -v[55:56]
	v_add_f64 v[35:36], v[39:40], v[17:18]
	v_ldexp_f64 v[33:34], v[33:34], 2
	v_add_f64 v[49:50], v[31:32], v[35:36]
	v_cndmask_b32_e32 v34, 0, v34, vcc
	v_cndmask_b32_e32 v33, 0, v33, vcc
	v_add_f64 v[57:58], v[35:36], -v[39:40]
	v_add_f64 v[53:54], v[49:50], v[33:34]
	v_add_f64 v[31:32], v[49:50], -v[31:32]
	v_add_f64 v[59:60], v[35:36], -v[57:58]
	;; [unrolled: 1-line block ×3, first 2 shown]
	v_cmp_gt_f64_e32 vcc, 0, v[53:54]
	v_add_f64 v[53:54], v[39:40], -v[55:56]
	v_add_f64 v[31:32], v[35:36], -v[31:32]
	;; [unrolled: 1-line block ×3, first 2 shown]
	v_cndmask_b32_e32 v22, 0, v43, vcc
	v_add_f64 v[33:34], v[33:34], v[21:22]
	v_add_f64 v[53:54], v[51:52], -v[53:54]
	v_add_f64 v[17:18], v[17:18], v[39:40]
	v_add_f64 v[61:62], v[49:50], v[33:34]
	;; [unrolled: 1-line block ×3, first 2 shown]
	v_cvt_i32_f64_e32 v57, v[61:62]
	v_add_f64 v[17:18], v[29:30], v[17:18]
	v_cvt_f64_i32_e32 v[55:56], v57
	v_add_f64 v[33:34], v[33:34], -v[55:56]
	v_add_f64 v[17:18], v[19:20], v[17:18]
	v_add_f64 v[29:30], v[49:50], v[33:34]
	;; [unrolled: 1-line block ×3, first 2 shown]
	v_add_f64 v[19:20], v[29:30], -v[33:34]
	v_cmp_le_f64_e32 vcc, 0.5, v[29:30]
	v_add_f64 v[19:20], v[49:50], -v[19:20]
	v_cndmask_b32_e32 v22, 0, v44, vcc
	v_add_f64 v[17:18], v[17:18], v[19:20]
	v_add_f64 v[19:20], v[29:30], -v[21:22]
	v_add_f64 v[29:30], v[19:20], v[17:18]
	v_mul_f64 v[31:32], v[29:30], s[14:15]
	v_add_f64 v[19:20], v[29:30], -v[19:20]
	v_fma_f64 v[33:34], v[29:30], s[14:15], -v[31:32]
	v_add_f64 v[17:18], v[17:18], -v[19:20]
	v_fma_f64 v[19:20], v[29:30], s[36:37], v[33:34]
	v_addc_co_u32_e32 v33, vcc, 0, v57, vcc
	v_fma_f64 v[19:20], v[17:18], s[14:15], v[19:20]
	v_add_f64 v[17:18], v[31:32], v[19:20]
	v_add_f64 v[29:30], v[17:18], -v[31:32]
	v_add_f64 v[19:20], v[19:20], -v[29:30]
	s_andn2_saveexec_b64 s[60:61], s[60:61]
	s_cbranch_execz .LBB93_96
	s_branch .LBB93_95
.LBB93_94:                              ;   in Loop: Header=BB93_7 Depth=1
	s_andn2_saveexec_b64 s[60:61], s[60:61]
	s_cbranch_execz .LBB93_96
.LBB93_95:                              ;   in Loop: Header=BB93_7 Depth=1
	v_mul_f64 v[17:18], |v[9:10]|, s[16:17]
	s_mov_b32 s18, s34
	v_rndne_f64_e32 v[29:30], v[17:18]
	v_fma_f64 v[17:18], v[29:30], s[30:31], |v[9:10]|
	v_mul_f64 v[19:20], v[29:30], s[34:35]
	v_fma_f64 v[35:36], v[29:30], s[34:35], v[17:18]
	v_add_f64 v[31:32], v[17:18], v[19:20]
	v_add_f64 v[33:34], v[17:18], -v[31:32]
	v_add_f64 v[31:32], v[31:32], -v[35:36]
	v_add_f64 v[17:18], v[33:34], v[19:20]
	v_fma_f64 v[19:20], v[29:30], s[18:19], v[19:20]
	v_cvt_i32_f64_e32 v33, v[29:30]
	v_add_f64 v[17:18], v[31:32], v[17:18]
	v_add_f64 v[17:18], v[17:18], -v[19:20]
	v_fma_f64 v[19:20], v[29:30], s[20:21], v[17:18]
	v_add_f64 v[17:18], v[35:36], v[19:20]
	v_add_f64 v[31:32], v[17:18], -v[35:36]
	v_add_f64 v[19:20], v[19:20], -v[31:32]
.LBB93_96:                              ;   in Loop: Header=BB93_7 Depth=1
	s_or_b64 exec, exec, s[60:61]
                                        ; implicit-def: $vgpr22
                                        ; implicit-def: $vgpr29_vgpr30
                                        ; implicit-def: $vgpr31_vgpr32
	s_and_saveexec_b64 s[60:61], s[58:59]
	s_xor_b64 s[58:59], exec, s[60:61]
	s_cbranch_execz .LBB93_98
; %bb.97:                               ;   in Loop: Header=BB93_7 Depth=1
	v_trig_preop_f64 v[29:30], |v[9:10]|, 0
	v_ldexp_f64 v[31:32], |v[9:10]|, s67
	v_cmp_ge_f64_e64 vcc, |v[9:10]|, s[26:27]
	v_trig_preop_f64 v[34:35], |v[9:10]|, 1
	v_and_b32_e32 v22, 0x7fffffff, v10
	v_trig_preop_f64 v[51:52], |v[9:10]|, 2
	s_mov_b32 s14, s30
	s_mov_b32 s37, s19
	v_cndmask_b32_e32 v32, v22, v32, vcc
	v_cndmask_b32_e32 v31, v9, v31, vcc
	v_mul_f64 v[36:37], v[29:30], v[31:32]
	v_mul_f64 v[38:39], v[34:35], v[31:32]
	v_mul_f64 v[57:58], v[51:52], v[31:32]
	v_fma_f64 v[29:30], v[29:30], v[31:32], -v[36:37]
	v_fma_f64 v[34:35], v[34:35], v[31:32], -v[38:39]
	;; [unrolled: 1-line block ×3, first 2 shown]
	v_add_f64 v[49:50], v[38:39], v[29:30]
	v_add_f64 v[53:54], v[49:50], -v[38:39]
	v_add_f64 v[59:60], v[36:37], v[49:50]
	v_add_f64 v[55:56], v[49:50], -v[53:54]
	v_add_f64 v[29:30], v[29:30], -v[53:54]
	v_add_f64 v[53:54], v[57:58], v[34:35]
	v_add_f64 v[36:37], v[59:60], -v[36:37]
	v_add_f64 v[38:39], v[38:39], -v[55:56]
	v_ldexp_f64 v[55:56], v[59:60], -2
	v_add_f64 v[61:62], v[53:54], -v[57:58]
	v_add_f64 v[36:37], v[49:50], -v[36:37]
	v_add_f64 v[29:30], v[29:30], v[38:39]
	v_fract_f64_e32 v[38:39], v[55:56]
	v_cmp_neq_f64_e64 vcc, |v[55:56]|, s[28:29]
	v_add_f64 v[34:35], v[34:35], -v[61:62]
	v_add_f64 v[49:50], v[53:54], v[29:30]
	v_ldexp_f64 v[38:39], v[38:39], 2
	v_add_f64 v[55:56], v[36:37], v[49:50]
	v_cndmask_b32_e32 v39, 0, v39, vcc
	v_cndmask_b32_e32 v38, 0, v38, vcc
	v_add_f64 v[63:64], v[49:50], -v[53:54]
	v_add_f64 v[59:60], v[55:56], v[38:39]
	v_add_f64 v[36:37], v[55:56], -v[36:37]
	v_add_f64 v[65:66], v[49:50], -v[63:64]
	v_add_f64 v[29:30], v[29:30], -v[63:64]
	v_cmp_gt_f64_e32 vcc, 0, v[59:60]
	v_add_f64 v[59:60], v[53:54], -v[61:62]
	v_add_f64 v[36:37], v[49:50], -v[36:37]
	;; [unrolled: 1-line block ×3, first 2 shown]
	v_cndmask_b32_e32 v22, 0, v43, vcc
	v_add_f64 v[38:39], v[38:39], v[21:22]
	v_add_f64 v[59:60], v[57:58], -v[59:60]
	v_add_f64 v[29:30], v[29:30], v[53:54]
	v_add_f64 v[67:68], v[55:56], v[38:39]
	;; [unrolled: 1-line block ×3, first 2 shown]
	v_cvt_i32_f64_e32 v40, v[67:68]
	v_add_f64 v[29:30], v[34:35], v[29:30]
	v_cvt_f64_i32_e32 v[61:62], v40
	v_add_f64 v[38:39], v[38:39], -v[61:62]
	v_add_f64 v[29:30], v[31:32], v[29:30]
	v_add_f64 v[34:35], v[55:56], v[38:39]
	;; [unrolled: 1-line block ×3, first 2 shown]
	v_add_f64 v[31:32], v[34:35], -v[38:39]
	v_cmp_le_f64_e32 vcc, 0.5, v[34:35]
	v_add_f64 v[31:32], v[55:56], -v[31:32]
	v_cndmask_b32_e32 v22, 0, v44, vcc
	v_add_f64 v[29:30], v[29:30], v[31:32]
	v_add_f64 v[31:32], v[34:35], -v[21:22]
	v_addc_co_u32_e32 v22, vcc, 0, v40, vcc
	v_add_f64 v[34:35], v[31:32], v[29:30]
	v_mul_f64 v[36:37], v[34:35], s[14:15]
	v_add_f64 v[31:32], v[34:35], -v[31:32]
	v_fma_f64 v[38:39], v[34:35], s[14:15], -v[36:37]
	v_add_f64 v[29:30], v[29:30], -v[31:32]
	v_fma_f64 v[31:32], v[34:35], s[36:37], v[38:39]
	v_fma_f64 v[31:32], v[29:30], s[14:15], v[31:32]
	v_add_f64 v[29:30], v[36:37], v[31:32]
	v_add_f64 v[34:35], v[29:30], -v[36:37]
	v_add_f64 v[31:32], v[31:32], -v[34:35]
	s_andn2_saveexec_b64 s[58:59], s[58:59]
	s_cbranch_execnz .LBB93_99
	s_branch .LBB93_100
.LBB93_98:                              ;   in Loop: Header=BB93_7 Depth=1
	s_andn2_saveexec_b64 s[58:59], s[58:59]
	s_cbranch_execz .LBB93_100
.LBB93_99:                              ;   in Loop: Header=BB93_7 Depth=1
	v_mul_f64 v[29:30], |v[9:10]|, s[16:17]
	s_mov_b32 s18, s34
	v_rndne_f64_e32 v[34:35], v[29:30]
	v_fma_f64 v[29:30], v[34:35], s[30:31], |v[9:10]|
	v_mul_f64 v[31:32], v[34:35], s[34:35]
	v_cvt_i32_f64_e32 v22, v[34:35]
	v_fma_f64 v[49:50], v[34:35], s[34:35], v[29:30]
	v_add_f64 v[36:37], v[29:30], v[31:32]
	v_add_f64 v[38:39], v[29:30], -v[36:37]
	v_add_f64 v[36:37], v[36:37], -v[49:50]
	v_add_f64 v[29:30], v[38:39], v[31:32]
	v_fma_f64 v[31:32], v[34:35], s[18:19], v[31:32]
	v_add_f64 v[29:30], v[36:37], v[29:30]
	v_add_f64 v[29:30], v[29:30], -v[31:32]
	v_fma_f64 v[31:32], v[34:35], s[20:21], v[29:30]
	v_add_f64 v[29:30], v[49:50], v[31:32]
	v_add_f64 v[36:37], v[29:30], -v[49:50]
	v_add_f64 v[31:32], v[31:32], -v[36:37]
.LBB93_100:                             ;   in Loop: Header=BB93_7 Depth=1
	s_or_b64 exec, exec, s[58:59]
	v_mul_f64 v[34:35], |v[11:12]|, s[40:41]
	s_mov_b32 s58, 0x3b39803f
	s_mov_b32 s59, 0xbc7abc9e
	v_mul_f64 v[49:50], v[17:18], v[17:18]
	v_mov_b32_e32 v53, s86
	v_mov_b32_e32 v54, s87
	v_mul_f64 v[55:56], v[29:30], v[29:30]
	v_mov_b32_e32 v51, s76
	v_rndne_f64_e32 v[34:35], v[34:35]
	v_mov_b32_e32 v52, s77
	v_mul_f64 v[57:58], v[19:20], 0.5
	v_fma_f64 v[59:60], v[49:50], s[88:89], v[53:54]
	v_fma_f64 v[61:62], v[49:50], s[78:79], v[51:52]
	v_mul_f64 v[63:64], v[49:50], 0.5
	v_fma_f64 v[53:54], v[55:56], s[88:89], v[53:54]
	v_mul_f64 v[67:68], v[55:56], 0.5
	v_fma_f64 v[36:37], v[34:35], s[42:43], -|v[11:12]|
	v_fma_f64 v[51:52], v[55:56], s[78:79], v[51:52]
	s_mov_b32 s95, s45
	v_fma_f64 v[59:60], v[49:50], v[59:60], s[90:91]
	v_fma_f64 v[61:62], v[49:50], v[61:62], s[80:81]
	v_add_f64 v[69:70], -v[63:64], 1.0
	v_fma_f64 v[53:54], v[55:56], v[53:54], s[90:91]
	v_mul_f64 v[71:72], v[17:18], -v[49:50]
	v_fma_f64 v[36:37], v[34:35], s[58:59], v[36:37]
	s_mov_b32 s58, 0x6a5dcb37
	s_mov_b32 s59, 0x3e5ade15
	v_fma_f64 v[59:60], v[49:50], v[59:60], s[92:93]
	v_add_f64 v[73:74], -v[67:68], 1.0
	v_fma_f64 v[51:52], v[55:56], v[51:52], s[80:81]
	v_fma_f64 v[53:54], v[55:56], v[53:54], s[92:93]
	;; [unrolled: 1-line block ×4, first 2 shown]
	s_mov_b32 s58, 0x623fde64
	s_mov_b32 s59, 0x3ec71dee
	v_add_f64 v[75:76], -v[69:70], 1.0
	v_fma_f64 v[59:60], v[49:50], v[59:60], s[44:45]
	v_mul_f64 v[65:66], v[31:32], 0.5
	v_mul_f64 v[77:78], v[29:30], -v[55:56]
	v_fma_f64 v[53:54], v[55:56], v[53:54], s[44:45]
	v_fma_f64 v[38:39], v[36:37], v[38:39], s[58:59]
	s_mov_b32 s58, 0x7c89e6b0
	s_mov_b32 s59, 0x3efa0199
	;; [unrolled: 1-line block ×3, first 2 shown]
	v_add_f64 v[79:80], -v[73:74], 1.0
	v_fma_f64 v[51:52], v[55:56], v[51:52], s[82:83]
	v_fma_f64 v[61:62], v[49:50], v[61:62], s[84:85]
	v_add_f64 v[63:64], v[75:76], -v[63:64]
	v_fma_f64 v[38:39], v[36:37], v[38:39], s[58:59]
	s_mov_b32 s58, 0x14761f6e
	s_mov_b32 s59, 0x3f2a01a0
	v_fma_f64 v[57:58], v[71:72], v[59:60], v[57:58]
	v_fma_f64 v[53:54], v[77:78], v[53:54], v[65:66]
	v_mul_f64 v[59:60], v[49:50], v[49:50]
	v_add_f64 v[67:68], v[79:80], -v[67:68]
	v_fma_f64 v[51:52], v[55:56], v[51:52], s[84:85]
	v_fma_f64 v[38:39], v[36:37], v[38:39], s[58:59]
	s_mov_b32 s58, 0x1852b7b0
	s_mov_b32 s59, 0x3f56c16c
	v_fma_f64 v[61:62], v[49:50], v[61:62], s[56:57]
	v_fma_f64 v[63:64], v[17:18], -v[19:20], v[63:64]
	v_fma_f64 v[19:20], v[49:50], v[57:58], -v[19:20]
	s_mov_b32 s46, s56
	v_fma_f64 v[53:54], v[55:56], v[53:54], -v[31:32]
	v_fma_f64 v[38:39], v[36:37], v[38:39], s[58:59]
	s_mov_b32 s58, 0x55555511
	s_mov_b32 s59, 0x3fc55555
	v_mul_f64 v[49:50], v[55:56], v[55:56]
	v_fma_f64 v[51:52], v[55:56], v[51:52], s[56:57]
	v_fma_f64 v[31:32], v[29:30], -v[31:32], v[67:68]
	v_fma_f64 v[55:56], v[59:60], v[61:62], v[63:64]
	v_fma_f64 v[19:20], v[71:72], s[46:47], v[19:20]
	;; [unrolled: 1-line block ×3, first 2 shown]
	v_lshlrev_b32_e32 v9, 30, v33
	v_xor_b32_e32 v57, v9, v10
	v_fma_f64 v[9:10], v[77:78], s[46:47], v[53:54]
	v_and_b32_e32 v40, 1, v33
	v_fma_f64 v[31:32], v[49:50], v[51:52], v[31:32]
	v_add_f64 v[49:50], v[69:70], v[55:56]
	v_add_f64 v[17:18], v[17:18], -v[19:20]
	v_fma_f64 v[38:39], v[36:37], v[38:39], s[68:69]
	v_cmp_eq_u32_e32 vcc, 0, v40
	v_cvt_i32_f64_e32 v34, v[34:35]
	v_add_f64 v[9:10], v[29:30], -v[9:10]
	v_and_b32_e32 v33, 1, v22
	v_add_f64 v[29:30], v[73:74], v[31:32]
	v_lshlrev_b32_e32 v22, 30, v22
	v_cndmask_b32_e32 v18, v50, v18, vcc
	v_fma_f64 v[38:39], v[36:37], v[38:39], s[58:59]
	v_cndmask_b32_e32 v17, v49, v17, vcc
	v_cmp_eq_u32_e32 vcc, 0, v33
	v_xor_b32_e32 v10, 0x80000000, v10
	s_mov_b32 s58, 0
	v_and_b32_e32 v22, 0x80000000, v22
	v_cndmask_b32_e32 v10, v10, v30, vcc
	s_mov_b32 s59, 0x4090cc00
	v_fma_f64 v[38:39], v[36:37], v[38:39], s[72:73]
	v_cndmask_b32_e32 v9, v9, v29, vcc
	v_xor_b32_e32 v10, v10, v22
	v_cmp_ngt_f64_e64 vcc, |v[11:12]|, s[58:59]
	v_fma_f64 v[19:20], v[36:37], v[38:39], 1.0
	v_and_b32_e32 v38, 0x80000000, v57
	v_xor_b32_e32 v18, v18, v38
	v_mul_f64 v[17:18], v[17:18], 4.0
	v_fma_f64 v[19:20], v[36:37], v[19:20], 1.0
	v_mul_f64 v[9:10], v[17:18], v[9:10]
	v_ldexp_f64 v[19:20], v[19:20], v34
	v_cndmask_b32_e32 v18, 0, v20, vcc
	v_cndmask_b32_e32 v17, 0, v19, vcc
	v_mul_f64 v[9:10], v[17:18], v[9:10]
	v_mul_f64 v[17:18], v[17:18], v[9:10]
	v_xor_b32_e32 v9, 0x80000000, v12
	v_bfi_b32 v22, s54, v44, v9
	v_mov_b32_e32 v19, v21
	v_mov_b32_e32 v20, v22
.LBB93_101:                             ;   in Loop: Header=BB93_7 Depth=1
	s_or_b64 exec, exec, s[0:1]
                                        ; implicit-def: $vgpr9_vgpr10
.LBB93_102:                             ;   in Loop: Header=BB93_7 Depth=1
	s_andn2_saveexec_b64 s[0:1], s[52:53]
	s_cbranch_execz .LBB93_104
; %bb.103:                              ;   in Loop: Header=BB93_7 Depth=1
	v_add_f64 v[17:18], v[9:10], -v[9:10]
	v_mov_b32_e32 v20, v18
	v_mov_b32_e32 v19, v17
.LBB93_104:                             ;   in Loop: Header=BB93_7 Depth=1
	s_or_b64 exec, exec, s[0:1]
                                        ; implicit-def: $vgpr9_vgpr10
.LBB93_105:                             ;   in Loop: Header=BB93_7 Depth=1
	s_andn2_saveexec_b64 s[48:49], s[48:49]
	s_cbranch_execz .LBB93_121
; %bb.106:                              ;   in Loop: Header=BB93_7 Depth=1
	v_and_or_b32 v17, v20, s70, v19
	v_cmp_ne_u32_e32 vcc, 0, v17
	s_and_saveexec_b64 s[0:1], vcc
	s_xor_b64 s[0:1], exec, s[0:1]
	s_cbranch_execz .LBB93_108
; %bb.107:                              ;   in Loop: Header=BB93_7 Depth=1
	v_mul_f64 v[11:12], v[9:10], -v[11:12]
	v_cmp_eq_f64_e32 vcc, 0, v[9:10]
	v_cndmask_b32_e32 v18, v12, v10, vcc
	v_cndmask_b32_e32 v17, v11, v9, vcc
                                        ; implicit-def: $vgpr9_vgpr10
.LBB93_108:                             ;   in Loop: Header=BB93_7 Depth=1
	s_andn2_saveexec_b64 s[52:53], s[0:1]
	s_cbranch_execz .LBB93_120
; %bb.109:                              ;   in Loop: Header=BB93_7 Depth=1
	v_cmp_neq_f64_e64 s[0:1], |v[9:10]|, s[28:29]
	s_and_saveexec_b64 s[58:59], s[0:1]
	s_cbranch_execz .LBB93_119
; %bb.110:                              ;   in Loop: Header=BB93_7 Depth=1
	v_trig_preop_f64 v[35:36], |v[9:10]|, 0
	v_trig_preop_f64 v[33:34], |v[9:10]|, 1
	;; [unrolled: 1-line block ×3, first 2 shown]
	v_cmp_nlt_f64_e64 s[0:1], |v[9:10]|, s[24:25]
	v_ldexp_f64 v[37:38], |v[9:10]|, s67
	v_and_b32_e32 v50, 0x7fffffff, v10
                                        ; implicit-def: $vgpr49
                                        ; implicit-def: $vgpr11_vgpr12
                                        ; implicit-def: $vgpr17_vgpr18
	s_and_saveexec_b64 s[60:61], s[0:1]
	s_xor_b64 s[60:61], exec, s[60:61]
	s_cbranch_execz .LBB93_112
; %bb.111:                              ;   in Loop: Header=BB93_7 Depth=1
	v_cmp_ge_f64_e64 vcc, |v[9:10]|, s[26:27]
	s_mov_b32 s14, s30
	s_mov_b32 s37, s19
	v_cndmask_b32_e32 v12, v50, v38, vcc
	v_cndmask_b32_e32 v11, v9, v37, vcc
	v_mul_f64 v[17:18], v[35:36], v[11:12]
	v_mul_f64 v[31:32], v[33:34], v[11:12]
	v_mul_f64 v[57:58], v[29:30], v[11:12]
	v_fma_f64 v[39:40], v[35:36], v[11:12], -v[17:18]
	v_fma_f64 v[59:60], v[33:34], v[11:12], -v[31:32]
	v_fma_f64 v[11:12], v[29:30], v[11:12], -v[57:58]
	v_add_f64 v[51:52], v[31:32], v[39:40]
	v_add_f64 v[53:54], v[51:52], -v[31:32]
	v_add_f64 v[61:62], v[17:18], v[51:52]
	v_add_f64 v[55:56], v[51:52], -v[53:54]
	v_add_f64 v[39:40], v[39:40], -v[53:54]
	v_add_f64 v[53:54], v[57:58], v[59:60]
	v_add_f64 v[17:18], v[61:62], -v[17:18]
	v_add_f64 v[31:32], v[31:32], -v[55:56]
	v_ldexp_f64 v[55:56], v[61:62], -2
	v_add_f64 v[63:64], v[53:54], -v[57:58]
	v_add_f64 v[17:18], v[51:52], -v[17:18]
	v_add_f64 v[31:32], v[39:40], v[31:32]
	v_fract_f64_e32 v[39:40], v[55:56]
	v_cmp_neq_f64_e64 vcc, |v[55:56]|, s[28:29]
	v_add_f64 v[59:60], v[59:60], -v[63:64]
	v_add_f64 v[51:52], v[53:54], v[31:32]
	v_ldexp_f64 v[39:40], v[39:40], 2
	v_add_f64 v[55:56], v[17:18], v[51:52]
	v_cndmask_b32_e32 v40, 0, v40, vcc
	v_cndmask_b32_e32 v39, 0, v39, vcc
	v_add_f64 v[65:66], v[51:52], -v[53:54]
	v_add_f64 v[61:62], v[55:56], v[39:40]
	v_add_f64 v[17:18], v[55:56], -v[17:18]
	v_add_f64 v[67:68], v[51:52], -v[65:66]
	;; [unrolled: 1-line block ×3, first 2 shown]
	v_cmp_gt_f64_e32 vcc, 0, v[61:62]
	v_add_f64 v[61:62], v[53:54], -v[63:64]
	v_add_f64 v[17:18], v[51:52], -v[17:18]
	;; [unrolled: 1-line block ×3, first 2 shown]
	v_cndmask_b32_e32 v22, 0, v43, vcc
	v_add_f64 v[39:40], v[39:40], v[21:22]
	v_add_f64 v[61:62], v[57:58], -v[61:62]
	v_add_f64 v[31:32], v[31:32], v[53:54]
	v_add_f64 v[69:70], v[55:56], v[39:40]
	;; [unrolled: 1-line block ×3, first 2 shown]
	v_cvt_i32_f64_e32 v49, v[69:70]
	v_add_f64 v[31:32], v[59:60], v[31:32]
	v_cvt_f64_i32_e32 v[63:64], v49
	v_add_f64 v[39:40], v[39:40], -v[63:64]
	v_add_f64 v[11:12], v[11:12], v[31:32]
	v_add_f64 v[53:54], v[55:56], v[39:40]
	;; [unrolled: 1-line block ×3, first 2 shown]
	v_add_f64 v[31:32], v[53:54], -v[39:40]
	v_cmp_le_f64_e32 vcc, 0.5, v[53:54]
	v_add_f64 v[17:18], v[55:56], -v[31:32]
	v_cndmask_b32_e32 v22, 0, v44, vcc
	v_addc_co_u32_e32 v49, vcc, 0, v49, vcc
	v_add_f64 v[11:12], v[11:12], v[17:18]
	v_add_f64 v[17:18], v[53:54], -v[21:22]
	v_add_f64 v[31:32], v[17:18], v[11:12]
	v_mul_f64 v[39:40], v[31:32], s[14:15]
	v_add_f64 v[17:18], v[31:32], -v[17:18]
	v_fma_f64 v[51:52], v[31:32], s[14:15], -v[39:40]
	v_add_f64 v[11:12], v[11:12], -v[17:18]
	v_fma_f64 v[17:18], v[31:32], s[36:37], v[51:52]
	v_fma_f64 v[17:18], v[11:12], s[14:15], v[17:18]
	v_add_f64 v[11:12], v[39:40], v[17:18]
	v_add_f64 v[31:32], v[11:12], -v[39:40]
	v_add_f64 v[17:18], v[17:18], -v[31:32]
	s_andn2_saveexec_b64 s[60:61], s[60:61]
	s_cbranch_execz .LBB93_114
	s_branch .LBB93_113
.LBB93_112:                             ;   in Loop: Header=BB93_7 Depth=1
	s_andn2_saveexec_b64 s[60:61], s[60:61]
	s_cbranch_execz .LBB93_114
.LBB93_113:                             ;   in Loop: Header=BB93_7 Depth=1
	v_mul_f64 v[11:12], |v[9:10]|, s[16:17]
	s_mov_b32 s18, s34
	v_rndne_f64_e32 v[31:32], v[11:12]
	v_fma_f64 v[11:12], v[31:32], s[30:31], |v[9:10]|
	v_mul_f64 v[17:18], v[31:32], s[34:35]
	v_cvt_i32_f64_e32 v49, v[31:32]
	v_fma_f64 v[53:54], v[31:32], s[34:35], v[11:12]
	v_add_f64 v[39:40], v[11:12], v[17:18]
	v_add_f64 v[51:52], v[11:12], -v[39:40]
	v_add_f64 v[39:40], v[39:40], -v[53:54]
	v_add_f64 v[11:12], v[51:52], v[17:18]
	v_fma_f64 v[17:18], v[31:32], s[18:19], v[17:18]
	v_add_f64 v[11:12], v[39:40], v[11:12]
	v_add_f64 v[11:12], v[11:12], -v[17:18]
	v_fma_f64 v[17:18], v[31:32], s[20:21], v[11:12]
	v_add_f64 v[11:12], v[53:54], v[17:18]
	v_add_f64 v[39:40], v[11:12], -v[53:54]
	v_add_f64 v[17:18], v[17:18], -v[39:40]
.LBB93_114:                             ;   in Loop: Header=BB93_7 Depth=1
	s_or_b64 exec, exec, s[60:61]
                                        ; implicit-def: $vgpr22
                                        ; implicit-def: $vgpr31_vgpr32
                                        ; implicit-def: $vgpr39_vgpr40
	s_and_saveexec_b64 s[60:61], s[0:1]
	s_xor_b64 s[0:1], exec, s[60:61]
	s_cbranch_execz .LBB93_116
; %bb.115:                              ;   in Loop: Header=BB93_7 Depth=1
	v_cmp_ge_f64_e64 vcc, |v[9:10]|, s[26:27]
	s_mov_b32 s14, s30
	s_mov_b32 s37, s19
	v_cndmask_b32_e32 v32, v50, v38, vcc
	v_cndmask_b32_e32 v31, v9, v37, vcc
	v_mul_f64 v[37:38], v[35:36], v[31:32]
	v_mul_f64 v[39:40], v[33:34], v[31:32]
	;; [unrolled: 1-line block ×3, first 2 shown]
	v_fma_f64 v[35:36], v[35:36], v[31:32], -v[37:38]
	v_fma_f64 v[33:34], v[33:34], v[31:32], -v[39:40]
	;; [unrolled: 1-line block ×3, first 2 shown]
	v_add_f64 v[50:51], v[39:40], v[35:36]
	v_add_f64 v[52:53], v[50:51], -v[39:40]
	v_add_f64 v[58:59], v[37:38], v[50:51]
	v_add_f64 v[54:55], v[50:51], -v[52:53]
	v_add_f64 v[35:36], v[35:36], -v[52:53]
	v_add_f64 v[52:53], v[56:57], v[33:34]
	v_add_f64 v[37:38], v[58:59], -v[37:38]
	v_add_f64 v[39:40], v[39:40], -v[54:55]
	v_ldexp_f64 v[54:55], v[58:59], -2
	v_add_f64 v[60:61], v[52:53], -v[56:57]
	v_add_f64 v[37:38], v[50:51], -v[37:38]
	v_add_f64 v[35:36], v[35:36], v[39:40]
	v_fract_f64_e32 v[39:40], v[54:55]
	v_cmp_neq_f64_e64 vcc, |v[54:55]|, s[28:29]
	v_add_f64 v[33:34], v[33:34], -v[60:61]
	v_add_f64 v[50:51], v[52:53], v[35:36]
	v_ldexp_f64 v[39:40], v[39:40], 2
	v_add_f64 v[54:55], v[37:38], v[50:51]
	v_cndmask_b32_e32 v40, 0, v40, vcc
	v_cndmask_b32_e32 v39, 0, v39, vcc
	v_add_f64 v[62:63], v[50:51], -v[52:53]
	v_add_f64 v[58:59], v[54:55], v[39:40]
	v_add_f64 v[31:32], v[54:55], -v[37:38]
	v_add_f64 v[64:65], v[50:51], -v[62:63]
	;; [unrolled: 1-line block ×3, first 2 shown]
	v_cmp_gt_f64_e32 vcc, 0, v[58:59]
	v_add_f64 v[58:59], v[52:53], -v[60:61]
	v_add_f64 v[31:32], v[50:51], -v[31:32]
	;; [unrolled: 1-line block ×3, first 2 shown]
	v_cndmask_b32_e32 v22, 0, v43, vcc
	v_add_f64 v[39:40], v[39:40], v[21:22]
	v_add_f64 v[58:59], v[56:57], -v[58:59]
	v_add_f64 v[35:36], v[35:36], v[52:53]
	v_add_f64 v[66:67], v[54:55], v[39:40]
	;; [unrolled: 1-line block ×3, first 2 shown]
	v_cvt_i32_f64_e32 v62, v[66:67]
	v_add_f64 v[33:34], v[33:34], v[35:36]
	v_cvt_f64_i32_e32 v[60:61], v62
	v_add_f64 v[39:40], v[39:40], -v[60:61]
	v_add_f64 v[29:30], v[29:30], v[33:34]
	v_add_f64 v[35:36], v[54:55], v[39:40]
	;; [unrolled: 1-line block ×3, first 2 shown]
	v_add_f64 v[33:34], v[35:36], -v[39:40]
	v_cmp_le_f64_e32 vcc, 0.5, v[35:36]
	v_add_f64 v[31:32], v[54:55], -v[33:34]
	v_cndmask_b32_e32 v22, 0, v44, vcc
	v_add_f64 v[29:30], v[29:30], v[31:32]
	v_add_f64 v[31:32], v[35:36], -v[21:22]
	v_addc_co_u32_e32 v22, vcc, 0, v62, vcc
	v_add_f64 v[33:34], v[31:32], v[29:30]
	v_mul_f64 v[35:36], v[33:34], s[14:15]
	v_add_f64 v[31:32], v[33:34], -v[31:32]
	v_fma_f64 v[37:38], v[33:34], s[14:15], -v[35:36]
	v_add_f64 v[29:30], v[29:30], -v[31:32]
	v_fma_f64 v[31:32], v[33:34], s[36:37], v[37:38]
	v_fma_f64 v[29:30], v[29:30], s[14:15], v[31:32]
	v_add_f64 v[31:32], v[35:36], v[29:30]
	v_add_f64 v[33:34], v[31:32], -v[35:36]
	v_add_f64 v[39:40], v[29:30], -v[33:34]
	s_andn2_saveexec_b64 s[0:1], s[0:1]
	s_cbranch_execnz .LBB93_117
	s_branch .LBB93_118
.LBB93_116:                             ;   in Loop: Header=BB93_7 Depth=1
	s_andn2_saveexec_b64 s[0:1], s[0:1]
	s_cbranch_execz .LBB93_118
.LBB93_117:                             ;   in Loop: Header=BB93_7 Depth=1
	v_mul_f64 v[29:30], |v[9:10]|, s[16:17]
	s_mov_b32 s18, s34
	v_rndne_f64_e32 v[29:30], v[29:30]
	v_fma_f64 v[31:32], v[29:30], s[30:31], |v[9:10]|
	v_mul_f64 v[33:34], v[29:30], s[34:35]
	v_cvt_i32_f64_e32 v22, v[29:30]
	v_fma_f64 v[39:40], v[29:30], s[34:35], v[31:32]
	v_add_f64 v[35:36], v[31:32], v[33:34]
	v_add_f64 v[37:38], v[31:32], -v[35:36]
	v_add_f64 v[35:36], v[35:36], -v[39:40]
	v_add_f64 v[31:32], v[37:38], v[33:34]
	v_fma_f64 v[33:34], v[29:30], s[18:19], v[33:34]
	v_add_f64 v[31:32], v[35:36], v[31:32]
	v_add_f64 v[31:32], v[31:32], -v[33:34]
	v_fma_f64 v[33:34], v[29:30], s[20:21], v[31:32]
	v_add_f64 v[31:32], v[39:40], v[33:34]
	v_add_f64 v[35:36], v[31:32], -v[39:40]
	v_add_f64 v[39:40], v[33:34], -v[35:36]
.LBB93_118:                             ;   in Loop: Header=BB93_7 Depth=1
	s_or_b64 exec, exec, s[0:1]
	v_mul_f64 v[29:30], v[11:12], v[11:12]
	v_mul_f64 v[33:34], v[31:32], v[31:32]
	v_mov_b32_e32 v35, s86
	v_mov_b32_e32 v36, s87
	;; [unrolled: 1-line block ×4, first 2 shown]
	v_mul_f64 v[60:61], v[17:18], 0.5
	v_mul_f64 v[68:69], v[39:40], 0.5
	v_fma_f64 v[37:38], v[29:30], s[88:89], v[35:36]
	v_fma_f64 v[35:36], v[33:34], s[88:89], v[35:36]
	;; [unrolled: 1-line block ×3, first 2 shown]
	v_mul_f64 v[54:55], v[29:30], 0.5
	v_fma_f64 v[50:51], v[33:34], s[78:79], v[50:51]
	v_mul_f64 v[56:57], v[33:34], 0.5
	v_mul_f64 v[62:63], v[11:12], -v[29:30]
	v_mul_f64 v[70:71], v[31:32], -v[33:34]
	v_fma_f64 v[37:38], v[29:30], v[37:38], s[90:91]
	v_fma_f64 v[35:36], v[33:34], v[35:36], s[90:91]
	;; [unrolled: 1-line block ×3, first 2 shown]
	v_add_f64 v[58:59], -v[54:55], 1.0
	v_fma_f64 v[50:51], v[33:34], v[50:51], s[80:81]
	v_add_f64 v[64:65], -v[56:57], 1.0
	s_mov_b32 s46, s56
	v_cmp_class_f64_e64 s[0:1], v[9:10], s65
	v_fma_f64 v[37:38], v[29:30], v[37:38], s[92:93]
	v_fma_f64 v[35:36], v[33:34], v[35:36], s[92:93]
	v_fma_f64 v[52:53], v[29:30], v[52:53], s[82:83]
	v_add_f64 v[66:67], -v[58:59], 1.0
	v_fma_f64 v[50:51], v[33:34], v[50:51], s[82:83]
	v_add_f64 v[72:73], -v[64:65], 1.0
	v_fma_f64 v[37:38], v[29:30], v[37:38], s[44:45]
	v_fma_f64 v[35:36], v[33:34], v[35:36], s[44:45]
	;; [unrolled: 1-line block ×3, first 2 shown]
	v_add_f64 v[54:55], v[66:67], -v[54:55]
	v_fma_f64 v[50:51], v[33:34], v[50:51], s[84:85]
	v_add_f64 v[56:57], v[72:73], -v[56:57]
	v_fma_f64 v[37:38], v[62:63], v[37:38], v[60:61]
	v_fma_f64 v[35:36], v[70:71], v[35:36], v[68:69]
	v_mul_f64 v[60:61], v[29:30], v[29:30]
	v_fma_f64 v[52:53], v[29:30], v[52:53], s[56:57]
	v_fma_f64 v[54:55], v[11:12], -v[17:18], v[54:55]
	v_fma_f64 v[17:18], v[29:30], v[37:38], -v[17:18]
	v_fma_f64 v[35:36], v[33:34], v[35:36], -v[39:40]
	v_mul_f64 v[29:30], v[33:34], v[33:34]
	v_fma_f64 v[33:34], v[33:34], v[50:51], s[56:57]
	v_fma_f64 v[37:38], v[31:32], -v[39:40], v[56:57]
	v_fma_f64 v[39:40], v[60:61], v[52:53], v[54:55]
	v_and_b32_e32 v50, 1, v49
	v_lshlrev_b32_e32 v49, 30, v49
	v_fma_f64 v[17:18], v[62:63], s[46:47], v[17:18]
	v_fma_f64 v[35:36], v[70:71], s[46:47], v[35:36]
	v_cmp_eq_u32_e32 vcc, 0, v50
	v_fma_f64 v[29:30], v[29:30], v[33:34], v[37:38]
	v_add_f64 v[33:34], v[58:59], v[39:40]
	v_and_b32_e32 v37, 1, v22
	v_lshlrev_b32_e32 v22, 30, v22
	v_add_f64 v[11:12], v[11:12], -v[17:18]
	v_add_f64 v[17:18], v[31:32], -v[35:36]
	v_xor_b32_e32 v38, v49, v10
	v_and_b32_e32 v22, 0x80000000, v22
	v_add_f64 v[29:30], v[64:65], v[29:30]
	v_and_b32_e32 v31, 0x80000000, v38
	v_cndmask_b32_e32 v11, v33, v11, vcc
	v_cndmask_b32_e32 v9, v34, v12, vcc
	v_xor_b32_e32 v10, 0x80000000, v18
	v_cmp_eq_u32_e32 vcc, 0, v37
	v_cndmask_b32_e32 v10, v10, v30, vcc
	v_cndmask_b32_e32 v12, v17, v29, vcc
	v_xor_b32_e32 v17, v9, v31
	v_xor_b32_e32 v18, v10, v22
	v_cndmask_b32_e64 v9, 0, v11, s[0:1]
	v_cndmask_b32_e64 v10, v48, v17, s[0:1]
	;; [unrolled: 1-line block ×4, first 2 shown]
	v_mul_f64 v[9:10], v[9:10], v[11:12]
.LBB93_119:                             ;   in Loop: Header=BB93_7 Depth=1
	s_or_b64 exec, exec, s[58:59]
	v_bfi_b32 v22, s54, 0, v10
	v_mov_b32_e32 v17, v21
	v_add_u32_e32 v20, -2.0, v20
	v_mov_b32_e32 v18, v22
.LBB93_120:                             ;   in Loop: Header=BB93_7 Depth=1
	s_or_b64 exec, exec, s[52:53]
.LBB93_121:                             ;   in Loop: Header=BB93_7 Depth=1
	s_or_b64 exec, exec, s[48:49]
	v_xor_b32_e32 v12, 0x80000000, v4
	v_and_b32_e32 v22, 0x7fffffff, v12
	v_mov_b32_e32 v11, v3
	v_cmp_gt_u32_e32 vcc, s64, v22
	s_and_saveexec_b64 s[0:1], vcc
	s_xor_b64 s[48:49], exec, s[0:1]
	s_cbranch_execz .LBB93_143
; %bb.122:                              ;   in Loop: Header=BB93_7 Depth=1
	v_cmp_class_f64_e64 s[0:1], v[1:2], s65
                                        ; implicit-def: $vgpr9_vgpr10
	s_and_saveexec_b64 s[52:53], s[0:1]
	s_xor_b64 s[52:53], exec, s[52:53]
	s_cbranch_execz .LBB93_140
; %bb.123:                              ;   in Loop: Header=BB93_7 Depth=1
	v_cmp_gt_u32_e32 vcc, s66, v22
                                        ; implicit-def: $vgpr9_vgpr10
	s_and_saveexec_b64 s[0:1], vcc
	s_xor_b64 s[58:59], exec, s[0:1]
	s_cbranch_execz .LBB93_129
; %bb.124:                              ;   in Loop: Header=BB93_7 Depth=1
	v_cmp_nlt_f64_e64 s[0:1], |v[1:2]|, s[24:25]
                                        ; implicit-def: $vgpr22
                                        ; implicit-def: $vgpr9_vgpr10
                                        ; implicit-def: $vgpr11_vgpr12
	s_and_saveexec_b64 s[60:61], s[0:1]
	s_xor_b64 s[0:1], exec, s[60:61]
	s_cbranch_execz .LBB93_126
; %bb.125:                              ;   in Loop: Header=BB93_7 Depth=1
	v_trig_preop_f64 v[9:10], |v[1:2]|, 0
	v_ldexp_f64 v[11:12], |v[1:2]|, s67
	v_cmp_ge_f64_e64 vcc, |v[1:2]|, s[26:27]
	v_trig_preop_f64 v[29:30], |v[1:2]|, 1
	v_and_b32_e32 v22, 0x7fffffff, v2
	v_trig_preop_f64 v[37:38], |v[1:2]|, 2
	s_mov_b32 s14, s30
	s_mov_b32 s37, s19
	v_cndmask_b32_e32 v12, v22, v12, vcc
	v_cndmask_b32_e32 v11, v1, v11, vcc
	v_mul_f64 v[31:32], v[9:10], v[11:12]
	v_mul_f64 v[33:34], v[29:30], v[11:12]
	;; [unrolled: 1-line block ×3, first 2 shown]
	v_fma_f64 v[9:10], v[9:10], v[11:12], -v[31:32]
	v_fma_f64 v[29:30], v[29:30], v[11:12], -v[33:34]
	;; [unrolled: 1-line block ×3, first 2 shown]
	v_add_f64 v[35:36], v[33:34], v[9:10]
	v_add_f64 v[39:40], v[35:36], -v[33:34]
	v_add_f64 v[53:54], v[31:32], v[35:36]
	v_add_f64 v[49:50], v[35:36], -v[39:40]
	v_add_f64 v[9:10], v[9:10], -v[39:40]
	v_add_f64 v[39:40], v[51:52], v[29:30]
	v_add_f64 v[31:32], v[53:54], -v[31:32]
	v_add_f64 v[33:34], v[33:34], -v[49:50]
	v_ldexp_f64 v[49:50], v[53:54], -2
	v_add_f64 v[55:56], v[39:40], -v[51:52]
	v_add_f64 v[31:32], v[35:36], -v[31:32]
	v_add_f64 v[9:10], v[9:10], v[33:34]
	v_fract_f64_e32 v[33:34], v[49:50]
	v_cmp_neq_f64_e64 vcc, |v[49:50]|, s[28:29]
	v_add_f64 v[29:30], v[29:30], -v[55:56]
	v_add_f64 v[35:36], v[39:40], v[9:10]
	v_ldexp_f64 v[33:34], v[33:34], 2
	v_add_f64 v[49:50], v[31:32], v[35:36]
	v_cndmask_b32_e32 v34, 0, v34, vcc
	v_cndmask_b32_e32 v33, 0, v33, vcc
	v_add_f64 v[57:58], v[35:36], -v[39:40]
	v_add_f64 v[53:54], v[49:50], v[33:34]
	v_add_f64 v[31:32], v[49:50], -v[31:32]
	v_add_f64 v[59:60], v[35:36], -v[57:58]
	;; [unrolled: 1-line block ×3, first 2 shown]
	v_cmp_gt_f64_e32 vcc, 0, v[53:54]
	v_add_f64 v[53:54], v[39:40], -v[55:56]
	v_add_f64 v[31:32], v[35:36], -v[31:32]
	;; [unrolled: 1-line block ×3, first 2 shown]
	v_cndmask_b32_e32 v22, 0, v43, vcc
	v_add_f64 v[33:34], v[33:34], v[21:22]
	v_add_f64 v[53:54], v[51:52], -v[53:54]
	v_add_f64 v[9:10], v[9:10], v[39:40]
	v_add_f64 v[61:62], v[49:50], v[33:34]
	v_add_f64 v[29:30], v[29:30], v[53:54]
	v_cvt_i32_f64_e32 v57, v[61:62]
	v_add_f64 v[9:10], v[29:30], v[9:10]
	v_cvt_f64_i32_e32 v[55:56], v57
	v_add_f64 v[33:34], v[33:34], -v[55:56]
	v_add_f64 v[9:10], v[11:12], v[9:10]
	v_add_f64 v[29:30], v[49:50], v[33:34]
	;; [unrolled: 1-line block ×3, first 2 shown]
	v_add_f64 v[11:12], v[29:30], -v[33:34]
	v_cmp_le_f64_e32 vcc, 0.5, v[29:30]
	v_add_f64 v[11:12], v[49:50], -v[11:12]
	v_cndmask_b32_e32 v22, 0, v44, vcc
	v_add_f64 v[9:10], v[9:10], v[11:12]
	v_add_f64 v[11:12], v[29:30], -v[21:22]
	v_addc_co_u32_e32 v22, vcc, 0, v57, vcc
	v_add_f64 v[29:30], v[11:12], v[9:10]
	v_mul_f64 v[31:32], v[29:30], s[14:15]
	v_add_f64 v[11:12], v[29:30], -v[11:12]
	v_fma_f64 v[33:34], v[29:30], s[14:15], -v[31:32]
	v_add_f64 v[9:10], v[9:10], -v[11:12]
	v_fma_f64 v[11:12], v[29:30], s[36:37], v[33:34]
	v_fma_f64 v[11:12], v[9:10], s[14:15], v[11:12]
	v_add_f64 v[9:10], v[31:32], v[11:12]
	v_add_f64 v[29:30], v[9:10], -v[31:32]
	v_add_f64 v[11:12], v[11:12], -v[29:30]
.LBB93_126:                             ;   in Loop: Header=BB93_7 Depth=1
	s_andn2_saveexec_b64 s[0:1], s[0:1]
	s_cbranch_execz .LBB93_128
; %bb.127:                              ;   in Loop: Header=BB93_7 Depth=1
	v_mul_f64 v[9:10], |v[1:2]|, s[16:17]
	s_mov_b32 s18, s34
	v_rndne_f64_e32 v[29:30], v[9:10]
	v_fma_f64 v[9:10], v[29:30], s[30:31], |v[1:2]|
	v_mul_f64 v[11:12], v[29:30], s[34:35]
	v_cvt_i32_f64_e32 v22, v[29:30]
	v_fma_f64 v[35:36], v[29:30], s[34:35], v[9:10]
	v_add_f64 v[31:32], v[9:10], v[11:12]
	v_add_f64 v[33:34], v[9:10], -v[31:32]
	v_add_f64 v[31:32], v[31:32], -v[35:36]
	v_add_f64 v[9:10], v[33:34], v[11:12]
	v_fma_f64 v[11:12], v[29:30], s[18:19], v[11:12]
	v_add_f64 v[9:10], v[31:32], v[9:10]
	v_add_f64 v[9:10], v[9:10], -v[11:12]
	v_fma_f64 v[11:12], v[29:30], s[20:21], v[9:10]
	v_add_f64 v[9:10], v[35:36], v[11:12]
	v_add_f64 v[31:32], v[9:10], -v[35:36]
	v_add_f64 v[11:12], v[11:12], -v[31:32]
.LBB93_128:                             ;   in Loop: Header=BB93_7 Depth=1
	s_or_b64 exec, exec, s[0:1]
	v_add_f64 v[29:30], |v[3:4]|, s[42:43]
	s_mov_b32 s50, s42
	s_mov_b32 s0, 0x3b39803f
	s_mov_b32 s1, 0xbc7abc9e
	s_mov_b32 s8, s40
	s_mov_b32 s39, s43
	s_mov_b32 s95, s45
	s_mov_b32 s69, s57
	v_add_f64 v[31:32], v[29:30], -|v[3:4]|
	v_and_b32_e32 v22, 1, v22
	v_add_f64 v[33:34], v[31:32], -v[29:30]
	v_add_f64 v[31:32], v[31:32], s[50:51]
	v_add_f64 v[33:34], |v[3:4]|, v[33:34]
	v_add_f64 v[31:32], v[33:34], -v[31:32]
	v_add_f64 v[31:32], v[31:32], s[0:1]
	s_mov_b32 s0, 0xf278e000
	s_mov_b32 s1, 0xbd53de6a
	v_add_f64 v[33:34], v[29:30], v[31:32]
	v_mul_f64 v[35:36], v[33:34], s[8:9]
	v_add_f64 v[29:30], v[29:30], -v[33:34]
	v_rndne_f64_e32 v[35:36], v[35:36]
	v_add_f64 v[29:30], v[31:32], v[29:30]
	v_fma_f64 v[31:32], v[35:36], s[38:39], v[33:34]
	v_mul_f64 v[33:34], v[35:36], s[0:1]
	s_mov_b32 s0, 0xf97b57a0
	s_mov_b32 s1, 0xbac9cc01
	v_cvt_i32_f64_e32 v1, v[35:36]
	v_add_f64 v[37:38], v[29:30], v[31:32]
	v_add_f64 v[39:40], v[37:38], v[33:34]
	v_add_f64 v[31:32], v[31:32], -v[37:38]
	v_add_f64 v[37:38], v[37:38], -v[39:40]
	v_add_f64 v[29:30], v[29:30], v[31:32]
	v_add_f64 v[31:32], v[37:38], v[33:34]
	;; [unrolled: 1-line block ×3, first 2 shown]
	v_mul_f64 v[31:32], v[35:36], s[0:1]
	s_mov_b32 s0, 0x6a5dcb37
	s_mov_b32 s1, 0x3e5ade15
	v_add_f64 v[33:34], v[39:40], v[29:30]
	v_add_f64 v[37:38], v[33:34], v[31:32]
	v_add_f64 v[39:40], v[39:40], -v[33:34]
	v_add_f64 v[33:34], v[33:34], -v[37:38]
	v_add_f64 v[29:30], v[29:30], v[39:40]
	v_add_f64 v[31:32], v[33:34], v[31:32]
	;; [unrolled: 1-line block ×4, first 2 shown]
	v_fma_f64 v[33:34], v[31:32], s[0:1], v[25:26]
	s_mov_b32 s0, 0x623fde64
	s_mov_b32 s1, 0x3ec71dee
	v_add_f64 v[37:38], v[37:38], -v[31:32]
	v_mul_f64 v[39:40], v[31:32], v[31:32]
	v_fma_f64 v[33:34], v[31:32], v[33:34], s[0:1]
	s_mov_b32 s0, 0x7c89e6b0
	s_mov_b32 s1, 0x3efa0199
	v_add_f64 v[29:30], v[29:30], v[37:38]
	v_fma_f64 v[37:38], v[31:32], v[31:32], -v[39:40]
	v_fma_f64 v[33:34], v[31:32], v[33:34], s[0:1]
	s_mov_b32 s0, 0x14761f6e
	s_mov_b32 s1, 0x3f2a01a0
	v_add_f64 v[49:50], v[29:30], v[29:30]
	v_fma_f64 v[33:34], v[31:32], v[33:34], s[0:1]
	s_mov_b32 s0, 0x1852b7b0
	s_mov_b32 s1, 0x3f56c16c
	v_fma_f64 v[37:38], v[31:32], v[49:50], v[37:38]
	v_fma_f64 v[33:34], v[31:32], v[33:34], s[0:1]
	s_mov_b32 s0, 0x55555511
	s_mov_b32 s1, 0x3fc55555
	v_add_f64 v[49:50], v[39:40], v[37:38]
	v_fma_f64 v[33:34], v[31:32], v[33:34], s[94:95]
	v_add_f64 v[39:40], v[49:50], -v[39:40]
	v_fma_f64 v[33:34], v[31:32], v[33:34], s[68:69]
	v_add_f64 v[37:38], v[37:38], -v[39:40]
	v_fma_f64 v[33:34], v[31:32], v[33:34], s[0:1]
	s_mov_b32 s0, 0xc751c08c
	s_mov_b32 s1, 0x3ef5e089
	v_fma_f64 v[33:34], v[31:32], v[33:34], s[72:73]
	v_mul_f64 v[51:52], v[49:50], v[33:34]
	v_fma_f64 v[39:40], v[49:50], v[33:34], -v[51:52]
	v_fma_f64 v[33:34], v[37:38], v[33:34], v[39:40]
	v_add_f64 v[37:38], v[51:52], v[33:34]
	v_add_f64 v[39:40], v[31:32], v[37:38]
	v_add_f64 v[49:50], v[37:38], -v[51:52]
	v_add_f64 v[31:32], v[39:40], -v[31:32]
	;; [unrolled: 1-line block ×3, first 2 shown]
	v_add_f64 v[49:50], v[11:12], v[11:12]
	v_add_f64 v[31:32], v[37:38], -v[31:32]
	v_add_f64 v[29:30], v[29:30], v[33:34]
	v_add_f64 v[29:30], v[29:30], v[31:32]
	;; [unrolled: 1-line block ×3, first 2 shown]
	v_add_f64 v[33:34], v[31:32], 1.0
	v_add_f64 v[37:38], v[31:32], -v[39:40]
	v_add_f64 v[39:40], v[33:34], -1.0
	v_add_f64 v[29:30], v[29:30], -v[37:38]
	v_add_f64 v[31:32], v[31:32], -v[39:40]
	v_add_f64 v[29:30], v[29:30], v[31:32]
	v_add_f64 v[31:32], v[33:34], v[29:30]
	v_ldexp_f64 v[35:36], v[31:32], v1
	v_add_f64 v[31:32], v[31:32], -v[33:34]
	v_rcp_f64_e32 v[37:38], v[35:36]
	v_add_f64 v[29:30], v[29:30], -v[31:32]
	v_ldexp_f64 v[29:30], v[29:30], v1
	v_fma_f64 v[39:40], -v[35:36], v[37:38], 1.0
	v_fma_f64 v[37:38], v[39:40], v[37:38], v[37:38]
	v_fma_f64 v[39:40], -v[35:36], v[37:38], 1.0
	v_fma_f64 v[33:34], v[39:40], v[37:38], v[37:38]
	v_mul_f64 v[37:38], v[9:10], v[9:10]
	v_mul_f64 v[31:32], v[35:36], v[33:34]
	v_fma_f64 v[51:52], v[9:10], v[9:10], -v[37:38]
	v_fma_f64 v[39:40], v[33:34], v[35:36], -v[31:32]
	v_fma_f64 v[49:50], v[9:10], v[49:50], v[51:52]
	v_fma_f64 v[39:40], v[33:34], v[29:30], v[39:40]
	v_add_f64 v[37:38], v[37:38], v[49:50]
	v_add_f64 v[51:52], v[31:32], v[39:40]
	v_fma_f64 v[53:54], v[37:38], s[0:1], v[23:24]
	s_mov_b32 s0, 0x90a8aae0
	s_mov_b32 s1, 0x3f17746f
	v_add_f64 v[49:50], -v[51:52], 1.0
	v_add_f64 v[31:32], v[51:52], -v[31:32]
	v_fma_f64 v[53:54], v[37:38], v[53:54], s[0:1]
	s_mov_b32 s0, 0xa6fbf144
	s_mov_b32 s1, 0xbefbb44d
	v_add_f64 v[55:56], -v[49:50], 1.0
	v_add_f64 v[31:32], v[31:32], -v[39:40]
	v_add_f64 v[39:40], v[55:56], -v[51:52]
	v_fma_f64 v[51:52], v[37:38], v[53:54], s[0:1]
	s_mov_b32 s0, 0xa7943acf
	s_mov_b32 s1, 0x3f21e634
	v_add_f64 v[31:32], v[31:32], v[39:40]
	v_fma_f64 v[39:40], v[37:38], v[51:52], s[0:1]
	s_mov_b32 s0, 0xdeb68feb
	s_mov_b32 s1, 0x3f2d250f
	v_add_f64 v[51:52], v[49:50], v[31:32]
	v_fma_f64 v[39:40], v[37:38], v[39:40], s[0:1]
	s_mov_b32 s0, 0xb58c4d95
	s_mov_b32 s1, 0x3f437fd9
	v_mul_f64 v[53:54], v[33:34], v[51:52]
	v_fma_f64 v[39:40], v[37:38], v[39:40], s[0:1]
	s_mov_b32 s0, 0x15120e2c
	s_mov_b32 s1, 0x3f57d5af
	v_add_f64 v[49:50], v[49:50], -v[51:52]
	v_mul_f64 v[55:56], v[35:36], v[53:54]
	v_fma_f64 v[39:40], v[37:38], v[39:40], s[0:1]
	s_mov_b32 s0, 0xe09491df
	s_mov_b32 s1, 0x3f6d6d93
	v_add_f64 v[31:32], v[31:32], v[49:50]
	v_fma_f64 v[57:58], v[53:54], v[35:36], -v[55:56]
	v_fma_f64 v[39:40], v[37:38], v[39:40], s[0:1]
	s_mov_b32 s0, 0x2033784d
	s_mov_b32 s1, 0x3f8226e1
	v_fma_f64 v[57:58], v[53:54], v[29:30], v[57:58]
	v_fma_f64 v[39:40], v[37:38], v[39:40], s[0:1]
	s_mov_b32 s0, 0x9ac36ae2
	s_mov_b32 s1, 0x3f9664f4
	v_add_f64 v[59:60], v[55:56], v[57:58]
	v_fma_f64 v[39:40], v[37:38], v[39:40], s[0:1]
	s_mov_b32 s0, 0x1b451c21
	s_mov_b32 s1, 0x3faba1ba
	v_add_f64 v[61:62], v[51:52], -v[59:60]
	v_fma_f64 v[39:40], v[37:38], v[39:40], s[0:1]
	s_mov_b32 s0, 0x111185b7
	s_mov_b32 s1, 0x3fc11111
	v_add_f64 v[49:50], v[59:60], -v[55:56]
	v_add_f64 v[51:52], v[51:52], -v[61:62]
	v_fma_f64 v[39:40], v[37:38], v[39:40], s[0:1]
	s_mov_b32 s0, 0x555554ee
	s_mov_b32 s1, 0x3fd55555
	v_add_f64 v[49:50], v[49:50], -v[57:58]
	v_add_f64 v[51:52], v[51:52], -v[59:60]
	v_fma_f64 v[39:40], v[37:38], v[39:40], s[0:1]
	s_mov_b32 s0, 0x8fb9f87e
	s_mov_b32 s1, 0x408633ce
	v_cmp_nge_f64_e64 vcc, |v[3:4]|, s[0:1]
	s_mov_b32 s0, 0
	s_mov_b32 s1, 0x3e400000
	v_add_f64 v[31:32], v[31:32], v[51:52]
	v_mul_f64 v[37:38], v[37:38], v[39:40]
	v_add_f64 v[39:40], v[33:34], v[53:54]
	v_add_f64 v[31:32], v[49:50], v[31:32]
	v_mul_f64 v[49:50], v[9:10], v[37:38]
	v_add_f64 v[51:52], v[39:40], -v[33:34]
	v_add_f64 v[31:32], v[61:62], v[31:32]
	v_add_f64 v[55:56], v[9:10], v[49:50]
	v_add_f64 v[51:52], v[53:54], -v[51:52]
	v_mul_f64 v[31:32], v[33:34], v[31:32]
	v_fma_f64 v[33:34], v[9:10], v[37:38], -v[49:50]
	v_add_f64 v[9:10], v[55:56], -v[9:10]
	v_add_f64 v[31:32], v[51:52], v[31:32]
	v_add_f64 v[11:12], v[11:12], v[33:34]
	v_add_f64 v[9:10], v[49:50], -v[9:10]
	v_add_f64 v[33:34], v[39:40], v[31:32]
	v_add_f64 v[9:10], v[11:12], v[9:10]
	v_ldexp_f64 v[11:12], v[33:34], -2
	v_add_f64 v[33:34], v[33:34], -v[39:40]
	v_add_f64 v[37:38], v[55:56], v[9:10]
	v_add_f64 v[49:50], v[35:36], -v[11:12]
	v_add_f64 v[31:32], v[31:32], -v[33:34]
	v_rcp_f64_e32 v[51:52], v[37:38]
	v_add_f64 v[35:36], v[35:36], -v[49:50]
	v_ldexp_f64 v[31:32], v[31:32], -2
	v_add_f64 v[11:12], v[35:36], -v[11:12]
	v_fma_f64 v[33:34], -v[37:38], v[51:52], 1.0
	v_add_f64 v[11:12], v[29:30], v[11:12]
	v_fma_f64 v[29:30], v[33:34], v[51:52], v[51:52]
	v_and_b32_e32 v34, 0x7fffffff, v4
	v_add_f64 v[11:12], v[11:12], -v[31:32]
	v_fma_f64 v[31:32], -v[37:38], v[29:30], 1.0
	v_add_f64 v[11:12], v[49:50], v[11:12]
	v_fma_f64 v[29:30], v[31:32], v[29:30], v[29:30]
	v_cndmask_b32_e32 v1, v45, v12, vcc
	v_cndmask_b32_e32 v33, 0, v11, vcc
	v_cmp_lt_f64_e64 vcc, |v[3:4]|, s[0:1]
	v_xor_b32_e32 v4, 0x80000000, v4
	s_mov_b32 s0, 0
	v_add_f64 v[11:12], v[37:38], -v[55:56]
	v_mul_f64 v[31:32], v[37:38], v[29:30]
	s_brev_b32 s1, 8
	v_cndmask_b32_e32 v1, v1, v34, vcc
	v_cndmask_b32_e32 v3, v33, v3, vcc
	v_bfi_b32 v4, s54, v1, v4
	v_fma_f64 v[33:34], v[3:4], v[3:4], 1.0
	v_add_f64 v[9:10], v[9:10], -v[11:12]
	v_fma_f64 v[11:12], v[29:30], v[37:38], -v[31:32]
	v_cmp_gt_f64_e32 vcc, s[0:1], v[33:34]
	v_cmp_eq_u32_e64 s[0:1], 0, v22
	v_fma_f64 v[9:10], v[29:30], v[9:10], v[11:12]
	v_cndmask_b32_e32 v1, 0, v46, vcc
	v_ldexp_f64 v[33:34], v[33:34], v1
	v_add_f64 v[35:36], v[31:32], v[9:10]
	v_cndmask_b32_e32 v22, 0, v47, vcc
	v_rsq_f64_e32 v[11:12], v[33:34]
	v_add_f64 v[39:40], -v[35:36], 1.0
	v_add_f64 v[31:32], v[35:36], -v[31:32]
	v_cmp_class_f64_e32 vcc, v[33:34], v42
	v_add_f64 v[51:52], -v[39:40], 1.0
	v_add_f64 v[9:10], v[31:32], -v[9:10]
	v_mul_f64 v[49:50], v[33:34], v[11:12]
	v_mul_f64 v[11:12], v[11:12], 0.5
	v_add_f64 v[35:36], v[51:52], -v[35:36]
	v_fma_f64 v[31:32], -v[11:12], v[49:50], 0.5
	v_add_f64 v[9:10], v[9:10], v[35:36]
	v_fma_f64 v[49:50], v[49:50], v[31:32], v[49:50]
	v_fma_f64 v[11:12], v[11:12], v[31:32], v[11:12]
	v_add_f64 v[9:10], v[39:40], v[9:10]
	v_fma_f64 v[31:32], -v[49:50], v[49:50], v[33:34]
	v_mul_f64 v[9:10], v[29:30], v[9:10]
	v_fma_f64 v[31:32], v[31:32], v[11:12], v[49:50]
	v_add_f64 v[9:10], v[29:30], v[9:10]
	v_and_b32_e32 v29, 0x80000000, v2
	v_fma_f64 v[35:36], -v[31:32], v[31:32], v[33:34]
	v_xor_b32_e32 v10, 0x80000000, v10
	v_cndmask_b32_e64 v10, v10, v38, s[0:1]
	v_cndmask_b32_e64 v9, v9, v37, s[0:1]
	v_xor_b32_e32 v10, v10, v29
	v_fma_f64 v[1:2], v[35:36], v[11:12], v[31:32]
	v_fma_f64 v[11:12], v[9:10], v[9:10], 1.0
	v_ldexp_f64 v[1:2], v[1:2], v22
	v_mul_f64 v[29:30], v[3:4], v[11:12]
	v_cndmask_b32_e32 v2, v2, v34, vcc
	v_cndmask_b32_e32 v1, v1, v33, vcc
	v_mul_f64 v[1:2], v[1:2], v[11:12]
	v_fma_f64 v[29:30], v[3:4], v[29:30], 1.0
	v_mul_f64 v[1:2], v[3:4], v[1:2]
	v_div_scale_f64 v[11:12], s[0:1], v[29:30], v[29:30], v[9:10]
	v_div_scale_f64 v[3:4], s[0:1], v[29:30], v[29:30], v[1:2]
	;; [unrolled: 1-line block ×3, first 2 shown]
	v_rcp_f64_e32 v[33:34], v[11:12]
	v_rcp_f64_e32 v[31:32], v[3:4]
	v_fma_f64 v[37:38], -v[11:12], v[33:34], 1.0
	v_fma_f64 v[35:36], -v[3:4], v[31:32], 1.0
	v_fma_f64 v[33:34], v[33:34], v[37:38], v[33:34]
	v_fma_f64 v[31:32], v[31:32], v[35:36], v[31:32]
	v_div_scale_f64 v[35:36], vcc, v[1:2], v[29:30], v[1:2]
	v_fma_f64 v[49:50], -v[11:12], v[33:34], 1.0
	v_fma_f64 v[37:38], -v[3:4], v[31:32], 1.0
	v_fma_f64 v[33:34], v[33:34], v[49:50], v[33:34]
	v_fma_f64 v[31:32], v[31:32], v[37:38], v[31:32]
	v_mul_f64 v[49:50], v[39:40], v[33:34]
	v_mul_f64 v[37:38], v[35:36], v[31:32]
	v_fma_f64 v[11:12], -v[11:12], v[49:50], v[39:40]
	v_fma_f64 v[3:4], -v[3:4], v[37:38], v[35:36]
	v_div_fmas_f64 v[3:4], v[3:4], v[31:32], v[37:38]
	s_mov_b64 vcc, s[0:1]
	v_div_fmas_f64 v[31:32], v[11:12], v[33:34], v[49:50]
	v_div_fixup_f64 v[11:12], v[3:4], v[29:30], v[1:2]
                                        ; implicit-def: $vgpr1_vgpr2
	v_div_fixup_f64 v[9:10], v[31:32], v[29:30], v[9:10]
.LBB93_129:                             ;   in Loop: Header=BB93_7 Depth=1
	s_andn2_saveexec_b64 s[0:1], s[58:59]
	s_cbranch_execz .LBB93_139
; %bb.130:                              ;   in Loop: Header=BB93_7 Depth=1
	v_cmp_nlt_f64_e64 s[58:59], |v[1:2]|, s[24:25]
                                        ; implicit-def: $vgpr33
                                        ; implicit-def: $vgpr9_vgpr10
                                        ; implicit-def: $vgpr11_vgpr12
	s_and_saveexec_b64 s[60:61], s[58:59]
	s_xor_b64 s[60:61], exec, s[60:61]
	s_cbranch_execz .LBB93_132
; %bb.131:                              ;   in Loop: Header=BB93_7 Depth=1
	v_trig_preop_f64 v[9:10], |v[1:2]|, 0
	v_ldexp_f64 v[11:12], |v[1:2]|, s67
	v_cmp_ge_f64_e64 vcc, |v[1:2]|, s[26:27]
	v_trig_preop_f64 v[29:30], |v[1:2]|, 1
	v_and_b32_e32 v22, 0x7fffffff, v2
	v_trig_preop_f64 v[37:38], |v[1:2]|, 2
	s_mov_b32 s14, s30
	s_mov_b32 s37, s19
	v_cndmask_b32_e32 v12, v22, v12, vcc
	v_cndmask_b32_e32 v11, v1, v11, vcc
	v_mul_f64 v[31:32], v[9:10], v[11:12]
	v_mul_f64 v[33:34], v[29:30], v[11:12]
	;; [unrolled: 1-line block ×3, first 2 shown]
	v_fma_f64 v[9:10], v[9:10], v[11:12], -v[31:32]
	v_fma_f64 v[29:30], v[29:30], v[11:12], -v[33:34]
	;; [unrolled: 1-line block ×3, first 2 shown]
	v_add_f64 v[35:36], v[33:34], v[9:10]
	v_add_f64 v[39:40], v[35:36], -v[33:34]
	v_add_f64 v[53:54], v[31:32], v[35:36]
	v_add_f64 v[49:50], v[35:36], -v[39:40]
	v_add_f64 v[9:10], v[9:10], -v[39:40]
	v_add_f64 v[39:40], v[51:52], v[29:30]
	v_add_f64 v[31:32], v[53:54], -v[31:32]
	v_add_f64 v[33:34], v[33:34], -v[49:50]
	v_ldexp_f64 v[49:50], v[53:54], -2
	v_add_f64 v[55:56], v[39:40], -v[51:52]
	v_add_f64 v[31:32], v[35:36], -v[31:32]
	v_add_f64 v[9:10], v[9:10], v[33:34]
	v_fract_f64_e32 v[33:34], v[49:50]
	v_cmp_neq_f64_e64 vcc, |v[49:50]|, s[28:29]
	v_add_f64 v[29:30], v[29:30], -v[55:56]
	v_add_f64 v[35:36], v[39:40], v[9:10]
	v_ldexp_f64 v[33:34], v[33:34], 2
	v_add_f64 v[49:50], v[31:32], v[35:36]
	v_cndmask_b32_e32 v34, 0, v34, vcc
	v_cndmask_b32_e32 v33, 0, v33, vcc
	v_add_f64 v[57:58], v[35:36], -v[39:40]
	v_add_f64 v[53:54], v[49:50], v[33:34]
	v_add_f64 v[31:32], v[49:50], -v[31:32]
	v_add_f64 v[59:60], v[35:36], -v[57:58]
	;; [unrolled: 1-line block ×3, first 2 shown]
	v_cmp_gt_f64_e32 vcc, 0, v[53:54]
	v_add_f64 v[53:54], v[39:40], -v[55:56]
	v_add_f64 v[31:32], v[35:36], -v[31:32]
	;; [unrolled: 1-line block ×3, first 2 shown]
	v_cndmask_b32_e32 v22, 0, v43, vcc
	v_add_f64 v[33:34], v[33:34], v[21:22]
	v_add_f64 v[53:54], v[51:52], -v[53:54]
	v_add_f64 v[9:10], v[9:10], v[39:40]
	v_add_f64 v[61:62], v[49:50], v[33:34]
	;; [unrolled: 1-line block ×3, first 2 shown]
	v_cvt_i32_f64_e32 v57, v[61:62]
	v_add_f64 v[9:10], v[29:30], v[9:10]
	v_cvt_f64_i32_e32 v[55:56], v57
	v_add_f64 v[33:34], v[33:34], -v[55:56]
	v_add_f64 v[9:10], v[11:12], v[9:10]
	v_add_f64 v[29:30], v[49:50], v[33:34]
	;; [unrolled: 1-line block ×3, first 2 shown]
	v_add_f64 v[11:12], v[29:30], -v[33:34]
	v_cmp_le_f64_e32 vcc, 0.5, v[29:30]
	v_add_f64 v[11:12], v[49:50], -v[11:12]
	v_cndmask_b32_e32 v22, 0, v44, vcc
	v_add_f64 v[9:10], v[9:10], v[11:12]
	v_add_f64 v[11:12], v[29:30], -v[21:22]
	v_add_f64 v[29:30], v[11:12], v[9:10]
	v_mul_f64 v[31:32], v[29:30], s[14:15]
	v_add_f64 v[11:12], v[29:30], -v[11:12]
	v_fma_f64 v[33:34], v[29:30], s[14:15], -v[31:32]
	v_add_f64 v[9:10], v[9:10], -v[11:12]
	v_fma_f64 v[11:12], v[29:30], s[36:37], v[33:34]
	v_addc_co_u32_e32 v33, vcc, 0, v57, vcc
	v_fma_f64 v[11:12], v[9:10], s[14:15], v[11:12]
	v_add_f64 v[9:10], v[31:32], v[11:12]
	v_add_f64 v[29:30], v[9:10], -v[31:32]
	v_add_f64 v[11:12], v[11:12], -v[29:30]
	s_andn2_saveexec_b64 s[60:61], s[60:61]
	s_cbranch_execz .LBB93_134
	s_branch .LBB93_133
.LBB93_132:                             ;   in Loop: Header=BB93_7 Depth=1
	s_andn2_saveexec_b64 s[60:61], s[60:61]
	s_cbranch_execz .LBB93_134
.LBB93_133:                             ;   in Loop: Header=BB93_7 Depth=1
	v_mul_f64 v[9:10], |v[1:2]|, s[16:17]
	s_mov_b32 s18, s34
	v_rndne_f64_e32 v[29:30], v[9:10]
	v_fma_f64 v[9:10], v[29:30], s[30:31], |v[1:2]|
	v_mul_f64 v[11:12], v[29:30], s[34:35]
	v_fma_f64 v[35:36], v[29:30], s[34:35], v[9:10]
	v_add_f64 v[31:32], v[9:10], v[11:12]
	v_add_f64 v[33:34], v[9:10], -v[31:32]
	v_add_f64 v[31:32], v[31:32], -v[35:36]
	v_add_f64 v[9:10], v[33:34], v[11:12]
	v_fma_f64 v[11:12], v[29:30], s[18:19], v[11:12]
	v_cvt_i32_f64_e32 v33, v[29:30]
	v_add_f64 v[9:10], v[31:32], v[9:10]
	v_add_f64 v[9:10], v[9:10], -v[11:12]
	v_fma_f64 v[11:12], v[29:30], s[20:21], v[9:10]
	v_add_f64 v[9:10], v[35:36], v[11:12]
	v_add_f64 v[31:32], v[9:10], -v[35:36]
	v_add_f64 v[11:12], v[11:12], -v[31:32]
.LBB93_134:                             ;   in Loop: Header=BB93_7 Depth=1
	s_or_b64 exec, exec, s[60:61]
                                        ; implicit-def: $vgpr22
                                        ; implicit-def: $vgpr29_vgpr30
                                        ; implicit-def: $vgpr31_vgpr32
	s_and_saveexec_b64 s[60:61], s[58:59]
	s_xor_b64 s[58:59], exec, s[60:61]
	s_cbranch_execz .LBB93_136
; %bb.135:                              ;   in Loop: Header=BB93_7 Depth=1
	v_trig_preop_f64 v[29:30], |v[1:2]|, 0
	v_ldexp_f64 v[31:32], |v[1:2]|, s67
	v_cmp_ge_f64_e64 vcc, |v[1:2]|, s[26:27]
	v_trig_preop_f64 v[34:35], |v[1:2]|, 1
	v_and_b32_e32 v22, 0x7fffffff, v2
	v_trig_preop_f64 v[51:52], |v[1:2]|, 2
	s_mov_b32 s14, s30
	s_mov_b32 s37, s19
	v_cndmask_b32_e32 v32, v22, v32, vcc
	v_cndmask_b32_e32 v31, v1, v31, vcc
	v_mul_f64 v[36:37], v[29:30], v[31:32]
	v_mul_f64 v[38:39], v[34:35], v[31:32]
	;; [unrolled: 1-line block ×3, first 2 shown]
	v_fma_f64 v[29:30], v[29:30], v[31:32], -v[36:37]
	v_fma_f64 v[34:35], v[34:35], v[31:32], -v[38:39]
	;; [unrolled: 1-line block ×3, first 2 shown]
	v_add_f64 v[49:50], v[38:39], v[29:30]
	v_add_f64 v[53:54], v[49:50], -v[38:39]
	v_add_f64 v[59:60], v[36:37], v[49:50]
	v_add_f64 v[55:56], v[49:50], -v[53:54]
	v_add_f64 v[29:30], v[29:30], -v[53:54]
	v_add_f64 v[53:54], v[57:58], v[34:35]
	v_add_f64 v[36:37], v[59:60], -v[36:37]
	v_add_f64 v[38:39], v[38:39], -v[55:56]
	v_ldexp_f64 v[55:56], v[59:60], -2
	v_add_f64 v[61:62], v[53:54], -v[57:58]
	v_add_f64 v[36:37], v[49:50], -v[36:37]
	v_add_f64 v[29:30], v[29:30], v[38:39]
	v_fract_f64_e32 v[38:39], v[55:56]
	v_cmp_neq_f64_e64 vcc, |v[55:56]|, s[28:29]
	v_add_f64 v[34:35], v[34:35], -v[61:62]
	v_add_f64 v[49:50], v[53:54], v[29:30]
	v_ldexp_f64 v[38:39], v[38:39], 2
	v_add_f64 v[55:56], v[36:37], v[49:50]
	v_cndmask_b32_e32 v39, 0, v39, vcc
	v_cndmask_b32_e32 v38, 0, v38, vcc
	v_add_f64 v[63:64], v[49:50], -v[53:54]
	v_add_f64 v[59:60], v[55:56], v[38:39]
	v_add_f64 v[36:37], v[55:56], -v[36:37]
	v_add_f64 v[65:66], v[49:50], -v[63:64]
	v_add_f64 v[29:30], v[29:30], -v[63:64]
	v_cmp_gt_f64_e32 vcc, 0, v[59:60]
	v_add_f64 v[59:60], v[53:54], -v[61:62]
	v_add_f64 v[36:37], v[49:50], -v[36:37]
	;; [unrolled: 1-line block ×3, first 2 shown]
	v_cndmask_b32_e32 v22, 0, v43, vcc
	v_add_f64 v[38:39], v[38:39], v[21:22]
	v_add_f64 v[59:60], v[57:58], -v[59:60]
	v_add_f64 v[29:30], v[29:30], v[53:54]
	v_add_f64 v[67:68], v[55:56], v[38:39]
	v_add_f64 v[34:35], v[34:35], v[59:60]
	v_cvt_i32_f64_e32 v40, v[67:68]
	v_add_f64 v[29:30], v[34:35], v[29:30]
	v_cvt_f64_i32_e32 v[61:62], v40
	v_add_f64 v[38:39], v[38:39], -v[61:62]
	v_add_f64 v[29:30], v[31:32], v[29:30]
	v_add_f64 v[34:35], v[55:56], v[38:39]
	;; [unrolled: 1-line block ×3, first 2 shown]
	v_add_f64 v[31:32], v[34:35], -v[38:39]
	v_cmp_le_f64_e32 vcc, 0.5, v[34:35]
	v_add_f64 v[31:32], v[55:56], -v[31:32]
	v_cndmask_b32_e32 v22, 0, v44, vcc
	v_add_f64 v[29:30], v[29:30], v[31:32]
	v_add_f64 v[31:32], v[34:35], -v[21:22]
	v_addc_co_u32_e32 v22, vcc, 0, v40, vcc
	v_add_f64 v[34:35], v[31:32], v[29:30]
	v_mul_f64 v[36:37], v[34:35], s[14:15]
	v_add_f64 v[31:32], v[34:35], -v[31:32]
	v_fma_f64 v[38:39], v[34:35], s[14:15], -v[36:37]
	v_add_f64 v[29:30], v[29:30], -v[31:32]
	v_fma_f64 v[31:32], v[34:35], s[36:37], v[38:39]
	v_fma_f64 v[31:32], v[29:30], s[14:15], v[31:32]
	v_add_f64 v[29:30], v[36:37], v[31:32]
	v_add_f64 v[34:35], v[29:30], -v[36:37]
	v_add_f64 v[31:32], v[31:32], -v[34:35]
	s_andn2_saveexec_b64 s[58:59], s[58:59]
	s_cbranch_execnz .LBB93_137
	s_branch .LBB93_138
.LBB93_136:                             ;   in Loop: Header=BB93_7 Depth=1
	s_andn2_saveexec_b64 s[58:59], s[58:59]
	s_cbranch_execz .LBB93_138
.LBB93_137:                             ;   in Loop: Header=BB93_7 Depth=1
	v_mul_f64 v[29:30], |v[1:2]|, s[16:17]
	s_mov_b32 s18, s34
	v_rndne_f64_e32 v[34:35], v[29:30]
	v_fma_f64 v[29:30], v[34:35], s[30:31], |v[1:2]|
	v_mul_f64 v[31:32], v[34:35], s[34:35]
	v_cvt_i32_f64_e32 v22, v[34:35]
	v_fma_f64 v[49:50], v[34:35], s[34:35], v[29:30]
	v_add_f64 v[36:37], v[29:30], v[31:32]
	v_add_f64 v[38:39], v[29:30], -v[36:37]
	v_add_f64 v[36:37], v[36:37], -v[49:50]
	v_add_f64 v[29:30], v[38:39], v[31:32]
	v_fma_f64 v[31:32], v[34:35], s[18:19], v[31:32]
	v_add_f64 v[29:30], v[36:37], v[29:30]
	v_add_f64 v[29:30], v[29:30], -v[31:32]
	v_fma_f64 v[31:32], v[34:35], s[20:21], v[29:30]
	v_add_f64 v[29:30], v[49:50], v[31:32]
	v_add_f64 v[36:37], v[29:30], -v[49:50]
	v_add_f64 v[31:32], v[31:32], -v[36:37]
.LBB93_138:                             ;   in Loop: Header=BB93_7 Depth=1
	s_or_b64 exec, exec, s[58:59]
	v_mul_f64 v[34:35], |v[3:4]|, s[40:41]
	s_mov_b32 s58, 0x3b39803f
	s_mov_b32 s59, 0xbc7abc9e
	v_mul_f64 v[49:50], v[9:10], v[9:10]
	v_mov_b32_e32 v53, s86
	v_mov_b32_e32 v54, s87
	v_mul_f64 v[55:56], v[29:30], v[29:30]
	v_mov_b32_e32 v51, s76
	v_rndne_f64_e32 v[34:35], v[34:35]
	v_mov_b32_e32 v52, s77
	v_mul_f64 v[57:58], v[11:12], 0.5
	v_fma_f64 v[59:60], v[49:50], s[88:89], v[53:54]
	v_fma_f64 v[61:62], v[49:50], s[78:79], v[51:52]
	v_mul_f64 v[63:64], v[49:50], 0.5
	v_fma_f64 v[53:54], v[55:56], s[88:89], v[53:54]
	v_mul_f64 v[67:68], v[55:56], 0.5
	v_fma_f64 v[36:37], v[34:35], s[42:43], -|v[3:4]|
	v_fma_f64 v[51:52], v[55:56], s[78:79], v[51:52]
	s_mov_b32 s95, s45
	v_fma_f64 v[59:60], v[49:50], v[59:60], s[90:91]
	v_fma_f64 v[61:62], v[49:50], v[61:62], s[80:81]
	v_add_f64 v[69:70], -v[63:64], 1.0
	v_fma_f64 v[53:54], v[55:56], v[53:54], s[90:91]
	v_mul_f64 v[71:72], v[9:10], -v[49:50]
	v_fma_f64 v[36:37], v[34:35], s[58:59], v[36:37]
	s_mov_b32 s58, 0x6a5dcb37
	s_mov_b32 s59, 0x3e5ade15
	v_fma_f64 v[59:60], v[49:50], v[59:60], s[92:93]
	v_add_f64 v[73:74], -v[67:68], 1.0
	v_fma_f64 v[51:52], v[55:56], v[51:52], s[80:81]
	v_fma_f64 v[53:54], v[55:56], v[53:54], s[92:93]
	;; [unrolled: 1-line block ×4, first 2 shown]
	s_mov_b32 s58, 0x623fde64
	s_mov_b32 s59, 0x3ec71dee
	v_add_f64 v[75:76], -v[69:70], 1.0
	v_fma_f64 v[59:60], v[49:50], v[59:60], s[44:45]
	v_mul_f64 v[65:66], v[31:32], 0.5
	v_mul_f64 v[77:78], v[29:30], -v[55:56]
	v_fma_f64 v[53:54], v[55:56], v[53:54], s[44:45]
	v_fma_f64 v[38:39], v[36:37], v[38:39], s[58:59]
	s_mov_b32 s58, 0x7c89e6b0
	s_mov_b32 s59, 0x3efa0199
	;; [unrolled: 1-line block ×3, first 2 shown]
	v_add_f64 v[79:80], -v[73:74], 1.0
	v_fma_f64 v[51:52], v[55:56], v[51:52], s[82:83]
	v_fma_f64 v[61:62], v[49:50], v[61:62], s[84:85]
	v_add_f64 v[63:64], v[75:76], -v[63:64]
	v_fma_f64 v[38:39], v[36:37], v[38:39], s[58:59]
	s_mov_b32 s58, 0x14761f6e
	s_mov_b32 s59, 0x3f2a01a0
	v_fma_f64 v[57:58], v[71:72], v[59:60], v[57:58]
	v_fma_f64 v[53:54], v[77:78], v[53:54], v[65:66]
	v_mul_f64 v[59:60], v[49:50], v[49:50]
	v_add_f64 v[67:68], v[79:80], -v[67:68]
	v_fma_f64 v[51:52], v[55:56], v[51:52], s[84:85]
	v_fma_f64 v[38:39], v[36:37], v[38:39], s[58:59]
	s_mov_b32 s58, 0x1852b7b0
	s_mov_b32 s59, 0x3f56c16c
	v_fma_f64 v[61:62], v[49:50], v[61:62], s[56:57]
	v_fma_f64 v[63:64], v[9:10], -v[11:12], v[63:64]
	v_fma_f64 v[11:12], v[49:50], v[57:58], -v[11:12]
	s_mov_b32 s46, s56
	v_fma_f64 v[53:54], v[55:56], v[53:54], -v[31:32]
	v_fma_f64 v[38:39], v[36:37], v[38:39], s[58:59]
	s_mov_b32 s58, 0x55555511
	s_mov_b32 s59, 0x3fc55555
	v_mul_f64 v[49:50], v[55:56], v[55:56]
	v_fma_f64 v[51:52], v[55:56], v[51:52], s[56:57]
	v_fma_f64 v[31:32], v[29:30], -v[31:32], v[67:68]
	v_fma_f64 v[55:56], v[59:60], v[61:62], v[63:64]
	v_fma_f64 v[11:12], v[71:72], s[46:47], v[11:12]
	;; [unrolled: 1-line block ×3, first 2 shown]
	v_lshlrev_b32_e32 v1, 30, v33
	v_xor_b32_e32 v57, v1, v2
	v_fma_f64 v[1:2], v[77:78], s[46:47], v[53:54]
	v_and_b32_e32 v40, 1, v33
	v_fma_f64 v[31:32], v[49:50], v[51:52], v[31:32]
	v_add_f64 v[49:50], v[69:70], v[55:56]
	v_add_f64 v[9:10], v[9:10], -v[11:12]
	v_fma_f64 v[38:39], v[36:37], v[38:39], s[68:69]
	v_cmp_eq_u32_e32 vcc, 0, v40
	v_cvt_i32_f64_e32 v34, v[34:35]
	v_add_f64 v[1:2], v[29:30], -v[1:2]
	v_and_b32_e32 v33, 1, v22
	v_add_f64 v[29:30], v[73:74], v[31:32]
	v_lshlrev_b32_e32 v22, 30, v22
	v_cndmask_b32_e32 v10, v50, v10, vcc
	v_fma_f64 v[38:39], v[36:37], v[38:39], s[58:59]
	v_cndmask_b32_e32 v9, v49, v9, vcc
	v_cmp_eq_u32_e32 vcc, 0, v33
	v_xor_b32_e32 v2, 0x80000000, v2
	s_mov_b32 s58, 0
	v_and_b32_e32 v22, 0x80000000, v22
	v_cndmask_b32_e32 v2, v2, v30, vcc
	s_mov_b32 s59, 0x4090cc00
	v_fma_f64 v[38:39], v[36:37], v[38:39], s[72:73]
	v_cndmask_b32_e32 v1, v1, v29, vcc
	v_xor_b32_e32 v2, v2, v22
	v_cmp_ngt_f64_e64 vcc, |v[3:4]|, s[58:59]
	v_fma_f64 v[11:12], v[36:37], v[38:39], 1.0
	v_and_b32_e32 v38, 0x80000000, v57
	v_xor_b32_e32 v10, v10, v38
	v_mul_f64 v[9:10], v[9:10], 4.0
	v_fma_f64 v[11:12], v[36:37], v[11:12], 1.0
	v_mul_f64 v[1:2], v[9:10], v[1:2]
	v_ldexp_f64 v[11:12], v[11:12], v34
	v_cndmask_b32_e32 v10, 0, v12, vcc
	v_cndmask_b32_e32 v9, 0, v11, vcc
	v_mul_f64 v[1:2], v[9:10], v[1:2]
	v_mul_f64 v[9:10], v[9:10], v[1:2]
	v_xor_b32_e32 v1, 0x80000000, v4
	v_bfi_b32 v22, s54, v44, v1
	v_mov_b32_e32 v11, v21
	v_mov_b32_e32 v12, v22
.LBB93_139:                             ;   in Loop: Header=BB93_7 Depth=1
	s_or_b64 exec, exec, s[0:1]
                                        ; implicit-def: $vgpr1_vgpr2
.LBB93_140:                             ;   in Loop: Header=BB93_7 Depth=1
	s_andn2_saveexec_b64 s[0:1], s[52:53]
	s_cbranch_execz .LBB93_142
; %bb.141:                              ;   in Loop: Header=BB93_7 Depth=1
	v_add_f64 v[9:10], v[1:2], -v[1:2]
	v_mov_b32_e32 v12, v10
	v_mov_b32_e32 v11, v9
.LBB93_142:                             ;   in Loop: Header=BB93_7 Depth=1
	s_or_b64 exec, exec, s[0:1]
                                        ; implicit-def: $vgpr1_vgpr2
.LBB93_143:                             ;   in Loop: Header=BB93_7 Depth=1
	s_andn2_saveexec_b64 s[48:49], s[48:49]
	s_cbranch_execz .LBB93_6
; %bb.144:                              ;   in Loop: Header=BB93_7 Depth=1
	v_and_or_b32 v9, v12, s70, v11
	v_cmp_ne_u32_e32 vcc, 0, v9
	s_and_saveexec_b64 s[0:1], vcc
	s_xor_b64 s[0:1], exec, s[0:1]
	s_cbranch_execz .LBB93_146
; %bb.145:                              ;   in Loop: Header=BB93_7 Depth=1
	v_mul_f64 v[3:4], v[1:2], -v[3:4]
	v_cmp_eq_f64_e32 vcc, 0, v[1:2]
	v_cndmask_b32_e32 v10, v4, v2, vcc
	v_cndmask_b32_e32 v9, v3, v1, vcc
                                        ; implicit-def: $vgpr1_vgpr2
.LBB93_146:                             ;   in Loop: Header=BB93_7 Depth=1
	s_andn2_saveexec_b64 s[52:53], s[0:1]
	s_cbranch_execz .LBB93_5
; %bb.147:                              ;   in Loop: Header=BB93_7 Depth=1
	v_cmp_neq_f64_e64 s[0:1], |v[1:2]|, s[28:29]
	s_and_saveexec_b64 s[58:59], s[0:1]
	s_cbranch_execz .LBB93_4
; %bb.148:                              ;   in Loop: Header=BB93_7 Depth=1
	v_trig_preop_f64 v[35:36], |v[1:2]|, 0
	v_trig_preop_f64 v[33:34], |v[1:2]|, 1
	;; [unrolled: 1-line block ×3, first 2 shown]
	v_cmp_nlt_f64_e64 s[0:1], |v[1:2]|, s[24:25]
	v_ldexp_f64 v[37:38], |v[1:2]|, s67
	v_and_b32_e32 v50, 0x7fffffff, v2
                                        ; implicit-def: $vgpr49
                                        ; implicit-def: $vgpr3_vgpr4
                                        ; implicit-def: $vgpr9_vgpr10
	s_and_saveexec_b64 s[60:61], s[0:1]
	s_xor_b64 s[60:61], exec, s[60:61]
	s_cbranch_execz .LBB93_150
; %bb.149:                              ;   in Loop: Header=BB93_7 Depth=1
	v_cmp_ge_f64_e64 vcc, |v[1:2]|, s[26:27]
	s_mov_b32 s14, s30
	s_mov_b32 s37, s19
	v_cndmask_b32_e32 v4, v50, v38, vcc
	v_cndmask_b32_e32 v3, v1, v37, vcc
	v_mul_f64 v[9:10], v[35:36], v[3:4]
	v_mul_f64 v[31:32], v[33:34], v[3:4]
	v_mul_f64 v[57:58], v[29:30], v[3:4]
	v_fma_f64 v[39:40], v[35:36], v[3:4], -v[9:10]
	v_fma_f64 v[59:60], v[33:34], v[3:4], -v[31:32]
	;; [unrolled: 1-line block ×3, first 2 shown]
	v_add_f64 v[51:52], v[31:32], v[39:40]
	v_add_f64 v[53:54], v[51:52], -v[31:32]
	v_add_f64 v[61:62], v[9:10], v[51:52]
	v_add_f64 v[55:56], v[51:52], -v[53:54]
	v_add_f64 v[39:40], v[39:40], -v[53:54]
	v_add_f64 v[53:54], v[57:58], v[59:60]
	v_add_f64 v[9:10], v[61:62], -v[9:10]
	v_add_f64 v[31:32], v[31:32], -v[55:56]
	v_ldexp_f64 v[55:56], v[61:62], -2
	v_add_f64 v[63:64], v[53:54], -v[57:58]
	v_add_f64 v[9:10], v[51:52], -v[9:10]
	v_add_f64 v[31:32], v[39:40], v[31:32]
	v_fract_f64_e32 v[39:40], v[55:56]
	v_cmp_neq_f64_e64 vcc, |v[55:56]|, s[28:29]
	v_add_f64 v[59:60], v[59:60], -v[63:64]
	v_add_f64 v[51:52], v[53:54], v[31:32]
	v_ldexp_f64 v[39:40], v[39:40], 2
	v_add_f64 v[55:56], v[9:10], v[51:52]
	v_cndmask_b32_e32 v40, 0, v40, vcc
	v_cndmask_b32_e32 v39, 0, v39, vcc
	v_add_f64 v[65:66], v[51:52], -v[53:54]
	v_add_f64 v[61:62], v[55:56], v[39:40]
	v_add_f64 v[9:10], v[55:56], -v[9:10]
	v_add_f64 v[67:68], v[51:52], -v[65:66]
	;; [unrolled: 1-line block ×3, first 2 shown]
	v_cmp_gt_f64_e32 vcc, 0, v[61:62]
	v_add_f64 v[61:62], v[53:54], -v[63:64]
	v_add_f64 v[9:10], v[51:52], -v[9:10]
	;; [unrolled: 1-line block ×3, first 2 shown]
	v_cndmask_b32_e32 v22, 0, v43, vcc
	v_add_f64 v[39:40], v[39:40], v[21:22]
	v_add_f64 v[61:62], v[57:58], -v[61:62]
	v_add_f64 v[31:32], v[31:32], v[53:54]
	v_add_f64 v[69:70], v[55:56], v[39:40]
	;; [unrolled: 1-line block ×3, first 2 shown]
	v_cvt_i32_f64_e32 v49, v[69:70]
	v_add_f64 v[31:32], v[59:60], v[31:32]
	v_cvt_f64_i32_e32 v[63:64], v49
	v_add_f64 v[39:40], v[39:40], -v[63:64]
	v_add_f64 v[3:4], v[3:4], v[31:32]
	v_add_f64 v[53:54], v[55:56], v[39:40]
	;; [unrolled: 1-line block ×3, first 2 shown]
	v_add_f64 v[31:32], v[53:54], -v[39:40]
	v_cmp_le_f64_e32 vcc, 0.5, v[53:54]
	v_add_f64 v[9:10], v[55:56], -v[31:32]
	v_cndmask_b32_e32 v22, 0, v44, vcc
	v_addc_co_u32_e32 v49, vcc, 0, v49, vcc
	v_add_f64 v[3:4], v[3:4], v[9:10]
	v_add_f64 v[9:10], v[53:54], -v[21:22]
	v_add_f64 v[31:32], v[9:10], v[3:4]
	v_mul_f64 v[39:40], v[31:32], s[14:15]
	v_add_f64 v[9:10], v[31:32], -v[9:10]
	v_fma_f64 v[51:52], v[31:32], s[14:15], -v[39:40]
	v_add_f64 v[3:4], v[3:4], -v[9:10]
	v_fma_f64 v[9:10], v[31:32], s[36:37], v[51:52]
	v_fma_f64 v[9:10], v[3:4], s[14:15], v[9:10]
	v_add_f64 v[3:4], v[39:40], v[9:10]
	v_add_f64 v[31:32], v[3:4], -v[39:40]
	v_add_f64 v[9:10], v[9:10], -v[31:32]
	s_andn2_saveexec_b64 s[60:61], s[60:61]
	s_cbranch_execz .LBB93_152
	s_branch .LBB93_151
.LBB93_150:                             ;   in Loop: Header=BB93_7 Depth=1
	s_andn2_saveexec_b64 s[60:61], s[60:61]
	s_cbranch_execz .LBB93_152
.LBB93_151:                             ;   in Loop: Header=BB93_7 Depth=1
	v_mul_f64 v[3:4], |v[1:2]|, s[16:17]
	s_mov_b32 s18, s34
	v_rndne_f64_e32 v[31:32], v[3:4]
	v_fma_f64 v[3:4], v[31:32], s[30:31], |v[1:2]|
	v_mul_f64 v[9:10], v[31:32], s[34:35]
	v_cvt_i32_f64_e32 v49, v[31:32]
	v_fma_f64 v[53:54], v[31:32], s[34:35], v[3:4]
	v_add_f64 v[39:40], v[3:4], v[9:10]
	v_add_f64 v[51:52], v[3:4], -v[39:40]
	v_add_f64 v[39:40], v[39:40], -v[53:54]
	v_add_f64 v[3:4], v[51:52], v[9:10]
	v_fma_f64 v[9:10], v[31:32], s[18:19], v[9:10]
	v_add_f64 v[3:4], v[39:40], v[3:4]
	v_add_f64 v[3:4], v[3:4], -v[9:10]
	v_fma_f64 v[9:10], v[31:32], s[20:21], v[3:4]
	v_add_f64 v[3:4], v[53:54], v[9:10]
	v_add_f64 v[39:40], v[3:4], -v[53:54]
	v_add_f64 v[9:10], v[9:10], -v[39:40]
.LBB93_152:                             ;   in Loop: Header=BB93_7 Depth=1
	s_or_b64 exec, exec, s[60:61]
                                        ; implicit-def: $vgpr22
                                        ; implicit-def: $vgpr31_vgpr32
                                        ; implicit-def: $vgpr39_vgpr40
	s_and_saveexec_b64 s[60:61], s[0:1]
	s_xor_b64 s[0:1], exec, s[60:61]
	s_cbranch_execz .LBB93_154
; %bb.153:                              ;   in Loop: Header=BB93_7 Depth=1
	v_cmp_ge_f64_e64 vcc, |v[1:2]|, s[26:27]
	s_mov_b32 s14, s30
	s_mov_b32 s37, s19
	v_cndmask_b32_e32 v32, v50, v38, vcc
	v_cndmask_b32_e32 v31, v1, v37, vcc
	v_mul_f64 v[37:38], v[35:36], v[31:32]
	v_mul_f64 v[39:40], v[33:34], v[31:32]
	;; [unrolled: 1-line block ×3, first 2 shown]
	v_fma_f64 v[35:36], v[35:36], v[31:32], -v[37:38]
	v_fma_f64 v[33:34], v[33:34], v[31:32], -v[39:40]
	;; [unrolled: 1-line block ×3, first 2 shown]
	v_add_f64 v[50:51], v[39:40], v[35:36]
	v_add_f64 v[52:53], v[50:51], -v[39:40]
	v_add_f64 v[58:59], v[37:38], v[50:51]
	v_add_f64 v[54:55], v[50:51], -v[52:53]
	v_add_f64 v[35:36], v[35:36], -v[52:53]
	v_add_f64 v[52:53], v[56:57], v[33:34]
	v_add_f64 v[37:38], v[58:59], -v[37:38]
	v_add_f64 v[39:40], v[39:40], -v[54:55]
	v_ldexp_f64 v[54:55], v[58:59], -2
	v_add_f64 v[60:61], v[52:53], -v[56:57]
	v_add_f64 v[37:38], v[50:51], -v[37:38]
	v_add_f64 v[35:36], v[35:36], v[39:40]
	v_fract_f64_e32 v[39:40], v[54:55]
	v_cmp_neq_f64_e64 vcc, |v[54:55]|, s[28:29]
	v_add_f64 v[33:34], v[33:34], -v[60:61]
	v_add_f64 v[50:51], v[52:53], v[35:36]
	v_ldexp_f64 v[39:40], v[39:40], 2
	v_add_f64 v[54:55], v[37:38], v[50:51]
	v_cndmask_b32_e32 v40, 0, v40, vcc
	v_cndmask_b32_e32 v39, 0, v39, vcc
	v_add_f64 v[62:63], v[50:51], -v[52:53]
	v_add_f64 v[58:59], v[54:55], v[39:40]
	v_add_f64 v[31:32], v[54:55], -v[37:38]
	v_add_f64 v[64:65], v[50:51], -v[62:63]
	;; [unrolled: 1-line block ×3, first 2 shown]
	v_cmp_gt_f64_e32 vcc, 0, v[58:59]
	v_add_f64 v[58:59], v[52:53], -v[60:61]
	v_add_f64 v[31:32], v[50:51], -v[31:32]
	v_add_f64 v[52:53], v[52:53], -v[64:65]
	v_cndmask_b32_e32 v22, 0, v43, vcc
	v_add_f64 v[39:40], v[39:40], v[21:22]
	v_add_f64 v[58:59], v[56:57], -v[58:59]
	v_add_f64 v[35:36], v[35:36], v[52:53]
	v_add_f64 v[66:67], v[54:55], v[39:40]
	v_add_f64 v[33:34], v[33:34], v[58:59]
	v_cvt_i32_f64_e32 v62, v[66:67]
	v_add_f64 v[33:34], v[33:34], v[35:36]
	v_cvt_f64_i32_e32 v[60:61], v62
	v_add_f64 v[39:40], v[39:40], -v[60:61]
	v_add_f64 v[29:30], v[29:30], v[33:34]
	v_add_f64 v[35:36], v[54:55], v[39:40]
	;; [unrolled: 1-line block ×3, first 2 shown]
	v_add_f64 v[33:34], v[35:36], -v[39:40]
	v_cmp_le_f64_e32 vcc, 0.5, v[35:36]
	v_add_f64 v[31:32], v[54:55], -v[33:34]
	v_cndmask_b32_e32 v22, 0, v44, vcc
	v_add_f64 v[29:30], v[29:30], v[31:32]
	v_add_f64 v[31:32], v[35:36], -v[21:22]
	v_addc_co_u32_e32 v22, vcc, 0, v62, vcc
	v_add_f64 v[33:34], v[31:32], v[29:30]
	v_mul_f64 v[35:36], v[33:34], s[14:15]
	v_add_f64 v[31:32], v[33:34], -v[31:32]
	v_fma_f64 v[37:38], v[33:34], s[14:15], -v[35:36]
	v_add_f64 v[29:30], v[29:30], -v[31:32]
	v_fma_f64 v[31:32], v[33:34], s[36:37], v[37:38]
	v_fma_f64 v[29:30], v[29:30], s[14:15], v[31:32]
	v_add_f64 v[31:32], v[35:36], v[29:30]
	v_add_f64 v[33:34], v[31:32], -v[35:36]
	v_add_f64 v[39:40], v[29:30], -v[33:34]
	s_andn2_saveexec_b64 s[0:1], s[0:1]
	s_cbranch_execz .LBB93_3
	s_branch .LBB93_155
.LBB93_154:                             ;   in Loop: Header=BB93_7 Depth=1
	s_andn2_saveexec_b64 s[0:1], s[0:1]
	s_cbranch_execz .LBB93_3
.LBB93_155:                             ;   in Loop: Header=BB93_7 Depth=1
	v_mul_f64 v[29:30], |v[1:2]|, s[16:17]
	s_mov_b32 s18, s34
	v_rndne_f64_e32 v[29:30], v[29:30]
	v_fma_f64 v[31:32], v[29:30], s[30:31], |v[1:2]|
	v_mul_f64 v[33:34], v[29:30], s[34:35]
	v_cvt_i32_f64_e32 v22, v[29:30]
	v_fma_f64 v[39:40], v[29:30], s[34:35], v[31:32]
	v_add_f64 v[35:36], v[31:32], v[33:34]
	v_add_f64 v[37:38], v[31:32], -v[35:36]
	v_add_f64 v[35:36], v[35:36], -v[39:40]
	v_add_f64 v[31:32], v[37:38], v[33:34]
	v_fma_f64 v[33:34], v[29:30], s[18:19], v[33:34]
	v_add_f64 v[31:32], v[35:36], v[31:32]
	v_add_f64 v[31:32], v[31:32], -v[33:34]
	v_fma_f64 v[33:34], v[29:30], s[20:21], v[31:32]
	v_add_f64 v[31:32], v[39:40], v[33:34]
	v_add_f64 v[35:36], v[31:32], -v[39:40]
	v_add_f64 v[39:40], v[33:34], -v[35:36]
	s_branch .LBB93_3
.LBB93_156:
	v_readlane_b32 s0, v81, 0
	v_readlane_b32 s1, v81, 1
	s_or_b64 exec, exec, s[0:1]
	s_mov_b64 s[0:1], 0
.LBB93_157:
	s_andn2_b64 vcc, exec, s[0:1]
	s_cbranch_vccnz .LBB93_329
; %bb.158:
	v_cmp_lt_i64_e64 s[0:1], s[2:3], 1
	s_and_b64 vcc, exec, s[0:1]
	s_cbranch_vccnz .LBB93_329
; %bb.159:
	v_mov_b32_e32 v1, 0x10000
	s_load_dword s4, s[4:5], 0xc5c
	v_mov_b32_e32 v2, 0
	v_cmp_lt_i64_e32 vcc, s[2:3], v[1:2]
	s_mov_b32 s42, 0x54442d18
	s_and_b64 s[0:1], vcc, exec
	v_cmp_lt_u64_e32 vcc, s[2:3], v[1:2]
	s_cselect_b32 s15, s3, 0
	s_cselect_b32 s14, s2, 0x10000
	s_waitcnt lgkmcnt(0)
	s_and_b32 s33, s4, 0xffff
	s_and_b64 s[0:1], vcc, exec
	s_mov_b32 s20, 0x6dc9c883
	s_mov_b32 s44, 0x33145c00
	s_mov_b32 s24, 0x252049c0
	s_mov_b32 s52, 0xfefa39ef
	s_mov_b32 s78, 0x9037ab78
	s_mov_b32 s80, 0x46cc5e42
	s_mov_b32 s82, 0xa17f65f6
	s_mov_b32 s84, 0x19f4ec90
	s_mov_b32 s86, 0x16c16967
	s_mov_b32 s76, 0x55555555
	s_mov_b32 s90, 0xb42fdfa7
	s_mov_b32 s92, 0xf9a43bb8
	s_mov_b32 s94, 0x796cde01
	s_mov_b32 s26, 0x19e83e5c
	s_mov_b32 s58, 0x11110bb3
	s_mov_b32 s50, 0x652b82fe
	s_mov_b32 s36, 0
	s_mov_b32 s38, 0
	s_mov_b32 s40, 0
	v_mov_b32_e32 v21, 0
	s_cselect_b32 s17, s3, 0
	s_cselect_b32 s16, s2, 0x10000
	s_mov_b32 s43, 0xbff921fb
	s_mov_b32 s21, 0x3fe45f30
	;; [unrolled: 1-line block ×5, first 2 shown]
	v_mov_b32_e32 v45, 0x260
	s_mov_b32 s79, 0x3e21eeb6
	s_mov_b32 s81, 0xbda907db
	;; [unrolled: 1-line block ×12, first 2 shown]
	v_mov_b32_e32 v46, 0x40100000
	v_mov_b32_e32 v47, 0x3ff00000
	;; [unrolled: 1-line block ×10, first 2 shown]
	s_lshl_b32 s68, s33, 1
	s_lshl_b32 s69, s33, 2
	s_brev_b32 s70, -2
	s_mov_b32 s71, 0x7ff00000
	s_movk_i32 s72, 0x1f8
	s_mov_b32 s73, 0x40360000
	s_movk_i32 s10, 0xff80
	s_mov_b32 s11, 0xfffff
	s_mov_b64 s[34:35], 0
	s_mov_b32 s37, 0x41d00000
	s_mov_b32 s39, 0x7b000000
	s_mov_b32 s41, 0x7ff00000
	s_mov_b32 s19, 0x3ff921fb
	s_mov_b32 s23, 0x3c91a626
	s_mov_b32 s46, 0x33145c07
	s_mov_b32 s55, 0x3fe62e42
	s_mov_b32 s31, 0x3ff71547
	s_mov_b32 s48, 0xfefa3000
	s_mov_b32 s28, 0x11122322
	s_mov_b32 s88, 0x555502a1
	s_mov_b32 s61, 0xbfc55555
	s_branch .LBB93_161
.LBB93_160:                             ;   in Loop: Header=BB93_161 Depth=1
	s_or_b64 exec, exec, s[0:1]
	s_add_u32 s34, s34, s69
	v_mov_b32_e32 v1, s14
	s_addc_u32 s35, s35, 0
	v_mov_b32_e32 v2, s15
	v_cmp_ge_i64_e32 vcc, s[34:35], v[1:2]
	s_cbranch_vccnz .LBB93_329
.LBB93_161:                             ; =>This Inner Loop Header: Depth=1
	v_mov_b32_e32 v1, s35
	v_add_co_u32_e32 v27, vcc, s34, v0
	v_addc_co_u32_e32 v28, vcc, 0, v1, vcc
	v_cmp_gt_u64_e64 s[0:1], s[16:17], v[27:28]
	v_mov_b32_e32 v19, 0
	v_mov_b32_e32 v11, 0
	;; [unrolled: 1-line block ×6, first 2 shown]
	s_and_saveexec_b64 s[2:3], s[0:1]
	s_cbranch_execz .LBB93_163
; %bb.162:                              ;   in Loop: Header=BB93_161 Depth=1
	v_lshlrev_b64 v[1:2], 4, v[27:28]
	v_mov_b32_e32 v3, s75
	v_add_co_u32_e32 v1, vcc, s74, v1
	v_addc_co_u32_e32 v2, vcc, v3, v2, vcc
	global_load_dwordx4 v[9:12], v[1:2], off
.LBB93_163:                             ;   in Loop: Header=BB93_161 Depth=1
	s_or_b64 exec, exec, s[2:3]
	v_add_co_u32_e32 v29, vcc, s33, v27
	v_addc_co_u32_e32 v30, vcc, 0, v28, vcc
	v_cmp_gt_u64_e64 s[2:3], s[16:17], v[29:30]
	v_mov_b32_e32 v17, 0
	v_mov_b32_e32 v18, 0
	s_and_saveexec_b64 s[4:5], s[2:3]
	s_cbranch_execz .LBB93_165
; %bb.164:                              ;   in Loop: Header=BB93_161 Depth=1
	v_lshlrev_b64 v[1:2], 4, v[29:30]
	v_mov_b32_e32 v3, s75
	v_add_co_u32_e32 v1, vcc, s74, v1
	v_addc_co_u32_e32 v2, vcc, v3, v2, vcc
	global_load_dwordx4 v[17:20], v[1:2], off
.LBB93_165:                             ;   in Loop: Header=BB93_161 Depth=1
	s_or_b64 exec, exec, s[4:5]
	v_add_co_u32_e32 v31, vcc, s68, v27
	v_addc_co_u32_e32 v32, vcc, 0, v28, vcc
	v_cmp_gt_u64_e64 s[4:5], s[16:17], v[31:32]
	v_mov_b32_e32 v7, 0
	v_mov_b32_e32 v15, 0
	;; [unrolled: 1-line block ×6, first 2 shown]
	s_and_saveexec_b64 s[6:7], s[4:5]
	s_cbranch_execz .LBB93_167
; %bb.166:                              ;   in Loop: Header=BB93_161 Depth=1
	v_lshlrev_b64 v[1:2], 4, v[31:32]
	v_mov_b32_e32 v3, s75
	v_add_co_u32_e32 v1, vcc, s74, v1
	v_addc_co_u32_e32 v2, vcc, v3, v2, vcc
	global_load_dwordx4 v[13:16], v[1:2], off
.LBB93_167:                             ;   in Loop: Header=BB93_161 Depth=1
	s_or_b64 exec, exec, s[6:7]
	s_mul_i32 s6, s33, 3
	v_add_co_u32_e32 v33, vcc, s6, v27
	v_addc_co_u32_e32 v34, vcc, 0, v28, vcc
	v_cmp_gt_u64_e64 s[6:7], s[16:17], v[33:34]
	v_mov_b32_e32 v5, 0
	v_mov_b32_e32 v6, 0
	s_and_saveexec_b64 s[8:9], s[6:7]
	s_cbranch_execz .LBB93_169
; %bb.168:                              ;   in Loop: Header=BB93_161 Depth=1
	v_lshlrev_b64 v[1:2], 4, v[33:34]
	v_mov_b32_e32 v3, s75
	v_add_co_u32_e32 v1, vcc, s74, v1
	v_addc_co_u32_e32 v2, vcc, v3, v2, vcc
	global_load_dwordx4 v[5:8], v[1:2], off
.LBB93_169:                             ;   in Loop: Header=BB93_161 Depth=1
	s_or_b64 exec, exec, s[8:9]
	s_waitcnt vmcnt(0)
	v_xor_b32_e32 v4, 0x80000000, v12
	v_and_b32_e32 v1, 0x7fffffff, v4
	v_mov_b32_e32 v3, v11
	v_cmp_gt_u32_e32 vcc, s71, v1
	s_and_saveexec_b64 s[8:9], vcc
	s_xor_b64 s[56:57], exec, s[8:9]
	s_cbranch_execz .LBB93_190
; %bb.170:                              ;   in Loop: Header=BB93_161 Depth=1
	v_cmp_class_f64_e64 s[8:9], v[9:10], s72
	s_and_saveexec_b64 s[12:13], s[8:9]
	s_xor_b64 s[12:13], exec, s[12:13]
	s_cbranch_execz .LBB93_187
; %bb.171:                              ;   in Loop: Header=BB93_161 Depth=1
	v_cmp_gt_u32_e32 vcc, s73, v1
	s_and_saveexec_b64 s[8:9], vcc
	s_xor_b64 s[64:65], exec, s[8:9]
	s_cbranch_execz .LBB93_177
; %bb.172:                              ;   in Loop: Header=BB93_161 Depth=1
	v_cmp_nlt_f64_e64 s[8:9], |v[9:10]|, s[36:37]
                                        ; implicit-def: $vgpr3
                                        ; implicit-def: $vgpr1_vgpr2
                                        ; implicit-def: $vgpr35_vgpr36
	s_and_saveexec_b64 s[66:67], s[8:9]
	s_xor_b64 s[8:9], exec, s[66:67]
	s_cbranch_execz .LBB93_174
; %bb.173:                              ;   in Loop: Header=BB93_161 Depth=1
	v_trig_preop_f64 v[1:2], |v[9:10]|, 0
	v_ldexp_f64 v[35:36], |v[9:10]|, s10
	v_cmp_ge_f64_e64 vcc, |v[9:10]|, s[38:39]
	v_trig_preop_f64 v[37:38], |v[9:10]|, 1
	v_and_b32_e32 v3, 0x7fffffff, v10
	v_trig_preop_f64 v[52:53], |v[9:10]|, 2
	s_mov_b32 s18, s42
	s_mov_b32 s47, s23
	v_cndmask_b32_e32 v36, v3, v36, vcc
	v_cndmask_b32_e32 v35, v9, v35, vcc
	v_mul_f64 v[39:40], v[1:2], v[35:36]
	v_mul_f64 v[41:42], v[37:38], v[35:36]
	;; [unrolled: 1-line block ×3, first 2 shown]
	v_fma_f64 v[1:2], v[1:2], v[35:36], -v[39:40]
	v_fma_f64 v[37:38], v[37:38], v[35:36], -v[41:42]
	;; [unrolled: 1-line block ×3, first 2 shown]
	v_add_f64 v[43:44], v[41:42], v[1:2]
	v_add_f64 v[54:55], v[43:44], -v[41:42]
	v_add_f64 v[60:61], v[39:40], v[43:44]
	v_add_f64 v[56:57], v[43:44], -v[54:55]
	v_add_f64 v[1:2], v[1:2], -v[54:55]
	v_add_f64 v[54:55], v[58:59], v[37:38]
	v_add_f64 v[39:40], v[60:61], -v[39:40]
	v_add_f64 v[41:42], v[41:42], -v[56:57]
	v_ldexp_f64 v[56:57], v[60:61], -2
	v_add_f64 v[62:63], v[54:55], -v[58:59]
	v_add_f64 v[39:40], v[43:44], -v[39:40]
	v_add_f64 v[1:2], v[1:2], v[41:42]
	v_fract_f64_e32 v[41:42], v[56:57]
	v_cmp_neq_f64_e64 vcc, |v[56:57]|, s[40:41]
	v_add_f64 v[37:38], v[37:38], -v[62:63]
	v_add_f64 v[43:44], v[54:55], v[1:2]
	v_ldexp_f64 v[41:42], v[41:42], 2
	v_add_f64 v[56:57], v[39:40], v[43:44]
	v_cndmask_b32_e32 v42, 0, v42, vcc
	v_cndmask_b32_e32 v41, 0, v41, vcc
	v_add_f64 v[64:65], v[43:44], -v[54:55]
	v_add_f64 v[60:61], v[56:57], v[41:42]
	v_add_f64 v[39:40], v[56:57], -v[39:40]
	v_add_f64 v[66:67], v[43:44], -v[64:65]
	;; [unrolled: 1-line block ×3, first 2 shown]
	v_cmp_gt_f64_e32 vcc, 0, v[60:61]
	v_add_f64 v[60:61], v[54:55], -v[62:63]
	v_add_f64 v[39:40], v[43:44], -v[39:40]
	;; [unrolled: 1-line block ×3, first 2 shown]
	v_cndmask_b32_e32 v22, 0, v46, vcc
	v_add_f64 v[41:42], v[41:42], v[21:22]
	v_add_f64 v[60:61], v[58:59], -v[60:61]
	v_add_f64 v[1:2], v[1:2], v[54:55]
	v_add_f64 v[68:69], v[56:57], v[41:42]
	;; [unrolled: 1-line block ×3, first 2 shown]
	v_cvt_i32_f64_e32 v3, v[68:69]
	v_add_f64 v[1:2], v[37:38], v[1:2]
	v_cvt_f64_i32_e32 v[62:63], v3
	v_add_f64 v[41:42], v[41:42], -v[62:63]
	v_add_f64 v[1:2], v[35:36], v[1:2]
	v_add_f64 v[37:38], v[56:57], v[41:42]
	;; [unrolled: 1-line block ×3, first 2 shown]
	v_add_f64 v[35:36], v[37:38], -v[41:42]
	v_cmp_le_f64_e32 vcc, 0.5, v[37:38]
	v_add_f64 v[35:36], v[56:57], -v[35:36]
	v_cndmask_b32_e32 v22, 0, v47, vcc
	v_addc_co_u32_e32 v3, vcc, 0, v3, vcc
	v_add_f64 v[1:2], v[1:2], v[35:36]
	v_add_f64 v[35:36], v[37:38], -v[21:22]
	v_add_f64 v[37:38], v[35:36], v[1:2]
	v_mul_f64 v[39:40], v[37:38], s[18:19]
	v_add_f64 v[35:36], v[37:38], -v[35:36]
	v_fma_f64 v[41:42], v[37:38], s[18:19], -v[39:40]
	v_add_f64 v[1:2], v[1:2], -v[35:36]
	v_fma_f64 v[35:36], v[37:38], s[46:47], v[41:42]
	v_fma_f64 v[35:36], v[1:2], s[18:19], v[35:36]
	v_add_f64 v[1:2], v[39:40], v[35:36]
	v_add_f64 v[37:38], v[1:2], -v[39:40]
	v_add_f64 v[35:36], v[35:36], -v[37:38]
.LBB93_174:                             ;   in Loop: Header=BB93_161 Depth=1
	s_andn2_saveexec_b64 s[8:9], s[8:9]
	s_cbranch_execz .LBB93_176
; %bb.175:                              ;   in Loop: Header=BB93_161 Depth=1
	v_mul_f64 v[1:2], |v[9:10]|, s[20:21]
	s_mov_b32 s22, s44
	v_rndne_f64_e32 v[37:38], v[1:2]
	v_fma_f64 v[1:2], v[37:38], s[42:43], |v[9:10]|
	v_mul_f64 v[35:36], v[37:38], s[44:45]
	v_cvt_i32_f64_e32 v3, v[37:38]
	v_fma_f64 v[43:44], v[37:38], s[44:45], v[1:2]
	v_add_f64 v[39:40], v[1:2], v[35:36]
	v_add_f64 v[41:42], v[1:2], -v[39:40]
	v_add_f64 v[39:40], v[39:40], -v[43:44]
	v_add_f64 v[1:2], v[41:42], v[35:36]
	v_fma_f64 v[35:36], v[37:38], s[22:23], v[35:36]
	v_add_f64 v[1:2], v[39:40], v[1:2]
	v_add_f64 v[1:2], v[1:2], -v[35:36]
	v_fma_f64 v[35:36], v[37:38], s[24:25], v[1:2]
	v_add_f64 v[1:2], v[43:44], v[35:36]
	v_add_f64 v[39:40], v[1:2], -v[43:44]
	v_add_f64 v[35:36], v[35:36], -v[39:40]
.LBB93_176:                             ;   in Loop: Header=BB93_161 Depth=1
	s_or_b64 exec, exec, s[8:9]
	v_add_f64 v[37:38], |v[11:12]|, s[52:53]
	s_mov_b32 s54, s52
	s_mov_b32 s8, 0x3b39803f
	;; [unrolled: 1-line block ×7, first 2 shown]
	v_add_f64 v[39:40], v[37:38], -|v[11:12]|
	v_and_b32_e32 v10, 0x80000000, v10
	v_add_f64 v[41:42], v[39:40], -v[37:38]
	v_add_f64 v[39:40], v[39:40], s[54:55]
	v_add_f64 v[41:42], |v[11:12]|, v[41:42]
	v_add_f64 v[39:40], v[41:42], -v[39:40]
	v_add_f64 v[39:40], v[39:40], s[8:9]
	s_mov_b32 s8, 0xf278e000
	s_mov_b32 s9, 0xbd53de6a
	v_add_f64 v[41:42], v[37:38], v[39:40]
	v_mul_f64 v[43:44], v[41:42], s[30:31]
	v_add_f64 v[37:38], v[37:38], -v[41:42]
	v_rndne_f64_e32 v[43:44], v[43:44]
	v_add_f64 v[37:38], v[39:40], v[37:38]
	v_fma_f64 v[39:40], v[43:44], s[48:49], v[41:42]
	v_mul_f64 v[41:42], v[43:44], s[8:9]
	s_mov_b32 s8, 0xf97b57a0
	s_mov_b32 s9, 0xbac9cc01
	v_cvt_i32_f64_e32 v9, v[43:44]
	v_add_f64 v[52:53], v[37:38], v[39:40]
	v_add_f64 v[54:55], v[52:53], v[41:42]
	v_add_f64 v[39:40], v[39:40], -v[52:53]
	v_add_f64 v[52:53], v[52:53], -v[54:55]
	v_add_f64 v[37:38], v[37:38], v[39:40]
	v_add_f64 v[39:40], v[52:53], v[41:42]
	;; [unrolled: 1-line block ×3, first 2 shown]
	v_mul_f64 v[39:40], v[43:44], s[8:9]
	s_mov_b32 s8, 0x6a5dcb37
	s_mov_b32 s9, 0x3e5ade15
	v_add_f64 v[41:42], v[54:55], v[37:38]
	v_add_f64 v[52:53], v[41:42], v[39:40]
	v_add_f64 v[54:55], v[54:55], -v[41:42]
	v_add_f64 v[41:42], v[41:42], -v[52:53]
	v_add_f64 v[37:38], v[37:38], v[54:55]
	v_add_f64 v[39:40], v[41:42], v[39:40]
	;; [unrolled: 1-line block ×4, first 2 shown]
	v_fma_f64 v[41:42], v[39:40], s[8:9], v[25:26]
	s_mov_b32 s8, 0x623fde64
	s_mov_b32 s9, 0x3ec71dee
	v_add_f64 v[52:53], v[52:53], -v[39:40]
	v_mul_f64 v[54:55], v[39:40], v[39:40]
	v_fma_f64 v[41:42], v[39:40], v[41:42], s[8:9]
	s_mov_b32 s8, 0x7c89e6b0
	s_mov_b32 s9, 0x3efa0199
	v_add_f64 v[37:38], v[37:38], v[52:53]
	v_fma_f64 v[52:53], v[39:40], v[39:40], -v[54:55]
	v_fma_f64 v[41:42], v[39:40], v[41:42], s[8:9]
	s_mov_b32 s8, 0x14761f6e
	s_mov_b32 s9, 0x3f2a01a0
	v_add_f64 v[56:57], v[37:38], v[37:38]
	v_fma_f64 v[41:42], v[39:40], v[41:42], s[8:9]
	s_mov_b32 s8, 0x1852b7b0
	s_mov_b32 s9, 0x3f56c16c
	v_fma_f64 v[52:53], v[39:40], v[56:57], v[52:53]
	v_fma_f64 v[41:42], v[39:40], v[41:42], s[8:9]
	s_mov_b32 s8, 0x55555511
	s_mov_b32 s9, 0x3fc55555
	v_add_f64 v[56:57], v[54:55], v[52:53]
	v_fma_f64 v[41:42], v[39:40], v[41:42], s[28:29]
	v_add_f64 v[54:55], v[56:57], -v[54:55]
	v_fma_f64 v[41:42], v[39:40], v[41:42], s[88:89]
	v_add_f64 v[52:53], v[52:53], -v[54:55]
	v_fma_f64 v[41:42], v[39:40], v[41:42], s[8:9]
	s_mov_b32 s8, 11
	s_mov_b32 s9, 0x3fe00000
	v_fma_f64 v[41:42], v[39:40], v[41:42], s[8:9]
	s_mov_b32 s8, 0xc751c08c
	s_mov_b32 s9, 0x3ef5e089
	v_mul_f64 v[58:59], v[56:57], v[41:42]
	v_fma_f64 v[54:55], v[56:57], v[41:42], -v[58:59]
	v_fma_f64 v[41:42], v[52:53], v[41:42], v[54:55]
	v_add_f64 v[52:53], v[58:59], v[41:42]
	v_add_f64 v[54:55], v[39:40], v[52:53]
	v_add_f64 v[56:57], v[52:53], -v[58:59]
	v_add_f64 v[39:40], v[54:55], -v[39:40]
	;; [unrolled: 1-line block ×3, first 2 shown]
	v_add_f64 v[56:57], v[35:36], v[35:36]
	v_add_f64 v[39:40], v[52:53], -v[39:40]
	v_add_f64 v[37:38], v[37:38], v[41:42]
	v_add_f64 v[37:38], v[37:38], v[39:40]
	;; [unrolled: 1-line block ×3, first 2 shown]
	v_add_f64 v[41:42], v[39:40], 1.0
	v_add_f64 v[52:53], v[39:40], -v[54:55]
	v_add_f64 v[54:55], v[41:42], -1.0
	v_add_f64 v[37:38], v[37:38], -v[52:53]
	v_add_f64 v[39:40], v[39:40], -v[54:55]
	v_add_f64 v[37:38], v[37:38], v[39:40]
	v_add_f64 v[39:40], v[41:42], v[37:38]
	v_ldexp_f64 v[43:44], v[39:40], v9
	v_add_f64 v[39:40], v[39:40], -v[41:42]
	v_rcp_f64_e32 v[52:53], v[43:44]
	v_add_f64 v[37:38], v[37:38], -v[39:40]
	v_ldexp_f64 v[37:38], v[37:38], v9
	v_fma_f64 v[54:55], -v[43:44], v[52:53], 1.0
	v_fma_f64 v[52:53], v[54:55], v[52:53], v[52:53]
	v_fma_f64 v[54:55], -v[43:44], v[52:53], 1.0
	v_fma_f64 v[41:42], v[54:55], v[52:53], v[52:53]
	v_mul_f64 v[52:53], v[1:2], v[1:2]
	v_mul_f64 v[39:40], v[43:44], v[41:42]
	v_fma_f64 v[58:59], v[1:2], v[1:2], -v[52:53]
	v_fma_f64 v[54:55], v[41:42], v[43:44], -v[39:40]
	v_fma_f64 v[56:57], v[1:2], v[56:57], v[58:59]
	v_fma_f64 v[54:55], v[41:42], v[37:38], v[54:55]
	v_add_f64 v[52:53], v[52:53], v[56:57]
	v_add_f64 v[58:59], v[39:40], v[54:55]
	v_fma_f64 v[60:61], v[52:53], s[8:9], v[23:24]
	s_mov_b32 s8, 0x90a8aae0
	s_mov_b32 s9, 0x3f17746f
	v_add_f64 v[56:57], -v[58:59], 1.0
	v_add_f64 v[39:40], v[58:59], -v[39:40]
	v_fma_f64 v[60:61], v[52:53], v[60:61], s[8:9]
	s_mov_b32 s8, 0xa6fbf144
	s_mov_b32 s9, 0xbefbb44d
	v_add_f64 v[62:63], -v[56:57], 1.0
	v_add_f64 v[39:40], v[39:40], -v[54:55]
	v_add_f64 v[54:55], v[62:63], -v[58:59]
	v_fma_f64 v[58:59], v[52:53], v[60:61], s[8:9]
	s_mov_b32 s8, 0xa7943acf
	s_mov_b32 s9, 0x3f21e634
	v_add_f64 v[39:40], v[39:40], v[54:55]
	v_fma_f64 v[54:55], v[52:53], v[58:59], s[8:9]
	s_mov_b32 s8, 0xdeb68feb
	s_mov_b32 s9, 0x3f2d250f
	v_add_f64 v[58:59], v[56:57], v[39:40]
	v_fma_f64 v[54:55], v[52:53], v[54:55], s[8:9]
	s_mov_b32 s8, 0xb58c4d95
	s_mov_b32 s9, 0x3f437fd9
	v_mul_f64 v[60:61], v[41:42], v[58:59]
	v_fma_f64 v[54:55], v[52:53], v[54:55], s[8:9]
	s_mov_b32 s8, 0x15120e2c
	s_mov_b32 s9, 0x3f57d5af
	v_add_f64 v[56:57], v[56:57], -v[58:59]
	v_mul_f64 v[62:63], v[43:44], v[60:61]
	v_fma_f64 v[54:55], v[52:53], v[54:55], s[8:9]
	s_mov_b32 s8, 0xe09491df
	s_mov_b32 s9, 0x3f6d6d93
	v_add_f64 v[39:40], v[39:40], v[56:57]
	v_fma_f64 v[64:65], v[60:61], v[43:44], -v[62:63]
	v_fma_f64 v[54:55], v[52:53], v[54:55], s[8:9]
	s_mov_b32 s8, 0x2033784d
	s_mov_b32 s9, 0x3f8226e1
	v_fma_f64 v[64:65], v[60:61], v[37:38], v[64:65]
	v_fma_f64 v[54:55], v[52:53], v[54:55], s[8:9]
	s_mov_b32 s8, 0x9ac36ae2
	s_mov_b32 s9, 0x3f9664f4
	v_add_f64 v[66:67], v[62:63], v[64:65]
	v_fma_f64 v[54:55], v[52:53], v[54:55], s[8:9]
	s_mov_b32 s8, 0x1b451c21
	s_mov_b32 s9, 0x3faba1ba
	v_add_f64 v[68:69], v[58:59], -v[66:67]
	v_fma_f64 v[54:55], v[52:53], v[54:55], s[8:9]
	s_mov_b32 s8, 0x111185b7
	s_mov_b32 s9, 0x3fc11111
	v_add_f64 v[56:57], v[66:67], -v[62:63]
	v_add_f64 v[58:59], v[58:59], -v[68:69]
	v_fma_f64 v[54:55], v[52:53], v[54:55], s[8:9]
	s_mov_b32 s8, 0x555554ee
	s_mov_b32 s9, 0x3fd55555
	v_add_f64 v[56:57], v[56:57], -v[64:65]
	v_add_f64 v[58:59], v[58:59], -v[66:67]
	v_fma_f64 v[54:55], v[52:53], v[54:55], s[8:9]
	s_mov_b32 s8, 0x8fb9f87e
	s_mov_b32 s9, 0x408633ce
	v_cmp_nge_f64_e64 vcc, |v[11:12]|, s[8:9]
	s_mov_b32 s8, 0
	s_mov_b32 s9, 0x3e400000
	v_add_f64 v[39:40], v[39:40], v[58:59]
	v_mul_f64 v[52:53], v[52:53], v[54:55]
	v_add_f64 v[54:55], v[41:42], v[60:61]
	v_add_f64 v[39:40], v[56:57], v[39:40]
	v_mul_f64 v[56:57], v[1:2], v[52:53]
	v_add_f64 v[58:59], v[54:55], -v[41:42]
	v_add_f64 v[39:40], v[68:69], v[39:40]
	v_add_f64 v[62:63], v[1:2], v[56:57]
	v_add_f64 v[58:59], v[60:61], -v[58:59]
	v_mul_f64 v[39:40], v[41:42], v[39:40]
	v_fma_f64 v[41:42], v[1:2], v[52:53], -v[56:57]
	v_add_f64 v[1:2], v[62:63], -v[1:2]
	v_add_f64 v[39:40], v[58:59], v[39:40]
	v_add_f64 v[35:36], v[35:36], v[41:42]
	v_add_f64 v[1:2], v[56:57], -v[1:2]
	v_add_f64 v[41:42], v[54:55], v[39:40]
	v_add_f64 v[1:2], v[35:36], v[1:2]
	v_ldexp_f64 v[35:36], v[41:42], -2
	v_add_f64 v[41:42], v[41:42], -v[54:55]
	v_add_f64 v[52:53], v[62:63], v[1:2]
	v_add_f64 v[56:57], v[43:44], -v[35:36]
	v_add_f64 v[39:40], v[39:40], -v[41:42]
	v_rcp_f64_e32 v[58:59], v[52:53]
	v_add_f64 v[43:44], v[43:44], -v[56:57]
	v_ldexp_f64 v[39:40], v[39:40], -2
	v_add_f64 v[35:36], v[43:44], -v[35:36]
	v_fma_f64 v[41:42], -v[52:53], v[58:59], 1.0
	v_add_f64 v[35:36], v[37:38], v[35:36]
	v_fma_f64 v[37:38], v[41:42], v[58:59], v[58:59]
	v_add_f64 v[35:36], v[35:36], -v[39:40]
	v_fma_f64 v[39:40], -v[52:53], v[37:38], 1.0
	v_add_f64 v[35:36], v[56:57], v[35:36]
	v_fma_f64 v[37:38], v[39:40], v[37:38], v[37:38]
	v_cndmask_b32_e32 v9, v48, v36, vcc
	v_cndmask_b32_e32 v22, 0, v35, vcc
	v_cmp_lt_f64_e64 vcc, |v[11:12]|, s[8:9]
	v_and_b32_e32 v12, 0x7fffffff, v12
	s_mov_b32 s8, 0
	v_add_f64 v[35:36], v[52:53], -v[62:63]
	v_mul_f64 v[39:40], v[52:53], v[37:38]
	s_brev_b32 s9, 8
	v_cndmask_b32_e32 v9, v9, v12, vcc
	v_cndmask_b32_e32 v11, v22, v11, vcc
	v_bfi_b32 v12, s70, v9, v4
	v_fma_f64 v[41:42], v[11:12], v[11:12], 1.0
	v_add_f64 v[1:2], v[1:2], -v[35:36]
	v_fma_f64 v[35:36], v[37:38], v[52:53], -v[39:40]
	v_and_b32_e32 v9, 1, v3
	v_cmp_gt_f64_e32 vcc, s[8:9], v[41:42]
	v_cmp_eq_u32_e64 s[8:9], 0, v9
	v_fma_f64 v[1:2], v[37:38], v[1:2], v[35:36]
	v_cndmask_b32_e32 v4, 0, v49, vcc
	v_ldexp_f64 v[41:42], v[41:42], v4
	v_add_f64 v[43:44], v[39:40], v[1:2]
	v_cndmask_b32_e32 v22, 0, v50, vcc
	v_rsq_f64_e32 v[35:36], v[41:42]
	v_add_f64 v[54:55], -v[43:44], 1.0
	v_add_f64 v[39:40], v[43:44], -v[39:40]
	v_cmp_class_f64_e32 vcc, v[41:42], v45
	v_add_f64 v[58:59], -v[54:55], 1.0
	v_add_f64 v[1:2], v[39:40], -v[1:2]
	v_mul_f64 v[56:57], v[41:42], v[35:36]
	v_mul_f64 v[35:36], v[35:36], 0.5
	v_add_f64 v[43:44], v[58:59], -v[43:44]
	v_fma_f64 v[39:40], -v[35:36], v[56:57], 0.5
	v_add_f64 v[1:2], v[1:2], v[43:44]
	v_fma_f64 v[56:57], v[56:57], v[39:40], v[56:57]
	v_fma_f64 v[35:36], v[35:36], v[39:40], v[35:36]
	v_add_f64 v[1:2], v[54:55], v[1:2]
	v_fma_f64 v[39:40], -v[56:57], v[56:57], v[41:42]
	v_mul_f64 v[1:2], v[37:38], v[1:2]
	v_fma_f64 v[39:40], v[39:40], v[35:36], v[56:57]
	v_add_f64 v[1:2], v[37:38], v[1:2]
	v_fma_f64 v[43:44], -v[39:40], v[39:40], v[41:42]
	v_xor_b32_e32 v2, 0x80000000, v2
	v_cndmask_b32_e64 v2, v2, v53, s[8:9]
	v_cndmask_b32_e64 v1, v1, v52, s[8:9]
	v_xor_b32_e32 v2, v2, v10
	v_fma_f64 v[9:10], v[1:2], v[1:2], 1.0
	v_fma_f64 v[3:4], v[43:44], v[35:36], v[39:40]
	v_mul_f64 v[35:36], v[11:12], v[9:10]
	v_ldexp_f64 v[3:4], v[3:4], v22
	v_cndmask_b32_e32 v4, v4, v42, vcc
	v_cndmask_b32_e32 v3, v3, v41, vcc
	v_mul_f64 v[3:4], v[3:4], v[9:10]
	v_fma_f64 v[9:10], v[11:12], v[35:36], 1.0
	v_mul_f64 v[3:4], v[11:12], v[3:4]
	v_div_scale_f64 v[35:36], s[8:9], v[9:10], v[9:10], v[1:2]
	v_div_scale_f64 v[11:12], s[8:9], v[9:10], v[9:10], v[3:4]
	;; [unrolled: 1-line block ×3, first 2 shown]
	v_rcp_f64_e32 v[39:40], v[35:36]
	v_rcp_f64_e32 v[37:38], v[11:12]
	v_fma_f64 v[43:44], -v[35:36], v[39:40], 1.0
	v_fma_f64 v[41:42], -v[11:12], v[37:38], 1.0
	v_fma_f64 v[39:40], v[39:40], v[43:44], v[39:40]
	v_fma_f64 v[37:38], v[37:38], v[41:42], v[37:38]
	v_div_scale_f64 v[41:42], vcc, v[3:4], v[9:10], v[3:4]
	v_fma_f64 v[54:55], -v[35:36], v[39:40], 1.0
	v_fma_f64 v[43:44], -v[11:12], v[37:38], 1.0
	v_fma_f64 v[39:40], v[39:40], v[54:55], v[39:40]
	v_fma_f64 v[37:38], v[37:38], v[43:44], v[37:38]
	v_mul_f64 v[54:55], v[52:53], v[39:40]
	v_mul_f64 v[43:44], v[41:42], v[37:38]
	v_fma_f64 v[35:36], -v[35:36], v[54:55], v[52:53]
	v_fma_f64 v[11:12], -v[11:12], v[43:44], v[41:42]
	v_div_fmas_f64 v[11:12], v[11:12], v[37:38], v[43:44]
	s_mov_b64 vcc, s[8:9]
	v_div_fmas_f64 v[35:36], v[35:36], v[39:40], v[54:55]
	v_div_fixup_f64 v[3:4], v[11:12], v[9:10], v[3:4]
	v_div_fixup_f64 v[1:2], v[35:36], v[9:10], v[1:2]
                                        ; implicit-def: $vgpr9_vgpr10
.LBB93_177:                             ;   in Loop: Header=BB93_161 Depth=1
	s_andn2_saveexec_b64 s[8:9], s[64:65]
	s_cbranch_execz .LBB93_197
; %bb.178:                              ;   in Loop: Header=BB93_161 Depth=1
	v_cmp_nlt_f64_e64 s[64:65], |v[9:10]|, s[36:37]
                                        ; implicit-def: $vgpr3
                                        ; implicit-def: $vgpr1_vgpr2
                                        ; implicit-def: $vgpr43_vgpr44
	s_and_saveexec_b64 s[66:67], s[64:65]
	s_xor_b64 s[66:67], exec, s[66:67]
	s_cbranch_execz .LBB93_180
; %bb.179:                              ;   in Loop: Header=BB93_161 Depth=1
	v_trig_preop_f64 v[1:2], |v[9:10]|, 0
	v_ldexp_f64 v[35:36], |v[9:10]|, s10
	v_cmp_ge_f64_e64 vcc, |v[9:10]|, s[38:39]
	v_trig_preop_f64 v[37:38], |v[9:10]|, 1
	v_and_b32_e32 v3, 0x7fffffff, v10
	v_trig_preop_f64 v[52:53], |v[9:10]|, 2
	s_mov_b32 s18, s42
	s_mov_b32 s47, s23
	v_cndmask_b32_e32 v36, v3, v36, vcc
	v_cndmask_b32_e32 v35, v9, v35, vcc
	v_mul_f64 v[39:40], v[1:2], v[35:36]
	v_mul_f64 v[41:42], v[37:38], v[35:36]
	;; [unrolled: 1-line block ×3, first 2 shown]
	v_fma_f64 v[1:2], v[1:2], v[35:36], -v[39:40]
	v_fma_f64 v[37:38], v[37:38], v[35:36], -v[41:42]
	;; [unrolled: 1-line block ×3, first 2 shown]
	v_add_f64 v[43:44], v[41:42], v[1:2]
	v_add_f64 v[54:55], v[43:44], -v[41:42]
	v_add_f64 v[60:61], v[39:40], v[43:44]
	v_add_f64 v[56:57], v[43:44], -v[54:55]
	v_add_f64 v[1:2], v[1:2], -v[54:55]
	v_add_f64 v[54:55], v[58:59], v[37:38]
	v_add_f64 v[39:40], v[60:61], -v[39:40]
	v_add_f64 v[41:42], v[41:42], -v[56:57]
	v_ldexp_f64 v[56:57], v[60:61], -2
	v_add_f64 v[62:63], v[54:55], -v[58:59]
	v_add_f64 v[39:40], v[43:44], -v[39:40]
	v_add_f64 v[1:2], v[1:2], v[41:42]
	v_fract_f64_e32 v[41:42], v[56:57]
	v_cmp_neq_f64_e64 vcc, |v[56:57]|, s[40:41]
	v_add_f64 v[37:38], v[37:38], -v[62:63]
	v_add_f64 v[43:44], v[54:55], v[1:2]
	v_ldexp_f64 v[41:42], v[41:42], 2
	v_add_f64 v[56:57], v[39:40], v[43:44]
	v_cndmask_b32_e32 v42, 0, v42, vcc
	v_cndmask_b32_e32 v41, 0, v41, vcc
	v_add_f64 v[64:65], v[43:44], -v[54:55]
	v_add_f64 v[60:61], v[56:57], v[41:42]
	v_add_f64 v[39:40], v[56:57], -v[39:40]
	v_add_f64 v[66:67], v[43:44], -v[64:65]
	;; [unrolled: 1-line block ×3, first 2 shown]
	v_cmp_gt_f64_e32 vcc, 0, v[60:61]
	v_add_f64 v[60:61], v[54:55], -v[62:63]
	v_add_f64 v[39:40], v[43:44], -v[39:40]
	;; [unrolled: 1-line block ×3, first 2 shown]
	v_cndmask_b32_e32 v22, 0, v46, vcc
	v_add_f64 v[41:42], v[41:42], v[21:22]
	v_add_f64 v[60:61], v[58:59], -v[60:61]
	v_add_f64 v[1:2], v[1:2], v[54:55]
	v_add_f64 v[68:69], v[56:57], v[41:42]
	;; [unrolled: 1-line block ×3, first 2 shown]
	v_cvt_i32_f64_e32 v3, v[68:69]
	v_add_f64 v[1:2], v[37:38], v[1:2]
	v_cvt_f64_i32_e32 v[62:63], v3
	v_add_f64 v[41:42], v[41:42], -v[62:63]
	v_add_f64 v[1:2], v[35:36], v[1:2]
	v_add_f64 v[37:38], v[56:57], v[41:42]
	;; [unrolled: 1-line block ×3, first 2 shown]
	v_add_f64 v[35:36], v[37:38], -v[41:42]
	v_cmp_le_f64_e32 vcc, 0.5, v[37:38]
	v_add_f64 v[35:36], v[56:57], -v[35:36]
	v_cndmask_b32_e32 v22, 0, v47, vcc
	v_addc_co_u32_e32 v3, vcc, 0, v3, vcc
	v_add_f64 v[1:2], v[1:2], v[35:36]
	v_add_f64 v[35:36], v[37:38], -v[21:22]
	v_add_f64 v[37:38], v[35:36], v[1:2]
	v_mul_f64 v[39:40], v[37:38], s[18:19]
	v_add_f64 v[35:36], v[37:38], -v[35:36]
	v_fma_f64 v[41:42], v[37:38], s[18:19], -v[39:40]
	v_add_f64 v[1:2], v[1:2], -v[35:36]
	v_fma_f64 v[35:36], v[37:38], s[46:47], v[41:42]
	v_fma_f64 v[35:36], v[1:2], s[18:19], v[35:36]
	v_add_f64 v[1:2], v[39:40], v[35:36]
	v_add_f64 v[37:38], v[1:2], -v[39:40]
	v_add_f64 v[43:44], v[35:36], -v[37:38]
	s_andn2_saveexec_b64 s[66:67], s[66:67]
	s_cbranch_execz .LBB93_182
	s_branch .LBB93_181
.LBB93_180:                             ;   in Loop: Header=BB93_161 Depth=1
	s_andn2_saveexec_b64 s[66:67], s[66:67]
	s_cbranch_execz .LBB93_182
.LBB93_181:                             ;   in Loop: Header=BB93_161 Depth=1
	v_mul_f64 v[1:2], |v[9:10]|, s[20:21]
	s_mov_b32 s22, s44
	v_rndne_f64_e32 v[35:36], v[1:2]
	v_fma_f64 v[1:2], v[35:36], s[42:43], |v[9:10]|
	v_mul_f64 v[37:38], v[35:36], s[44:45]
	v_cvt_i32_f64_e32 v3, v[35:36]
	v_fma_f64 v[43:44], v[35:36], s[44:45], v[1:2]
	v_add_f64 v[39:40], v[1:2], v[37:38]
	v_add_f64 v[41:42], v[1:2], -v[39:40]
	v_add_f64 v[39:40], v[39:40], -v[43:44]
	v_add_f64 v[1:2], v[41:42], v[37:38]
	v_fma_f64 v[37:38], v[35:36], s[22:23], v[37:38]
	v_add_f64 v[1:2], v[39:40], v[1:2]
	v_add_f64 v[1:2], v[1:2], -v[37:38]
	v_fma_f64 v[37:38], v[35:36], s[24:25], v[1:2]
	v_add_f64 v[1:2], v[43:44], v[37:38]
	v_add_f64 v[39:40], v[1:2], -v[43:44]
	v_add_f64 v[43:44], v[37:38], -v[39:40]
.LBB93_182:                             ;   in Loop: Header=BB93_161 Depth=1
	s_or_b64 exec, exec, s[66:67]
                                        ; implicit-def: $vgpr52
                                        ; implicit-def: $vgpr35_vgpr36
                                        ; implicit-def: $vgpr37_vgpr38
	s_and_saveexec_b64 s[66:67], s[64:65]
	s_xor_b64 s[64:65], exec, s[66:67]
	s_cbranch_execz .LBB93_184
; %bb.183:                              ;   in Loop: Header=BB93_161 Depth=1
	v_trig_preop_f64 v[35:36], |v[9:10]|, 0
	v_ldexp_f64 v[37:38], |v[9:10]|, s10
	v_cmp_ge_f64_e64 vcc, |v[9:10]|, s[38:39]
	v_trig_preop_f64 v[39:40], |v[9:10]|, 1
	v_and_b32_e32 v22, 0x7fffffff, v10
	v_trig_preop_f64 v[56:57], |v[9:10]|, 2
	s_mov_b32 s18, s42
	s_mov_b32 s47, s23
	v_cndmask_b32_e32 v38, v22, v38, vcc
	v_cndmask_b32_e32 v37, v9, v37, vcc
	v_mul_f64 v[41:42], v[35:36], v[37:38]
	v_mul_f64 v[52:53], v[39:40], v[37:38]
	;; [unrolled: 1-line block ×3, first 2 shown]
	v_fma_f64 v[35:36], v[35:36], v[37:38], -v[41:42]
	v_fma_f64 v[39:40], v[39:40], v[37:38], -v[52:53]
	;; [unrolled: 1-line block ×3, first 2 shown]
	v_add_f64 v[54:55], v[52:53], v[35:36]
	v_add_f64 v[58:59], v[54:55], -v[52:53]
	v_add_f64 v[64:65], v[41:42], v[54:55]
	v_add_f64 v[60:61], v[54:55], -v[58:59]
	v_add_f64 v[35:36], v[35:36], -v[58:59]
	v_add_f64 v[58:59], v[62:63], v[39:40]
	v_add_f64 v[41:42], v[64:65], -v[41:42]
	v_add_f64 v[52:53], v[52:53], -v[60:61]
	v_ldexp_f64 v[60:61], v[64:65], -2
	v_add_f64 v[66:67], v[58:59], -v[62:63]
	v_add_f64 v[41:42], v[54:55], -v[41:42]
	v_add_f64 v[35:36], v[35:36], v[52:53]
	v_fract_f64_e32 v[52:53], v[60:61]
	v_cmp_neq_f64_e64 vcc, |v[60:61]|, s[40:41]
	v_add_f64 v[39:40], v[39:40], -v[66:67]
	v_add_f64 v[54:55], v[58:59], v[35:36]
	v_ldexp_f64 v[52:53], v[52:53], 2
	v_add_f64 v[60:61], v[41:42], v[54:55]
	v_cndmask_b32_e32 v53, 0, v53, vcc
	v_cndmask_b32_e32 v52, 0, v52, vcc
	v_add_f64 v[68:69], v[54:55], -v[58:59]
	v_add_f64 v[64:65], v[60:61], v[52:53]
	v_add_f64 v[41:42], v[60:61], -v[41:42]
	v_add_f64 v[70:71], v[54:55], -v[68:69]
	;; [unrolled: 1-line block ×3, first 2 shown]
	v_cmp_gt_f64_e32 vcc, 0, v[64:65]
	v_add_f64 v[64:65], v[58:59], -v[66:67]
	v_add_f64 v[41:42], v[54:55], -v[41:42]
	;; [unrolled: 1-line block ×3, first 2 shown]
	v_cndmask_b32_e32 v22, 0, v46, vcc
	v_add_f64 v[52:53], v[52:53], v[21:22]
	v_add_f64 v[64:65], v[62:63], -v[64:65]
	v_add_f64 v[35:36], v[35:36], v[58:59]
	v_add_f64 v[72:73], v[60:61], v[52:53]
	;; [unrolled: 1-line block ×3, first 2 shown]
	v_cvt_i32_f64_e32 v68, v[72:73]
	v_add_f64 v[35:36], v[39:40], v[35:36]
	v_cvt_f64_i32_e32 v[66:67], v68
	v_add_f64 v[52:53], v[52:53], -v[66:67]
	v_add_f64 v[35:36], v[37:38], v[35:36]
	v_add_f64 v[39:40], v[60:61], v[52:53]
	;; [unrolled: 1-line block ×3, first 2 shown]
	v_add_f64 v[37:38], v[39:40], -v[52:53]
	v_cmp_le_f64_e32 vcc, 0.5, v[39:40]
	v_add_f64 v[37:38], v[60:61], -v[37:38]
	v_cndmask_b32_e32 v22, 0, v47, vcc
	v_add_f64 v[35:36], v[35:36], v[37:38]
	v_add_f64 v[37:38], v[39:40], -v[21:22]
	v_add_f64 v[39:40], v[37:38], v[35:36]
	v_mul_f64 v[41:42], v[39:40], s[18:19]
	v_add_f64 v[37:38], v[39:40], -v[37:38]
	v_fma_f64 v[52:53], v[39:40], s[18:19], -v[41:42]
	v_add_f64 v[35:36], v[35:36], -v[37:38]
	v_fma_f64 v[37:38], v[39:40], s[46:47], v[52:53]
	v_addc_co_u32_e32 v52, vcc, 0, v68, vcc
	v_fma_f64 v[37:38], v[35:36], s[18:19], v[37:38]
	v_add_f64 v[35:36], v[41:42], v[37:38]
	v_add_f64 v[39:40], v[35:36], -v[41:42]
	v_add_f64 v[37:38], v[37:38], -v[39:40]
	s_andn2_saveexec_b64 s[64:65], s[64:65]
	s_cbranch_execnz .LBB93_185
	s_branch .LBB93_186
.LBB93_184:                             ;   in Loop: Header=BB93_161 Depth=1
	s_andn2_saveexec_b64 s[64:65], s[64:65]
	s_cbranch_execz .LBB93_186
.LBB93_185:                             ;   in Loop: Header=BB93_161 Depth=1
	v_mul_f64 v[35:36], |v[9:10]|, s[20:21]
	s_mov_b32 s22, s44
	v_rndne_f64_e32 v[39:40], v[35:36]
	v_fma_f64 v[35:36], v[39:40], s[42:43], |v[9:10]|
	v_mul_f64 v[37:38], v[39:40], s[44:45]
	v_fma_f64 v[54:55], v[39:40], s[44:45], v[35:36]
	v_add_f64 v[41:42], v[35:36], v[37:38]
	v_add_f64 v[52:53], v[35:36], -v[41:42]
	v_add_f64 v[41:42], v[41:42], -v[54:55]
	v_add_f64 v[35:36], v[52:53], v[37:38]
	v_fma_f64 v[37:38], v[39:40], s[22:23], v[37:38]
	v_cvt_i32_f64_e32 v52, v[39:40]
	v_add_f64 v[35:36], v[41:42], v[35:36]
	v_add_f64 v[35:36], v[35:36], -v[37:38]
	v_fma_f64 v[37:38], v[39:40], s[24:25], v[35:36]
	v_add_f64 v[35:36], v[54:55], v[37:38]
	v_add_f64 v[41:42], v[35:36], -v[54:55]
	v_add_f64 v[37:38], v[37:38], -v[41:42]
.LBB93_186:                             ;   in Loop: Header=BB93_161 Depth=1
	s_or_b64 exec, exec, s[64:65]
	v_mul_f64 v[53:54], v[1:2], v[1:2]
	v_mul_f64 v[61:62], v[43:44], 0.5
	v_and_b32_e32 v9, 1, v3
	v_lshlrev_b32_e32 v3, 30, v3
	v_cmp_eq_u32_e32 vcc, 0, v9
	v_xor_b32_e32 v3, v3, v10
	v_mul_f64 v[9:10], |v[11:12]|, s[50:51]
	s_mov_b32 s60, s76
	v_mul_f64 v[39:40], v[53:54], 0.5
	v_mul_f64 v[57:58], v[53:54], v[53:54]
	s_mov_b32 s64, 0x3b39803f
	s_mov_b32 s65, 0xbc7abc9e
	;; [unrolled: 1-line block ×4, first 2 shown]
	v_rndne_f64_e32 v[9:10], v[9:10]
	v_and_b32_e32 v3, 0x80000000, v3
	v_add_f64 v[55:56], -v[39:40], 1.0
	v_bfi_b32 v22, s70, v47, v4
	v_add_f64 v[41:42], -v[55:56], 1.0
	v_add_f64 v[39:40], v[41:42], -v[39:40]
	v_mov_b32_e32 v41, s78
	v_mov_b32_e32 v42, s79
	v_fma_f64 v[59:60], v[53:54], s[80:81], v[41:42]
	v_fma_f64 v[39:40], v[1:2], -v[43:44], v[39:40]
	v_fma_f64 v[59:60], v[53:54], v[59:60], s[82:83]
	v_fma_f64 v[59:60], v[53:54], v[59:60], s[84:85]
	;; [unrolled: 1-line block ×5, first 2 shown]
	v_mul_f64 v[59:60], v[1:2], -v[53:54]
	v_add_f64 v[55:56], v[55:56], v[39:40]
	v_mov_b32_e32 v39, s90
	v_mov_b32_e32 v40, s91
	v_fma_f64 v[57:58], v[53:54], s[92:93], v[39:40]
	v_fma_f64 v[57:58], v[53:54], v[57:58], s[94:95]
	;; [unrolled: 1-line block ×5, first 2 shown]
	v_fma_f64 v[43:44], v[53:54], v[57:58], -v[43:44]
	v_fma_f64 v[43:44], v[59:60], s[60:61], v[43:44]
	v_add_f64 v[1:2], v[1:2], -v[43:44]
	v_fma_f64 v[43:44], v[9:10], s[52:53], -|v[11:12]|
	v_cndmask_b32_e32 v1, v55, v1, vcc
	v_fma_f64 v[43:44], v[9:10], s[64:65], v[43:44]
	s_mov_b32 s64, 0x6a5dcb37
	s_mov_b32 s65, 0x3e5ade15
	v_cndmask_b32_e32 v2, v56, v2, vcc
	v_xor_b32_e32 v2, v2, v3
	v_cvt_i32_f64_e32 v3, v[9:10]
	v_mul_f64 v[1:2], v[1:2], 4.0
	v_fma_f64 v[53:54], v[43:44], s[64:65], v[25:26]
	s_mov_b32 s64, 0x623fde64
	s_mov_b32 s65, 0x3ec71dee
	v_fma_f64 v[53:54], v[43:44], v[53:54], s[64:65]
	s_mov_b32 s64, 0x7c89e6b0
	s_mov_b32 s65, 0x3efa0199
	;; [unrolled: 3-line block ×5, first 2 shown]
	v_fma_f64 v[53:54], v[43:44], v[53:54], s[28:29]
	v_fma_f64 v[53:54], v[43:44], v[53:54], s[88:89]
	;; [unrolled: 1-line block ×3, first 2 shown]
	s_mov_b32 s64, 11
	s_mov_b32 s65, 0x3fe00000
	v_fma_f64 v[53:54], v[43:44], v[53:54], s[64:65]
	s_mov_b32 s64, 0
	s_mov_b32 s65, 0x4090cc00
	v_cmp_ngt_f64_e64 vcc, |v[11:12]|, s[64:65]
	v_mul_f64 v[11:12], v[35:36], v[35:36]
	v_fma_f64 v[53:54], v[43:44], v[53:54], 1.0
	v_fma_f64 v[41:42], v[11:12], s[80:81], v[41:42]
	v_fma_f64 v[39:40], v[11:12], s[92:93], v[39:40]
	v_fma_f64 v[43:44], v[43:44], v[53:54], 1.0
	v_fma_f64 v[41:42], v[11:12], v[41:42], s[82:83]
	v_fma_f64 v[39:40], v[11:12], v[39:40], s[94:95]
	v_ldexp_f64 v[9:10], v[43:44], v3
	v_mul_f64 v[3:4], v[11:12], 0.5
	v_fma_f64 v[41:42], v[11:12], v[41:42], s[84:85]
	v_fma_f64 v[39:40], v[11:12], v[39:40], s[26:27]
	v_cndmask_b32_e32 v10, 0, v10, vcc
	v_add_f64 v[43:44], -v[3:4], 1.0
	v_cndmask_b32_e32 v9, 0, v9, vcc
	v_fma_f64 v[41:42], v[11:12], v[41:42], s[86:87]
	v_fma_f64 v[39:40], v[11:12], v[39:40], s[58:59]
	v_add_f64 v[53:54], -v[43:44], 1.0
	v_fma_f64 v[41:42], v[11:12], v[41:42], s[76:77]
	v_add_f64 v[3:4], v[53:54], -v[3:4]
	v_mul_f64 v[53:54], v[11:12], v[11:12]
	v_fma_f64 v[3:4], v[35:36], -v[37:38], v[3:4]
	v_fma_f64 v[3:4], v[53:54], v[41:42], v[3:4]
	v_mul_f64 v[41:42], v[35:36], -v[11:12]
	v_add_f64 v[3:4], v[43:44], v[3:4]
	v_mul_f64 v[43:44], v[37:38], 0.5
	v_fma_f64 v[39:40], v[41:42], v[39:40], v[43:44]
	v_fma_f64 v[11:12], v[11:12], v[39:40], -v[37:38]
	v_fma_f64 v[11:12], v[41:42], s[60:61], v[11:12]
	v_add_f64 v[11:12], v[35:36], -v[11:12]
	v_and_b32_e32 v35, 1, v52
	v_cmp_eq_u32_e32 vcc, 0, v35
	v_xor_b32_e32 v12, 0x80000000, v12
	v_cndmask_b32_e32 v3, v11, v3, vcc
	v_lshlrev_b32_e32 v11, 30, v52
	v_cndmask_b32_e32 v4, v12, v4, vcc
	v_and_b32_e32 v11, 0x80000000, v11
	v_xor_b32_e32 v4, v4, v11
	v_mul_f64 v[1:2], v[1:2], v[3:4]
	v_mov_b32_e32 v3, v21
	v_mov_b32_e32 v4, v22
	v_mul_f64 v[1:2], v[9:10], v[1:2]
	v_mul_f64 v[1:2], v[9:10], v[1:2]
	s_or_b64 exec, exec, s[8:9]
                                        ; implicit-def: $vgpr9_vgpr10
.LBB93_187:                             ;   in Loop: Header=BB93_161 Depth=1
	s_andn2_saveexec_b64 s[8:9], s[12:13]
	s_cbranch_execz .LBB93_189
.LBB93_188:                             ;   in Loop: Header=BB93_161 Depth=1
	v_add_f64 v[1:2], v[9:10], -v[9:10]
	v_mov_b32_e32 v4, v2
	v_mov_b32_e32 v3, v1
.LBB93_189:                             ;   in Loop: Header=BB93_161 Depth=1
	s_or_b64 exec, exec, s[8:9]
                                        ; implicit-def: $vgpr9_vgpr10
.LBB93_190:                             ;   in Loop: Header=BB93_161 Depth=1
	s_andn2_saveexec_b64 s[12:13], s[56:57]
	s_cbranch_execz .LBB93_207
; %bb.191:                              ;   in Loop: Header=BB93_161 Depth=1
	v_and_or_b32 v1, v4, s11, v3
	v_cmp_ne_u32_e32 vcc, 0, v1
	s_and_saveexec_b64 s[8:9], vcc
	s_xor_b64 s[8:9], exec, s[8:9]
	s_cbranch_execz .LBB93_193
; %bb.192:                              ;   in Loop: Header=BB93_161 Depth=1
	v_mul_f64 v[1:2], v[9:10], -v[11:12]
	v_cmp_eq_f64_e32 vcc, 0, v[9:10]
	v_cndmask_b32_e32 v2, v2, v10, vcc
	v_cndmask_b32_e32 v1, v1, v9, vcc
                                        ; implicit-def: $vgpr9_vgpr10
.LBB93_193:                             ;   in Loop: Header=BB93_161 Depth=1
	s_andn2_saveexec_b64 s[56:57], s[8:9]
	s_cbranch_execz .LBB93_206
; %bb.194:                              ;   in Loop: Header=BB93_161 Depth=1
	v_cmp_neq_f64_e64 s[8:9], |v[9:10]|, s[40:41]
	s_and_saveexec_b64 s[64:65], s[8:9]
	s_cbranch_execz .LBB93_205
; %bb.195:                              ;   in Loop: Header=BB93_161 Depth=1
	v_cmp_nlt_f64_e64 s[8:9], |v[9:10]|, s[36:37]
                                        ; implicit-def: $vgpr39
                                        ; implicit-def: $vgpr1_vgpr2
                                        ; implicit-def: $vgpr11_vgpr12
	s_and_saveexec_b64 s[66:67], s[8:9]
	s_xor_b64 s[66:67], exec, s[66:67]
	s_cbranch_execz .LBB93_198
; %bb.196:                              ;   in Loop: Header=BB93_161 Depth=1
	v_trig_preop_f64 v[1:2], |v[9:10]|, 0
	v_ldexp_f64 v[11:12], |v[9:10]|, s10
	v_cmp_ge_f64_e64 vcc, |v[9:10]|, s[38:39]
	v_trig_preop_f64 v[35:36], |v[9:10]|, 1
	v_and_b32_e32 v22, 0x7fffffff, v10
	v_trig_preop_f64 v[43:44], |v[9:10]|, 2
	s_mov_b32 s18, s42
	s_mov_b32 s47, s23
	v_cndmask_b32_e32 v12, v22, v12, vcc
	v_cndmask_b32_e32 v11, v9, v11, vcc
	v_mul_f64 v[37:38], v[1:2], v[11:12]
	v_mul_f64 v[39:40], v[35:36], v[11:12]
	v_mul_f64 v[56:57], v[43:44], v[11:12]
	v_fma_f64 v[1:2], v[1:2], v[11:12], -v[37:38]
	v_fma_f64 v[35:36], v[35:36], v[11:12], -v[39:40]
	;; [unrolled: 1-line block ×3, first 2 shown]
	v_add_f64 v[41:42], v[39:40], v[1:2]
	v_add_f64 v[52:53], v[41:42], -v[39:40]
	v_add_f64 v[58:59], v[37:38], v[41:42]
	v_add_f64 v[54:55], v[41:42], -v[52:53]
	v_add_f64 v[1:2], v[1:2], -v[52:53]
	v_add_f64 v[52:53], v[56:57], v[35:36]
	v_add_f64 v[37:38], v[58:59], -v[37:38]
	v_add_f64 v[39:40], v[39:40], -v[54:55]
	v_ldexp_f64 v[54:55], v[58:59], -2
	v_add_f64 v[60:61], v[52:53], -v[56:57]
	v_add_f64 v[37:38], v[41:42], -v[37:38]
	v_add_f64 v[1:2], v[1:2], v[39:40]
	v_fract_f64_e32 v[39:40], v[54:55]
	v_cmp_neq_f64_e64 vcc, |v[54:55]|, s[40:41]
	v_add_f64 v[35:36], v[35:36], -v[60:61]
	v_add_f64 v[41:42], v[52:53], v[1:2]
	v_ldexp_f64 v[39:40], v[39:40], 2
	v_add_f64 v[54:55], v[37:38], v[41:42]
	v_cndmask_b32_e32 v40, 0, v40, vcc
	v_cndmask_b32_e32 v39, 0, v39, vcc
	v_add_f64 v[62:63], v[41:42], -v[52:53]
	v_add_f64 v[58:59], v[54:55], v[39:40]
	v_add_f64 v[37:38], v[54:55], -v[37:38]
	v_add_f64 v[64:65], v[41:42], -v[62:63]
	;; [unrolled: 1-line block ×3, first 2 shown]
	v_cmp_gt_f64_e32 vcc, 0, v[58:59]
	v_add_f64 v[58:59], v[52:53], -v[60:61]
	v_add_f64 v[37:38], v[41:42], -v[37:38]
	;; [unrolled: 1-line block ×3, first 2 shown]
	v_cndmask_b32_e32 v22, 0, v46, vcc
	v_add_f64 v[39:40], v[39:40], v[21:22]
	v_add_f64 v[58:59], v[56:57], -v[58:59]
	v_add_f64 v[1:2], v[1:2], v[52:53]
	v_add_f64 v[66:67], v[54:55], v[39:40]
	;; [unrolled: 1-line block ×3, first 2 shown]
	v_cvt_i32_f64_e32 v62, v[66:67]
	v_add_f64 v[1:2], v[35:36], v[1:2]
	v_cvt_f64_i32_e32 v[60:61], v62
	v_add_f64 v[39:40], v[39:40], -v[60:61]
	v_add_f64 v[1:2], v[11:12], v[1:2]
	v_add_f64 v[35:36], v[54:55], v[39:40]
	v_add_f64 v[1:2], v[37:38], v[1:2]
	v_add_f64 v[11:12], v[35:36], -v[39:40]
	v_cmp_le_f64_e32 vcc, 0.5, v[35:36]
	v_add_f64 v[11:12], v[54:55], -v[11:12]
	v_cndmask_b32_e32 v22, 0, v47, vcc
	v_add_f64 v[1:2], v[1:2], v[11:12]
	v_add_f64 v[11:12], v[35:36], -v[21:22]
	v_add_f64 v[35:36], v[11:12], v[1:2]
	v_mul_f64 v[37:38], v[35:36], s[18:19]
	v_add_f64 v[11:12], v[35:36], -v[11:12]
	v_fma_f64 v[39:40], v[35:36], s[18:19], -v[37:38]
	v_add_f64 v[1:2], v[1:2], -v[11:12]
	v_fma_f64 v[11:12], v[35:36], s[46:47], v[39:40]
	v_addc_co_u32_e32 v39, vcc, 0, v62, vcc
	v_fma_f64 v[11:12], v[1:2], s[18:19], v[11:12]
	v_add_f64 v[1:2], v[37:38], v[11:12]
	v_add_f64 v[35:36], v[1:2], -v[37:38]
	v_add_f64 v[11:12], v[11:12], -v[35:36]
	s_andn2_saveexec_b64 s[66:67], s[66:67]
	s_cbranch_execz .LBB93_200
	s_branch .LBB93_199
.LBB93_197:                             ;   in Loop: Header=BB93_161 Depth=1
	s_or_b64 exec, exec, s[8:9]
                                        ; implicit-def: $vgpr9_vgpr10
	s_andn2_saveexec_b64 s[8:9], s[12:13]
	s_cbranch_execnz .LBB93_188
	s_branch .LBB93_189
.LBB93_198:                             ;   in Loop: Header=BB93_161 Depth=1
	s_andn2_saveexec_b64 s[66:67], s[66:67]
	s_cbranch_execz .LBB93_200
.LBB93_199:                             ;   in Loop: Header=BB93_161 Depth=1
	v_mul_f64 v[1:2], |v[9:10]|, s[20:21]
	s_mov_b32 s22, s44
	v_rndne_f64_e32 v[35:36], v[1:2]
	v_fma_f64 v[1:2], v[35:36], s[42:43], |v[9:10]|
	v_mul_f64 v[11:12], v[35:36], s[44:45]
	v_fma_f64 v[41:42], v[35:36], s[44:45], v[1:2]
	v_add_f64 v[37:38], v[1:2], v[11:12]
	v_add_f64 v[39:40], v[1:2], -v[37:38]
	v_add_f64 v[37:38], v[37:38], -v[41:42]
	v_add_f64 v[1:2], v[39:40], v[11:12]
	v_fma_f64 v[11:12], v[35:36], s[22:23], v[11:12]
	v_cvt_i32_f64_e32 v39, v[35:36]
	v_add_f64 v[1:2], v[37:38], v[1:2]
	v_add_f64 v[1:2], v[1:2], -v[11:12]
	v_fma_f64 v[11:12], v[35:36], s[24:25], v[1:2]
	v_add_f64 v[1:2], v[41:42], v[11:12]
	v_add_f64 v[37:38], v[1:2], -v[41:42]
	v_add_f64 v[11:12], v[11:12], -v[37:38]
.LBB93_200:                             ;   in Loop: Header=BB93_161 Depth=1
	s_or_b64 exec, exec, s[66:67]
                                        ; implicit-def: $vgpr22
                                        ; implicit-def: $vgpr35_vgpr36
                                        ; implicit-def: $vgpr37_vgpr38
	s_and_saveexec_b64 s[66:67], s[8:9]
	s_xor_b64 s[8:9], exec, s[66:67]
	s_cbranch_execz .LBB93_202
; %bb.201:                              ;   in Loop: Header=BB93_161 Depth=1
	v_trig_preop_f64 v[35:36], |v[9:10]|, 0
	v_ldexp_f64 v[37:38], |v[9:10]|, s10
	v_cmp_ge_f64_e64 vcc, |v[9:10]|, s[38:39]
	v_trig_preop_f64 v[40:41], |v[9:10]|, 1
	v_and_b32_e32 v22, 0x7fffffff, v10
	v_trig_preop_f64 v[56:57], |v[9:10]|, 2
	s_mov_b32 s18, s42
	s_mov_b32 s47, s23
	v_cndmask_b32_e32 v38, v22, v38, vcc
	v_cndmask_b32_e32 v37, v9, v37, vcc
	v_mul_f64 v[42:43], v[35:36], v[37:38]
	v_mul_f64 v[52:53], v[40:41], v[37:38]
	;; [unrolled: 1-line block ×3, first 2 shown]
	v_fma_f64 v[35:36], v[35:36], v[37:38], -v[42:43]
	v_fma_f64 v[40:41], v[40:41], v[37:38], -v[52:53]
	;; [unrolled: 1-line block ×3, first 2 shown]
	v_add_f64 v[54:55], v[52:53], v[35:36]
	v_add_f64 v[58:59], v[54:55], -v[52:53]
	v_add_f64 v[64:65], v[42:43], v[54:55]
	v_add_f64 v[60:61], v[54:55], -v[58:59]
	v_add_f64 v[35:36], v[35:36], -v[58:59]
	v_add_f64 v[58:59], v[62:63], v[40:41]
	v_add_f64 v[42:43], v[64:65], -v[42:43]
	v_add_f64 v[52:53], v[52:53], -v[60:61]
	v_ldexp_f64 v[60:61], v[64:65], -2
	v_add_f64 v[66:67], v[58:59], -v[62:63]
	v_add_f64 v[42:43], v[54:55], -v[42:43]
	v_add_f64 v[35:36], v[35:36], v[52:53]
	v_fract_f64_e32 v[52:53], v[60:61]
	v_cmp_neq_f64_e64 vcc, |v[60:61]|, s[40:41]
	v_add_f64 v[40:41], v[40:41], -v[66:67]
	v_add_f64 v[54:55], v[58:59], v[35:36]
	v_ldexp_f64 v[52:53], v[52:53], 2
	v_add_f64 v[60:61], v[42:43], v[54:55]
	v_cndmask_b32_e32 v53, 0, v53, vcc
	v_cndmask_b32_e32 v52, 0, v52, vcc
	v_add_f64 v[68:69], v[54:55], -v[58:59]
	v_add_f64 v[64:65], v[60:61], v[52:53]
	v_add_f64 v[42:43], v[60:61], -v[42:43]
	v_add_f64 v[70:71], v[54:55], -v[68:69]
	;; [unrolled: 1-line block ×3, first 2 shown]
	v_cmp_gt_f64_e32 vcc, 0, v[64:65]
	v_add_f64 v[64:65], v[58:59], -v[66:67]
	v_add_f64 v[42:43], v[54:55], -v[42:43]
	;; [unrolled: 1-line block ×3, first 2 shown]
	v_cndmask_b32_e32 v22, 0, v46, vcc
	v_add_f64 v[52:53], v[52:53], v[21:22]
	v_add_f64 v[64:65], v[62:63], -v[64:65]
	v_add_f64 v[35:36], v[35:36], v[58:59]
	v_add_f64 v[72:73], v[60:61], v[52:53]
	;; [unrolled: 1-line block ×3, first 2 shown]
	v_cvt_i32_f64_e32 v44, v[72:73]
	v_add_f64 v[35:36], v[40:41], v[35:36]
	v_cvt_f64_i32_e32 v[66:67], v44
	v_add_f64 v[52:53], v[52:53], -v[66:67]
	v_add_f64 v[35:36], v[37:38], v[35:36]
	v_add_f64 v[40:41], v[60:61], v[52:53]
	;; [unrolled: 1-line block ×3, first 2 shown]
	v_add_f64 v[37:38], v[40:41], -v[52:53]
	v_cmp_le_f64_e32 vcc, 0.5, v[40:41]
	v_add_f64 v[37:38], v[60:61], -v[37:38]
	v_cndmask_b32_e32 v22, 0, v47, vcc
	v_add_f64 v[35:36], v[35:36], v[37:38]
	v_add_f64 v[37:38], v[40:41], -v[21:22]
	v_addc_co_u32_e32 v22, vcc, 0, v44, vcc
	v_add_f64 v[40:41], v[37:38], v[35:36]
	v_mul_f64 v[42:43], v[40:41], s[18:19]
	v_add_f64 v[37:38], v[40:41], -v[37:38]
	v_fma_f64 v[52:53], v[40:41], s[18:19], -v[42:43]
	v_add_f64 v[35:36], v[35:36], -v[37:38]
	v_fma_f64 v[37:38], v[40:41], s[46:47], v[52:53]
	v_fma_f64 v[37:38], v[35:36], s[18:19], v[37:38]
	v_add_f64 v[35:36], v[42:43], v[37:38]
	v_add_f64 v[40:41], v[35:36], -v[42:43]
	v_add_f64 v[37:38], v[37:38], -v[40:41]
	s_andn2_saveexec_b64 s[8:9], s[8:9]
	s_cbranch_execnz .LBB93_203
	s_branch .LBB93_204
.LBB93_202:                             ;   in Loop: Header=BB93_161 Depth=1
	s_andn2_saveexec_b64 s[8:9], s[8:9]
	s_cbranch_execz .LBB93_204
.LBB93_203:                             ;   in Loop: Header=BB93_161 Depth=1
	v_mul_f64 v[35:36], |v[9:10]|, s[20:21]
	s_mov_b32 s22, s44
	v_rndne_f64_e32 v[40:41], v[35:36]
	v_fma_f64 v[35:36], v[40:41], s[42:43], |v[9:10]|
	v_mul_f64 v[37:38], v[40:41], s[44:45]
	v_cvt_i32_f64_e32 v22, v[40:41]
	v_fma_f64 v[54:55], v[40:41], s[44:45], v[35:36]
	v_add_f64 v[42:43], v[35:36], v[37:38]
	v_add_f64 v[52:53], v[35:36], -v[42:43]
	v_add_f64 v[42:43], v[42:43], -v[54:55]
	v_add_f64 v[35:36], v[52:53], v[37:38]
	v_fma_f64 v[37:38], v[40:41], s[22:23], v[37:38]
	v_add_f64 v[35:36], v[42:43], v[35:36]
	v_add_f64 v[35:36], v[35:36], -v[37:38]
	v_fma_f64 v[37:38], v[40:41], s[24:25], v[35:36]
	v_add_f64 v[35:36], v[54:55], v[37:38]
	v_add_f64 v[42:43], v[35:36], -v[54:55]
	v_add_f64 v[37:38], v[37:38], -v[42:43]
.LBB93_204:                             ;   in Loop: Header=BB93_161 Depth=1
	s_or_b64 exec, exec, s[8:9]
	v_mul_f64 v[40:41], v[1:2], v[1:2]
	v_mul_f64 v[42:43], v[35:36], v[35:36]
	v_mov_b32_e32 v52, s90
	v_mov_b32_e32 v53, s91
	;; [unrolled: 1-line block ×4, first 2 shown]
	v_mul_f64 v[66:67], v[11:12], 0.5
	v_mul_f64 v[74:75], v[37:38], 0.5
	v_fma_f64 v[54:55], v[40:41], s[92:93], v[52:53]
	v_fma_f64 v[52:53], v[42:43], s[92:93], v[52:53]
	v_fma_f64 v[58:59], v[40:41], s[80:81], v[56:57]
	v_mul_f64 v[60:61], v[40:41], 0.5
	v_fma_f64 v[56:57], v[42:43], s[80:81], v[56:57]
	v_mul_f64 v[62:63], v[42:43], 0.5
	v_mul_f64 v[68:69], v[1:2], -v[40:41]
	v_mul_f64 v[76:77], v[35:36], -v[42:43]
	v_fma_f64 v[54:55], v[40:41], v[54:55], s[94:95]
	v_fma_f64 v[52:53], v[42:43], v[52:53], s[94:95]
	;; [unrolled: 1-line block ×3, first 2 shown]
	v_add_f64 v[64:65], -v[60:61], 1.0
	v_fma_f64 v[56:57], v[42:43], v[56:57], s[82:83]
	v_add_f64 v[70:71], -v[62:63], 1.0
	s_mov_b32 s60, s76
	v_and_b32_e32 v44, 1, v39
	v_fma_f64 v[54:55], v[40:41], v[54:55], s[26:27]
	v_fma_f64 v[52:53], v[42:43], v[52:53], s[26:27]
	;; [unrolled: 1-line block ×3, first 2 shown]
	v_add_f64 v[72:73], -v[64:65], 1.0
	v_fma_f64 v[56:57], v[42:43], v[56:57], s[84:85]
	v_add_f64 v[78:79], -v[70:71], 1.0
	v_cmp_class_f64_e64 s[8:9], v[9:10], s72
	v_cmp_eq_u32_e32 vcc, 0, v44
	v_fma_f64 v[54:55], v[40:41], v[54:55], s[58:59]
	v_fma_f64 v[52:53], v[42:43], v[52:53], s[58:59]
	;; [unrolled: 1-line block ×3, first 2 shown]
	v_add_f64 v[60:61], v[72:73], -v[60:61]
	v_fma_f64 v[56:57], v[42:43], v[56:57], s[86:87]
	v_add_f64 v[62:63], v[78:79], -v[62:63]
	v_fma_f64 v[54:55], v[68:69], v[54:55], v[66:67]
	v_fma_f64 v[52:53], v[76:77], v[52:53], v[74:75]
	v_mul_f64 v[66:67], v[40:41], v[40:41]
	v_fma_f64 v[58:59], v[40:41], v[58:59], s[76:77]
	v_fma_f64 v[60:61], v[1:2], -v[11:12], v[60:61]
	v_fma_f64 v[11:12], v[40:41], v[54:55], -v[11:12]
	v_fma_f64 v[52:53], v[42:43], v[52:53], -v[37:38]
	v_mul_f64 v[40:41], v[42:43], v[42:43]
	v_fma_f64 v[42:43], v[42:43], v[56:57], s[76:77]
	v_fma_f64 v[37:38], v[35:36], -v[37:38], v[62:63]
	v_fma_f64 v[54:55], v[66:67], v[58:59], v[60:61]
	v_lshlrev_b32_e32 v56, 30, v39
	v_fma_f64 v[11:12], v[68:69], s[60:61], v[11:12]
	v_fma_f64 v[52:53], v[76:77], s[60:61], v[52:53]
	v_fma_f64 v[37:38], v[40:41], v[42:43], v[37:38]
	v_add_f64 v[39:40], v[64:65], v[54:55]
	v_and_b32_e32 v41, 1, v22
	v_lshlrev_b32_e32 v22, 30, v22
	v_add_f64 v[1:2], v[1:2], -v[11:12]
	v_add_f64 v[11:12], v[35:36], -v[52:53]
	v_xor_b32_e32 v42, v56, v10
	v_and_b32_e32 v22, 0x80000000, v22
	v_add_f64 v[35:36], v[70:71], v[37:38]
	v_and_b32_e32 v37, 0x80000000, v42
	v_cndmask_b32_e32 v1, v39, v1, vcc
	v_cndmask_b32_e32 v2, v40, v2, vcc
	v_xor_b32_e32 v9, 0x80000000, v12
	v_cmp_eq_u32_e32 vcc, 0, v41
	v_cndmask_b32_e32 v9, v9, v36, vcc
	v_cndmask_b32_e32 v10, v11, v35, vcc
	v_xor_b32_e32 v2, v2, v37
	v_xor_b32_e32 v11, v9, v22
	v_cndmask_b32_e64 v1, 0, v1, s[8:9]
	v_cndmask_b32_e64 v2, v51, v2, s[8:9]
	;; [unrolled: 1-line block ×4, first 2 shown]
	v_mul_f64 v[9:10], v[1:2], v[9:10]
.LBB93_205:                             ;   in Loop: Header=BB93_161 Depth=1
	s_or_b64 exec, exec, s[64:65]
	v_bfi_b32 v22, s70, 0, v10
	v_mov_b32_e32 v1, v21
	v_add_u32_e32 v4, -2.0, v4
	v_mov_b32_e32 v2, v22
.LBB93_206:                             ;   in Loop: Header=BB93_161 Depth=1
	s_or_b64 exec, exec, s[56:57]
.LBB93_207:                             ;   in Loop: Header=BB93_161 Depth=1
	s_or_b64 exec, exec, s[12:13]
	v_xor_b32_e32 v12, 0x80000000, v20
	v_and_b32_e32 v9, 0x7fffffff, v12
	v_mov_b32_e32 v11, v19
	v_cmp_gt_u32_e32 vcc, s71, v9
	s_and_saveexec_b64 s[8:9], vcc
	s_xor_b64 s[56:57], exec, s[8:9]
	s_cbranch_execz .LBB93_229
; %bb.208:                              ;   in Loop: Header=BB93_161 Depth=1
	v_cmp_class_f64_e64 s[8:9], v[17:18], s72
	s_and_saveexec_b64 s[12:13], s[8:9]
	s_xor_b64 s[12:13], exec, s[12:13]
	s_cbranch_execz .LBB93_226
; %bb.209:                              ;   in Loop: Header=BB93_161 Depth=1
	v_cmp_gt_u32_e32 vcc, s73, v9
	s_and_saveexec_b64 s[8:9], vcc
	s_xor_b64 s[64:65], exec, s[8:9]
	s_cbranch_execz .LBB93_215
; %bb.210:                              ;   in Loop: Header=BB93_161 Depth=1
	v_cmp_nlt_f64_e64 s[8:9], |v[17:18]|, s[36:37]
                                        ; implicit-def: $vgpr11
                                        ; implicit-def: $vgpr9_vgpr10
                                        ; implicit-def: $vgpr35_vgpr36
	s_and_saveexec_b64 s[66:67], s[8:9]
	s_xor_b64 s[8:9], exec, s[66:67]
	s_cbranch_execz .LBB93_212
; %bb.211:                              ;   in Loop: Header=BB93_161 Depth=1
	v_trig_preop_f64 v[9:10], |v[17:18]|, 0
	v_ldexp_f64 v[35:36], |v[17:18]|, s10
	v_cmp_ge_f64_e64 vcc, |v[17:18]|, s[38:39]
	v_trig_preop_f64 v[37:38], |v[17:18]|, 1
	v_and_b32_e32 v11, 0x7fffffff, v18
	v_trig_preop_f64 v[52:53], |v[17:18]|, 2
	s_mov_b32 s18, s42
	s_mov_b32 s47, s23
	v_cndmask_b32_e32 v36, v11, v36, vcc
	v_cndmask_b32_e32 v35, v17, v35, vcc
	v_mul_f64 v[39:40], v[9:10], v[35:36]
	v_mul_f64 v[41:42], v[37:38], v[35:36]
	;; [unrolled: 1-line block ×3, first 2 shown]
	v_fma_f64 v[9:10], v[9:10], v[35:36], -v[39:40]
	v_fma_f64 v[37:38], v[37:38], v[35:36], -v[41:42]
	;; [unrolled: 1-line block ×3, first 2 shown]
	v_add_f64 v[43:44], v[41:42], v[9:10]
	v_add_f64 v[54:55], v[43:44], -v[41:42]
	v_add_f64 v[60:61], v[39:40], v[43:44]
	v_add_f64 v[56:57], v[43:44], -v[54:55]
	v_add_f64 v[9:10], v[9:10], -v[54:55]
	v_add_f64 v[54:55], v[58:59], v[37:38]
	v_add_f64 v[39:40], v[60:61], -v[39:40]
	v_add_f64 v[41:42], v[41:42], -v[56:57]
	v_ldexp_f64 v[56:57], v[60:61], -2
	v_add_f64 v[62:63], v[54:55], -v[58:59]
	v_add_f64 v[39:40], v[43:44], -v[39:40]
	v_add_f64 v[9:10], v[9:10], v[41:42]
	v_fract_f64_e32 v[41:42], v[56:57]
	v_cmp_neq_f64_e64 vcc, |v[56:57]|, s[40:41]
	v_add_f64 v[37:38], v[37:38], -v[62:63]
	v_add_f64 v[43:44], v[54:55], v[9:10]
	v_ldexp_f64 v[41:42], v[41:42], 2
	v_add_f64 v[56:57], v[39:40], v[43:44]
	v_cndmask_b32_e32 v42, 0, v42, vcc
	v_cndmask_b32_e32 v41, 0, v41, vcc
	v_add_f64 v[64:65], v[43:44], -v[54:55]
	v_add_f64 v[60:61], v[56:57], v[41:42]
	v_add_f64 v[39:40], v[56:57], -v[39:40]
	v_add_f64 v[66:67], v[43:44], -v[64:65]
	;; [unrolled: 1-line block ×3, first 2 shown]
	v_cmp_gt_f64_e32 vcc, 0, v[60:61]
	v_add_f64 v[60:61], v[54:55], -v[62:63]
	v_add_f64 v[39:40], v[43:44], -v[39:40]
	;; [unrolled: 1-line block ×3, first 2 shown]
	v_cndmask_b32_e32 v22, 0, v46, vcc
	v_add_f64 v[41:42], v[41:42], v[21:22]
	v_add_f64 v[60:61], v[58:59], -v[60:61]
	v_add_f64 v[9:10], v[9:10], v[54:55]
	v_add_f64 v[68:69], v[56:57], v[41:42]
	;; [unrolled: 1-line block ×3, first 2 shown]
	v_cvt_i32_f64_e32 v11, v[68:69]
	v_add_f64 v[9:10], v[37:38], v[9:10]
	v_cvt_f64_i32_e32 v[62:63], v11
	v_add_f64 v[41:42], v[41:42], -v[62:63]
	v_add_f64 v[9:10], v[35:36], v[9:10]
	v_add_f64 v[37:38], v[56:57], v[41:42]
	;; [unrolled: 1-line block ×3, first 2 shown]
	v_add_f64 v[35:36], v[37:38], -v[41:42]
	v_cmp_le_f64_e32 vcc, 0.5, v[37:38]
	v_add_f64 v[35:36], v[56:57], -v[35:36]
	v_cndmask_b32_e32 v22, 0, v47, vcc
	v_addc_co_u32_e32 v11, vcc, 0, v11, vcc
	v_add_f64 v[9:10], v[9:10], v[35:36]
	v_add_f64 v[35:36], v[37:38], -v[21:22]
	v_add_f64 v[37:38], v[35:36], v[9:10]
	v_mul_f64 v[39:40], v[37:38], s[18:19]
	v_add_f64 v[35:36], v[37:38], -v[35:36]
	v_fma_f64 v[41:42], v[37:38], s[18:19], -v[39:40]
	v_add_f64 v[9:10], v[9:10], -v[35:36]
	v_fma_f64 v[35:36], v[37:38], s[46:47], v[41:42]
	v_fma_f64 v[35:36], v[9:10], s[18:19], v[35:36]
	v_add_f64 v[9:10], v[39:40], v[35:36]
	v_add_f64 v[37:38], v[9:10], -v[39:40]
	v_add_f64 v[35:36], v[35:36], -v[37:38]
.LBB93_212:                             ;   in Loop: Header=BB93_161 Depth=1
	s_andn2_saveexec_b64 s[8:9], s[8:9]
	s_cbranch_execz .LBB93_214
; %bb.213:                              ;   in Loop: Header=BB93_161 Depth=1
	v_mul_f64 v[9:10], |v[17:18]|, s[20:21]
	s_mov_b32 s22, s44
	v_rndne_f64_e32 v[37:38], v[9:10]
	v_fma_f64 v[9:10], v[37:38], s[42:43], |v[17:18]|
	v_mul_f64 v[35:36], v[37:38], s[44:45]
	v_cvt_i32_f64_e32 v11, v[37:38]
	v_fma_f64 v[43:44], v[37:38], s[44:45], v[9:10]
	v_add_f64 v[39:40], v[9:10], v[35:36]
	v_add_f64 v[41:42], v[9:10], -v[39:40]
	v_add_f64 v[39:40], v[39:40], -v[43:44]
	v_add_f64 v[9:10], v[41:42], v[35:36]
	v_fma_f64 v[35:36], v[37:38], s[22:23], v[35:36]
	v_add_f64 v[9:10], v[39:40], v[9:10]
	v_add_f64 v[9:10], v[9:10], -v[35:36]
	v_fma_f64 v[35:36], v[37:38], s[24:25], v[9:10]
	v_add_f64 v[9:10], v[43:44], v[35:36]
	v_add_f64 v[39:40], v[9:10], -v[43:44]
	v_add_f64 v[35:36], v[35:36], -v[39:40]
.LBB93_214:                             ;   in Loop: Header=BB93_161 Depth=1
	s_or_b64 exec, exec, s[8:9]
	v_add_f64 v[37:38], |v[19:20]|, s[52:53]
	s_mov_b32 s54, s52
	s_mov_b32 s8, 0x3b39803f
	;; [unrolled: 1-line block ×7, first 2 shown]
	v_add_f64 v[39:40], v[37:38], -|v[19:20]|
	v_and_b32_e32 v18, 0x80000000, v18
	v_add_f64 v[41:42], v[39:40], -v[37:38]
	v_add_f64 v[39:40], v[39:40], s[54:55]
	v_add_f64 v[41:42], |v[19:20]|, v[41:42]
	v_add_f64 v[39:40], v[41:42], -v[39:40]
	v_add_f64 v[39:40], v[39:40], s[8:9]
	s_mov_b32 s8, 0xf278e000
	s_mov_b32 s9, 0xbd53de6a
	v_add_f64 v[41:42], v[37:38], v[39:40]
	v_mul_f64 v[43:44], v[41:42], s[30:31]
	v_add_f64 v[37:38], v[37:38], -v[41:42]
	v_rndne_f64_e32 v[43:44], v[43:44]
	v_add_f64 v[37:38], v[39:40], v[37:38]
	v_fma_f64 v[39:40], v[43:44], s[48:49], v[41:42]
	v_mul_f64 v[41:42], v[43:44], s[8:9]
	s_mov_b32 s8, 0xf97b57a0
	s_mov_b32 s9, 0xbac9cc01
	v_cvt_i32_f64_e32 v17, v[43:44]
	v_add_f64 v[52:53], v[37:38], v[39:40]
	v_add_f64 v[54:55], v[52:53], v[41:42]
	v_add_f64 v[39:40], v[39:40], -v[52:53]
	v_add_f64 v[52:53], v[52:53], -v[54:55]
	v_add_f64 v[37:38], v[37:38], v[39:40]
	v_add_f64 v[39:40], v[52:53], v[41:42]
	;; [unrolled: 1-line block ×3, first 2 shown]
	v_mul_f64 v[39:40], v[43:44], s[8:9]
	s_mov_b32 s8, 0x6a5dcb37
	s_mov_b32 s9, 0x3e5ade15
	v_add_f64 v[41:42], v[54:55], v[37:38]
	v_add_f64 v[52:53], v[41:42], v[39:40]
	v_add_f64 v[54:55], v[54:55], -v[41:42]
	v_add_f64 v[41:42], v[41:42], -v[52:53]
	v_add_f64 v[37:38], v[37:38], v[54:55]
	v_add_f64 v[39:40], v[41:42], v[39:40]
	;; [unrolled: 1-line block ×4, first 2 shown]
	v_fma_f64 v[41:42], v[39:40], s[8:9], v[25:26]
	s_mov_b32 s8, 0x623fde64
	s_mov_b32 s9, 0x3ec71dee
	v_add_f64 v[52:53], v[52:53], -v[39:40]
	v_mul_f64 v[54:55], v[39:40], v[39:40]
	v_fma_f64 v[41:42], v[39:40], v[41:42], s[8:9]
	s_mov_b32 s8, 0x7c89e6b0
	s_mov_b32 s9, 0x3efa0199
	v_add_f64 v[37:38], v[37:38], v[52:53]
	v_fma_f64 v[52:53], v[39:40], v[39:40], -v[54:55]
	v_fma_f64 v[41:42], v[39:40], v[41:42], s[8:9]
	s_mov_b32 s8, 0x14761f6e
	s_mov_b32 s9, 0x3f2a01a0
	v_add_f64 v[56:57], v[37:38], v[37:38]
	v_fma_f64 v[41:42], v[39:40], v[41:42], s[8:9]
	s_mov_b32 s8, 0x1852b7b0
	s_mov_b32 s9, 0x3f56c16c
	v_fma_f64 v[52:53], v[39:40], v[56:57], v[52:53]
	v_fma_f64 v[41:42], v[39:40], v[41:42], s[8:9]
	s_mov_b32 s8, 0x55555511
	s_mov_b32 s9, 0x3fc55555
	v_add_f64 v[56:57], v[54:55], v[52:53]
	v_fma_f64 v[41:42], v[39:40], v[41:42], s[28:29]
	v_add_f64 v[54:55], v[56:57], -v[54:55]
	v_fma_f64 v[41:42], v[39:40], v[41:42], s[88:89]
	v_add_f64 v[52:53], v[52:53], -v[54:55]
	v_fma_f64 v[41:42], v[39:40], v[41:42], s[8:9]
	s_mov_b32 s8, 11
	s_mov_b32 s9, 0x3fe00000
	v_fma_f64 v[41:42], v[39:40], v[41:42], s[8:9]
	s_mov_b32 s8, 0xc751c08c
	s_mov_b32 s9, 0x3ef5e089
	v_mul_f64 v[58:59], v[56:57], v[41:42]
	v_fma_f64 v[54:55], v[56:57], v[41:42], -v[58:59]
	v_fma_f64 v[41:42], v[52:53], v[41:42], v[54:55]
	v_add_f64 v[52:53], v[58:59], v[41:42]
	v_add_f64 v[54:55], v[39:40], v[52:53]
	v_add_f64 v[56:57], v[52:53], -v[58:59]
	v_add_f64 v[39:40], v[54:55], -v[39:40]
	v_add_f64 v[41:42], v[41:42], -v[56:57]
	v_add_f64 v[56:57], v[35:36], v[35:36]
	v_add_f64 v[39:40], v[52:53], -v[39:40]
	v_add_f64 v[37:38], v[37:38], v[41:42]
	v_add_f64 v[37:38], v[37:38], v[39:40]
	;; [unrolled: 1-line block ×3, first 2 shown]
	v_add_f64 v[41:42], v[39:40], 1.0
	v_add_f64 v[52:53], v[39:40], -v[54:55]
	v_add_f64 v[54:55], v[41:42], -1.0
	v_add_f64 v[37:38], v[37:38], -v[52:53]
	v_add_f64 v[39:40], v[39:40], -v[54:55]
	v_add_f64 v[37:38], v[37:38], v[39:40]
	v_add_f64 v[39:40], v[41:42], v[37:38]
	v_ldexp_f64 v[43:44], v[39:40], v17
	v_add_f64 v[39:40], v[39:40], -v[41:42]
	v_rcp_f64_e32 v[52:53], v[43:44]
	v_add_f64 v[37:38], v[37:38], -v[39:40]
	v_ldexp_f64 v[37:38], v[37:38], v17
	v_fma_f64 v[54:55], -v[43:44], v[52:53], 1.0
	v_fma_f64 v[52:53], v[54:55], v[52:53], v[52:53]
	v_fma_f64 v[54:55], -v[43:44], v[52:53], 1.0
	v_fma_f64 v[41:42], v[54:55], v[52:53], v[52:53]
	v_mul_f64 v[52:53], v[9:10], v[9:10]
	v_mul_f64 v[39:40], v[43:44], v[41:42]
	v_fma_f64 v[58:59], v[9:10], v[9:10], -v[52:53]
	v_fma_f64 v[54:55], v[41:42], v[43:44], -v[39:40]
	v_fma_f64 v[56:57], v[9:10], v[56:57], v[58:59]
	v_fma_f64 v[54:55], v[41:42], v[37:38], v[54:55]
	v_add_f64 v[52:53], v[52:53], v[56:57]
	v_add_f64 v[58:59], v[39:40], v[54:55]
	v_fma_f64 v[60:61], v[52:53], s[8:9], v[23:24]
	s_mov_b32 s8, 0x90a8aae0
	s_mov_b32 s9, 0x3f17746f
	v_add_f64 v[56:57], -v[58:59], 1.0
	v_add_f64 v[39:40], v[58:59], -v[39:40]
	v_fma_f64 v[60:61], v[52:53], v[60:61], s[8:9]
	s_mov_b32 s8, 0xa6fbf144
	s_mov_b32 s9, 0xbefbb44d
	v_add_f64 v[62:63], -v[56:57], 1.0
	v_add_f64 v[39:40], v[39:40], -v[54:55]
	v_add_f64 v[54:55], v[62:63], -v[58:59]
	v_fma_f64 v[58:59], v[52:53], v[60:61], s[8:9]
	s_mov_b32 s8, 0xa7943acf
	s_mov_b32 s9, 0x3f21e634
	v_add_f64 v[39:40], v[39:40], v[54:55]
	v_fma_f64 v[54:55], v[52:53], v[58:59], s[8:9]
	s_mov_b32 s8, 0xdeb68feb
	s_mov_b32 s9, 0x3f2d250f
	v_add_f64 v[58:59], v[56:57], v[39:40]
	v_fma_f64 v[54:55], v[52:53], v[54:55], s[8:9]
	s_mov_b32 s8, 0xb58c4d95
	s_mov_b32 s9, 0x3f437fd9
	v_mul_f64 v[60:61], v[41:42], v[58:59]
	v_fma_f64 v[54:55], v[52:53], v[54:55], s[8:9]
	s_mov_b32 s8, 0x15120e2c
	s_mov_b32 s9, 0x3f57d5af
	v_add_f64 v[56:57], v[56:57], -v[58:59]
	v_mul_f64 v[62:63], v[43:44], v[60:61]
	v_fma_f64 v[54:55], v[52:53], v[54:55], s[8:9]
	s_mov_b32 s8, 0xe09491df
	s_mov_b32 s9, 0x3f6d6d93
	v_add_f64 v[39:40], v[39:40], v[56:57]
	v_fma_f64 v[64:65], v[60:61], v[43:44], -v[62:63]
	v_fma_f64 v[54:55], v[52:53], v[54:55], s[8:9]
	s_mov_b32 s8, 0x2033784d
	s_mov_b32 s9, 0x3f8226e1
	v_fma_f64 v[64:65], v[60:61], v[37:38], v[64:65]
	v_fma_f64 v[54:55], v[52:53], v[54:55], s[8:9]
	s_mov_b32 s8, 0x9ac36ae2
	s_mov_b32 s9, 0x3f9664f4
	v_add_f64 v[66:67], v[62:63], v[64:65]
	v_fma_f64 v[54:55], v[52:53], v[54:55], s[8:9]
	s_mov_b32 s8, 0x1b451c21
	s_mov_b32 s9, 0x3faba1ba
	v_add_f64 v[68:69], v[58:59], -v[66:67]
	v_fma_f64 v[54:55], v[52:53], v[54:55], s[8:9]
	s_mov_b32 s8, 0x111185b7
	s_mov_b32 s9, 0x3fc11111
	v_add_f64 v[56:57], v[66:67], -v[62:63]
	v_add_f64 v[58:59], v[58:59], -v[68:69]
	v_fma_f64 v[54:55], v[52:53], v[54:55], s[8:9]
	s_mov_b32 s8, 0x555554ee
	s_mov_b32 s9, 0x3fd55555
	v_add_f64 v[56:57], v[56:57], -v[64:65]
	v_add_f64 v[58:59], v[58:59], -v[66:67]
	v_fma_f64 v[54:55], v[52:53], v[54:55], s[8:9]
	s_mov_b32 s8, 0x8fb9f87e
	s_mov_b32 s9, 0x408633ce
	v_cmp_nge_f64_e64 vcc, |v[19:20]|, s[8:9]
	s_mov_b32 s8, 0
	s_mov_b32 s9, 0x3e400000
	v_add_f64 v[39:40], v[39:40], v[58:59]
	v_mul_f64 v[52:53], v[52:53], v[54:55]
	v_add_f64 v[54:55], v[41:42], v[60:61]
	v_add_f64 v[39:40], v[56:57], v[39:40]
	v_mul_f64 v[56:57], v[9:10], v[52:53]
	v_add_f64 v[58:59], v[54:55], -v[41:42]
	v_add_f64 v[39:40], v[68:69], v[39:40]
	v_add_f64 v[62:63], v[9:10], v[56:57]
	v_add_f64 v[58:59], v[60:61], -v[58:59]
	v_mul_f64 v[39:40], v[41:42], v[39:40]
	v_fma_f64 v[41:42], v[9:10], v[52:53], -v[56:57]
	v_add_f64 v[9:10], v[62:63], -v[9:10]
	v_add_f64 v[39:40], v[58:59], v[39:40]
	v_add_f64 v[35:36], v[35:36], v[41:42]
	v_add_f64 v[9:10], v[56:57], -v[9:10]
	v_add_f64 v[41:42], v[54:55], v[39:40]
	v_add_f64 v[9:10], v[35:36], v[9:10]
	v_ldexp_f64 v[35:36], v[41:42], -2
	v_add_f64 v[41:42], v[41:42], -v[54:55]
	v_add_f64 v[52:53], v[62:63], v[9:10]
	v_add_f64 v[56:57], v[43:44], -v[35:36]
	v_add_f64 v[39:40], v[39:40], -v[41:42]
	v_rcp_f64_e32 v[58:59], v[52:53]
	v_add_f64 v[43:44], v[43:44], -v[56:57]
	v_ldexp_f64 v[39:40], v[39:40], -2
	v_add_f64 v[35:36], v[43:44], -v[35:36]
	v_fma_f64 v[41:42], -v[52:53], v[58:59], 1.0
	v_add_f64 v[35:36], v[37:38], v[35:36]
	v_fma_f64 v[37:38], v[41:42], v[58:59], v[58:59]
	v_add_f64 v[35:36], v[35:36], -v[39:40]
	v_fma_f64 v[39:40], -v[52:53], v[37:38], 1.0
	v_add_f64 v[35:36], v[56:57], v[35:36]
	v_fma_f64 v[37:38], v[39:40], v[37:38], v[37:38]
	v_cndmask_b32_e32 v17, v48, v36, vcc
	v_cndmask_b32_e32 v22, 0, v35, vcc
	v_cmp_lt_f64_e64 vcc, |v[19:20]|, s[8:9]
	v_and_b32_e32 v20, 0x7fffffff, v20
	s_mov_b32 s8, 0
	v_add_f64 v[35:36], v[52:53], -v[62:63]
	v_mul_f64 v[39:40], v[52:53], v[37:38]
	s_brev_b32 s9, 8
	v_cndmask_b32_e32 v17, v17, v20, vcc
	v_cndmask_b32_e32 v19, v22, v19, vcc
	v_bfi_b32 v20, s70, v17, v12
	v_fma_f64 v[41:42], v[19:20], v[19:20], 1.0
	v_add_f64 v[9:10], v[9:10], -v[35:36]
	v_fma_f64 v[35:36], v[37:38], v[52:53], -v[39:40]
	v_and_b32_e32 v17, 1, v11
	v_cmp_gt_f64_e32 vcc, s[8:9], v[41:42]
	v_cmp_eq_u32_e64 s[8:9], 0, v17
	v_fma_f64 v[9:10], v[37:38], v[9:10], v[35:36]
	v_cndmask_b32_e32 v12, 0, v49, vcc
	v_ldexp_f64 v[41:42], v[41:42], v12
	v_add_f64 v[43:44], v[39:40], v[9:10]
	v_cndmask_b32_e32 v22, 0, v50, vcc
	v_rsq_f64_e32 v[35:36], v[41:42]
	v_add_f64 v[54:55], -v[43:44], 1.0
	v_add_f64 v[39:40], v[43:44], -v[39:40]
	v_cmp_class_f64_e32 vcc, v[41:42], v45
	v_add_f64 v[58:59], -v[54:55], 1.0
	v_add_f64 v[9:10], v[39:40], -v[9:10]
	v_mul_f64 v[56:57], v[41:42], v[35:36]
	v_mul_f64 v[35:36], v[35:36], 0.5
	v_add_f64 v[43:44], v[58:59], -v[43:44]
	v_fma_f64 v[39:40], -v[35:36], v[56:57], 0.5
	v_add_f64 v[9:10], v[9:10], v[43:44]
	v_fma_f64 v[56:57], v[56:57], v[39:40], v[56:57]
	v_fma_f64 v[35:36], v[35:36], v[39:40], v[35:36]
	v_add_f64 v[9:10], v[54:55], v[9:10]
	v_fma_f64 v[39:40], -v[56:57], v[56:57], v[41:42]
	v_mul_f64 v[9:10], v[37:38], v[9:10]
	v_fma_f64 v[39:40], v[39:40], v[35:36], v[56:57]
	v_add_f64 v[9:10], v[37:38], v[9:10]
	v_fma_f64 v[43:44], -v[39:40], v[39:40], v[41:42]
	v_xor_b32_e32 v10, 0x80000000, v10
	v_cndmask_b32_e64 v10, v10, v53, s[8:9]
	v_cndmask_b32_e64 v9, v9, v52, s[8:9]
	v_xor_b32_e32 v10, v10, v18
	v_fma_f64 v[17:18], v[9:10], v[9:10], 1.0
	v_fma_f64 v[11:12], v[43:44], v[35:36], v[39:40]
	v_mul_f64 v[35:36], v[19:20], v[17:18]
	v_ldexp_f64 v[11:12], v[11:12], v22
	v_cndmask_b32_e32 v12, v12, v42, vcc
	v_cndmask_b32_e32 v11, v11, v41, vcc
	v_mul_f64 v[11:12], v[11:12], v[17:18]
	v_fma_f64 v[17:18], v[19:20], v[35:36], 1.0
	v_mul_f64 v[11:12], v[19:20], v[11:12]
	v_div_scale_f64 v[35:36], s[8:9], v[17:18], v[17:18], v[9:10]
	v_div_scale_f64 v[19:20], s[8:9], v[17:18], v[17:18], v[11:12]
	;; [unrolled: 1-line block ×3, first 2 shown]
	v_rcp_f64_e32 v[39:40], v[35:36]
	v_rcp_f64_e32 v[37:38], v[19:20]
	v_fma_f64 v[43:44], -v[35:36], v[39:40], 1.0
	v_fma_f64 v[41:42], -v[19:20], v[37:38], 1.0
	v_fma_f64 v[39:40], v[39:40], v[43:44], v[39:40]
	v_fma_f64 v[37:38], v[37:38], v[41:42], v[37:38]
	v_div_scale_f64 v[41:42], vcc, v[11:12], v[17:18], v[11:12]
	v_fma_f64 v[54:55], -v[35:36], v[39:40], 1.0
	v_fma_f64 v[43:44], -v[19:20], v[37:38], 1.0
	v_fma_f64 v[39:40], v[39:40], v[54:55], v[39:40]
	v_fma_f64 v[37:38], v[37:38], v[43:44], v[37:38]
	v_mul_f64 v[54:55], v[52:53], v[39:40]
	v_mul_f64 v[43:44], v[41:42], v[37:38]
	v_fma_f64 v[35:36], -v[35:36], v[54:55], v[52:53]
	v_fma_f64 v[19:20], -v[19:20], v[43:44], v[41:42]
	v_div_fmas_f64 v[19:20], v[19:20], v[37:38], v[43:44]
	s_mov_b64 vcc, s[8:9]
	v_div_fmas_f64 v[35:36], v[35:36], v[39:40], v[54:55]
	v_div_fixup_f64 v[11:12], v[19:20], v[17:18], v[11:12]
	v_div_fixup_f64 v[9:10], v[35:36], v[17:18], v[9:10]
                                        ; implicit-def: $vgpr17_vgpr18
.LBB93_215:                             ;   in Loop: Header=BB93_161 Depth=1
	s_andn2_saveexec_b64 s[8:9], s[64:65]
	s_cbranch_execz .LBB93_225
; %bb.216:                              ;   in Loop: Header=BB93_161 Depth=1
	v_cmp_nlt_f64_e64 s[64:65], |v[17:18]|, s[36:37]
                                        ; implicit-def: $vgpr11
                                        ; implicit-def: $vgpr9_vgpr10
                                        ; implicit-def: $vgpr43_vgpr44
	s_and_saveexec_b64 s[66:67], s[64:65]
	s_xor_b64 s[66:67], exec, s[66:67]
	s_cbranch_execz .LBB93_218
; %bb.217:                              ;   in Loop: Header=BB93_161 Depth=1
	v_trig_preop_f64 v[9:10], |v[17:18]|, 0
	v_ldexp_f64 v[35:36], |v[17:18]|, s10
	v_cmp_ge_f64_e64 vcc, |v[17:18]|, s[38:39]
	v_trig_preop_f64 v[37:38], |v[17:18]|, 1
	v_and_b32_e32 v11, 0x7fffffff, v18
	v_trig_preop_f64 v[52:53], |v[17:18]|, 2
	s_mov_b32 s18, s42
	s_mov_b32 s47, s23
	v_cndmask_b32_e32 v36, v11, v36, vcc
	v_cndmask_b32_e32 v35, v17, v35, vcc
	v_mul_f64 v[39:40], v[9:10], v[35:36]
	v_mul_f64 v[41:42], v[37:38], v[35:36]
	;; [unrolled: 1-line block ×3, first 2 shown]
	v_fma_f64 v[9:10], v[9:10], v[35:36], -v[39:40]
	v_fma_f64 v[37:38], v[37:38], v[35:36], -v[41:42]
	v_fma_f64 v[35:36], v[52:53], v[35:36], -v[58:59]
	v_add_f64 v[43:44], v[41:42], v[9:10]
	v_add_f64 v[54:55], v[43:44], -v[41:42]
	v_add_f64 v[60:61], v[39:40], v[43:44]
	v_add_f64 v[56:57], v[43:44], -v[54:55]
	v_add_f64 v[9:10], v[9:10], -v[54:55]
	v_add_f64 v[54:55], v[58:59], v[37:38]
	v_add_f64 v[39:40], v[60:61], -v[39:40]
	v_add_f64 v[41:42], v[41:42], -v[56:57]
	v_ldexp_f64 v[56:57], v[60:61], -2
	v_add_f64 v[62:63], v[54:55], -v[58:59]
	v_add_f64 v[39:40], v[43:44], -v[39:40]
	v_add_f64 v[9:10], v[9:10], v[41:42]
	v_fract_f64_e32 v[41:42], v[56:57]
	v_cmp_neq_f64_e64 vcc, |v[56:57]|, s[40:41]
	v_add_f64 v[37:38], v[37:38], -v[62:63]
	v_add_f64 v[43:44], v[54:55], v[9:10]
	v_ldexp_f64 v[41:42], v[41:42], 2
	v_add_f64 v[56:57], v[39:40], v[43:44]
	v_cndmask_b32_e32 v42, 0, v42, vcc
	v_cndmask_b32_e32 v41, 0, v41, vcc
	v_add_f64 v[64:65], v[43:44], -v[54:55]
	v_add_f64 v[60:61], v[56:57], v[41:42]
	v_add_f64 v[39:40], v[56:57], -v[39:40]
	v_add_f64 v[66:67], v[43:44], -v[64:65]
	;; [unrolled: 1-line block ×3, first 2 shown]
	v_cmp_gt_f64_e32 vcc, 0, v[60:61]
	v_add_f64 v[60:61], v[54:55], -v[62:63]
	v_add_f64 v[39:40], v[43:44], -v[39:40]
	;; [unrolled: 1-line block ×3, first 2 shown]
	v_cndmask_b32_e32 v22, 0, v46, vcc
	v_add_f64 v[41:42], v[41:42], v[21:22]
	v_add_f64 v[60:61], v[58:59], -v[60:61]
	v_add_f64 v[9:10], v[9:10], v[54:55]
	v_add_f64 v[68:69], v[56:57], v[41:42]
	;; [unrolled: 1-line block ×3, first 2 shown]
	v_cvt_i32_f64_e32 v11, v[68:69]
	v_add_f64 v[9:10], v[37:38], v[9:10]
	v_cvt_f64_i32_e32 v[62:63], v11
	v_add_f64 v[41:42], v[41:42], -v[62:63]
	v_add_f64 v[9:10], v[35:36], v[9:10]
	v_add_f64 v[37:38], v[56:57], v[41:42]
	;; [unrolled: 1-line block ×3, first 2 shown]
	v_add_f64 v[35:36], v[37:38], -v[41:42]
	v_cmp_le_f64_e32 vcc, 0.5, v[37:38]
	v_add_f64 v[35:36], v[56:57], -v[35:36]
	v_cndmask_b32_e32 v22, 0, v47, vcc
	v_addc_co_u32_e32 v11, vcc, 0, v11, vcc
	v_add_f64 v[9:10], v[9:10], v[35:36]
	v_add_f64 v[35:36], v[37:38], -v[21:22]
	v_add_f64 v[37:38], v[35:36], v[9:10]
	v_mul_f64 v[39:40], v[37:38], s[18:19]
	v_add_f64 v[35:36], v[37:38], -v[35:36]
	v_fma_f64 v[41:42], v[37:38], s[18:19], -v[39:40]
	v_add_f64 v[9:10], v[9:10], -v[35:36]
	v_fma_f64 v[35:36], v[37:38], s[46:47], v[41:42]
	v_fma_f64 v[35:36], v[9:10], s[18:19], v[35:36]
	v_add_f64 v[9:10], v[39:40], v[35:36]
	v_add_f64 v[37:38], v[9:10], -v[39:40]
	v_add_f64 v[43:44], v[35:36], -v[37:38]
	s_andn2_saveexec_b64 s[66:67], s[66:67]
	s_cbranch_execz .LBB93_220
	s_branch .LBB93_219
.LBB93_218:                             ;   in Loop: Header=BB93_161 Depth=1
	s_andn2_saveexec_b64 s[66:67], s[66:67]
	s_cbranch_execz .LBB93_220
.LBB93_219:                             ;   in Loop: Header=BB93_161 Depth=1
	v_mul_f64 v[9:10], |v[17:18]|, s[20:21]
	s_mov_b32 s22, s44
	v_rndne_f64_e32 v[35:36], v[9:10]
	v_fma_f64 v[9:10], v[35:36], s[42:43], |v[17:18]|
	v_mul_f64 v[37:38], v[35:36], s[44:45]
	v_cvt_i32_f64_e32 v11, v[35:36]
	v_fma_f64 v[43:44], v[35:36], s[44:45], v[9:10]
	v_add_f64 v[39:40], v[9:10], v[37:38]
	v_add_f64 v[41:42], v[9:10], -v[39:40]
	v_add_f64 v[39:40], v[39:40], -v[43:44]
	v_add_f64 v[9:10], v[41:42], v[37:38]
	v_fma_f64 v[37:38], v[35:36], s[22:23], v[37:38]
	v_add_f64 v[9:10], v[39:40], v[9:10]
	v_add_f64 v[9:10], v[9:10], -v[37:38]
	v_fma_f64 v[37:38], v[35:36], s[24:25], v[9:10]
	v_add_f64 v[9:10], v[43:44], v[37:38]
	v_add_f64 v[39:40], v[9:10], -v[43:44]
	v_add_f64 v[43:44], v[37:38], -v[39:40]
.LBB93_220:                             ;   in Loop: Header=BB93_161 Depth=1
	s_or_b64 exec, exec, s[66:67]
                                        ; implicit-def: $vgpr52
                                        ; implicit-def: $vgpr35_vgpr36
                                        ; implicit-def: $vgpr37_vgpr38
	s_and_saveexec_b64 s[66:67], s[64:65]
	s_xor_b64 s[64:65], exec, s[66:67]
	s_cbranch_execz .LBB93_222
; %bb.221:                              ;   in Loop: Header=BB93_161 Depth=1
	v_trig_preop_f64 v[35:36], |v[17:18]|, 0
	v_ldexp_f64 v[37:38], |v[17:18]|, s10
	v_cmp_ge_f64_e64 vcc, |v[17:18]|, s[38:39]
	v_trig_preop_f64 v[39:40], |v[17:18]|, 1
	v_and_b32_e32 v22, 0x7fffffff, v18
	v_trig_preop_f64 v[56:57], |v[17:18]|, 2
	s_mov_b32 s18, s42
	s_mov_b32 s47, s23
	v_cndmask_b32_e32 v38, v22, v38, vcc
	v_cndmask_b32_e32 v37, v17, v37, vcc
	v_mul_f64 v[41:42], v[35:36], v[37:38]
	v_mul_f64 v[52:53], v[39:40], v[37:38]
	;; [unrolled: 1-line block ×3, first 2 shown]
	v_fma_f64 v[35:36], v[35:36], v[37:38], -v[41:42]
	v_fma_f64 v[39:40], v[39:40], v[37:38], -v[52:53]
	;; [unrolled: 1-line block ×3, first 2 shown]
	v_add_f64 v[54:55], v[52:53], v[35:36]
	v_add_f64 v[58:59], v[54:55], -v[52:53]
	v_add_f64 v[64:65], v[41:42], v[54:55]
	v_add_f64 v[60:61], v[54:55], -v[58:59]
	v_add_f64 v[35:36], v[35:36], -v[58:59]
	v_add_f64 v[58:59], v[62:63], v[39:40]
	v_add_f64 v[41:42], v[64:65], -v[41:42]
	v_add_f64 v[52:53], v[52:53], -v[60:61]
	v_ldexp_f64 v[60:61], v[64:65], -2
	v_add_f64 v[66:67], v[58:59], -v[62:63]
	v_add_f64 v[41:42], v[54:55], -v[41:42]
	v_add_f64 v[35:36], v[35:36], v[52:53]
	v_fract_f64_e32 v[52:53], v[60:61]
	v_cmp_neq_f64_e64 vcc, |v[60:61]|, s[40:41]
	v_add_f64 v[39:40], v[39:40], -v[66:67]
	v_add_f64 v[54:55], v[58:59], v[35:36]
	v_ldexp_f64 v[52:53], v[52:53], 2
	v_add_f64 v[60:61], v[41:42], v[54:55]
	v_cndmask_b32_e32 v53, 0, v53, vcc
	v_cndmask_b32_e32 v52, 0, v52, vcc
	v_add_f64 v[68:69], v[54:55], -v[58:59]
	v_add_f64 v[64:65], v[60:61], v[52:53]
	v_add_f64 v[41:42], v[60:61], -v[41:42]
	v_add_f64 v[70:71], v[54:55], -v[68:69]
	;; [unrolled: 1-line block ×3, first 2 shown]
	v_cmp_gt_f64_e32 vcc, 0, v[64:65]
	v_add_f64 v[64:65], v[58:59], -v[66:67]
	v_add_f64 v[41:42], v[54:55], -v[41:42]
	;; [unrolled: 1-line block ×3, first 2 shown]
	v_cndmask_b32_e32 v22, 0, v46, vcc
	v_add_f64 v[52:53], v[52:53], v[21:22]
	v_add_f64 v[64:65], v[62:63], -v[64:65]
	v_add_f64 v[35:36], v[35:36], v[58:59]
	v_add_f64 v[72:73], v[60:61], v[52:53]
	;; [unrolled: 1-line block ×3, first 2 shown]
	v_cvt_i32_f64_e32 v68, v[72:73]
	v_add_f64 v[35:36], v[39:40], v[35:36]
	v_cvt_f64_i32_e32 v[66:67], v68
	v_add_f64 v[52:53], v[52:53], -v[66:67]
	v_add_f64 v[35:36], v[37:38], v[35:36]
	v_add_f64 v[39:40], v[60:61], v[52:53]
	;; [unrolled: 1-line block ×3, first 2 shown]
	v_add_f64 v[37:38], v[39:40], -v[52:53]
	v_cmp_le_f64_e32 vcc, 0.5, v[39:40]
	v_add_f64 v[37:38], v[60:61], -v[37:38]
	v_cndmask_b32_e32 v22, 0, v47, vcc
	v_add_f64 v[35:36], v[35:36], v[37:38]
	v_add_f64 v[37:38], v[39:40], -v[21:22]
	v_add_f64 v[39:40], v[37:38], v[35:36]
	v_mul_f64 v[41:42], v[39:40], s[18:19]
	v_add_f64 v[37:38], v[39:40], -v[37:38]
	v_fma_f64 v[52:53], v[39:40], s[18:19], -v[41:42]
	v_add_f64 v[35:36], v[35:36], -v[37:38]
	v_fma_f64 v[37:38], v[39:40], s[46:47], v[52:53]
	v_addc_co_u32_e32 v52, vcc, 0, v68, vcc
	v_fma_f64 v[37:38], v[35:36], s[18:19], v[37:38]
	v_add_f64 v[35:36], v[41:42], v[37:38]
	v_add_f64 v[39:40], v[35:36], -v[41:42]
	v_add_f64 v[37:38], v[37:38], -v[39:40]
	s_andn2_saveexec_b64 s[64:65], s[64:65]
	s_cbranch_execnz .LBB93_223
	s_branch .LBB93_224
.LBB93_222:                             ;   in Loop: Header=BB93_161 Depth=1
	s_andn2_saveexec_b64 s[64:65], s[64:65]
	s_cbranch_execz .LBB93_224
.LBB93_223:                             ;   in Loop: Header=BB93_161 Depth=1
	v_mul_f64 v[35:36], |v[17:18]|, s[20:21]
	s_mov_b32 s22, s44
	v_rndne_f64_e32 v[39:40], v[35:36]
	v_fma_f64 v[35:36], v[39:40], s[42:43], |v[17:18]|
	v_mul_f64 v[37:38], v[39:40], s[44:45]
	v_fma_f64 v[54:55], v[39:40], s[44:45], v[35:36]
	v_add_f64 v[41:42], v[35:36], v[37:38]
	v_add_f64 v[52:53], v[35:36], -v[41:42]
	v_add_f64 v[41:42], v[41:42], -v[54:55]
	v_add_f64 v[35:36], v[52:53], v[37:38]
	v_fma_f64 v[37:38], v[39:40], s[22:23], v[37:38]
	v_cvt_i32_f64_e32 v52, v[39:40]
	v_add_f64 v[35:36], v[41:42], v[35:36]
	v_add_f64 v[35:36], v[35:36], -v[37:38]
	v_fma_f64 v[37:38], v[39:40], s[24:25], v[35:36]
	v_add_f64 v[35:36], v[54:55], v[37:38]
	v_add_f64 v[41:42], v[35:36], -v[54:55]
	v_add_f64 v[37:38], v[37:38], -v[41:42]
.LBB93_224:                             ;   in Loop: Header=BB93_161 Depth=1
	s_or_b64 exec, exec, s[64:65]
	v_mul_f64 v[53:54], v[9:10], v[9:10]
	v_mul_f64 v[61:62], v[43:44], 0.5
	v_and_b32_e32 v17, 1, v11
	v_lshlrev_b32_e32 v11, 30, v11
	v_cmp_eq_u32_e32 vcc, 0, v17
	v_xor_b32_e32 v11, v11, v18
	v_mul_f64 v[17:18], |v[19:20]|, s[50:51]
	s_mov_b32 s60, s76
	v_mul_f64 v[39:40], v[53:54], 0.5
	v_mul_f64 v[57:58], v[53:54], v[53:54]
	s_mov_b32 s64, 0x3b39803f
	s_mov_b32 s65, 0xbc7abc9e
	;; [unrolled: 1-line block ×4, first 2 shown]
	v_rndne_f64_e32 v[17:18], v[17:18]
	v_and_b32_e32 v11, 0x80000000, v11
	v_add_f64 v[55:56], -v[39:40], 1.0
	v_bfi_b32 v22, s70, v47, v12
	v_add_f64 v[41:42], -v[55:56], 1.0
	v_add_f64 v[39:40], v[41:42], -v[39:40]
	v_mov_b32_e32 v41, s78
	v_mov_b32_e32 v42, s79
	v_fma_f64 v[59:60], v[53:54], s[80:81], v[41:42]
	v_fma_f64 v[39:40], v[9:10], -v[43:44], v[39:40]
	v_fma_f64 v[59:60], v[53:54], v[59:60], s[82:83]
	v_fma_f64 v[59:60], v[53:54], v[59:60], s[84:85]
	;; [unrolled: 1-line block ×5, first 2 shown]
	v_mul_f64 v[59:60], v[9:10], -v[53:54]
	v_add_f64 v[55:56], v[55:56], v[39:40]
	v_mov_b32_e32 v39, s90
	v_mov_b32_e32 v40, s91
	v_fma_f64 v[57:58], v[53:54], s[92:93], v[39:40]
	v_fma_f64 v[57:58], v[53:54], v[57:58], s[94:95]
	;; [unrolled: 1-line block ×5, first 2 shown]
	v_fma_f64 v[43:44], v[53:54], v[57:58], -v[43:44]
	v_fma_f64 v[43:44], v[59:60], s[60:61], v[43:44]
	v_add_f64 v[9:10], v[9:10], -v[43:44]
	v_fma_f64 v[43:44], v[17:18], s[52:53], -|v[19:20]|
	v_cndmask_b32_e32 v9, v55, v9, vcc
	v_fma_f64 v[43:44], v[17:18], s[64:65], v[43:44]
	s_mov_b32 s64, 0x6a5dcb37
	s_mov_b32 s65, 0x3e5ade15
	v_cndmask_b32_e32 v10, v56, v10, vcc
	v_xor_b32_e32 v10, v10, v11
	v_cvt_i32_f64_e32 v11, v[17:18]
	v_mul_f64 v[9:10], v[9:10], 4.0
	v_fma_f64 v[53:54], v[43:44], s[64:65], v[25:26]
	s_mov_b32 s64, 0x623fde64
	s_mov_b32 s65, 0x3ec71dee
	v_fma_f64 v[53:54], v[43:44], v[53:54], s[64:65]
	s_mov_b32 s64, 0x7c89e6b0
	s_mov_b32 s65, 0x3efa0199
	v_fma_f64 v[53:54], v[43:44], v[53:54], s[64:65]
	s_mov_b32 s64, 0x14761f6e
	s_mov_b32 s65, 0x3f2a01a0
	v_fma_f64 v[53:54], v[43:44], v[53:54], s[64:65]
	s_mov_b32 s64, 0x1852b7b0
	s_mov_b32 s65, 0x3f56c16c
	v_fma_f64 v[53:54], v[43:44], v[53:54], s[64:65]
	s_mov_b32 s64, 0x55555511
	s_mov_b32 s65, 0x3fc55555
	v_fma_f64 v[53:54], v[43:44], v[53:54], s[28:29]
	v_fma_f64 v[53:54], v[43:44], v[53:54], s[88:89]
	;; [unrolled: 1-line block ×3, first 2 shown]
	s_mov_b32 s64, 11
	s_mov_b32 s65, 0x3fe00000
	v_fma_f64 v[53:54], v[43:44], v[53:54], s[64:65]
	s_mov_b32 s64, 0
	s_mov_b32 s65, 0x4090cc00
	v_cmp_ngt_f64_e64 vcc, |v[19:20]|, s[64:65]
	v_mul_f64 v[19:20], v[35:36], v[35:36]
	v_fma_f64 v[53:54], v[43:44], v[53:54], 1.0
	v_fma_f64 v[41:42], v[19:20], s[80:81], v[41:42]
	v_fma_f64 v[39:40], v[19:20], s[92:93], v[39:40]
	v_fma_f64 v[43:44], v[43:44], v[53:54], 1.0
	v_fma_f64 v[41:42], v[19:20], v[41:42], s[82:83]
	v_fma_f64 v[39:40], v[19:20], v[39:40], s[94:95]
	v_ldexp_f64 v[17:18], v[43:44], v11
	v_mul_f64 v[11:12], v[19:20], 0.5
	v_fma_f64 v[41:42], v[19:20], v[41:42], s[84:85]
	v_fma_f64 v[39:40], v[19:20], v[39:40], s[26:27]
	v_cndmask_b32_e32 v18, 0, v18, vcc
	v_add_f64 v[43:44], -v[11:12], 1.0
	v_cndmask_b32_e32 v17, 0, v17, vcc
	v_fma_f64 v[41:42], v[19:20], v[41:42], s[86:87]
	v_fma_f64 v[39:40], v[19:20], v[39:40], s[58:59]
	v_add_f64 v[53:54], -v[43:44], 1.0
	v_fma_f64 v[41:42], v[19:20], v[41:42], s[76:77]
	v_add_f64 v[11:12], v[53:54], -v[11:12]
	v_mul_f64 v[53:54], v[19:20], v[19:20]
	v_fma_f64 v[11:12], v[35:36], -v[37:38], v[11:12]
	v_fma_f64 v[11:12], v[53:54], v[41:42], v[11:12]
	v_mul_f64 v[41:42], v[35:36], -v[19:20]
	v_add_f64 v[11:12], v[43:44], v[11:12]
	v_mul_f64 v[43:44], v[37:38], 0.5
	v_fma_f64 v[39:40], v[41:42], v[39:40], v[43:44]
	v_fma_f64 v[19:20], v[19:20], v[39:40], -v[37:38]
	v_fma_f64 v[19:20], v[41:42], s[60:61], v[19:20]
	v_add_f64 v[19:20], v[35:36], -v[19:20]
	v_and_b32_e32 v35, 1, v52
	v_cmp_eq_u32_e32 vcc, 0, v35
	v_xor_b32_e32 v20, 0x80000000, v20
	v_cndmask_b32_e32 v11, v19, v11, vcc
	v_lshlrev_b32_e32 v19, 30, v52
	v_cndmask_b32_e32 v12, v20, v12, vcc
	v_and_b32_e32 v19, 0x80000000, v19
	v_xor_b32_e32 v12, v12, v19
	v_mul_f64 v[9:10], v[9:10], v[11:12]
	v_mov_b32_e32 v11, v21
	v_mov_b32_e32 v12, v22
	v_mul_f64 v[9:10], v[17:18], v[9:10]
	v_mul_f64 v[9:10], v[17:18], v[9:10]
.LBB93_225:                             ;   in Loop: Header=BB93_161 Depth=1
	s_or_b64 exec, exec, s[8:9]
                                        ; implicit-def: $vgpr17_vgpr18
.LBB93_226:                             ;   in Loop: Header=BB93_161 Depth=1
	s_andn2_saveexec_b64 s[8:9], s[12:13]
	s_cbranch_execz .LBB93_228
; %bb.227:                              ;   in Loop: Header=BB93_161 Depth=1
	v_add_f64 v[9:10], v[17:18], -v[17:18]
	v_mov_b32_e32 v12, v10
	v_mov_b32_e32 v11, v9
.LBB93_228:                             ;   in Loop: Header=BB93_161 Depth=1
	s_or_b64 exec, exec, s[8:9]
                                        ; implicit-def: $vgpr17_vgpr18
.LBB93_229:                             ;   in Loop: Header=BB93_161 Depth=1
	s_andn2_saveexec_b64 s[12:13], s[56:57]
	s_cbranch_execz .LBB93_245
; %bb.230:                              ;   in Loop: Header=BB93_161 Depth=1
	v_and_or_b32 v9, v12, s11, v11
	v_cmp_ne_u32_e32 vcc, 0, v9
	s_and_saveexec_b64 s[8:9], vcc
	s_xor_b64 s[8:9], exec, s[8:9]
	s_cbranch_execz .LBB93_232
; %bb.231:                              ;   in Loop: Header=BB93_161 Depth=1
	v_mul_f64 v[9:10], v[17:18], -v[19:20]
	v_cmp_eq_f64_e32 vcc, 0, v[17:18]
	v_cndmask_b32_e32 v10, v10, v18, vcc
	v_cndmask_b32_e32 v9, v9, v17, vcc
                                        ; implicit-def: $vgpr17_vgpr18
.LBB93_232:                             ;   in Loop: Header=BB93_161 Depth=1
	s_andn2_saveexec_b64 s[56:57], s[8:9]
	s_cbranch_execz .LBB93_244
; %bb.233:                              ;   in Loop: Header=BB93_161 Depth=1
	v_cmp_neq_f64_e64 s[8:9], |v[17:18]|, s[40:41]
	s_and_saveexec_b64 s[64:65], s[8:9]
	s_cbranch_execz .LBB93_243
; %bb.234:                              ;   in Loop: Header=BB93_161 Depth=1
	v_cmp_nlt_f64_e64 s[8:9], |v[17:18]|, s[36:37]
                                        ; implicit-def: $vgpr39
                                        ; implicit-def: $vgpr9_vgpr10
                                        ; implicit-def: $vgpr19_vgpr20
	s_and_saveexec_b64 s[66:67], s[8:9]
	s_xor_b64 s[66:67], exec, s[66:67]
	s_cbranch_execz .LBB93_236
; %bb.235:                              ;   in Loop: Header=BB93_161 Depth=1
	v_trig_preop_f64 v[9:10], |v[17:18]|, 0
	v_ldexp_f64 v[19:20], |v[17:18]|, s10
	v_cmp_ge_f64_e64 vcc, |v[17:18]|, s[38:39]
	v_trig_preop_f64 v[35:36], |v[17:18]|, 1
	v_and_b32_e32 v22, 0x7fffffff, v18
	v_trig_preop_f64 v[43:44], |v[17:18]|, 2
	s_mov_b32 s18, s42
	s_mov_b32 s47, s23
	v_cndmask_b32_e32 v20, v22, v20, vcc
	v_cndmask_b32_e32 v19, v17, v19, vcc
	v_mul_f64 v[37:38], v[9:10], v[19:20]
	v_mul_f64 v[39:40], v[35:36], v[19:20]
	;; [unrolled: 1-line block ×3, first 2 shown]
	v_fma_f64 v[9:10], v[9:10], v[19:20], -v[37:38]
	v_fma_f64 v[35:36], v[35:36], v[19:20], -v[39:40]
	;; [unrolled: 1-line block ×3, first 2 shown]
	v_add_f64 v[41:42], v[39:40], v[9:10]
	v_add_f64 v[52:53], v[41:42], -v[39:40]
	v_add_f64 v[58:59], v[37:38], v[41:42]
	v_add_f64 v[54:55], v[41:42], -v[52:53]
	v_add_f64 v[9:10], v[9:10], -v[52:53]
	v_add_f64 v[52:53], v[56:57], v[35:36]
	v_add_f64 v[37:38], v[58:59], -v[37:38]
	v_add_f64 v[39:40], v[39:40], -v[54:55]
	v_ldexp_f64 v[54:55], v[58:59], -2
	v_add_f64 v[60:61], v[52:53], -v[56:57]
	v_add_f64 v[37:38], v[41:42], -v[37:38]
	v_add_f64 v[9:10], v[9:10], v[39:40]
	v_fract_f64_e32 v[39:40], v[54:55]
	v_cmp_neq_f64_e64 vcc, |v[54:55]|, s[40:41]
	v_add_f64 v[35:36], v[35:36], -v[60:61]
	v_add_f64 v[41:42], v[52:53], v[9:10]
	v_ldexp_f64 v[39:40], v[39:40], 2
	v_add_f64 v[54:55], v[37:38], v[41:42]
	v_cndmask_b32_e32 v40, 0, v40, vcc
	v_cndmask_b32_e32 v39, 0, v39, vcc
	v_add_f64 v[62:63], v[41:42], -v[52:53]
	v_add_f64 v[58:59], v[54:55], v[39:40]
	v_add_f64 v[37:38], v[54:55], -v[37:38]
	v_add_f64 v[64:65], v[41:42], -v[62:63]
	;; [unrolled: 1-line block ×3, first 2 shown]
	v_cmp_gt_f64_e32 vcc, 0, v[58:59]
	v_add_f64 v[58:59], v[52:53], -v[60:61]
	v_add_f64 v[37:38], v[41:42], -v[37:38]
	;; [unrolled: 1-line block ×3, first 2 shown]
	v_cndmask_b32_e32 v22, 0, v46, vcc
	v_add_f64 v[39:40], v[39:40], v[21:22]
	v_add_f64 v[58:59], v[56:57], -v[58:59]
	v_add_f64 v[9:10], v[9:10], v[52:53]
	v_add_f64 v[66:67], v[54:55], v[39:40]
	;; [unrolled: 1-line block ×3, first 2 shown]
	v_cvt_i32_f64_e32 v62, v[66:67]
	v_add_f64 v[9:10], v[35:36], v[9:10]
	v_cvt_f64_i32_e32 v[60:61], v62
	v_add_f64 v[39:40], v[39:40], -v[60:61]
	v_add_f64 v[9:10], v[19:20], v[9:10]
	v_add_f64 v[35:36], v[54:55], v[39:40]
	;; [unrolled: 1-line block ×3, first 2 shown]
	v_add_f64 v[19:20], v[35:36], -v[39:40]
	v_cmp_le_f64_e32 vcc, 0.5, v[35:36]
	v_add_f64 v[19:20], v[54:55], -v[19:20]
	v_cndmask_b32_e32 v22, 0, v47, vcc
	v_add_f64 v[9:10], v[9:10], v[19:20]
	v_add_f64 v[19:20], v[35:36], -v[21:22]
	v_add_f64 v[35:36], v[19:20], v[9:10]
	v_mul_f64 v[37:38], v[35:36], s[18:19]
	v_add_f64 v[19:20], v[35:36], -v[19:20]
	v_fma_f64 v[39:40], v[35:36], s[18:19], -v[37:38]
	v_add_f64 v[9:10], v[9:10], -v[19:20]
	v_fma_f64 v[19:20], v[35:36], s[46:47], v[39:40]
	v_addc_co_u32_e32 v39, vcc, 0, v62, vcc
	v_fma_f64 v[19:20], v[9:10], s[18:19], v[19:20]
	v_add_f64 v[9:10], v[37:38], v[19:20]
	v_add_f64 v[35:36], v[9:10], -v[37:38]
	v_add_f64 v[19:20], v[19:20], -v[35:36]
	s_andn2_saveexec_b64 s[66:67], s[66:67]
	s_cbranch_execz .LBB93_238
	s_branch .LBB93_237
.LBB93_236:                             ;   in Loop: Header=BB93_161 Depth=1
	s_andn2_saveexec_b64 s[66:67], s[66:67]
	s_cbranch_execz .LBB93_238
.LBB93_237:                             ;   in Loop: Header=BB93_161 Depth=1
	v_mul_f64 v[9:10], |v[17:18]|, s[20:21]
	s_mov_b32 s22, s44
	v_rndne_f64_e32 v[35:36], v[9:10]
	v_fma_f64 v[9:10], v[35:36], s[42:43], |v[17:18]|
	v_mul_f64 v[19:20], v[35:36], s[44:45]
	v_fma_f64 v[41:42], v[35:36], s[44:45], v[9:10]
	v_add_f64 v[37:38], v[9:10], v[19:20]
	v_add_f64 v[39:40], v[9:10], -v[37:38]
	v_add_f64 v[37:38], v[37:38], -v[41:42]
	v_add_f64 v[9:10], v[39:40], v[19:20]
	v_fma_f64 v[19:20], v[35:36], s[22:23], v[19:20]
	v_cvt_i32_f64_e32 v39, v[35:36]
	v_add_f64 v[9:10], v[37:38], v[9:10]
	v_add_f64 v[9:10], v[9:10], -v[19:20]
	v_fma_f64 v[19:20], v[35:36], s[24:25], v[9:10]
	v_add_f64 v[9:10], v[41:42], v[19:20]
	v_add_f64 v[37:38], v[9:10], -v[41:42]
	v_add_f64 v[19:20], v[19:20], -v[37:38]
.LBB93_238:                             ;   in Loop: Header=BB93_161 Depth=1
	s_or_b64 exec, exec, s[66:67]
                                        ; implicit-def: $vgpr22
                                        ; implicit-def: $vgpr35_vgpr36
                                        ; implicit-def: $vgpr37_vgpr38
	s_and_saveexec_b64 s[66:67], s[8:9]
	s_xor_b64 s[8:9], exec, s[66:67]
	s_cbranch_execz .LBB93_240
; %bb.239:                              ;   in Loop: Header=BB93_161 Depth=1
	v_trig_preop_f64 v[35:36], |v[17:18]|, 0
	v_ldexp_f64 v[37:38], |v[17:18]|, s10
	v_cmp_ge_f64_e64 vcc, |v[17:18]|, s[38:39]
	v_trig_preop_f64 v[40:41], |v[17:18]|, 1
	v_and_b32_e32 v22, 0x7fffffff, v18
	v_trig_preop_f64 v[56:57], |v[17:18]|, 2
	s_mov_b32 s18, s42
	s_mov_b32 s47, s23
	v_cndmask_b32_e32 v38, v22, v38, vcc
	v_cndmask_b32_e32 v37, v17, v37, vcc
	v_mul_f64 v[42:43], v[35:36], v[37:38]
	v_mul_f64 v[52:53], v[40:41], v[37:38]
	;; [unrolled: 1-line block ×3, first 2 shown]
	v_fma_f64 v[35:36], v[35:36], v[37:38], -v[42:43]
	v_fma_f64 v[40:41], v[40:41], v[37:38], -v[52:53]
	;; [unrolled: 1-line block ×3, first 2 shown]
	v_add_f64 v[54:55], v[52:53], v[35:36]
	v_add_f64 v[58:59], v[54:55], -v[52:53]
	v_add_f64 v[64:65], v[42:43], v[54:55]
	v_add_f64 v[60:61], v[54:55], -v[58:59]
	v_add_f64 v[35:36], v[35:36], -v[58:59]
	v_add_f64 v[58:59], v[62:63], v[40:41]
	v_add_f64 v[42:43], v[64:65], -v[42:43]
	v_add_f64 v[52:53], v[52:53], -v[60:61]
	v_ldexp_f64 v[60:61], v[64:65], -2
	v_add_f64 v[66:67], v[58:59], -v[62:63]
	v_add_f64 v[42:43], v[54:55], -v[42:43]
	v_add_f64 v[35:36], v[35:36], v[52:53]
	v_fract_f64_e32 v[52:53], v[60:61]
	v_cmp_neq_f64_e64 vcc, |v[60:61]|, s[40:41]
	v_add_f64 v[40:41], v[40:41], -v[66:67]
	v_add_f64 v[54:55], v[58:59], v[35:36]
	v_ldexp_f64 v[52:53], v[52:53], 2
	v_add_f64 v[60:61], v[42:43], v[54:55]
	v_cndmask_b32_e32 v53, 0, v53, vcc
	v_cndmask_b32_e32 v52, 0, v52, vcc
	v_add_f64 v[68:69], v[54:55], -v[58:59]
	v_add_f64 v[64:65], v[60:61], v[52:53]
	v_add_f64 v[42:43], v[60:61], -v[42:43]
	v_add_f64 v[70:71], v[54:55], -v[68:69]
	;; [unrolled: 1-line block ×3, first 2 shown]
	v_cmp_gt_f64_e32 vcc, 0, v[64:65]
	v_add_f64 v[64:65], v[58:59], -v[66:67]
	v_add_f64 v[42:43], v[54:55], -v[42:43]
	;; [unrolled: 1-line block ×3, first 2 shown]
	v_cndmask_b32_e32 v22, 0, v46, vcc
	v_add_f64 v[52:53], v[52:53], v[21:22]
	v_add_f64 v[64:65], v[62:63], -v[64:65]
	v_add_f64 v[35:36], v[35:36], v[58:59]
	v_add_f64 v[72:73], v[60:61], v[52:53]
	v_add_f64 v[40:41], v[40:41], v[64:65]
	v_cvt_i32_f64_e32 v44, v[72:73]
	v_add_f64 v[35:36], v[40:41], v[35:36]
	v_cvt_f64_i32_e32 v[66:67], v44
	v_add_f64 v[52:53], v[52:53], -v[66:67]
	v_add_f64 v[35:36], v[37:38], v[35:36]
	v_add_f64 v[40:41], v[60:61], v[52:53]
	;; [unrolled: 1-line block ×3, first 2 shown]
	v_add_f64 v[37:38], v[40:41], -v[52:53]
	v_cmp_le_f64_e32 vcc, 0.5, v[40:41]
	v_add_f64 v[37:38], v[60:61], -v[37:38]
	v_cndmask_b32_e32 v22, 0, v47, vcc
	v_add_f64 v[35:36], v[35:36], v[37:38]
	v_add_f64 v[37:38], v[40:41], -v[21:22]
	v_addc_co_u32_e32 v22, vcc, 0, v44, vcc
	v_add_f64 v[40:41], v[37:38], v[35:36]
	v_mul_f64 v[42:43], v[40:41], s[18:19]
	v_add_f64 v[37:38], v[40:41], -v[37:38]
	v_fma_f64 v[52:53], v[40:41], s[18:19], -v[42:43]
	v_add_f64 v[35:36], v[35:36], -v[37:38]
	v_fma_f64 v[37:38], v[40:41], s[46:47], v[52:53]
	v_fma_f64 v[37:38], v[35:36], s[18:19], v[37:38]
	v_add_f64 v[35:36], v[42:43], v[37:38]
	v_add_f64 v[40:41], v[35:36], -v[42:43]
	v_add_f64 v[37:38], v[37:38], -v[40:41]
	s_andn2_saveexec_b64 s[8:9], s[8:9]
	s_cbranch_execnz .LBB93_241
	s_branch .LBB93_242
.LBB93_240:                             ;   in Loop: Header=BB93_161 Depth=1
	s_andn2_saveexec_b64 s[8:9], s[8:9]
	s_cbranch_execz .LBB93_242
.LBB93_241:                             ;   in Loop: Header=BB93_161 Depth=1
	v_mul_f64 v[35:36], |v[17:18]|, s[20:21]
	s_mov_b32 s22, s44
	v_rndne_f64_e32 v[40:41], v[35:36]
	v_fma_f64 v[35:36], v[40:41], s[42:43], |v[17:18]|
	v_mul_f64 v[37:38], v[40:41], s[44:45]
	v_cvt_i32_f64_e32 v22, v[40:41]
	v_fma_f64 v[54:55], v[40:41], s[44:45], v[35:36]
	v_add_f64 v[42:43], v[35:36], v[37:38]
	v_add_f64 v[52:53], v[35:36], -v[42:43]
	v_add_f64 v[42:43], v[42:43], -v[54:55]
	v_add_f64 v[35:36], v[52:53], v[37:38]
	v_fma_f64 v[37:38], v[40:41], s[22:23], v[37:38]
	v_add_f64 v[35:36], v[42:43], v[35:36]
	v_add_f64 v[35:36], v[35:36], -v[37:38]
	v_fma_f64 v[37:38], v[40:41], s[24:25], v[35:36]
	v_add_f64 v[35:36], v[54:55], v[37:38]
	v_add_f64 v[42:43], v[35:36], -v[54:55]
	v_add_f64 v[37:38], v[37:38], -v[42:43]
.LBB93_242:                             ;   in Loop: Header=BB93_161 Depth=1
	s_or_b64 exec, exec, s[8:9]
	v_mul_f64 v[40:41], v[9:10], v[9:10]
	v_mul_f64 v[42:43], v[35:36], v[35:36]
	v_mov_b32_e32 v52, s90
	v_mov_b32_e32 v53, s91
	;; [unrolled: 1-line block ×4, first 2 shown]
	v_mul_f64 v[66:67], v[19:20], 0.5
	v_mul_f64 v[74:75], v[37:38], 0.5
	v_fma_f64 v[54:55], v[40:41], s[92:93], v[52:53]
	v_fma_f64 v[52:53], v[42:43], s[92:93], v[52:53]
	v_fma_f64 v[58:59], v[40:41], s[80:81], v[56:57]
	v_mul_f64 v[60:61], v[40:41], 0.5
	v_fma_f64 v[56:57], v[42:43], s[80:81], v[56:57]
	v_mul_f64 v[62:63], v[42:43], 0.5
	v_mul_f64 v[68:69], v[9:10], -v[40:41]
	v_mul_f64 v[76:77], v[35:36], -v[42:43]
	v_fma_f64 v[54:55], v[40:41], v[54:55], s[94:95]
	v_fma_f64 v[52:53], v[42:43], v[52:53], s[94:95]
	;; [unrolled: 1-line block ×3, first 2 shown]
	v_add_f64 v[64:65], -v[60:61], 1.0
	v_fma_f64 v[56:57], v[42:43], v[56:57], s[82:83]
	v_add_f64 v[70:71], -v[62:63], 1.0
	s_mov_b32 s60, s76
	v_and_b32_e32 v44, 1, v39
	v_fma_f64 v[54:55], v[40:41], v[54:55], s[26:27]
	v_fma_f64 v[52:53], v[42:43], v[52:53], s[26:27]
	;; [unrolled: 1-line block ×3, first 2 shown]
	v_add_f64 v[72:73], -v[64:65], 1.0
	v_fma_f64 v[56:57], v[42:43], v[56:57], s[84:85]
	v_add_f64 v[78:79], -v[70:71], 1.0
	v_cmp_class_f64_e64 s[8:9], v[17:18], s72
	v_cmp_eq_u32_e32 vcc, 0, v44
	v_fma_f64 v[54:55], v[40:41], v[54:55], s[58:59]
	v_fma_f64 v[52:53], v[42:43], v[52:53], s[58:59]
	;; [unrolled: 1-line block ×3, first 2 shown]
	v_add_f64 v[60:61], v[72:73], -v[60:61]
	v_fma_f64 v[56:57], v[42:43], v[56:57], s[86:87]
	v_add_f64 v[62:63], v[78:79], -v[62:63]
	v_fma_f64 v[54:55], v[68:69], v[54:55], v[66:67]
	v_fma_f64 v[52:53], v[76:77], v[52:53], v[74:75]
	v_mul_f64 v[66:67], v[40:41], v[40:41]
	v_fma_f64 v[58:59], v[40:41], v[58:59], s[76:77]
	v_fma_f64 v[60:61], v[9:10], -v[19:20], v[60:61]
	v_fma_f64 v[19:20], v[40:41], v[54:55], -v[19:20]
	v_fma_f64 v[52:53], v[42:43], v[52:53], -v[37:38]
	v_mul_f64 v[40:41], v[42:43], v[42:43]
	v_fma_f64 v[42:43], v[42:43], v[56:57], s[76:77]
	v_fma_f64 v[37:38], v[35:36], -v[37:38], v[62:63]
	v_fma_f64 v[54:55], v[66:67], v[58:59], v[60:61]
	v_lshlrev_b32_e32 v56, 30, v39
	v_fma_f64 v[19:20], v[68:69], s[60:61], v[19:20]
	v_fma_f64 v[52:53], v[76:77], s[60:61], v[52:53]
	v_fma_f64 v[37:38], v[40:41], v[42:43], v[37:38]
	v_add_f64 v[39:40], v[64:65], v[54:55]
	v_and_b32_e32 v41, 1, v22
	v_lshlrev_b32_e32 v22, 30, v22
	v_add_f64 v[9:10], v[9:10], -v[19:20]
	v_add_f64 v[19:20], v[35:36], -v[52:53]
	v_xor_b32_e32 v42, v56, v18
	v_and_b32_e32 v22, 0x80000000, v22
	v_add_f64 v[35:36], v[70:71], v[37:38]
	v_and_b32_e32 v37, 0x80000000, v42
	v_cndmask_b32_e32 v9, v39, v9, vcc
	v_cndmask_b32_e32 v10, v40, v10, vcc
	v_xor_b32_e32 v17, 0x80000000, v20
	v_cmp_eq_u32_e32 vcc, 0, v41
	v_cndmask_b32_e32 v17, v17, v36, vcc
	v_cndmask_b32_e32 v18, v19, v35, vcc
	v_xor_b32_e32 v10, v10, v37
	v_xor_b32_e32 v19, v17, v22
	v_cndmask_b32_e64 v9, 0, v9, s[8:9]
	v_cndmask_b32_e64 v10, v51, v10, s[8:9]
	v_cndmask_b32_e64 v17, 0, v18, s[8:9]
	v_cndmask_b32_e64 v18, v51, v19, s[8:9]
	v_mul_f64 v[17:18], v[9:10], v[17:18]
.LBB93_243:                             ;   in Loop: Header=BB93_161 Depth=1
	s_or_b64 exec, exec, s[64:65]
	v_bfi_b32 v22, s70, 0, v18
	v_mov_b32_e32 v9, v21
	v_add_u32_e32 v12, -2.0, v12
	v_mov_b32_e32 v10, v22
.LBB93_244:                             ;   in Loop: Header=BB93_161 Depth=1
	s_or_b64 exec, exec, s[56:57]
.LBB93_245:                             ;   in Loop: Header=BB93_161 Depth=1
	s_or_b64 exec, exec, s[12:13]
	v_xor_b32_e32 v20, 0x80000000, v16
	v_and_b32_e32 v17, 0x7fffffff, v20
	v_mov_b32_e32 v19, v15
	v_cmp_gt_u32_e32 vcc, s71, v17
	s_and_saveexec_b64 s[8:9], vcc
	s_xor_b64 s[56:57], exec, s[8:9]
	s_cbranch_execz .LBB93_267
; %bb.246:                              ;   in Loop: Header=BB93_161 Depth=1
	v_cmp_class_f64_e64 s[8:9], v[13:14], s72
	s_and_saveexec_b64 s[12:13], s[8:9]
	s_xor_b64 s[12:13], exec, s[12:13]
	s_cbranch_execz .LBB93_264
; %bb.247:                              ;   in Loop: Header=BB93_161 Depth=1
	v_cmp_gt_u32_e32 vcc, s73, v17
	s_and_saveexec_b64 s[8:9], vcc
	s_xor_b64 s[64:65], exec, s[8:9]
	s_cbranch_execz .LBB93_253
; %bb.248:                              ;   in Loop: Header=BB93_161 Depth=1
	v_cmp_nlt_f64_e64 s[8:9], |v[13:14]|, s[36:37]
                                        ; implicit-def: $vgpr19
                                        ; implicit-def: $vgpr17_vgpr18
                                        ; implicit-def: $vgpr35_vgpr36
	s_and_saveexec_b64 s[66:67], s[8:9]
	s_xor_b64 s[8:9], exec, s[66:67]
	s_cbranch_execz .LBB93_250
; %bb.249:                              ;   in Loop: Header=BB93_161 Depth=1
	v_trig_preop_f64 v[17:18], |v[13:14]|, 0
	v_ldexp_f64 v[35:36], |v[13:14]|, s10
	v_cmp_ge_f64_e64 vcc, |v[13:14]|, s[38:39]
	v_trig_preop_f64 v[37:38], |v[13:14]|, 1
	v_and_b32_e32 v19, 0x7fffffff, v14
	v_trig_preop_f64 v[52:53], |v[13:14]|, 2
	s_mov_b32 s18, s42
	s_mov_b32 s47, s23
	v_cndmask_b32_e32 v36, v19, v36, vcc
	v_cndmask_b32_e32 v35, v13, v35, vcc
	v_mul_f64 v[39:40], v[17:18], v[35:36]
	v_mul_f64 v[41:42], v[37:38], v[35:36]
	;; [unrolled: 1-line block ×3, first 2 shown]
	v_fma_f64 v[17:18], v[17:18], v[35:36], -v[39:40]
	v_fma_f64 v[37:38], v[37:38], v[35:36], -v[41:42]
	;; [unrolled: 1-line block ×3, first 2 shown]
	v_add_f64 v[43:44], v[41:42], v[17:18]
	v_add_f64 v[54:55], v[43:44], -v[41:42]
	v_add_f64 v[60:61], v[39:40], v[43:44]
	v_add_f64 v[56:57], v[43:44], -v[54:55]
	v_add_f64 v[17:18], v[17:18], -v[54:55]
	v_add_f64 v[54:55], v[58:59], v[37:38]
	v_add_f64 v[39:40], v[60:61], -v[39:40]
	v_add_f64 v[41:42], v[41:42], -v[56:57]
	v_ldexp_f64 v[56:57], v[60:61], -2
	v_add_f64 v[62:63], v[54:55], -v[58:59]
	v_add_f64 v[39:40], v[43:44], -v[39:40]
	v_add_f64 v[17:18], v[17:18], v[41:42]
	v_fract_f64_e32 v[41:42], v[56:57]
	v_cmp_neq_f64_e64 vcc, |v[56:57]|, s[40:41]
	v_add_f64 v[37:38], v[37:38], -v[62:63]
	v_add_f64 v[43:44], v[54:55], v[17:18]
	v_ldexp_f64 v[41:42], v[41:42], 2
	v_add_f64 v[56:57], v[39:40], v[43:44]
	v_cndmask_b32_e32 v42, 0, v42, vcc
	v_cndmask_b32_e32 v41, 0, v41, vcc
	v_add_f64 v[64:65], v[43:44], -v[54:55]
	v_add_f64 v[60:61], v[56:57], v[41:42]
	v_add_f64 v[39:40], v[56:57], -v[39:40]
	v_add_f64 v[66:67], v[43:44], -v[64:65]
	;; [unrolled: 1-line block ×3, first 2 shown]
	v_cmp_gt_f64_e32 vcc, 0, v[60:61]
	v_add_f64 v[60:61], v[54:55], -v[62:63]
	v_add_f64 v[39:40], v[43:44], -v[39:40]
	v_add_f64 v[54:55], v[54:55], -v[66:67]
	v_cndmask_b32_e32 v22, 0, v46, vcc
	v_add_f64 v[41:42], v[41:42], v[21:22]
	v_add_f64 v[60:61], v[58:59], -v[60:61]
	v_add_f64 v[17:18], v[17:18], v[54:55]
	v_add_f64 v[68:69], v[56:57], v[41:42]
	;; [unrolled: 1-line block ×3, first 2 shown]
	v_cvt_i32_f64_e32 v19, v[68:69]
	v_add_f64 v[17:18], v[37:38], v[17:18]
	v_cvt_f64_i32_e32 v[62:63], v19
	v_add_f64 v[41:42], v[41:42], -v[62:63]
	v_add_f64 v[17:18], v[35:36], v[17:18]
	v_add_f64 v[37:38], v[56:57], v[41:42]
	;; [unrolled: 1-line block ×3, first 2 shown]
	v_add_f64 v[35:36], v[37:38], -v[41:42]
	v_cmp_le_f64_e32 vcc, 0.5, v[37:38]
	v_add_f64 v[35:36], v[56:57], -v[35:36]
	v_cndmask_b32_e32 v22, 0, v47, vcc
	v_addc_co_u32_e32 v19, vcc, 0, v19, vcc
	v_add_f64 v[17:18], v[17:18], v[35:36]
	v_add_f64 v[35:36], v[37:38], -v[21:22]
	v_add_f64 v[37:38], v[35:36], v[17:18]
	v_mul_f64 v[39:40], v[37:38], s[18:19]
	v_add_f64 v[35:36], v[37:38], -v[35:36]
	v_fma_f64 v[41:42], v[37:38], s[18:19], -v[39:40]
	v_add_f64 v[17:18], v[17:18], -v[35:36]
	v_fma_f64 v[35:36], v[37:38], s[46:47], v[41:42]
	v_fma_f64 v[35:36], v[17:18], s[18:19], v[35:36]
	v_add_f64 v[17:18], v[39:40], v[35:36]
	v_add_f64 v[37:38], v[17:18], -v[39:40]
	v_add_f64 v[35:36], v[35:36], -v[37:38]
.LBB93_250:                             ;   in Loop: Header=BB93_161 Depth=1
	s_andn2_saveexec_b64 s[8:9], s[8:9]
	s_cbranch_execz .LBB93_252
; %bb.251:                              ;   in Loop: Header=BB93_161 Depth=1
	v_mul_f64 v[17:18], |v[13:14]|, s[20:21]
	s_mov_b32 s22, s44
	v_rndne_f64_e32 v[37:38], v[17:18]
	v_fma_f64 v[17:18], v[37:38], s[42:43], |v[13:14]|
	v_mul_f64 v[35:36], v[37:38], s[44:45]
	v_cvt_i32_f64_e32 v19, v[37:38]
	v_fma_f64 v[43:44], v[37:38], s[44:45], v[17:18]
	v_add_f64 v[39:40], v[17:18], v[35:36]
	v_add_f64 v[41:42], v[17:18], -v[39:40]
	v_add_f64 v[39:40], v[39:40], -v[43:44]
	v_add_f64 v[17:18], v[41:42], v[35:36]
	v_fma_f64 v[35:36], v[37:38], s[22:23], v[35:36]
	v_add_f64 v[17:18], v[39:40], v[17:18]
	v_add_f64 v[17:18], v[17:18], -v[35:36]
	v_fma_f64 v[35:36], v[37:38], s[24:25], v[17:18]
	v_add_f64 v[17:18], v[43:44], v[35:36]
	v_add_f64 v[39:40], v[17:18], -v[43:44]
	v_add_f64 v[35:36], v[35:36], -v[39:40]
.LBB93_252:                             ;   in Loop: Header=BB93_161 Depth=1
	s_or_b64 exec, exec, s[8:9]
	v_add_f64 v[37:38], |v[15:16]|, s[52:53]
	s_mov_b32 s54, s52
	s_mov_b32 s8, 0x3b39803f
	;; [unrolled: 1-line block ×7, first 2 shown]
	v_add_f64 v[39:40], v[37:38], -|v[15:16]|
	v_and_b32_e32 v19, 1, v19
	v_add_f64 v[41:42], v[39:40], -v[37:38]
	v_add_f64 v[39:40], v[39:40], s[54:55]
	v_add_f64 v[41:42], |v[15:16]|, v[41:42]
	v_add_f64 v[39:40], v[41:42], -v[39:40]
	v_add_f64 v[39:40], v[39:40], s[8:9]
	s_mov_b32 s8, 0xf278e000
	s_mov_b32 s9, 0xbd53de6a
	v_add_f64 v[41:42], v[37:38], v[39:40]
	v_mul_f64 v[43:44], v[41:42], s[30:31]
	v_add_f64 v[37:38], v[37:38], -v[41:42]
	v_rndne_f64_e32 v[43:44], v[43:44]
	v_add_f64 v[37:38], v[39:40], v[37:38]
	v_fma_f64 v[39:40], v[43:44], s[48:49], v[41:42]
	v_mul_f64 v[41:42], v[43:44], s[8:9]
	s_mov_b32 s8, 0xf97b57a0
	s_mov_b32 s9, 0xbac9cc01
	v_cvt_i32_f64_e32 v13, v[43:44]
	v_add_f64 v[52:53], v[37:38], v[39:40]
	v_add_f64 v[54:55], v[52:53], v[41:42]
	v_add_f64 v[39:40], v[39:40], -v[52:53]
	v_add_f64 v[52:53], v[52:53], -v[54:55]
	v_add_f64 v[37:38], v[37:38], v[39:40]
	v_add_f64 v[39:40], v[52:53], v[41:42]
	;; [unrolled: 1-line block ×3, first 2 shown]
	v_mul_f64 v[39:40], v[43:44], s[8:9]
	s_mov_b32 s8, 0x6a5dcb37
	s_mov_b32 s9, 0x3e5ade15
	v_add_f64 v[41:42], v[54:55], v[37:38]
	v_add_f64 v[52:53], v[41:42], v[39:40]
	v_add_f64 v[54:55], v[54:55], -v[41:42]
	v_add_f64 v[41:42], v[41:42], -v[52:53]
	v_add_f64 v[37:38], v[37:38], v[54:55]
	v_add_f64 v[39:40], v[41:42], v[39:40]
	;; [unrolled: 1-line block ×4, first 2 shown]
	v_fma_f64 v[41:42], v[39:40], s[8:9], v[25:26]
	s_mov_b32 s8, 0x623fde64
	s_mov_b32 s9, 0x3ec71dee
	v_add_f64 v[52:53], v[52:53], -v[39:40]
	v_mul_f64 v[54:55], v[39:40], v[39:40]
	v_fma_f64 v[41:42], v[39:40], v[41:42], s[8:9]
	s_mov_b32 s8, 0x7c89e6b0
	s_mov_b32 s9, 0x3efa0199
	v_add_f64 v[37:38], v[37:38], v[52:53]
	v_fma_f64 v[52:53], v[39:40], v[39:40], -v[54:55]
	v_fma_f64 v[41:42], v[39:40], v[41:42], s[8:9]
	s_mov_b32 s8, 0x14761f6e
	s_mov_b32 s9, 0x3f2a01a0
	v_add_f64 v[56:57], v[37:38], v[37:38]
	v_fma_f64 v[41:42], v[39:40], v[41:42], s[8:9]
	s_mov_b32 s8, 0x1852b7b0
	s_mov_b32 s9, 0x3f56c16c
	v_fma_f64 v[52:53], v[39:40], v[56:57], v[52:53]
	v_fma_f64 v[41:42], v[39:40], v[41:42], s[8:9]
	s_mov_b32 s8, 0x55555511
	s_mov_b32 s9, 0x3fc55555
	v_add_f64 v[56:57], v[54:55], v[52:53]
	v_fma_f64 v[41:42], v[39:40], v[41:42], s[28:29]
	v_add_f64 v[54:55], v[56:57], -v[54:55]
	v_fma_f64 v[41:42], v[39:40], v[41:42], s[88:89]
	v_add_f64 v[52:53], v[52:53], -v[54:55]
	v_fma_f64 v[41:42], v[39:40], v[41:42], s[8:9]
	s_mov_b32 s8, 11
	s_mov_b32 s9, 0x3fe00000
	v_fma_f64 v[41:42], v[39:40], v[41:42], s[8:9]
	s_mov_b32 s8, 0xc751c08c
	s_mov_b32 s9, 0x3ef5e089
	v_mul_f64 v[58:59], v[56:57], v[41:42]
	v_fma_f64 v[54:55], v[56:57], v[41:42], -v[58:59]
	v_fma_f64 v[41:42], v[52:53], v[41:42], v[54:55]
	v_add_f64 v[52:53], v[58:59], v[41:42]
	v_add_f64 v[54:55], v[39:40], v[52:53]
	v_add_f64 v[56:57], v[52:53], -v[58:59]
	v_add_f64 v[39:40], v[54:55], -v[39:40]
	;; [unrolled: 1-line block ×3, first 2 shown]
	v_add_f64 v[56:57], v[35:36], v[35:36]
	v_add_f64 v[39:40], v[52:53], -v[39:40]
	v_add_f64 v[37:38], v[37:38], v[41:42]
	v_add_f64 v[37:38], v[37:38], v[39:40]
	;; [unrolled: 1-line block ×3, first 2 shown]
	v_add_f64 v[41:42], v[39:40], 1.0
	v_add_f64 v[52:53], v[39:40], -v[54:55]
	v_add_f64 v[54:55], v[41:42], -1.0
	v_add_f64 v[37:38], v[37:38], -v[52:53]
	v_add_f64 v[39:40], v[39:40], -v[54:55]
	v_add_f64 v[37:38], v[37:38], v[39:40]
	v_add_f64 v[39:40], v[41:42], v[37:38]
	v_ldexp_f64 v[43:44], v[39:40], v13
	v_add_f64 v[39:40], v[39:40], -v[41:42]
	v_rcp_f64_e32 v[52:53], v[43:44]
	v_add_f64 v[37:38], v[37:38], -v[39:40]
	v_ldexp_f64 v[37:38], v[37:38], v13
	v_fma_f64 v[54:55], -v[43:44], v[52:53], 1.0
	v_fma_f64 v[52:53], v[54:55], v[52:53], v[52:53]
	v_fma_f64 v[54:55], -v[43:44], v[52:53], 1.0
	v_fma_f64 v[41:42], v[54:55], v[52:53], v[52:53]
	v_mul_f64 v[52:53], v[17:18], v[17:18]
	v_mul_f64 v[39:40], v[43:44], v[41:42]
	v_fma_f64 v[58:59], v[17:18], v[17:18], -v[52:53]
	v_fma_f64 v[54:55], v[41:42], v[43:44], -v[39:40]
	v_fma_f64 v[56:57], v[17:18], v[56:57], v[58:59]
	v_fma_f64 v[54:55], v[41:42], v[37:38], v[54:55]
	v_add_f64 v[52:53], v[52:53], v[56:57]
	v_add_f64 v[58:59], v[39:40], v[54:55]
	v_fma_f64 v[60:61], v[52:53], s[8:9], v[23:24]
	s_mov_b32 s8, 0x90a8aae0
	s_mov_b32 s9, 0x3f17746f
	v_add_f64 v[56:57], -v[58:59], 1.0
	v_add_f64 v[39:40], v[58:59], -v[39:40]
	v_fma_f64 v[60:61], v[52:53], v[60:61], s[8:9]
	s_mov_b32 s8, 0xa6fbf144
	s_mov_b32 s9, 0xbefbb44d
	v_add_f64 v[62:63], -v[56:57], 1.0
	v_add_f64 v[39:40], v[39:40], -v[54:55]
	v_add_f64 v[54:55], v[62:63], -v[58:59]
	v_fma_f64 v[58:59], v[52:53], v[60:61], s[8:9]
	s_mov_b32 s8, 0xa7943acf
	s_mov_b32 s9, 0x3f21e634
	v_add_f64 v[39:40], v[39:40], v[54:55]
	v_fma_f64 v[54:55], v[52:53], v[58:59], s[8:9]
	s_mov_b32 s8, 0xdeb68feb
	s_mov_b32 s9, 0x3f2d250f
	v_add_f64 v[58:59], v[56:57], v[39:40]
	v_fma_f64 v[54:55], v[52:53], v[54:55], s[8:9]
	s_mov_b32 s8, 0xb58c4d95
	s_mov_b32 s9, 0x3f437fd9
	v_mul_f64 v[60:61], v[41:42], v[58:59]
	v_fma_f64 v[54:55], v[52:53], v[54:55], s[8:9]
	s_mov_b32 s8, 0x15120e2c
	s_mov_b32 s9, 0x3f57d5af
	v_add_f64 v[56:57], v[56:57], -v[58:59]
	v_mul_f64 v[62:63], v[43:44], v[60:61]
	v_fma_f64 v[54:55], v[52:53], v[54:55], s[8:9]
	s_mov_b32 s8, 0xe09491df
	s_mov_b32 s9, 0x3f6d6d93
	v_add_f64 v[39:40], v[39:40], v[56:57]
	v_fma_f64 v[64:65], v[60:61], v[43:44], -v[62:63]
	v_fma_f64 v[54:55], v[52:53], v[54:55], s[8:9]
	s_mov_b32 s8, 0x2033784d
	s_mov_b32 s9, 0x3f8226e1
	v_fma_f64 v[64:65], v[60:61], v[37:38], v[64:65]
	v_fma_f64 v[54:55], v[52:53], v[54:55], s[8:9]
	s_mov_b32 s8, 0x9ac36ae2
	s_mov_b32 s9, 0x3f9664f4
	v_add_f64 v[66:67], v[62:63], v[64:65]
	v_fma_f64 v[54:55], v[52:53], v[54:55], s[8:9]
	s_mov_b32 s8, 0x1b451c21
	s_mov_b32 s9, 0x3faba1ba
	v_add_f64 v[68:69], v[58:59], -v[66:67]
	v_fma_f64 v[54:55], v[52:53], v[54:55], s[8:9]
	s_mov_b32 s8, 0x111185b7
	s_mov_b32 s9, 0x3fc11111
	v_add_f64 v[56:57], v[66:67], -v[62:63]
	v_add_f64 v[58:59], v[58:59], -v[68:69]
	v_fma_f64 v[54:55], v[52:53], v[54:55], s[8:9]
	s_mov_b32 s8, 0x555554ee
	s_mov_b32 s9, 0x3fd55555
	v_add_f64 v[56:57], v[56:57], -v[64:65]
	v_add_f64 v[58:59], v[58:59], -v[66:67]
	v_fma_f64 v[54:55], v[52:53], v[54:55], s[8:9]
	s_mov_b32 s8, 0x8fb9f87e
	s_mov_b32 s9, 0x408633ce
	v_cmp_nge_f64_e64 vcc, |v[15:16]|, s[8:9]
	s_mov_b32 s8, 0
	s_mov_b32 s9, 0x3e400000
	v_add_f64 v[39:40], v[39:40], v[58:59]
	v_mul_f64 v[52:53], v[52:53], v[54:55]
	v_add_f64 v[54:55], v[41:42], v[60:61]
	v_add_f64 v[39:40], v[56:57], v[39:40]
	v_mul_f64 v[56:57], v[17:18], v[52:53]
	v_add_f64 v[58:59], v[54:55], -v[41:42]
	v_add_f64 v[39:40], v[68:69], v[39:40]
	v_add_f64 v[62:63], v[17:18], v[56:57]
	v_add_f64 v[58:59], v[60:61], -v[58:59]
	v_mul_f64 v[39:40], v[41:42], v[39:40]
	v_fma_f64 v[41:42], v[17:18], v[52:53], -v[56:57]
	v_add_f64 v[17:18], v[62:63], -v[17:18]
	v_add_f64 v[39:40], v[58:59], v[39:40]
	v_add_f64 v[35:36], v[35:36], v[41:42]
	v_add_f64 v[17:18], v[56:57], -v[17:18]
	v_add_f64 v[41:42], v[54:55], v[39:40]
	v_add_f64 v[17:18], v[35:36], v[17:18]
	v_ldexp_f64 v[35:36], v[41:42], -2
	v_add_f64 v[41:42], v[41:42], -v[54:55]
	v_add_f64 v[52:53], v[62:63], v[17:18]
	v_add_f64 v[56:57], v[43:44], -v[35:36]
	v_add_f64 v[39:40], v[39:40], -v[41:42]
	v_rcp_f64_e32 v[58:59], v[52:53]
	v_add_f64 v[43:44], v[43:44], -v[56:57]
	v_ldexp_f64 v[39:40], v[39:40], -2
	v_add_f64 v[35:36], v[43:44], -v[35:36]
	v_fma_f64 v[41:42], -v[52:53], v[58:59], 1.0
	v_add_f64 v[35:36], v[37:38], v[35:36]
	v_fma_f64 v[37:38], v[41:42], v[58:59], v[58:59]
	v_add_f64 v[35:36], v[35:36], -v[39:40]
	v_fma_f64 v[39:40], -v[52:53], v[37:38], 1.0
	v_add_f64 v[35:36], v[56:57], v[35:36]
	v_fma_f64 v[37:38], v[39:40], v[37:38], v[37:38]
	v_cndmask_b32_e32 v13, v48, v36, vcc
	v_cndmask_b32_e32 v22, 0, v35, vcc
	v_cmp_lt_f64_e64 vcc, |v[15:16]|, s[8:9]
	v_and_b32_e32 v16, 0x7fffffff, v16
	s_mov_b32 s8, 0
	v_add_f64 v[35:36], v[52:53], -v[62:63]
	v_mul_f64 v[39:40], v[52:53], v[37:38]
	s_brev_b32 s9, 8
	v_cndmask_b32_e32 v13, v13, v16, vcc
	v_cndmask_b32_e32 v15, v22, v15, vcc
	v_bfi_b32 v16, s70, v13, v20
	v_fma_f64 v[41:42], v[15:16], v[15:16], 1.0
	v_add_f64 v[17:18], v[17:18], -v[35:36]
	v_fma_f64 v[35:36], v[37:38], v[52:53], -v[39:40]
	v_and_b32_e32 v20, 0x80000000, v14
	v_cmp_gt_f64_e32 vcc, s[8:9], v[41:42]
	v_cmp_eq_u32_e64 s[8:9], 0, v19
	v_fma_f64 v[17:18], v[37:38], v[17:18], v[35:36]
	v_cndmask_b32_e32 v13, 0, v49, vcc
	v_ldexp_f64 v[41:42], v[41:42], v13
	v_add_f64 v[43:44], v[39:40], v[17:18]
	v_cndmask_b32_e32 v22, 0, v50, vcc
	v_rsq_f64_e32 v[35:36], v[41:42]
	v_add_f64 v[54:55], -v[43:44], 1.0
	v_add_f64 v[39:40], v[43:44], -v[39:40]
	v_cmp_class_f64_e32 vcc, v[41:42], v45
	v_add_f64 v[58:59], -v[54:55], 1.0
	v_add_f64 v[17:18], v[39:40], -v[17:18]
	v_mul_f64 v[56:57], v[41:42], v[35:36]
	v_mul_f64 v[35:36], v[35:36], 0.5
	v_add_f64 v[43:44], v[58:59], -v[43:44]
	v_fma_f64 v[39:40], -v[35:36], v[56:57], 0.5
	v_add_f64 v[17:18], v[17:18], v[43:44]
	v_fma_f64 v[56:57], v[56:57], v[39:40], v[56:57]
	v_fma_f64 v[35:36], v[35:36], v[39:40], v[35:36]
	v_add_f64 v[17:18], v[54:55], v[17:18]
	v_fma_f64 v[39:40], -v[56:57], v[56:57], v[41:42]
	v_mul_f64 v[17:18], v[37:38], v[17:18]
	v_fma_f64 v[39:40], v[39:40], v[35:36], v[56:57]
	v_add_f64 v[17:18], v[37:38], v[17:18]
	v_fma_f64 v[43:44], -v[39:40], v[39:40], v[41:42]
	v_xor_b32_e32 v18, 0x80000000, v18
	v_cndmask_b32_e64 v18, v18, v53, s[8:9]
	v_cndmask_b32_e64 v17, v17, v52, s[8:9]
	v_xor_b32_e32 v18, v18, v20
	v_fma_f64 v[19:20], v[17:18], v[17:18], 1.0
	v_fma_f64 v[13:14], v[43:44], v[35:36], v[39:40]
	v_mul_f64 v[35:36], v[15:16], v[19:20]
	v_ldexp_f64 v[13:14], v[13:14], v22
	v_fma_f64 v[35:36], v[15:16], v[35:36], 1.0
	v_cndmask_b32_e32 v14, v14, v42, vcc
	v_cndmask_b32_e32 v13, v13, v41, vcc
	v_mul_f64 v[13:14], v[13:14], v[19:20]
	v_div_scale_f64 v[19:20], s[8:9], v[35:36], v[35:36], v[17:18]
	v_mul_f64 v[13:14], v[15:16], v[13:14]
	v_div_scale_f64 v[15:16], s[8:9], v[35:36], v[35:36], v[13:14]
	v_div_scale_f64 v[52:53], s[8:9], v[17:18], v[35:36], v[17:18]
	v_rcp_f64_e32 v[39:40], v[19:20]
	v_rcp_f64_e32 v[37:38], v[15:16]
	v_fma_f64 v[43:44], -v[19:20], v[39:40], 1.0
	v_fma_f64 v[39:40], v[39:40], v[43:44], v[39:40]
	v_fma_f64 v[41:42], -v[15:16], v[37:38], 1.0
	v_fma_f64 v[54:55], -v[19:20], v[39:40], 1.0
	v_fma_f64 v[37:38], v[37:38], v[41:42], v[37:38]
	v_div_scale_f64 v[41:42], vcc, v[13:14], v[35:36], v[13:14]
	v_fma_f64 v[39:40], v[39:40], v[54:55], v[39:40]
	v_fma_f64 v[43:44], -v[15:16], v[37:38], 1.0
	v_mul_f64 v[54:55], v[52:53], v[39:40]
	v_fma_f64 v[37:38], v[37:38], v[43:44], v[37:38]
	v_fma_f64 v[19:20], -v[19:20], v[54:55], v[52:53]
	v_mul_f64 v[43:44], v[41:42], v[37:38]
	v_fma_f64 v[15:16], -v[15:16], v[43:44], v[41:42]
	v_div_fmas_f64 v[15:16], v[15:16], v[37:38], v[43:44]
	s_mov_b64 vcc, s[8:9]
	v_div_fmas_f64 v[37:38], v[19:20], v[39:40], v[54:55]
	v_div_fixup_f64 v[19:20], v[15:16], v[35:36], v[13:14]
                                        ; implicit-def: $vgpr13_vgpr14
	v_div_fixup_f64 v[17:18], v[37:38], v[35:36], v[17:18]
.LBB93_253:                             ;   in Loop: Header=BB93_161 Depth=1
	s_andn2_saveexec_b64 s[8:9], s[64:65]
	s_cbranch_execz .LBB93_263
; %bb.254:                              ;   in Loop: Header=BB93_161 Depth=1
	v_cmp_nlt_f64_e64 s[64:65], |v[13:14]|, s[36:37]
                                        ; implicit-def: $vgpr19
                                        ; implicit-def: $vgpr41_vgpr42
                                        ; implicit-def: $vgpr43_vgpr44
	s_and_saveexec_b64 s[66:67], s[64:65]
	s_xor_b64 s[66:67], exec, s[66:67]
	s_cbranch_execz .LBB93_256
; %bb.255:                              ;   in Loop: Header=BB93_161 Depth=1
	v_trig_preop_f64 v[17:18], |v[13:14]|, 0
	v_ldexp_f64 v[35:36], |v[13:14]|, s10
	v_cmp_ge_f64_e64 vcc, |v[13:14]|, s[38:39]
	v_trig_preop_f64 v[37:38], |v[13:14]|, 1
	v_and_b32_e32 v19, 0x7fffffff, v14
	v_trig_preop_f64 v[52:53], |v[13:14]|, 2
	s_mov_b32 s18, s42
	s_mov_b32 s47, s23
	v_cndmask_b32_e32 v36, v19, v36, vcc
	v_cndmask_b32_e32 v35, v13, v35, vcc
	v_mul_f64 v[39:40], v[17:18], v[35:36]
	v_mul_f64 v[41:42], v[37:38], v[35:36]
	;; [unrolled: 1-line block ×3, first 2 shown]
	v_fma_f64 v[17:18], v[17:18], v[35:36], -v[39:40]
	v_fma_f64 v[37:38], v[37:38], v[35:36], -v[41:42]
	;; [unrolled: 1-line block ×3, first 2 shown]
	v_add_f64 v[43:44], v[41:42], v[17:18]
	v_add_f64 v[54:55], v[43:44], -v[41:42]
	v_add_f64 v[60:61], v[39:40], v[43:44]
	v_add_f64 v[56:57], v[43:44], -v[54:55]
	v_add_f64 v[17:18], v[17:18], -v[54:55]
	v_add_f64 v[54:55], v[58:59], v[37:38]
	v_add_f64 v[39:40], v[60:61], -v[39:40]
	v_add_f64 v[41:42], v[41:42], -v[56:57]
	v_ldexp_f64 v[56:57], v[60:61], -2
	v_add_f64 v[62:63], v[54:55], -v[58:59]
	v_add_f64 v[39:40], v[43:44], -v[39:40]
	v_add_f64 v[17:18], v[17:18], v[41:42]
	v_fract_f64_e32 v[41:42], v[56:57]
	v_cmp_neq_f64_e64 vcc, |v[56:57]|, s[40:41]
	v_add_f64 v[37:38], v[37:38], -v[62:63]
	v_add_f64 v[43:44], v[54:55], v[17:18]
	v_ldexp_f64 v[41:42], v[41:42], 2
	v_add_f64 v[56:57], v[39:40], v[43:44]
	v_cndmask_b32_e32 v42, 0, v42, vcc
	v_cndmask_b32_e32 v41, 0, v41, vcc
	v_add_f64 v[64:65], v[43:44], -v[54:55]
	v_add_f64 v[60:61], v[56:57], v[41:42]
	v_add_f64 v[39:40], v[56:57], -v[39:40]
	v_add_f64 v[66:67], v[43:44], -v[64:65]
	;; [unrolled: 1-line block ×3, first 2 shown]
	v_cmp_gt_f64_e32 vcc, 0, v[60:61]
	v_add_f64 v[60:61], v[54:55], -v[62:63]
	v_add_f64 v[39:40], v[43:44], -v[39:40]
	;; [unrolled: 1-line block ×3, first 2 shown]
	v_cndmask_b32_e32 v22, 0, v46, vcc
	v_add_f64 v[41:42], v[41:42], v[21:22]
	v_add_f64 v[60:61], v[58:59], -v[60:61]
	v_add_f64 v[17:18], v[17:18], v[54:55]
	v_add_f64 v[68:69], v[56:57], v[41:42]
	;; [unrolled: 1-line block ×3, first 2 shown]
	v_cvt_i32_f64_e32 v19, v[68:69]
	v_add_f64 v[17:18], v[37:38], v[17:18]
	v_cvt_f64_i32_e32 v[62:63], v19
	v_add_f64 v[41:42], v[41:42], -v[62:63]
	v_add_f64 v[17:18], v[35:36], v[17:18]
	v_add_f64 v[37:38], v[56:57], v[41:42]
	;; [unrolled: 1-line block ×3, first 2 shown]
	v_add_f64 v[35:36], v[37:38], -v[41:42]
	v_cmp_le_f64_e32 vcc, 0.5, v[37:38]
	v_add_f64 v[35:36], v[56:57], -v[35:36]
	v_cndmask_b32_e32 v22, 0, v47, vcc
	v_addc_co_u32_e32 v19, vcc, 0, v19, vcc
	v_add_f64 v[17:18], v[17:18], v[35:36]
	v_add_f64 v[35:36], v[37:38], -v[21:22]
	v_add_f64 v[37:38], v[35:36], v[17:18]
	v_mul_f64 v[39:40], v[37:38], s[18:19]
	v_add_f64 v[35:36], v[37:38], -v[35:36]
	v_fma_f64 v[41:42], v[37:38], s[18:19], -v[39:40]
	v_add_f64 v[17:18], v[17:18], -v[35:36]
	v_fma_f64 v[35:36], v[37:38], s[46:47], v[41:42]
	v_fma_f64 v[17:18], v[17:18], s[18:19], v[35:36]
	v_add_f64 v[41:42], v[39:40], v[17:18]
	v_add_f64 v[35:36], v[41:42], -v[39:40]
	v_add_f64 v[43:44], v[17:18], -v[35:36]
	s_andn2_saveexec_b64 s[66:67], s[66:67]
	s_cbranch_execz .LBB93_258
	s_branch .LBB93_257
.LBB93_256:                             ;   in Loop: Header=BB93_161 Depth=1
	s_andn2_saveexec_b64 s[66:67], s[66:67]
	s_cbranch_execz .LBB93_258
.LBB93_257:                             ;   in Loop: Header=BB93_161 Depth=1
	v_mul_f64 v[17:18], |v[13:14]|, s[20:21]
	s_mov_b32 s22, s44
	v_rndne_f64_e32 v[17:18], v[17:18]
	v_fma_f64 v[35:36], v[17:18], s[42:43], |v[13:14]|
	v_mul_f64 v[37:38], v[17:18], s[44:45]
	v_cvt_i32_f64_e32 v19, v[17:18]
	v_add_f64 v[39:40], v[35:36], v[37:38]
	v_add_f64 v[41:42], v[35:36], -v[39:40]
	v_fma_f64 v[35:36], v[17:18], s[44:45], v[35:36]
	v_add_f64 v[41:42], v[41:42], v[37:38]
	v_add_f64 v[39:40], v[39:40], -v[35:36]
	v_fma_f64 v[37:38], v[17:18], s[22:23], v[37:38]
	;; [unrolled: 3-line block ×3, first 2 shown]
	v_add_f64 v[41:42], v[35:36], v[37:38]
	v_add_f64 v[35:36], v[41:42], -v[35:36]
	v_add_f64 v[43:44], v[37:38], -v[35:36]
.LBB93_258:                             ;   in Loop: Header=BB93_161 Depth=1
	s_or_b64 exec, exec, s[66:67]
                                        ; implicit-def: $vgpr52
                                        ; implicit-def: $vgpr17_vgpr18
                                        ; implicit-def: $vgpr35_vgpr36
	s_and_saveexec_b64 s[66:67], s[64:65]
	s_xor_b64 s[64:65], exec, s[66:67]
	s_cbranch_execz .LBB93_260
; %bb.259:                              ;   in Loop: Header=BB93_161 Depth=1
	v_trig_preop_f64 v[17:18], |v[13:14]|, 0
	v_ldexp_f64 v[35:36], |v[13:14]|, s10
	v_cmp_ge_f64_e64 vcc, |v[13:14]|, s[38:39]
	v_trig_preop_f64 v[37:38], |v[13:14]|, 1
	v_and_b32_e32 v22, 0x7fffffff, v14
	v_trig_preop_f64 v[56:57], |v[13:14]|, 2
	s_mov_b32 s18, s42
	s_mov_b32 s47, s23
	v_cndmask_b32_e32 v36, v22, v36, vcc
	v_cndmask_b32_e32 v35, v13, v35, vcc
	v_mul_f64 v[39:40], v[17:18], v[35:36]
	v_mul_f64 v[52:53], v[37:38], v[35:36]
	;; [unrolled: 1-line block ×3, first 2 shown]
	v_fma_f64 v[17:18], v[17:18], v[35:36], -v[39:40]
	v_fma_f64 v[37:38], v[37:38], v[35:36], -v[52:53]
	;; [unrolled: 1-line block ×3, first 2 shown]
	v_add_f64 v[54:55], v[52:53], v[17:18]
	v_add_f64 v[58:59], v[54:55], -v[52:53]
	v_add_f64 v[64:65], v[39:40], v[54:55]
	v_add_f64 v[60:61], v[54:55], -v[58:59]
	v_add_f64 v[17:18], v[17:18], -v[58:59]
	v_add_f64 v[58:59], v[62:63], v[37:38]
	v_add_f64 v[39:40], v[64:65], -v[39:40]
	v_add_f64 v[52:53], v[52:53], -v[60:61]
	v_ldexp_f64 v[60:61], v[64:65], -2
	v_add_f64 v[66:67], v[58:59], -v[62:63]
	v_add_f64 v[39:40], v[54:55], -v[39:40]
	v_add_f64 v[17:18], v[17:18], v[52:53]
	v_fract_f64_e32 v[52:53], v[60:61]
	v_cmp_neq_f64_e64 vcc, |v[60:61]|, s[40:41]
	v_add_f64 v[37:38], v[37:38], -v[66:67]
	v_add_f64 v[54:55], v[58:59], v[17:18]
	v_ldexp_f64 v[52:53], v[52:53], 2
	v_add_f64 v[60:61], v[39:40], v[54:55]
	v_cndmask_b32_e32 v53, 0, v53, vcc
	v_cndmask_b32_e32 v52, 0, v52, vcc
	v_add_f64 v[68:69], v[54:55], -v[58:59]
	v_add_f64 v[64:65], v[60:61], v[52:53]
	v_add_f64 v[39:40], v[60:61], -v[39:40]
	v_add_f64 v[70:71], v[54:55], -v[68:69]
	;; [unrolled: 1-line block ×3, first 2 shown]
	v_cmp_gt_f64_e32 vcc, 0, v[64:65]
	v_add_f64 v[64:65], v[58:59], -v[66:67]
	v_add_f64 v[39:40], v[54:55], -v[39:40]
	;; [unrolled: 1-line block ×3, first 2 shown]
	v_cndmask_b32_e32 v22, 0, v46, vcc
	v_add_f64 v[52:53], v[52:53], v[21:22]
	v_add_f64 v[64:65], v[62:63], -v[64:65]
	v_add_f64 v[17:18], v[17:18], v[58:59]
	v_add_f64 v[72:73], v[60:61], v[52:53]
	v_add_f64 v[37:38], v[37:38], v[64:65]
	v_cvt_i32_f64_e32 v68, v[72:73]
	v_add_f64 v[17:18], v[37:38], v[17:18]
	v_cvt_f64_i32_e32 v[66:67], v68
	v_add_f64 v[52:53], v[52:53], -v[66:67]
	v_add_f64 v[17:18], v[35:36], v[17:18]
	v_add_f64 v[37:38], v[60:61], v[52:53]
	;; [unrolled: 1-line block ×3, first 2 shown]
	v_add_f64 v[35:36], v[37:38], -v[52:53]
	v_cmp_le_f64_e32 vcc, 0.5, v[37:38]
	v_add_f64 v[35:36], v[60:61], -v[35:36]
	v_cndmask_b32_e32 v22, 0, v47, vcc
	v_add_f64 v[17:18], v[17:18], v[35:36]
	v_add_f64 v[35:36], v[37:38], -v[21:22]
	v_add_f64 v[37:38], v[35:36], v[17:18]
	v_mul_f64 v[39:40], v[37:38], s[18:19]
	v_add_f64 v[35:36], v[37:38], -v[35:36]
	v_fma_f64 v[52:53], v[37:38], s[18:19], -v[39:40]
	v_add_f64 v[17:18], v[17:18], -v[35:36]
	v_fma_f64 v[35:36], v[37:38], s[46:47], v[52:53]
	v_addc_co_u32_e32 v52, vcc, 0, v68, vcc
	v_fma_f64 v[35:36], v[17:18], s[18:19], v[35:36]
	v_add_f64 v[17:18], v[39:40], v[35:36]
	v_add_f64 v[37:38], v[17:18], -v[39:40]
	v_add_f64 v[35:36], v[35:36], -v[37:38]
	s_andn2_saveexec_b64 s[64:65], s[64:65]
	s_cbranch_execnz .LBB93_261
	s_branch .LBB93_262
.LBB93_260:                             ;   in Loop: Header=BB93_161 Depth=1
	s_andn2_saveexec_b64 s[64:65], s[64:65]
	s_cbranch_execz .LBB93_262
.LBB93_261:                             ;   in Loop: Header=BB93_161 Depth=1
	v_mul_f64 v[17:18], |v[13:14]|, s[20:21]
	s_mov_b32 s22, s44
	v_rndne_f64_e32 v[37:38], v[17:18]
	v_fma_f64 v[17:18], v[37:38], s[42:43], |v[13:14]|
	v_mul_f64 v[35:36], v[37:38], s[44:45]
	v_fma_f64 v[54:55], v[37:38], s[44:45], v[17:18]
	v_add_f64 v[39:40], v[17:18], v[35:36]
	v_add_f64 v[52:53], v[17:18], -v[39:40]
	v_add_f64 v[39:40], v[39:40], -v[54:55]
	v_add_f64 v[17:18], v[52:53], v[35:36]
	v_fma_f64 v[35:36], v[37:38], s[22:23], v[35:36]
	v_cvt_i32_f64_e32 v52, v[37:38]
	v_add_f64 v[17:18], v[39:40], v[17:18]
	v_add_f64 v[17:18], v[17:18], -v[35:36]
	v_fma_f64 v[35:36], v[37:38], s[24:25], v[17:18]
	v_add_f64 v[17:18], v[54:55], v[35:36]
	v_add_f64 v[39:40], v[17:18], -v[54:55]
	v_add_f64 v[35:36], v[35:36], -v[39:40]
.LBB93_262:                             ;   in Loop: Header=BB93_161 Depth=1
	s_or_b64 exec, exec, s[64:65]
	v_mul_f64 v[53:54], v[41:42], v[41:42]
	v_mul_f64 v[61:62], v[43:44], 0.5
	s_mov_b32 s60, s76
	v_and_b32_e32 v13, 1, v19
	v_cmp_eq_u32_e32 vcc, 0, v13
	s_mov_b32 s64, 0x3b39803f
	s_mov_b32 s65, 0xbc7abc9e
	;; [unrolled: 1-line block ×3, first 2 shown]
	v_mul_f64 v[37:38], v[53:54], 0.5
	v_mul_f64 v[57:58], v[53:54], v[53:54]
	s_mov_b32 s89, s77
	v_lshlrev_b32_e32 v19, 30, v19
	v_xor_b32_e32 v14, v19, v14
	v_and_b32_e32 v14, 0x80000000, v14
	v_add_f64 v[55:56], -v[37:38], 1.0
	v_add_f64 v[39:40], -v[55:56], 1.0
	v_add_f64 v[37:38], v[39:40], -v[37:38]
	v_mov_b32_e32 v39, s78
	v_mov_b32_e32 v40, s79
	v_fma_f64 v[59:60], v[53:54], s[80:81], v[39:40]
	v_fma_f64 v[37:38], v[41:42], -v[43:44], v[37:38]
	v_fma_f64 v[59:60], v[53:54], v[59:60], s[82:83]
	v_fma_f64 v[59:60], v[53:54], v[59:60], s[84:85]
	;; [unrolled: 1-line block ×5, first 2 shown]
	v_mul_f64 v[59:60], v[41:42], -v[53:54]
	v_add_f64 v[55:56], v[55:56], v[37:38]
	v_mov_b32_e32 v37, s90
	v_mov_b32_e32 v38, s91
	v_fma_f64 v[57:58], v[53:54], s[92:93], v[37:38]
	v_fma_f64 v[57:58], v[53:54], v[57:58], s[94:95]
	;; [unrolled: 1-line block ×5, first 2 shown]
	v_fma_f64 v[43:44], v[53:54], v[57:58], -v[43:44]
	v_fma_f64 v[43:44], v[59:60], s[60:61], v[43:44]
	v_add_f64 v[41:42], v[41:42], -v[43:44]
	v_cndmask_b32_e32 v13, v55, v41, vcc
	v_cndmask_b32_e32 v22, v56, v42, vcc
	v_mul_f64 v[41:42], |v[15:16]|, s[50:51]
	v_xor_b32_e32 v14, v22, v14
	v_bfi_b32 v22, s70, v47, v20
	v_mul_f64 v[13:14], v[13:14], 4.0
	v_rndne_f64_e32 v[41:42], v[41:42]
	v_fma_f64 v[43:44], v[41:42], s[52:53], -|v[15:16]|
	v_cvt_i32_f64_e32 v19, v[41:42]
	v_fma_f64 v[43:44], v[41:42], s[64:65], v[43:44]
	s_mov_b32 s64, 0x6a5dcb37
	s_mov_b32 s65, 0x3e5ade15
	v_fma_f64 v[53:54], v[43:44], s[64:65], v[25:26]
	s_mov_b32 s64, 0x623fde64
	s_mov_b32 s65, 0x3ec71dee
	;; [unrolled: 3-line block ×6, first 2 shown]
	v_fma_f64 v[53:54], v[43:44], v[53:54], s[28:29]
	v_fma_f64 v[53:54], v[43:44], v[53:54], s[88:89]
	;; [unrolled: 1-line block ×3, first 2 shown]
	s_mov_b32 s64, 11
	s_mov_b32 s65, 0x3fe00000
	v_fma_f64 v[53:54], v[43:44], v[53:54], s[64:65]
	s_mov_b32 s64, 0
	s_mov_b32 s65, 0x4090cc00
	v_cmp_ngt_f64_e64 vcc, |v[15:16]|, s[64:65]
	v_fma_f64 v[53:54], v[43:44], v[53:54], 1.0
	v_fma_f64 v[43:44], v[43:44], v[53:54], 1.0
	v_ldexp_f64 v[41:42], v[43:44], v19
	v_cndmask_b32_e32 v16, 0, v42, vcc
	v_cndmask_b32_e32 v15, 0, v41, vcc
	v_mul_f64 v[41:42], v[17:18], v[17:18]
	v_mul_f64 v[19:20], v[41:42], 0.5
	v_fma_f64 v[39:40], v[41:42], s[80:81], v[39:40]
	v_fma_f64 v[37:38], v[41:42], s[92:93], v[37:38]
	v_add_f64 v[43:44], -v[19:20], 1.0
	v_fma_f64 v[39:40], v[41:42], v[39:40], s[82:83]
	v_fma_f64 v[37:38], v[41:42], v[37:38], s[94:95]
	v_add_f64 v[53:54], -v[43:44], 1.0
	v_fma_f64 v[39:40], v[41:42], v[39:40], s[84:85]
	v_fma_f64 v[37:38], v[41:42], v[37:38], s[26:27]
	v_add_f64 v[19:20], v[53:54], -v[19:20]
	v_fma_f64 v[39:40], v[41:42], v[39:40], s[86:87]
	v_mul_f64 v[53:54], v[41:42], v[41:42]
	v_fma_f64 v[37:38], v[41:42], v[37:38], s[58:59]
	v_fma_f64 v[19:20], v[17:18], -v[35:36], v[19:20]
	v_fma_f64 v[39:40], v[41:42], v[39:40], s[76:77]
	v_fma_f64 v[19:20], v[53:54], v[39:40], v[19:20]
	v_mul_f64 v[39:40], v[17:18], -v[41:42]
	v_add_f64 v[19:20], v[43:44], v[19:20]
	v_mul_f64 v[43:44], v[35:36], 0.5
	v_fma_f64 v[37:38], v[39:40], v[37:38], v[43:44]
	v_fma_f64 v[35:36], v[41:42], v[37:38], -v[35:36]
	v_fma_f64 v[35:36], v[39:40], s[60:61], v[35:36]
	v_add_f64 v[17:18], v[17:18], -v[35:36]
	v_and_b32_e32 v35, 1, v52
	v_cmp_eq_u32_e32 vcc, 0, v35
	v_xor_b32_e32 v18, 0x80000000, v18
	v_cndmask_b32_e32 v17, v17, v19, vcc
	v_lshlrev_b32_e32 v19, 30, v52
	v_cndmask_b32_e32 v18, v18, v20, vcc
	v_and_b32_e32 v19, 0x80000000, v19
	v_xor_b32_e32 v18, v18, v19
	v_mul_f64 v[13:14], v[13:14], v[17:18]
	v_mov_b32_e32 v19, v21
	v_mov_b32_e32 v20, v22
	v_mul_f64 v[13:14], v[15:16], v[13:14]
	v_mul_f64 v[17:18], v[15:16], v[13:14]
.LBB93_263:                             ;   in Loop: Header=BB93_161 Depth=1
	s_or_b64 exec, exec, s[8:9]
                                        ; implicit-def: $vgpr13_vgpr14
.LBB93_264:                             ;   in Loop: Header=BB93_161 Depth=1
	s_andn2_saveexec_b64 s[8:9], s[12:13]
	s_cbranch_execz .LBB93_266
; %bb.265:                              ;   in Loop: Header=BB93_161 Depth=1
	v_add_f64 v[17:18], v[13:14], -v[13:14]
	v_mov_b32_e32 v20, v18
	v_mov_b32_e32 v19, v17
.LBB93_266:                             ;   in Loop: Header=BB93_161 Depth=1
	s_or_b64 exec, exec, s[8:9]
                                        ; implicit-def: $vgpr13_vgpr14
.LBB93_267:                             ;   in Loop: Header=BB93_161 Depth=1
	s_andn2_saveexec_b64 s[12:13], s[56:57]
	s_cbranch_execz .LBB93_283
; %bb.268:                              ;   in Loop: Header=BB93_161 Depth=1
	v_and_or_b32 v17, v20, s11, v19
	v_cmp_ne_u32_e32 vcc, 0, v17
	s_and_saveexec_b64 s[8:9], vcc
	s_xor_b64 s[8:9], exec, s[8:9]
	s_cbranch_execz .LBB93_270
; %bb.269:                              ;   in Loop: Header=BB93_161 Depth=1
	v_mul_f64 v[15:16], v[13:14], -v[15:16]
	v_cmp_eq_f64_e32 vcc, 0, v[13:14]
	v_cndmask_b32_e32 v18, v16, v14, vcc
	v_cndmask_b32_e32 v17, v15, v13, vcc
                                        ; implicit-def: $vgpr13_vgpr14
.LBB93_270:                             ;   in Loop: Header=BB93_161 Depth=1
	s_andn2_saveexec_b64 s[56:57], s[8:9]
	s_cbranch_execz .LBB93_282
; %bb.271:                              ;   in Loop: Header=BB93_161 Depth=1
	v_cmp_neq_f64_e64 s[8:9], |v[13:14]|, s[40:41]
	s_and_saveexec_b64 s[64:65], s[8:9]
	s_cbranch_execz .LBB93_281
; %bb.272:                              ;   in Loop: Header=BB93_161 Depth=1
	v_cmp_nlt_f64_e64 s[8:9], |v[13:14]|, s[36:37]
                                        ; implicit-def: $vgpr39
                                        ; implicit-def: $vgpr15_vgpr16
                                        ; implicit-def: $vgpr17_vgpr18
	s_and_saveexec_b64 s[66:67], s[8:9]
	s_xor_b64 s[66:67], exec, s[66:67]
	s_cbranch_execz .LBB93_274
; %bb.273:                              ;   in Loop: Header=BB93_161 Depth=1
	v_trig_preop_f64 v[15:16], |v[13:14]|, 0
	v_ldexp_f64 v[17:18], |v[13:14]|, s10
	v_cmp_ge_f64_e64 vcc, |v[13:14]|, s[38:39]
	v_trig_preop_f64 v[35:36], |v[13:14]|, 1
	v_and_b32_e32 v22, 0x7fffffff, v14
	v_trig_preop_f64 v[43:44], |v[13:14]|, 2
	s_mov_b32 s18, s42
	s_mov_b32 s47, s23
	v_cndmask_b32_e32 v18, v22, v18, vcc
	v_cndmask_b32_e32 v17, v13, v17, vcc
	v_mul_f64 v[37:38], v[15:16], v[17:18]
	v_mul_f64 v[39:40], v[35:36], v[17:18]
	;; [unrolled: 1-line block ×3, first 2 shown]
	v_fma_f64 v[15:16], v[15:16], v[17:18], -v[37:38]
	v_fma_f64 v[35:36], v[35:36], v[17:18], -v[39:40]
	;; [unrolled: 1-line block ×3, first 2 shown]
	v_add_f64 v[41:42], v[39:40], v[15:16]
	v_add_f64 v[52:53], v[41:42], -v[39:40]
	v_add_f64 v[58:59], v[37:38], v[41:42]
	v_add_f64 v[54:55], v[41:42], -v[52:53]
	v_add_f64 v[15:16], v[15:16], -v[52:53]
	v_add_f64 v[52:53], v[56:57], v[35:36]
	v_add_f64 v[37:38], v[58:59], -v[37:38]
	v_add_f64 v[39:40], v[39:40], -v[54:55]
	v_ldexp_f64 v[54:55], v[58:59], -2
	v_add_f64 v[60:61], v[52:53], -v[56:57]
	v_add_f64 v[37:38], v[41:42], -v[37:38]
	v_add_f64 v[15:16], v[15:16], v[39:40]
	v_fract_f64_e32 v[39:40], v[54:55]
	v_cmp_neq_f64_e64 vcc, |v[54:55]|, s[40:41]
	v_add_f64 v[35:36], v[35:36], -v[60:61]
	v_add_f64 v[41:42], v[52:53], v[15:16]
	v_ldexp_f64 v[39:40], v[39:40], 2
	v_add_f64 v[54:55], v[37:38], v[41:42]
	v_cndmask_b32_e32 v40, 0, v40, vcc
	v_cndmask_b32_e32 v39, 0, v39, vcc
	v_add_f64 v[62:63], v[41:42], -v[52:53]
	v_add_f64 v[58:59], v[54:55], v[39:40]
	v_add_f64 v[37:38], v[54:55], -v[37:38]
	v_add_f64 v[64:65], v[41:42], -v[62:63]
	;; [unrolled: 1-line block ×3, first 2 shown]
	v_cmp_gt_f64_e32 vcc, 0, v[58:59]
	v_add_f64 v[58:59], v[52:53], -v[60:61]
	v_add_f64 v[37:38], v[41:42], -v[37:38]
	;; [unrolled: 1-line block ×3, first 2 shown]
	v_cndmask_b32_e32 v22, 0, v46, vcc
	v_add_f64 v[39:40], v[39:40], v[21:22]
	v_add_f64 v[58:59], v[56:57], -v[58:59]
	v_add_f64 v[15:16], v[15:16], v[52:53]
	v_add_f64 v[66:67], v[54:55], v[39:40]
	;; [unrolled: 1-line block ×3, first 2 shown]
	v_cvt_i32_f64_e32 v62, v[66:67]
	v_add_f64 v[15:16], v[35:36], v[15:16]
	v_cvt_f64_i32_e32 v[60:61], v62
	v_add_f64 v[39:40], v[39:40], -v[60:61]
	v_add_f64 v[15:16], v[17:18], v[15:16]
	v_add_f64 v[35:36], v[54:55], v[39:40]
	;; [unrolled: 1-line block ×3, first 2 shown]
	v_add_f64 v[17:18], v[35:36], -v[39:40]
	v_cmp_le_f64_e32 vcc, 0.5, v[35:36]
	v_add_f64 v[17:18], v[54:55], -v[17:18]
	v_cndmask_b32_e32 v22, 0, v47, vcc
	v_add_f64 v[15:16], v[15:16], v[17:18]
	v_add_f64 v[17:18], v[35:36], -v[21:22]
	v_add_f64 v[35:36], v[17:18], v[15:16]
	v_mul_f64 v[37:38], v[35:36], s[18:19]
	v_add_f64 v[17:18], v[35:36], -v[17:18]
	v_fma_f64 v[39:40], v[35:36], s[18:19], -v[37:38]
	v_add_f64 v[15:16], v[15:16], -v[17:18]
	v_fma_f64 v[17:18], v[35:36], s[46:47], v[39:40]
	v_addc_co_u32_e32 v39, vcc, 0, v62, vcc
	v_fma_f64 v[17:18], v[15:16], s[18:19], v[17:18]
	v_add_f64 v[15:16], v[37:38], v[17:18]
	v_add_f64 v[35:36], v[15:16], -v[37:38]
	v_add_f64 v[17:18], v[17:18], -v[35:36]
	s_andn2_saveexec_b64 s[66:67], s[66:67]
	s_cbranch_execz .LBB93_276
	s_branch .LBB93_275
.LBB93_274:                             ;   in Loop: Header=BB93_161 Depth=1
	s_andn2_saveexec_b64 s[66:67], s[66:67]
	s_cbranch_execz .LBB93_276
.LBB93_275:                             ;   in Loop: Header=BB93_161 Depth=1
	v_mul_f64 v[15:16], |v[13:14]|, s[20:21]
	s_mov_b32 s22, s44
	v_rndne_f64_e32 v[35:36], v[15:16]
	v_fma_f64 v[15:16], v[35:36], s[42:43], |v[13:14]|
	v_mul_f64 v[17:18], v[35:36], s[44:45]
	v_fma_f64 v[41:42], v[35:36], s[44:45], v[15:16]
	v_add_f64 v[37:38], v[15:16], v[17:18]
	v_add_f64 v[39:40], v[15:16], -v[37:38]
	v_add_f64 v[37:38], v[37:38], -v[41:42]
	v_add_f64 v[15:16], v[39:40], v[17:18]
	v_fma_f64 v[17:18], v[35:36], s[22:23], v[17:18]
	v_cvt_i32_f64_e32 v39, v[35:36]
	v_add_f64 v[15:16], v[37:38], v[15:16]
	v_add_f64 v[15:16], v[15:16], -v[17:18]
	v_fma_f64 v[17:18], v[35:36], s[24:25], v[15:16]
	v_add_f64 v[15:16], v[41:42], v[17:18]
	v_add_f64 v[37:38], v[15:16], -v[41:42]
	v_add_f64 v[17:18], v[17:18], -v[37:38]
.LBB93_276:                             ;   in Loop: Header=BB93_161 Depth=1
	s_or_b64 exec, exec, s[66:67]
                                        ; implicit-def: $vgpr22
                                        ; implicit-def: $vgpr35_vgpr36
                                        ; implicit-def: $vgpr37_vgpr38
	s_and_saveexec_b64 s[66:67], s[8:9]
	s_xor_b64 s[8:9], exec, s[66:67]
	s_cbranch_execz .LBB93_278
; %bb.277:                              ;   in Loop: Header=BB93_161 Depth=1
	v_trig_preop_f64 v[35:36], |v[13:14]|, 0
	v_ldexp_f64 v[37:38], |v[13:14]|, s10
	v_cmp_ge_f64_e64 vcc, |v[13:14]|, s[38:39]
	v_trig_preop_f64 v[40:41], |v[13:14]|, 1
	v_and_b32_e32 v22, 0x7fffffff, v14
	v_trig_preop_f64 v[56:57], |v[13:14]|, 2
	s_mov_b32 s18, s42
	s_mov_b32 s47, s23
	v_cndmask_b32_e32 v38, v22, v38, vcc
	v_cndmask_b32_e32 v37, v13, v37, vcc
	v_mul_f64 v[42:43], v[35:36], v[37:38]
	v_mul_f64 v[52:53], v[40:41], v[37:38]
	;; [unrolled: 1-line block ×3, first 2 shown]
	v_fma_f64 v[35:36], v[35:36], v[37:38], -v[42:43]
	v_fma_f64 v[40:41], v[40:41], v[37:38], -v[52:53]
	v_fma_f64 v[37:38], v[56:57], v[37:38], -v[62:63]
	v_add_f64 v[54:55], v[52:53], v[35:36]
	v_add_f64 v[58:59], v[54:55], -v[52:53]
	v_add_f64 v[64:65], v[42:43], v[54:55]
	v_add_f64 v[60:61], v[54:55], -v[58:59]
	v_add_f64 v[35:36], v[35:36], -v[58:59]
	v_add_f64 v[58:59], v[62:63], v[40:41]
	v_add_f64 v[42:43], v[64:65], -v[42:43]
	v_add_f64 v[52:53], v[52:53], -v[60:61]
	v_ldexp_f64 v[60:61], v[64:65], -2
	v_add_f64 v[66:67], v[58:59], -v[62:63]
	v_add_f64 v[42:43], v[54:55], -v[42:43]
	v_add_f64 v[35:36], v[35:36], v[52:53]
	v_fract_f64_e32 v[52:53], v[60:61]
	v_cmp_neq_f64_e64 vcc, |v[60:61]|, s[40:41]
	v_add_f64 v[40:41], v[40:41], -v[66:67]
	v_add_f64 v[54:55], v[58:59], v[35:36]
	v_ldexp_f64 v[52:53], v[52:53], 2
	v_add_f64 v[60:61], v[42:43], v[54:55]
	v_cndmask_b32_e32 v53, 0, v53, vcc
	v_cndmask_b32_e32 v52, 0, v52, vcc
	v_add_f64 v[68:69], v[54:55], -v[58:59]
	v_add_f64 v[64:65], v[60:61], v[52:53]
	v_add_f64 v[42:43], v[60:61], -v[42:43]
	v_add_f64 v[70:71], v[54:55], -v[68:69]
	;; [unrolled: 1-line block ×3, first 2 shown]
	v_cmp_gt_f64_e32 vcc, 0, v[64:65]
	v_add_f64 v[64:65], v[58:59], -v[66:67]
	v_add_f64 v[42:43], v[54:55], -v[42:43]
	;; [unrolled: 1-line block ×3, first 2 shown]
	v_cndmask_b32_e32 v22, 0, v46, vcc
	v_add_f64 v[52:53], v[52:53], v[21:22]
	v_add_f64 v[64:65], v[62:63], -v[64:65]
	v_add_f64 v[35:36], v[35:36], v[58:59]
	v_add_f64 v[72:73], v[60:61], v[52:53]
	;; [unrolled: 1-line block ×3, first 2 shown]
	v_cvt_i32_f64_e32 v44, v[72:73]
	v_add_f64 v[35:36], v[40:41], v[35:36]
	v_cvt_f64_i32_e32 v[66:67], v44
	v_add_f64 v[52:53], v[52:53], -v[66:67]
	v_add_f64 v[35:36], v[37:38], v[35:36]
	v_add_f64 v[40:41], v[60:61], v[52:53]
	;; [unrolled: 1-line block ×3, first 2 shown]
	v_add_f64 v[37:38], v[40:41], -v[52:53]
	v_cmp_le_f64_e32 vcc, 0.5, v[40:41]
	v_add_f64 v[37:38], v[60:61], -v[37:38]
	v_cndmask_b32_e32 v22, 0, v47, vcc
	v_add_f64 v[35:36], v[35:36], v[37:38]
	v_add_f64 v[37:38], v[40:41], -v[21:22]
	v_addc_co_u32_e32 v22, vcc, 0, v44, vcc
	v_add_f64 v[40:41], v[37:38], v[35:36]
	v_mul_f64 v[42:43], v[40:41], s[18:19]
	v_add_f64 v[37:38], v[40:41], -v[37:38]
	v_fma_f64 v[52:53], v[40:41], s[18:19], -v[42:43]
	v_add_f64 v[35:36], v[35:36], -v[37:38]
	v_fma_f64 v[37:38], v[40:41], s[46:47], v[52:53]
	v_fma_f64 v[37:38], v[35:36], s[18:19], v[37:38]
	v_add_f64 v[35:36], v[42:43], v[37:38]
	v_add_f64 v[40:41], v[35:36], -v[42:43]
	v_add_f64 v[37:38], v[37:38], -v[40:41]
	s_andn2_saveexec_b64 s[8:9], s[8:9]
	s_cbranch_execnz .LBB93_279
	s_branch .LBB93_280
.LBB93_278:                             ;   in Loop: Header=BB93_161 Depth=1
	s_andn2_saveexec_b64 s[8:9], s[8:9]
	s_cbranch_execz .LBB93_280
.LBB93_279:                             ;   in Loop: Header=BB93_161 Depth=1
	v_mul_f64 v[35:36], |v[13:14]|, s[20:21]
	s_mov_b32 s22, s44
	v_rndne_f64_e32 v[40:41], v[35:36]
	v_fma_f64 v[35:36], v[40:41], s[42:43], |v[13:14]|
	v_mul_f64 v[37:38], v[40:41], s[44:45]
	v_cvt_i32_f64_e32 v22, v[40:41]
	v_fma_f64 v[54:55], v[40:41], s[44:45], v[35:36]
	v_add_f64 v[42:43], v[35:36], v[37:38]
	v_add_f64 v[52:53], v[35:36], -v[42:43]
	v_add_f64 v[42:43], v[42:43], -v[54:55]
	v_add_f64 v[35:36], v[52:53], v[37:38]
	v_fma_f64 v[37:38], v[40:41], s[22:23], v[37:38]
	v_add_f64 v[35:36], v[42:43], v[35:36]
	v_add_f64 v[35:36], v[35:36], -v[37:38]
	v_fma_f64 v[37:38], v[40:41], s[24:25], v[35:36]
	v_add_f64 v[35:36], v[54:55], v[37:38]
	v_add_f64 v[42:43], v[35:36], -v[54:55]
	v_add_f64 v[37:38], v[37:38], -v[42:43]
.LBB93_280:                             ;   in Loop: Header=BB93_161 Depth=1
	s_or_b64 exec, exec, s[8:9]
	v_mul_f64 v[40:41], v[15:16], v[15:16]
	v_mul_f64 v[42:43], v[35:36], v[35:36]
	v_mov_b32_e32 v52, s90
	v_mov_b32_e32 v53, s91
	;; [unrolled: 1-line block ×4, first 2 shown]
	v_mul_f64 v[66:67], v[17:18], 0.5
	v_mul_f64 v[74:75], v[37:38], 0.5
	v_fma_f64 v[54:55], v[40:41], s[92:93], v[52:53]
	v_fma_f64 v[52:53], v[42:43], s[92:93], v[52:53]
	;; [unrolled: 1-line block ×3, first 2 shown]
	v_mul_f64 v[60:61], v[40:41], 0.5
	v_fma_f64 v[56:57], v[42:43], s[80:81], v[56:57]
	v_mul_f64 v[62:63], v[42:43], 0.5
	v_mul_f64 v[68:69], v[15:16], -v[40:41]
	v_mul_f64 v[76:77], v[35:36], -v[42:43]
	v_fma_f64 v[54:55], v[40:41], v[54:55], s[94:95]
	v_fma_f64 v[52:53], v[42:43], v[52:53], s[94:95]
	;; [unrolled: 1-line block ×3, first 2 shown]
	v_add_f64 v[64:65], -v[60:61], 1.0
	v_fma_f64 v[56:57], v[42:43], v[56:57], s[82:83]
	v_add_f64 v[70:71], -v[62:63], 1.0
	s_mov_b32 s60, s76
	v_and_b32_e32 v44, 1, v39
	v_fma_f64 v[54:55], v[40:41], v[54:55], s[26:27]
	v_fma_f64 v[52:53], v[42:43], v[52:53], s[26:27]
	;; [unrolled: 1-line block ×3, first 2 shown]
	v_add_f64 v[72:73], -v[64:65], 1.0
	v_fma_f64 v[56:57], v[42:43], v[56:57], s[84:85]
	v_add_f64 v[78:79], -v[70:71], 1.0
	v_cmp_class_f64_e64 s[8:9], v[13:14], s72
	v_cmp_eq_u32_e32 vcc, 0, v44
	v_fma_f64 v[54:55], v[40:41], v[54:55], s[58:59]
	v_fma_f64 v[52:53], v[42:43], v[52:53], s[58:59]
	;; [unrolled: 1-line block ×3, first 2 shown]
	v_add_f64 v[60:61], v[72:73], -v[60:61]
	v_fma_f64 v[56:57], v[42:43], v[56:57], s[86:87]
	v_add_f64 v[62:63], v[78:79], -v[62:63]
	v_fma_f64 v[54:55], v[68:69], v[54:55], v[66:67]
	v_fma_f64 v[52:53], v[76:77], v[52:53], v[74:75]
	v_mul_f64 v[66:67], v[40:41], v[40:41]
	v_fma_f64 v[58:59], v[40:41], v[58:59], s[76:77]
	v_fma_f64 v[60:61], v[15:16], -v[17:18], v[60:61]
	v_fma_f64 v[17:18], v[40:41], v[54:55], -v[17:18]
	v_fma_f64 v[52:53], v[42:43], v[52:53], -v[37:38]
	v_mul_f64 v[40:41], v[42:43], v[42:43]
	v_fma_f64 v[42:43], v[42:43], v[56:57], s[76:77]
	v_fma_f64 v[37:38], v[35:36], -v[37:38], v[62:63]
	v_fma_f64 v[54:55], v[66:67], v[58:59], v[60:61]
	v_lshlrev_b32_e32 v56, 30, v39
	v_fma_f64 v[17:18], v[68:69], s[60:61], v[17:18]
	v_fma_f64 v[52:53], v[76:77], s[60:61], v[52:53]
	;; [unrolled: 1-line block ×3, first 2 shown]
	v_add_f64 v[39:40], v[64:65], v[54:55]
	v_and_b32_e32 v41, 1, v22
	v_lshlrev_b32_e32 v22, 30, v22
	v_add_f64 v[15:16], v[15:16], -v[17:18]
	v_add_f64 v[17:18], v[35:36], -v[52:53]
	v_xor_b32_e32 v42, v56, v14
	v_and_b32_e32 v22, 0x80000000, v22
	v_add_f64 v[35:36], v[70:71], v[37:38]
	v_and_b32_e32 v37, 0x80000000, v42
	v_cndmask_b32_e32 v15, v39, v15, vcc
	v_cndmask_b32_e32 v13, v40, v16, vcc
	v_xor_b32_e32 v14, 0x80000000, v18
	v_cmp_eq_u32_e32 vcc, 0, v41
	v_cndmask_b32_e32 v14, v14, v36, vcc
	v_cndmask_b32_e32 v16, v17, v35, vcc
	v_xor_b32_e32 v17, v13, v37
	v_xor_b32_e32 v18, v14, v22
	v_cndmask_b32_e64 v13, 0, v15, s[8:9]
	v_cndmask_b32_e64 v14, v51, v17, s[8:9]
	;; [unrolled: 1-line block ×4, first 2 shown]
	v_mul_f64 v[13:14], v[13:14], v[15:16]
.LBB93_281:                             ;   in Loop: Header=BB93_161 Depth=1
	s_or_b64 exec, exec, s[64:65]
	v_bfi_b32 v22, s70, 0, v14
	v_mov_b32_e32 v17, v21
	v_add_u32_e32 v20, -2.0, v20
	v_mov_b32_e32 v18, v22
.LBB93_282:                             ;   in Loop: Header=BB93_161 Depth=1
	s_or_b64 exec, exec, s[56:57]
.LBB93_283:                             ;   in Loop: Header=BB93_161 Depth=1
	s_or_b64 exec, exec, s[12:13]
	v_xor_b32_e32 v16, 0x80000000, v8
	v_and_b32_e32 v13, 0x7fffffff, v16
	v_mov_b32_e32 v15, v7
	v_cmp_gt_u32_e32 vcc, s71, v13
	s_and_saveexec_b64 s[8:9], vcc
	s_xor_b64 s[56:57], exec, s[8:9]
	s_cbranch_execz .LBB93_294
; %bb.284:                              ;   in Loop: Header=BB93_161 Depth=1
	v_cmp_class_f64_e64 s[8:9], v[5:6], s72
	s_and_saveexec_b64 s[12:13], s[8:9]
	s_xor_b64 s[12:13], exec, s[12:13]
	s_cbranch_execz .LBB93_313
; %bb.285:                              ;   in Loop: Header=BB93_161 Depth=1
	v_cmp_gt_u32_e32 vcc, s73, v13
	s_and_saveexec_b64 s[8:9], vcc
	s_xor_b64 s[64:65], exec, s[8:9]
	s_cbranch_execz .LBB93_291
; %bb.286:                              ;   in Loop: Header=BB93_161 Depth=1
	v_cmp_nlt_f64_e64 s[8:9], |v[5:6]|, s[36:37]
                                        ; implicit-def: $vgpr15
                                        ; implicit-def: $vgpr13_vgpr14
                                        ; implicit-def: $vgpr35_vgpr36
	s_and_saveexec_b64 s[66:67], s[8:9]
	s_xor_b64 s[8:9], exec, s[66:67]
	s_cbranch_execz .LBB93_288
; %bb.287:                              ;   in Loop: Header=BB93_161 Depth=1
	v_trig_preop_f64 v[13:14], |v[5:6]|, 0
	v_ldexp_f64 v[35:36], |v[5:6]|, s10
	v_cmp_ge_f64_e64 vcc, |v[5:6]|, s[38:39]
	v_trig_preop_f64 v[37:38], |v[5:6]|, 1
	v_and_b32_e32 v15, 0x7fffffff, v6
	v_trig_preop_f64 v[52:53], |v[5:6]|, 2
	s_mov_b32 s18, s42
	s_mov_b32 s47, s23
	v_cndmask_b32_e32 v36, v15, v36, vcc
	v_cndmask_b32_e32 v35, v5, v35, vcc
	v_mul_f64 v[39:40], v[13:14], v[35:36]
	v_mul_f64 v[41:42], v[37:38], v[35:36]
	v_mul_f64 v[58:59], v[52:53], v[35:36]
	v_fma_f64 v[13:14], v[13:14], v[35:36], -v[39:40]
	v_fma_f64 v[37:38], v[37:38], v[35:36], -v[41:42]
	;; [unrolled: 1-line block ×3, first 2 shown]
	v_add_f64 v[43:44], v[41:42], v[13:14]
	v_add_f64 v[54:55], v[43:44], -v[41:42]
	v_add_f64 v[60:61], v[39:40], v[43:44]
	v_add_f64 v[56:57], v[43:44], -v[54:55]
	v_add_f64 v[13:14], v[13:14], -v[54:55]
	v_add_f64 v[54:55], v[58:59], v[37:38]
	v_add_f64 v[39:40], v[60:61], -v[39:40]
	v_add_f64 v[41:42], v[41:42], -v[56:57]
	v_ldexp_f64 v[56:57], v[60:61], -2
	v_add_f64 v[62:63], v[54:55], -v[58:59]
	v_add_f64 v[39:40], v[43:44], -v[39:40]
	v_add_f64 v[13:14], v[13:14], v[41:42]
	v_fract_f64_e32 v[41:42], v[56:57]
	v_cmp_neq_f64_e64 vcc, |v[56:57]|, s[40:41]
	v_add_f64 v[37:38], v[37:38], -v[62:63]
	v_add_f64 v[43:44], v[54:55], v[13:14]
	v_ldexp_f64 v[41:42], v[41:42], 2
	v_add_f64 v[56:57], v[39:40], v[43:44]
	v_cndmask_b32_e32 v42, 0, v42, vcc
	v_cndmask_b32_e32 v41, 0, v41, vcc
	v_add_f64 v[64:65], v[43:44], -v[54:55]
	v_add_f64 v[60:61], v[56:57], v[41:42]
	v_add_f64 v[39:40], v[56:57], -v[39:40]
	v_add_f64 v[66:67], v[43:44], -v[64:65]
	;; [unrolled: 1-line block ×3, first 2 shown]
	v_cmp_gt_f64_e32 vcc, 0, v[60:61]
	v_add_f64 v[60:61], v[54:55], -v[62:63]
	v_add_f64 v[39:40], v[43:44], -v[39:40]
	;; [unrolled: 1-line block ×3, first 2 shown]
	v_cndmask_b32_e32 v22, 0, v46, vcc
	v_add_f64 v[41:42], v[41:42], v[21:22]
	v_add_f64 v[60:61], v[58:59], -v[60:61]
	v_add_f64 v[13:14], v[13:14], v[54:55]
	v_add_f64 v[68:69], v[56:57], v[41:42]
	;; [unrolled: 1-line block ×3, first 2 shown]
	v_cvt_i32_f64_e32 v15, v[68:69]
	v_add_f64 v[13:14], v[37:38], v[13:14]
	v_cvt_f64_i32_e32 v[62:63], v15
	v_add_f64 v[41:42], v[41:42], -v[62:63]
	v_add_f64 v[13:14], v[35:36], v[13:14]
	v_add_f64 v[37:38], v[56:57], v[41:42]
	;; [unrolled: 1-line block ×3, first 2 shown]
	v_add_f64 v[35:36], v[37:38], -v[41:42]
	v_cmp_le_f64_e32 vcc, 0.5, v[37:38]
	v_add_f64 v[35:36], v[56:57], -v[35:36]
	v_cndmask_b32_e32 v22, 0, v47, vcc
	v_addc_co_u32_e32 v15, vcc, 0, v15, vcc
	v_add_f64 v[13:14], v[13:14], v[35:36]
	v_add_f64 v[35:36], v[37:38], -v[21:22]
	v_add_f64 v[37:38], v[35:36], v[13:14]
	v_mul_f64 v[39:40], v[37:38], s[18:19]
	v_add_f64 v[35:36], v[37:38], -v[35:36]
	v_fma_f64 v[41:42], v[37:38], s[18:19], -v[39:40]
	v_add_f64 v[13:14], v[13:14], -v[35:36]
	v_fma_f64 v[35:36], v[37:38], s[46:47], v[41:42]
	v_fma_f64 v[35:36], v[13:14], s[18:19], v[35:36]
	v_add_f64 v[13:14], v[39:40], v[35:36]
	v_add_f64 v[37:38], v[13:14], -v[39:40]
	v_add_f64 v[35:36], v[35:36], -v[37:38]
.LBB93_288:                             ;   in Loop: Header=BB93_161 Depth=1
	s_andn2_saveexec_b64 s[8:9], s[8:9]
	s_cbranch_execz .LBB93_290
; %bb.289:                              ;   in Loop: Header=BB93_161 Depth=1
	v_mul_f64 v[13:14], |v[5:6]|, s[20:21]
	s_mov_b32 s22, s44
	v_rndne_f64_e32 v[37:38], v[13:14]
	v_fma_f64 v[13:14], v[37:38], s[42:43], |v[5:6]|
	v_mul_f64 v[35:36], v[37:38], s[44:45]
	v_cvt_i32_f64_e32 v15, v[37:38]
	v_fma_f64 v[43:44], v[37:38], s[44:45], v[13:14]
	v_add_f64 v[39:40], v[13:14], v[35:36]
	v_add_f64 v[41:42], v[13:14], -v[39:40]
	v_add_f64 v[39:40], v[39:40], -v[43:44]
	v_add_f64 v[13:14], v[41:42], v[35:36]
	v_fma_f64 v[35:36], v[37:38], s[22:23], v[35:36]
	v_add_f64 v[13:14], v[39:40], v[13:14]
	v_add_f64 v[13:14], v[13:14], -v[35:36]
	v_fma_f64 v[35:36], v[37:38], s[24:25], v[13:14]
	v_add_f64 v[13:14], v[43:44], v[35:36]
	v_add_f64 v[39:40], v[13:14], -v[43:44]
	v_add_f64 v[35:36], v[35:36], -v[39:40]
.LBB93_290:                             ;   in Loop: Header=BB93_161 Depth=1
	s_or_b64 exec, exec, s[8:9]
	v_add_f64 v[37:38], |v[7:8]|, s[52:53]
	s_mov_b32 s54, s52
	s_mov_b32 s8, 0x3b39803f
	;; [unrolled: 1-line block ×7, first 2 shown]
	v_add_f64 v[39:40], v[37:38], -|v[7:8]|
	v_and_b32_e32 v15, 1, v15
	v_add_f64 v[41:42], v[39:40], -v[37:38]
	v_add_f64 v[39:40], v[39:40], s[54:55]
	v_add_f64 v[41:42], |v[7:8]|, v[41:42]
	v_add_f64 v[39:40], v[41:42], -v[39:40]
	v_add_f64 v[39:40], v[39:40], s[8:9]
	s_mov_b32 s8, 0xf278e000
	s_mov_b32 s9, 0xbd53de6a
	v_add_f64 v[41:42], v[37:38], v[39:40]
	v_mul_f64 v[43:44], v[41:42], s[30:31]
	v_add_f64 v[37:38], v[37:38], -v[41:42]
	v_rndne_f64_e32 v[43:44], v[43:44]
	v_add_f64 v[37:38], v[39:40], v[37:38]
	v_fma_f64 v[39:40], v[43:44], s[48:49], v[41:42]
	v_mul_f64 v[41:42], v[43:44], s[8:9]
	s_mov_b32 s8, 0xf97b57a0
	s_mov_b32 s9, 0xbac9cc01
	v_cvt_i32_f64_e32 v5, v[43:44]
	v_add_f64 v[52:53], v[37:38], v[39:40]
	v_add_f64 v[54:55], v[52:53], v[41:42]
	v_add_f64 v[39:40], v[39:40], -v[52:53]
	v_add_f64 v[52:53], v[52:53], -v[54:55]
	v_add_f64 v[37:38], v[37:38], v[39:40]
	v_add_f64 v[39:40], v[52:53], v[41:42]
	;; [unrolled: 1-line block ×3, first 2 shown]
	v_mul_f64 v[39:40], v[43:44], s[8:9]
	s_mov_b32 s8, 0x6a5dcb37
	s_mov_b32 s9, 0x3e5ade15
	v_add_f64 v[41:42], v[54:55], v[37:38]
	v_add_f64 v[52:53], v[41:42], v[39:40]
	v_add_f64 v[54:55], v[54:55], -v[41:42]
	v_add_f64 v[41:42], v[41:42], -v[52:53]
	v_add_f64 v[37:38], v[37:38], v[54:55]
	v_add_f64 v[39:40], v[41:42], v[39:40]
	;; [unrolled: 1-line block ×4, first 2 shown]
	v_fma_f64 v[41:42], v[39:40], s[8:9], v[25:26]
	s_mov_b32 s8, 0x623fde64
	s_mov_b32 s9, 0x3ec71dee
	v_add_f64 v[52:53], v[52:53], -v[39:40]
	v_mul_f64 v[54:55], v[39:40], v[39:40]
	v_fma_f64 v[41:42], v[39:40], v[41:42], s[8:9]
	s_mov_b32 s8, 0x7c89e6b0
	s_mov_b32 s9, 0x3efa0199
	v_add_f64 v[37:38], v[37:38], v[52:53]
	v_fma_f64 v[52:53], v[39:40], v[39:40], -v[54:55]
	v_fma_f64 v[41:42], v[39:40], v[41:42], s[8:9]
	s_mov_b32 s8, 0x14761f6e
	s_mov_b32 s9, 0x3f2a01a0
	v_add_f64 v[56:57], v[37:38], v[37:38]
	v_fma_f64 v[41:42], v[39:40], v[41:42], s[8:9]
	s_mov_b32 s8, 0x1852b7b0
	s_mov_b32 s9, 0x3f56c16c
	v_fma_f64 v[52:53], v[39:40], v[56:57], v[52:53]
	v_fma_f64 v[41:42], v[39:40], v[41:42], s[8:9]
	s_mov_b32 s8, 0x55555511
	s_mov_b32 s9, 0x3fc55555
	v_add_f64 v[56:57], v[54:55], v[52:53]
	v_fma_f64 v[41:42], v[39:40], v[41:42], s[28:29]
	v_add_f64 v[54:55], v[56:57], -v[54:55]
	v_fma_f64 v[41:42], v[39:40], v[41:42], s[88:89]
	v_add_f64 v[52:53], v[52:53], -v[54:55]
	v_fma_f64 v[41:42], v[39:40], v[41:42], s[8:9]
	s_mov_b32 s8, 11
	s_mov_b32 s9, 0x3fe00000
	v_fma_f64 v[41:42], v[39:40], v[41:42], s[8:9]
	s_mov_b32 s8, 0xc751c08c
	s_mov_b32 s9, 0x3ef5e089
	v_mul_f64 v[58:59], v[56:57], v[41:42]
	v_fma_f64 v[54:55], v[56:57], v[41:42], -v[58:59]
	v_fma_f64 v[41:42], v[52:53], v[41:42], v[54:55]
	v_add_f64 v[52:53], v[58:59], v[41:42]
	v_add_f64 v[54:55], v[39:40], v[52:53]
	v_add_f64 v[56:57], v[52:53], -v[58:59]
	v_add_f64 v[39:40], v[54:55], -v[39:40]
	;; [unrolled: 1-line block ×3, first 2 shown]
	v_add_f64 v[56:57], v[35:36], v[35:36]
	v_add_f64 v[39:40], v[52:53], -v[39:40]
	v_add_f64 v[37:38], v[37:38], v[41:42]
	v_add_f64 v[37:38], v[37:38], v[39:40]
	v_add_f64 v[39:40], v[54:55], v[37:38]
	v_add_f64 v[41:42], v[39:40], 1.0
	v_add_f64 v[52:53], v[39:40], -v[54:55]
	v_add_f64 v[54:55], v[41:42], -1.0
	v_add_f64 v[37:38], v[37:38], -v[52:53]
	v_add_f64 v[39:40], v[39:40], -v[54:55]
	v_add_f64 v[37:38], v[37:38], v[39:40]
	v_add_f64 v[39:40], v[41:42], v[37:38]
	v_ldexp_f64 v[43:44], v[39:40], v5
	v_add_f64 v[39:40], v[39:40], -v[41:42]
	v_rcp_f64_e32 v[52:53], v[43:44]
	v_add_f64 v[37:38], v[37:38], -v[39:40]
	v_ldexp_f64 v[37:38], v[37:38], v5
	v_fma_f64 v[54:55], -v[43:44], v[52:53], 1.0
	v_fma_f64 v[52:53], v[54:55], v[52:53], v[52:53]
	v_fma_f64 v[54:55], -v[43:44], v[52:53], 1.0
	v_fma_f64 v[41:42], v[54:55], v[52:53], v[52:53]
	v_mul_f64 v[52:53], v[13:14], v[13:14]
	v_mul_f64 v[39:40], v[43:44], v[41:42]
	v_fma_f64 v[58:59], v[13:14], v[13:14], -v[52:53]
	v_fma_f64 v[54:55], v[41:42], v[43:44], -v[39:40]
	v_fma_f64 v[56:57], v[13:14], v[56:57], v[58:59]
	v_fma_f64 v[54:55], v[41:42], v[37:38], v[54:55]
	v_add_f64 v[52:53], v[52:53], v[56:57]
	v_add_f64 v[58:59], v[39:40], v[54:55]
	v_fma_f64 v[60:61], v[52:53], s[8:9], v[23:24]
	s_mov_b32 s8, 0x90a8aae0
	s_mov_b32 s9, 0x3f17746f
	v_add_f64 v[56:57], -v[58:59], 1.0
	v_add_f64 v[39:40], v[58:59], -v[39:40]
	v_fma_f64 v[60:61], v[52:53], v[60:61], s[8:9]
	s_mov_b32 s8, 0xa6fbf144
	s_mov_b32 s9, 0xbefbb44d
	v_add_f64 v[62:63], -v[56:57], 1.0
	v_add_f64 v[39:40], v[39:40], -v[54:55]
	v_add_f64 v[54:55], v[62:63], -v[58:59]
	v_fma_f64 v[58:59], v[52:53], v[60:61], s[8:9]
	s_mov_b32 s8, 0xa7943acf
	s_mov_b32 s9, 0x3f21e634
	v_add_f64 v[39:40], v[39:40], v[54:55]
	v_fma_f64 v[54:55], v[52:53], v[58:59], s[8:9]
	s_mov_b32 s8, 0xdeb68feb
	s_mov_b32 s9, 0x3f2d250f
	v_add_f64 v[58:59], v[56:57], v[39:40]
	v_fma_f64 v[54:55], v[52:53], v[54:55], s[8:9]
	s_mov_b32 s8, 0xb58c4d95
	s_mov_b32 s9, 0x3f437fd9
	v_mul_f64 v[60:61], v[41:42], v[58:59]
	v_fma_f64 v[54:55], v[52:53], v[54:55], s[8:9]
	s_mov_b32 s8, 0x15120e2c
	s_mov_b32 s9, 0x3f57d5af
	v_add_f64 v[56:57], v[56:57], -v[58:59]
	v_mul_f64 v[62:63], v[43:44], v[60:61]
	v_fma_f64 v[54:55], v[52:53], v[54:55], s[8:9]
	s_mov_b32 s8, 0xe09491df
	s_mov_b32 s9, 0x3f6d6d93
	v_add_f64 v[39:40], v[39:40], v[56:57]
	v_fma_f64 v[64:65], v[60:61], v[43:44], -v[62:63]
	v_fma_f64 v[54:55], v[52:53], v[54:55], s[8:9]
	s_mov_b32 s8, 0x2033784d
	s_mov_b32 s9, 0x3f8226e1
	v_fma_f64 v[64:65], v[60:61], v[37:38], v[64:65]
	v_fma_f64 v[54:55], v[52:53], v[54:55], s[8:9]
	s_mov_b32 s8, 0x9ac36ae2
	s_mov_b32 s9, 0x3f9664f4
	v_add_f64 v[66:67], v[62:63], v[64:65]
	v_fma_f64 v[54:55], v[52:53], v[54:55], s[8:9]
	s_mov_b32 s8, 0x1b451c21
	s_mov_b32 s9, 0x3faba1ba
	v_add_f64 v[68:69], v[58:59], -v[66:67]
	v_fma_f64 v[54:55], v[52:53], v[54:55], s[8:9]
	s_mov_b32 s8, 0x111185b7
	s_mov_b32 s9, 0x3fc11111
	v_add_f64 v[56:57], v[66:67], -v[62:63]
	v_add_f64 v[58:59], v[58:59], -v[68:69]
	v_fma_f64 v[54:55], v[52:53], v[54:55], s[8:9]
	s_mov_b32 s8, 0x555554ee
	s_mov_b32 s9, 0x3fd55555
	v_add_f64 v[56:57], v[56:57], -v[64:65]
	v_add_f64 v[58:59], v[58:59], -v[66:67]
	v_fma_f64 v[54:55], v[52:53], v[54:55], s[8:9]
	s_mov_b32 s8, 0x8fb9f87e
	s_mov_b32 s9, 0x408633ce
	v_cmp_nge_f64_e64 vcc, |v[7:8]|, s[8:9]
	s_mov_b32 s8, 0
	s_mov_b32 s9, 0x3e400000
	v_add_f64 v[39:40], v[39:40], v[58:59]
	v_mul_f64 v[52:53], v[52:53], v[54:55]
	v_add_f64 v[54:55], v[41:42], v[60:61]
	v_add_f64 v[39:40], v[56:57], v[39:40]
	v_mul_f64 v[56:57], v[13:14], v[52:53]
	v_add_f64 v[58:59], v[54:55], -v[41:42]
	v_add_f64 v[39:40], v[68:69], v[39:40]
	v_add_f64 v[62:63], v[13:14], v[56:57]
	v_add_f64 v[58:59], v[60:61], -v[58:59]
	v_mul_f64 v[39:40], v[41:42], v[39:40]
	v_fma_f64 v[41:42], v[13:14], v[52:53], -v[56:57]
	v_add_f64 v[13:14], v[62:63], -v[13:14]
	v_add_f64 v[39:40], v[58:59], v[39:40]
	v_add_f64 v[35:36], v[35:36], v[41:42]
	v_add_f64 v[13:14], v[56:57], -v[13:14]
	v_add_f64 v[41:42], v[54:55], v[39:40]
	v_add_f64 v[13:14], v[35:36], v[13:14]
	v_ldexp_f64 v[35:36], v[41:42], -2
	v_add_f64 v[41:42], v[41:42], -v[54:55]
	v_add_f64 v[52:53], v[62:63], v[13:14]
	v_add_f64 v[56:57], v[43:44], -v[35:36]
	v_add_f64 v[39:40], v[39:40], -v[41:42]
	v_rcp_f64_e32 v[58:59], v[52:53]
	v_add_f64 v[43:44], v[43:44], -v[56:57]
	v_ldexp_f64 v[39:40], v[39:40], -2
	v_add_f64 v[35:36], v[43:44], -v[35:36]
	v_fma_f64 v[41:42], -v[52:53], v[58:59], 1.0
	v_add_f64 v[35:36], v[37:38], v[35:36]
	v_fma_f64 v[37:38], v[41:42], v[58:59], v[58:59]
	v_add_f64 v[35:36], v[35:36], -v[39:40]
	v_fma_f64 v[39:40], -v[52:53], v[37:38], 1.0
	v_add_f64 v[35:36], v[56:57], v[35:36]
	v_fma_f64 v[37:38], v[39:40], v[37:38], v[37:38]
	v_cndmask_b32_e32 v5, v48, v36, vcc
	v_cndmask_b32_e32 v22, 0, v35, vcc
	v_cmp_lt_f64_e64 vcc, |v[7:8]|, s[8:9]
	v_and_b32_e32 v8, 0x7fffffff, v8
	s_mov_b32 s8, 0
	v_add_f64 v[35:36], v[52:53], -v[62:63]
	v_mul_f64 v[39:40], v[52:53], v[37:38]
	s_brev_b32 s9, 8
	v_cndmask_b32_e32 v5, v5, v8, vcc
	v_cndmask_b32_e32 v7, v22, v7, vcc
	v_bfi_b32 v8, s70, v5, v16
	v_fma_f64 v[41:42], v[7:8], v[7:8], 1.0
	v_add_f64 v[13:14], v[13:14], -v[35:36]
	v_fma_f64 v[35:36], v[37:38], v[52:53], -v[39:40]
	v_and_b32_e32 v16, 0x80000000, v6
	v_cmp_gt_f64_e32 vcc, s[8:9], v[41:42]
	v_cmp_eq_u32_e64 s[8:9], 0, v15
	v_fma_f64 v[13:14], v[37:38], v[13:14], v[35:36]
	v_cndmask_b32_e32 v5, 0, v49, vcc
	v_ldexp_f64 v[41:42], v[41:42], v5
	v_add_f64 v[43:44], v[39:40], v[13:14]
	v_cndmask_b32_e32 v22, 0, v50, vcc
	v_rsq_f64_e32 v[35:36], v[41:42]
	v_add_f64 v[54:55], -v[43:44], 1.0
	v_add_f64 v[39:40], v[43:44], -v[39:40]
	v_cmp_class_f64_e32 vcc, v[41:42], v45
	v_add_f64 v[58:59], -v[54:55], 1.0
	v_add_f64 v[13:14], v[39:40], -v[13:14]
	v_mul_f64 v[56:57], v[41:42], v[35:36]
	v_mul_f64 v[35:36], v[35:36], 0.5
	v_add_f64 v[43:44], v[58:59], -v[43:44]
	v_fma_f64 v[39:40], -v[35:36], v[56:57], 0.5
	v_add_f64 v[13:14], v[13:14], v[43:44]
	v_fma_f64 v[56:57], v[56:57], v[39:40], v[56:57]
	v_fma_f64 v[35:36], v[35:36], v[39:40], v[35:36]
	v_add_f64 v[13:14], v[54:55], v[13:14]
	v_fma_f64 v[39:40], -v[56:57], v[56:57], v[41:42]
	v_mul_f64 v[13:14], v[37:38], v[13:14]
	v_fma_f64 v[39:40], v[39:40], v[35:36], v[56:57]
	v_add_f64 v[13:14], v[37:38], v[13:14]
	v_fma_f64 v[43:44], -v[39:40], v[39:40], v[41:42]
	v_xor_b32_e32 v14, 0x80000000, v14
	v_cndmask_b32_e64 v14, v14, v53, s[8:9]
	v_cndmask_b32_e64 v13, v13, v52, s[8:9]
	v_xor_b32_e32 v14, v14, v16
	v_fma_f64 v[15:16], v[13:14], v[13:14], 1.0
	v_fma_f64 v[5:6], v[43:44], v[35:36], v[39:40]
	v_mul_f64 v[35:36], v[7:8], v[15:16]
	v_ldexp_f64 v[5:6], v[5:6], v22
	v_fma_f64 v[35:36], v[7:8], v[35:36], 1.0
	v_cndmask_b32_e32 v6, v6, v42, vcc
	v_cndmask_b32_e32 v5, v5, v41, vcc
	v_mul_f64 v[5:6], v[5:6], v[15:16]
	v_div_scale_f64 v[15:16], s[8:9], v[35:36], v[35:36], v[13:14]
	v_mul_f64 v[5:6], v[7:8], v[5:6]
	v_div_scale_f64 v[7:8], s[8:9], v[35:36], v[35:36], v[5:6]
	v_div_scale_f64 v[52:53], s[8:9], v[13:14], v[35:36], v[13:14]
	v_rcp_f64_e32 v[39:40], v[15:16]
	v_rcp_f64_e32 v[37:38], v[7:8]
	v_fma_f64 v[43:44], -v[15:16], v[39:40], 1.0
	v_fma_f64 v[39:40], v[39:40], v[43:44], v[39:40]
	v_fma_f64 v[41:42], -v[7:8], v[37:38], 1.0
	v_fma_f64 v[54:55], -v[15:16], v[39:40], 1.0
	v_fma_f64 v[37:38], v[37:38], v[41:42], v[37:38]
	v_div_scale_f64 v[41:42], vcc, v[5:6], v[35:36], v[5:6]
	v_fma_f64 v[39:40], v[39:40], v[54:55], v[39:40]
	v_fma_f64 v[43:44], -v[7:8], v[37:38], 1.0
	v_mul_f64 v[54:55], v[52:53], v[39:40]
	v_fma_f64 v[37:38], v[37:38], v[43:44], v[37:38]
	v_fma_f64 v[15:16], -v[15:16], v[54:55], v[52:53]
	v_mul_f64 v[43:44], v[41:42], v[37:38]
	v_fma_f64 v[7:8], -v[7:8], v[43:44], v[41:42]
	v_div_fmas_f64 v[7:8], v[7:8], v[37:38], v[43:44]
	s_mov_b64 vcc, s[8:9]
	v_div_fmas_f64 v[37:38], v[15:16], v[39:40], v[54:55]
	v_div_fixup_f64 v[15:16], v[7:8], v[35:36], v[5:6]
                                        ; implicit-def: $vgpr5_vgpr6
	v_div_fixup_f64 v[13:14], v[37:38], v[35:36], v[13:14]
.LBB93_291:                             ;   in Loop: Header=BB93_161 Depth=1
	s_andn2_saveexec_b64 s[8:9], s[64:65]
	s_cbranch_execz .LBB93_312
; %bb.292:                              ;   in Loop: Header=BB93_161 Depth=1
	v_cmp_nlt_f64_e64 s[64:65], |v[5:6]|, s[36:37]
                                        ; implicit-def: $vgpr15
                                        ; implicit-def: $vgpr41_vgpr42
                                        ; implicit-def: $vgpr43_vgpr44
	s_and_saveexec_b64 s[66:67], s[64:65]
	s_xor_b64 s[66:67], exec, s[66:67]
	s_cbranch_execz .LBB93_301
; %bb.293:                              ;   in Loop: Header=BB93_161 Depth=1
	v_trig_preop_f64 v[13:14], |v[5:6]|, 0
	v_ldexp_f64 v[35:36], |v[5:6]|, s10
	v_cmp_ge_f64_e64 vcc, |v[5:6]|, s[38:39]
	v_trig_preop_f64 v[37:38], |v[5:6]|, 1
	v_and_b32_e32 v15, 0x7fffffff, v6
	v_trig_preop_f64 v[52:53], |v[5:6]|, 2
	s_mov_b32 s18, s42
	s_mov_b32 s47, s23
	v_cndmask_b32_e32 v36, v15, v36, vcc
	v_cndmask_b32_e32 v35, v5, v35, vcc
	v_mul_f64 v[39:40], v[13:14], v[35:36]
	v_mul_f64 v[41:42], v[37:38], v[35:36]
	v_mul_f64 v[58:59], v[52:53], v[35:36]
	v_fma_f64 v[13:14], v[13:14], v[35:36], -v[39:40]
	v_fma_f64 v[37:38], v[37:38], v[35:36], -v[41:42]
	;; [unrolled: 1-line block ×3, first 2 shown]
	v_add_f64 v[43:44], v[41:42], v[13:14]
	v_add_f64 v[54:55], v[43:44], -v[41:42]
	v_add_f64 v[60:61], v[39:40], v[43:44]
	v_add_f64 v[56:57], v[43:44], -v[54:55]
	v_add_f64 v[13:14], v[13:14], -v[54:55]
	v_add_f64 v[54:55], v[58:59], v[37:38]
	v_add_f64 v[39:40], v[60:61], -v[39:40]
	v_add_f64 v[41:42], v[41:42], -v[56:57]
	v_ldexp_f64 v[56:57], v[60:61], -2
	v_add_f64 v[62:63], v[54:55], -v[58:59]
	v_add_f64 v[39:40], v[43:44], -v[39:40]
	v_add_f64 v[13:14], v[13:14], v[41:42]
	v_fract_f64_e32 v[41:42], v[56:57]
	v_cmp_neq_f64_e64 vcc, |v[56:57]|, s[40:41]
	v_add_f64 v[37:38], v[37:38], -v[62:63]
	v_add_f64 v[43:44], v[54:55], v[13:14]
	v_ldexp_f64 v[41:42], v[41:42], 2
	v_add_f64 v[56:57], v[39:40], v[43:44]
	v_cndmask_b32_e32 v42, 0, v42, vcc
	v_cndmask_b32_e32 v41, 0, v41, vcc
	v_add_f64 v[64:65], v[43:44], -v[54:55]
	v_add_f64 v[60:61], v[56:57], v[41:42]
	v_add_f64 v[39:40], v[56:57], -v[39:40]
	v_add_f64 v[66:67], v[43:44], -v[64:65]
	v_add_f64 v[13:14], v[13:14], -v[64:65]
	v_cmp_gt_f64_e32 vcc, 0, v[60:61]
	v_add_f64 v[60:61], v[54:55], -v[62:63]
	v_add_f64 v[39:40], v[43:44], -v[39:40]
	;; [unrolled: 1-line block ×3, first 2 shown]
	v_cndmask_b32_e32 v22, 0, v46, vcc
	v_add_f64 v[41:42], v[41:42], v[21:22]
	v_add_f64 v[60:61], v[58:59], -v[60:61]
	v_add_f64 v[13:14], v[13:14], v[54:55]
	v_add_f64 v[68:69], v[56:57], v[41:42]
	;; [unrolled: 1-line block ×3, first 2 shown]
	v_cvt_i32_f64_e32 v15, v[68:69]
	v_add_f64 v[13:14], v[37:38], v[13:14]
	v_cvt_f64_i32_e32 v[62:63], v15
	v_add_f64 v[41:42], v[41:42], -v[62:63]
	v_add_f64 v[13:14], v[35:36], v[13:14]
	v_add_f64 v[37:38], v[56:57], v[41:42]
	;; [unrolled: 1-line block ×3, first 2 shown]
	v_add_f64 v[35:36], v[37:38], -v[41:42]
	v_cmp_le_f64_e32 vcc, 0.5, v[37:38]
	v_add_f64 v[35:36], v[56:57], -v[35:36]
	v_cndmask_b32_e32 v22, 0, v47, vcc
	v_addc_co_u32_e32 v15, vcc, 0, v15, vcc
	v_add_f64 v[13:14], v[13:14], v[35:36]
	v_add_f64 v[35:36], v[37:38], -v[21:22]
	v_add_f64 v[37:38], v[35:36], v[13:14]
	v_mul_f64 v[39:40], v[37:38], s[18:19]
	v_add_f64 v[35:36], v[37:38], -v[35:36]
	v_fma_f64 v[41:42], v[37:38], s[18:19], -v[39:40]
	v_add_f64 v[13:14], v[13:14], -v[35:36]
	v_fma_f64 v[35:36], v[37:38], s[46:47], v[41:42]
	v_fma_f64 v[13:14], v[13:14], s[18:19], v[35:36]
	v_add_f64 v[41:42], v[39:40], v[13:14]
	v_add_f64 v[35:36], v[41:42], -v[39:40]
	v_add_f64 v[43:44], v[13:14], -v[35:36]
	s_andn2_saveexec_b64 s[66:67], s[66:67]
	s_cbranch_execz .LBB93_303
	s_branch .LBB93_302
.LBB93_294:                             ;   in Loop: Header=BB93_161 Depth=1
	s_andn2_saveexec_b64 s[12:13], s[56:57]
	s_cbranch_execz .LBB93_316
.LBB93_295:                             ;   in Loop: Header=BB93_161 Depth=1
	v_and_or_b32 v13, v16, s11, v15
	v_cmp_ne_u32_e32 vcc, 0, v13
	s_and_saveexec_b64 s[8:9], vcc
	s_xor_b64 s[8:9], exec, s[8:9]
	s_cbranch_execz .LBB93_297
; %bb.296:                              ;   in Loop: Header=BB93_161 Depth=1
	v_mul_f64 v[7:8], v[5:6], -v[7:8]
	v_cmp_eq_f64_e32 vcc, 0, v[5:6]
	v_cndmask_b32_e32 v14, v8, v6, vcc
	v_cndmask_b32_e32 v13, v7, v5, vcc
                                        ; implicit-def: $vgpr5_vgpr6
.LBB93_297:                             ;   in Loop: Header=BB93_161 Depth=1
	s_andn2_saveexec_b64 s[56:57], s[8:9]
	s_cbranch_execz .LBB93_324
; %bb.298:                              ;   in Loop: Header=BB93_161 Depth=1
	v_cmp_neq_f64_e64 s[8:9], |v[5:6]|, s[40:41]
	s_and_saveexec_b64 s[64:65], s[8:9]
	s_cbranch_execz .LBB93_323
; %bb.299:                              ;   in Loop: Header=BB93_161 Depth=1
	v_cmp_nlt_f64_e64 s[8:9], |v[5:6]|, s[36:37]
                                        ; implicit-def: $vgpr39
                                        ; implicit-def: $vgpr7_vgpr8
                                        ; implicit-def: $vgpr13_vgpr14
	s_and_saveexec_b64 s[66:67], s[8:9]
	s_xor_b64 s[66:67], exec, s[66:67]
	s_cbranch_execz .LBB93_305
; %bb.300:                              ;   in Loop: Header=BB93_161 Depth=1
	v_trig_preop_f64 v[7:8], |v[5:6]|, 0
	v_ldexp_f64 v[13:14], |v[5:6]|, s10
	v_cmp_ge_f64_e64 vcc, |v[5:6]|, s[38:39]
	v_trig_preop_f64 v[35:36], |v[5:6]|, 1
	v_and_b32_e32 v22, 0x7fffffff, v6
	v_trig_preop_f64 v[43:44], |v[5:6]|, 2
	s_mov_b32 s18, s42
	s_mov_b32 s47, s23
	v_cndmask_b32_e32 v14, v22, v14, vcc
	v_cndmask_b32_e32 v13, v5, v13, vcc
	v_mul_f64 v[37:38], v[7:8], v[13:14]
	v_mul_f64 v[39:40], v[35:36], v[13:14]
	v_mul_f64 v[56:57], v[43:44], v[13:14]
	v_fma_f64 v[7:8], v[7:8], v[13:14], -v[37:38]
	v_fma_f64 v[35:36], v[35:36], v[13:14], -v[39:40]
	;; [unrolled: 1-line block ×3, first 2 shown]
	v_add_f64 v[41:42], v[39:40], v[7:8]
	v_add_f64 v[52:53], v[41:42], -v[39:40]
	v_add_f64 v[58:59], v[37:38], v[41:42]
	v_add_f64 v[54:55], v[41:42], -v[52:53]
	v_add_f64 v[7:8], v[7:8], -v[52:53]
	v_add_f64 v[52:53], v[56:57], v[35:36]
	v_add_f64 v[37:38], v[58:59], -v[37:38]
	v_add_f64 v[39:40], v[39:40], -v[54:55]
	v_ldexp_f64 v[54:55], v[58:59], -2
	v_add_f64 v[60:61], v[52:53], -v[56:57]
	v_add_f64 v[37:38], v[41:42], -v[37:38]
	v_add_f64 v[7:8], v[7:8], v[39:40]
	v_fract_f64_e32 v[39:40], v[54:55]
	v_cmp_neq_f64_e64 vcc, |v[54:55]|, s[40:41]
	v_add_f64 v[35:36], v[35:36], -v[60:61]
	v_add_f64 v[41:42], v[52:53], v[7:8]
	v_ldexp_f64 v[39:40], v[39:40], 2
	v_add_f64 v[54:55], v[37:38], v[41:42]
	v_cndmask_b32_e32 v40, 0, v40, vcc
	v_cndmask_b32_e32 v39, 0, v39, vcc
	v_add_f64 v[62:63], v[41:42], -v[52:53]
	v_add_f64 v[58:59], v[54:55], v[39:40]
	v_add_f64 v[37:38], v[54:55], -v[37:38]
	v_add_f64 v[64:65], v[41:42], -v[62:63]
	;; [unrolled: 1-line block ×3, first 2 shown]
	v_cmp_gt_f64_e32 vcc, 0, v[58:59]
	v_add_f64 v[58:59], v[52:53], -v[60:61]
	v_add_f64 v[37:38], v[41:42], -v[37:38]
	v_add_f64 v[52:53], v[52:53], -v[64:65]
	v_cndmask_b32_e32 v22, 0, v46, vcc
	v_add_f64 v[39:40], v[39:40], v[21:22]
	v_add_f64 v[58:59], v[56:57], -v[58:59]
	v_add_f64 v[7:8], v[7:8], v[52:53]
	v_add_f64 v[66:67], v[54:55], v[39:40]
	;; [unrolled: 1-line block ×3, first 2 shown]
	v_cvt_i32_f64_e32 v62, v[66:67]
	v_add_f64 v[7:8], v[35:36], v[7:8]
	v_cvt_f64_i32_e32 v[60:61], v62
	v_add_f64 v[39:40], v[39:40], -v[60:61]
	v_add_f64 v[7:8], v[13:14], v[7:8]
	v_add_f64 v[35:36], v[54:55], v[39:40]
	;; [unrolled: 1-line block ×3, first 2 shown]
	v_add_f64 v[13:14], v[35:36], -v[39:40]
	v_cmp_le_f64_e32 vcc, 0.5, v[35:36]
	v_add_f64 v[13:14], v[54:55], -v[13:14]
	v_cndmask_b32_e32 v22, 0, v47, vcc
	v_add_f64 v[7:8], v[7:8], v[13:14]
	v_add_f64 v[13:14], v[35:36], -v[21:22]
	v_add_f64 v[35:36], v[13:14], v[7:8]
	v_mul_f64 v[37:38], v[35:36], s[18:19]
	v_add_f64 v[13:14], v[35:36], -v[13:14]
	v_fma_f64 v[39:40], v[35:36], s[18:19], -v[37:38]
	v_add_f64 v[7:8], v[7:8], -v[13:14]
	v_fma_f64 v[13:14], v[35:36], s[46:47], v[39:40]
	v_addc_co_u32_e32 v39, vcc, 0, v62, vcc
	v_fma_f64 v[13:14], v[7:8], s[18:19], v[13:14]
	v_add_f64 v[7:8], v[37:38], v[13:14]
	v_add_f64 v[35:36], v[7:8], -v[37:38]
	v_add_f64 v[13:14], v[13:14], -v[35:36]
	s_andn2_saveexec_b64 s[66:67], s[66:67]
	s_cbranch_execz .LBB93_307
	s_branch .LBB93_306
.LBB93_301:                             ;   in Loop: Header=BB93_161 Depth=1
	s_andn2_saveexec_b64 s[66:67], s[66:67]
	s_cbranch_execz .LBB93_303
.LBB93_302:                             ;   in Loop: Header=BB93_161 Depth=1
	v_mul_f64 v[13:14], |v[5:6]|, s[20:21]
	s_mov_b32 s22, s44
	v_rndne_f64_e32 v[13:14], v[13:14]
	v_fma_f64 v[35:36], v[13:14], s[42:43], |v[5:6]|
	v_mul_f64 v[37:38], v[13:14], s[44:45]
	v_cvt_i32_f64_e32 v15, v[13:14]
	v_add_f64 v[39:40], v[35:36], v[37:38]
	v_add_f64 v[41:42], v[35:36], -v[39:40]
	v_fma_f64 v[35:36], v[13:14], s[44:45], v[35:36]
	v_add_f64 v[41:42], v[41:42], v[37:38]
	v_add_f64 v[39:40], v[39:40], -v[35:36]
	v_fma_f64 v[37:38], v[13:14], s[22:23], v[37:38]
	;; [unrolled: 3-line block ×3, first 2 shown]
	v_add_f64 v[41:42], v[35:36], v[37:38]
	v_add_f64 v[35:36], v[41:42], -v[35:36]
	v_add_f64 v[43:44], v[37:38], -v[35:36]
.LBB93_303:                             ;   in Loop: Header=BB93_161 Depth=1
	s_or_b64 exec, exec, s[66:67]
                                        ; implicit-def: $vgpr52
                                        ; implicit-def: $vgpr13_vgpr14
                                        ; implicit-def: $vgpr35_vgpr36
	s_and_saveexec_b64 s[66:67], s[64:65]
	s_xor_b64 s[64:65], exec, s[66:67]
	s_cbranch_execz .LBB93_309
; %bb.304:                              ;   in Loop: Header=BB93_161 Depth=1
	v_trig_preop_f64 v[13:14], |v[5:6]|, 0
	v_ldexp_f64 v[35:36], |v[5:6]|, s10
	v_cmp_ge_f64_e64 vcc, |v[5:6]|, s[38:39]
	v_trig_preop_f64 v[37:38], |v[5:6]|, 1
	v_and_b32_e32 v22, 0x7fffffff, v6
	v_trig_preop_f64 v[56:57], |v[5:6]|, 2
	s_mov_b32 s18, s42
	s_mov_b32 s47, s23
	v_cndmask_b32_e32 v36, v22, v36, vcc
	v_cndmask_b32_e32 v35, v5, v35, vcc
	v_mul_f64 v[39:40], v[13:14], v[35:36]
	v_mul_f64 v[52:53], v[37:38], v[35:36]
	;; [unrolled: 1-line block ×3, first 2 shown]
	v_fma_f64 v[13:14], v[13:14], v[35:36], -v[39:40]
	v_fma_f64 v[37:38], v[37:38], v[35:36], -v[52:53]
	;; [unrolled: 1-line block ×3, first 2 shown]
	v_add_f64 v[54:55], v[52:53], v[13:14]
	v_add_f64 v[58:59], v[54:55], -v[52:53]
	v_add_f64 v[64:65], v[39:40], v[54:55]
	v_add_f64 v[60:61], v[54:55], -v[58:59]
	v_add_f64 v[13:14], v[13:14], -v[58:59]
	v_add_f64 v[58:59], v[62:63], v[37:38]
	v_add_f64 v[39:40], v[64:65], -v[39:40]
	v_add_f64 v[52:53], v[52:53], -v[60:61]
	v_ldexp_f64 v[60:61], v[64:65], -2
	v_add_f64 v[66:67], v[58:59], -v[62:63]
	v_add_f64 v[39:40], v[54:55], -v[39:40]
	v_add_f64 v[13:14], v[13:14], v[52:53]
	v_fract_f64_e32 v[52:53], v[60:61]
	v_cmp_neq_f64_e64 vcc, |v[60:61]|, s[40:41]
	v_add_f64 v[37:38], v[37:38], -v[66:67]
	v_add_f64 v[54:55], v[58:59], v[13:14]
	v_ldexp_f64 v[52:53], v[52:53], 2
	v_add_f64 v[60:61], v[39:40], v[54:55]
	v_cndmask_b32_e32 v53, 0, v53, vcc
	v_cndmask_b32_e32 v52, 0, v52, vcc
	v_add_f64 v[68:69], v[54:55], -v[58:59]
	v_add_f64 v[64:65], v[60:61], v[52:53]
	v_add_f64 v[39:40], v[60:61], -v[39:40]
	v_add_f64 v[70:71], v[54:55], -v[68:69]
	;; [unrolled: 1-line block ×3, first 2 shown]
	v_cmp_gt_f64_e32 vcc, 0, v[64:65]
	v_add_f64 v[64:65], v[58:59], -v[66:67]
	v_add_f64 v[39:40], v[54:55], -v[39:40]
	v_add_f64 v[58:59], v[58:59], -v[70:71]
	v_cndmask_b32_e32 v22, 0, v46, vcc
	v_add_f64 v[52:53], v[52:53], v[21:22]
	v_add_f64 v[64:65], v[62:63], -v[64:65]
	v_add_f64 v[13:14], v[13:14], v[58:59]
	v_add_f64 v[72:73], v[60:61], v[52:53]
	;; [unrolled: 1-line block ×3, first 2 shown]
	v_cvt_i32_f64_e32 v68, v[72:73]
	v_add_f64 v[13:14], v[37:38], v[13:14]
	v_cvt_f64_i32_e32 v[66:67], v68
	v_add_f64 v[52:53], v[52:53], -v[66:67]
	v_add_f64 v[13:14], v[35:36], v[13:14]
	v_add_f64 v[37:38], v[60:61], v[52:53]
	;; [unrolled: 1-line block ×3, first 2 shown]
	v_add_f64 v[35:36], v[37:38], -v[52:53]
	v_cmp_le_f64_e32 vcc, 0.5, v[37:38]
	v_add_f64 v[35:36], v[60:61], -v[35:36]
	v_cndmask_b32_e32 v22, 0, v47, vcc
	v_add_f64 v[13:14], v[13:14], v[35:36]
	v_add_f64 v[35:36], v[37:38], -v[21:22]
	v_add_f64 v[37:38], v[35:36], v[13:14]
	v_mul_f64 v[39:40], v[37:38], s[18:19]
	v_add_f64 v[35:36], v[37:38], -v[35:36]
	v_fma_f64 v[52:53], v[37:38], s[18:19], -v[39:40]
	v_add_f64 v[13:14], v[13:14], -v[35:36]
	v_fma_f64 v[35:36], v[37:38], s[46:47], v[52:53]
	v_addc_co_u32_e32 v52, vcc, 0, v68, vcc
	v_fma_f64 v[35:36], v[13:14], s[18:19], v[35:36]
	v_add_f64 v[13:14], v[39:40], v[35:36]
	v_add_f64 v[37:38], v[13:14], -v[39:40]
	v_add_f64 v[35:36], v[35:36], -v[37:38]
	s_andn2_saveexec_b64 s[64:65], s[64:65]
	s_cbranch_execnz .LBB93_310
	s_branch .LBB93_311
.LBB93_305:                             ;   in Loop: Header=BB93_161 Depth=1
	s_andn2_saveexec_b64 s[66:67], s[66:67]
	s_cbranch_execz .LBB93_307
.LBB93_306:                             ;   in Loop: Header=BB93_161 Depth=1
	v_mul_f64 v[7:8], |v[5:6]|, s[20:21]
	s_mov_b32 s22, s44
	v_rndne_f64_e32 v[35:36], v[7:8]
	v_fma_f64 v[7:8], v[35:36], s[42:43], |v[5:6]|
	v_mul_f64 v[13:14], v[35:36], s[44:45]
	v_fma_f64 v[41:42], v[35:36], s[44:45], v[7:8]
	v_add_f64 v[37:38], v[7:8], v[13:14]
	v_add_f64 v[39:40], v[7:8], -v[37:38]
	v_add_f64 v[37:38], v[37:38], -v[41:42]
	v_add_f64 v[7:8], v[39:40], v[13:14]
	v_fma_f64 v[13:14], v[35:36], s[22:23], v[13:14]
	v_cvt_i32_f64_e32 v39, v[35:36]
	v_add_f64 v[7:8], v[37:38], v[7:8]
	v_add_f64 v[7:8], v[7:8], -v[13:14]
	v_fma_f64 v[13:14], v[35:36], s[24:25], v[7:8]
	v_add_f64 v[7:8], v[41:42], v[13:14]
	v_add_f64 v[37:38], v[7:8], -v[41:42]
	v_add_f64 v[13:14], v[13:14], -v[37:38]
.LBB93_307:                             ;   in Loop: Header=BB93_161 Depth=1
	s_or_b64 exec, exec, s[66:67]
                                        ; implicit-def: $vgpr22
                                        ; implicit-def: $vgpr35_vgpr36
                                        ; implicit-def: $vgpr37_vgpr38
	s_and_saveexec_b64 s[66:67], s[8:9]
	s_xor_b64 s[8:9], exec, s[66:67]
	s_cbranch_execz .LBB93_320
; %bb.308:                              ;   in Loop: Header=BB93_161 Depth=1
	v_trig_preop_f64 v[35:36], |v[5:6]|, 0
	v_ldexp_f64 v[37:38], |v[5:6]|, s10
	v_cmp_ge_f64_e64 vcc, |v[5:6]|, s[38:39]
	v_trig_preop_f64 v[40:41], |v[5:6]|, 1
	v_and_b32_e32 v22, 0x7fffffff, v6
	v_trig_preop_f64 v[56:57], |v[5:6]|, 2
	s_mov_b32 s18, s42
	s_mov_b32 s47, s23
	v_cndmask_b32_e32 v38, v22, v38, vcc
	v_cndmask_b32_e32 v37, v5, v37, vcc
	v_mul_f64 v[42:43], v[35:36], v[37:38]
	v_mul_f64 v[52:53], v[40:41], v[37:38]
	;; [unrolled: 1-line block ×3, first 2 shown]
	v_fma_f64 v[35:36], v[35:36], v[37:38], -v[42:43]
	v_fma_f64 v[40:41], v[40:41], v[37:38], -v[52:53]
	;; [unrolled: 1-line block ×3, first 2 shown]
	v_add_f64 v[54:55], v[52:53], v[35:36]
	v_add_f64 v[58:59], v[54:55], -v[52:53]
	v_add_f64 v[64:65], v[42:43], v[54:55]
	v_add_f64 v[60:61], v[54:55], -v[58:59]
	v_add_f64 v[35:36], v[35:36], -v[58:59]
	v_add_f64 v[58:59], v[62:63], v[40:41]
	v_add_f64 v[42:43], v[64:65], -v[42:43]
	v_add_f64 v[52:53], v[52:53], -v[60:61]
	v_ldexp_f64 v[60:61], v[64:65], -2
	v_add_f64 v[66:67], v[58:59], -v[62:63]
	v_add_f64 v[42:43], v[54:55], -v[42:43]
	v_add_f64 v[35:36], v[35:36], v[52:53]
	v_fract_f64_e32 v[52:53], v[60:61]
	v_cmp_neq_f64_e64 vcc, |v[60:61]|, s[40:41]
	v_add_f64 v[40:41], v[40:41], -v[66:67]
	v_add_f64 v[54:55], v[58:59], v[35:36]
	v_ldexp_f64 v[52:53], v[52:53], 2
	v_add_f64 v[60:61], v[42:43], v[54:55]
	v_cndmask_b32_e32 v53, 0, v53, vcc
	v_cndmask_b32_e32 v52, 0, v52, vcc
	v_add_f64 v[68:69], v[54:55], -v[58:59]
	v_add_f64 v[64:65], v[60:61], v[52:53]
	v_add_f64 v[42:43], v[60:61], -v[42:43]
	v_add_f64 v[70:71], v[54:55], -v[68:69]
	;; [unrolled: 1-line block ×3, first 2 shown]
	v_cmp_gt_f64_e32 vcc, 0, v[64:65]
	v_add_f64 v[64:65], v[58:59], -v[66:67]
	v_add_f64 v[42:43], v[54:55], -v[42:43]
	;; [unrolled: 1-line block ×3, first 2 shown]
	v_cndmask_b32_e32 v22, 0, v46, vcc
	v_add_f64 v[52:53], v[52:53], v[21:22]
	v_add_f64 v[64:65], v[62:63], -v[64:65]
	v_add_f64 v[35:36], v[35:36], v[58:59]
	v_add_f64 v[72:73], v[60:61], v[52:53]
	;; [unrolled: 1-line block ×3, first 2 shown]
	v_cvt_i32_f64_e32 v44, v[72:73]
	v_add_f64 v[35:36], v[40:41], v[35:36]
	v_cvt_f64_i32_e32 v[66:67], v44
	v_add_f64 v[52:53], v[52:53], -v[66:67]
	v_add_f64 v[35:36], v[37:38], v[35:36]
	v_add_f64 v[40:41], v[60:61], v[52:53]
	;; [unrolled: 1-line block ×3, first 2 shown]
	v_add_f64 v[37:38], v[40:41], -v[52:53]
	v_cmp_le_f64_e32 vcc, 0.5, v[40:41]
	v_add_f64 v[37:38], v[60:61], -v[37:38]
	v_cndmask_b32_e32 v22, 0, v47, vcc
	v_add_f64 v[35:36], v[35:36], v[37:38]
	v_add_f64 v[37:38], v[40:41], -v[21:22]
	v_addc_co_u32_e32 v22, vcc, 0, v44, vcc
	v_add_f64 v[40:41], v[37:38], v[35:36]
	v_mul_f64 v[42:43], v[40:41], s[18:19]
	v_add_f64 v[37:38], v[40:41], -v[37:38]
	v_fma_f64 v[52:53], v[40:41], s[18:19], -v[42:43]
	v_add_f64 v[35:36], v[35:36], -v[37:38]
	v_fma_f64 v[37:38], v[40:41], s[46:47], v[52:53]
	v_fma_f64 v[37:38], v[35:36], s[18:19], v[37:38]
	v_add_f64 v[35:36], v[42:43], v[37:38]
	v_add_f64 v[40:41], v[35:36], -v[42:43]
	v_add_f64 v[37:38], v[37:38], -v[40:41]
	s_andn2_saveexec_b64 s[8:9], s[8:9]
	s_cbranch_execnz .LBB93_321
	s_branch .LBB93_322
.LBB93_309:                             ;   in Loop: Header=BB93_161 Depth=1
	s_andn2_saveexec_b64 s[64:65], s[64:65]
	s_cbranch_execz .LBB93_311
.LBB93_310:                             ;   in Loop: Header=BB93_161 Depth=1
	v_mul_f64 v[13:14], |v[5:6]|, s[20:21]
	s_mov_b32 s22, s44
	v_rndne_f64_e32 v[37:38], v[13:14]
	v_fma_f64 v[13:14], v[37:38], s[42:43], |v[5:6]|
	v_mul_f64 v[35:36], v[37:38], s[44:45]
	v_fma_f64 v[54:55], v[37:38], s[44:45], v[13:14]
	v_add_f64 v[39:40], v[13:14], v[35:36]
	v_add_f64 v[52:53], v[13:14], -v[39:40]
	v_add_f64 v[39:40], v[39:40], -v[54:55]
	v_add_f64 v[13:14], v[52:53], v[35:36]
	v_fma_f64 v[35:36], v[37:38], s[22:23], v[35:36]
	v_cvt_i32_f64_e32 v52, v[37:38]
	v_add_f64 v[13:14], v[39:40], v[13:14]
	v_add_f64 v[13:14], v[13:14], -v[35:36]
	v_fma_f64 v[35:36], v[37:38], s[24:25], v[13:14]
	v_add_f64 v[13:14], v[54:55], v[35:36]
	v_add_f64 v[39:40], v[13:14], -v[54:55]
	v_add_f64 v[35:36], v[35:36], -v[39:40]
.LBB93_311:                             ;   in Loop: Header=BB93_161 Depth=1
	s_or_b64 exec, exec, s[64:65]
	v_mul_f64 v[53:54], v[41:42], v[41:42]
	v_mul_f64 v[61:62], v[43:44], 0.5
	s_mov_b32 s60, s76
	v_and_b32_e32 v5, 1, v15
	v_cmp_eq_u32_e32 vcc, 0, v5
	s_mov_b32 s64, 0x3b39803f
	s_mov_b32 s65, 0xbc7abc9e
	;; [unrolled: 1-line block ×3, first 2 shown]
	v_mul_f64 v[37:38], v[53:54], 0.5
	v_mul_f64 v[57:58], v[53:54], v[53:54]
	s_mov_b32 s89, s77
	v_lshlrev_b32_e32 v15, 30, v15
	v_xor_b32_e32 v6, v15, v6
	v_and_b32_e32 v6, 0x80000000, v6
	v_add_f64 v[55:56], -v[37:38], 1.0
	v_add_f64 v[39:40], -v[55:56], 1.0
	v_add_f64 v[37:38], v[39:40], -v[37:38]
	v_mov_b32_e32 v39, s78
	v_mov_b32_e32 v40, s79
	v_fma_f64 v[59:60], v[53:54], s[80:81], v[39:40]
	v_fma_f64 v[37:38], v[41:42], -v[43:44], v[37:38]
	v_fma_f64 v[59:60], v[53:54], v[59:60], s[82:83]
	v_fma_f64 v[59:60], v[53:54], v[59:60], s[84:85]
	;; [unrolled: 1-line block ×5, first 2 shown]
	v_mul_f64 v[59:60], v[41:42], -v[53:54]
	v_add_f64 v[55:56], v[55:56], v[37:38]
	v_mov_b32_e32 v37, s90
	v_mov_b32_e32 v38, s91
	v_fma_f64 v[57:58], v[53:54], s[92:93], v[37:38]
	v_fma_f64 v[57:58], v[53:54], v[57:58], s[94:95]
	;; [unrolled: 1-line block ×5, first 2 shown]
	v_fma_f64 v[43:44], v[53:54], v[57:58], -v[43:44]
	v_fma_f64 v[43:44], v[59:60], s[60:61], v[43:44]
	v_add_f64 v[41:42], v[41:42], -v[43:44]
	v_cndmask_b32_e32 v5, v55, v41, vcc
	v_cndmask_b32_e32 v22, v56, v42, vcc
	v_mul_f64 v[41:42], |v[7:8]|, s[50:51]
	v_xor_b32_e32 v6, v22, v6
	v_bfi_b32 v22, s70, v47, v16
	v_mul_f64 v[5:6], v[5:6], 4.0
	v_rndne_f64_e32 v[41:42], v[41:42]
	v_fma_f64 v[43:44], v[41:42], s[52:53], -|v[7:8]|
	v_cvt_i32_f64_e32 v15, v[41:42]
	v_fma_f64 v[43:44], v[41:42], s[64:65], v[43:44]
	s_mov_b32 s64, 0x6a5dcb37
	s_mov_b32 s65, 0x3e5ade15
	v_fma_f64 v[53:54], v[43:44], s[64:65], v[25:26]
	s_mov_b32 s64, 0x623fde64
	s_mov_b32 s65, 0x3ec71dee
	;; [unrolled: 3-line block ×6, first 2 shown]
	v_fma_f64 v[53:54], v[43:44], v[53:54], s[28:29]
	v_fma_f64 v[53:54], v[43:44], v[53:54], s[88:89]
	;; [unrolled: 1-line block ×3, first 2 shown]
	s_mov_b32 s64, 11
	s_mov_b32 s65, 0x3fe00000
	v_fma_f64 v[53:54], v[43:44], v[53:54], s[64:65]
	s_mov_b32 s64, 0
	s_mov_b32 s65, 0x4090cc00
	v_cmp_ngt_f64_e64 vcc, |v[7:8]|, s[64:65]
	v_fma_f64 v[53:54], v[43:44], v[53:54], 1.0
	v_fma_f64 v[43:44], v[43:44], v[53:54], 1.0
	v_ldexp_f64 v[41:42], v[43:44], v15
	v_cndmask_b32_e32 v8, 0, v42, vcc
	v_cndmask_b32_e32 v7, 0, v41, vcc
	v_mul_f64 v[41:42], v[13:14], v[13:14]
	v_mul_f64 v[15:16], v[41:42], 0.5
	v_fma_f64 v[39:40], v[41:42], s[80:81], v[39:40]
	v_fma_f64 v[37:38], v[41:42], s[92:93], v[37:38]
	v_add_f64 v[43:44], -v[15:16], 1.0
	v_fma_f64 v[39:40], v[41:42], v[39:40], s[82:83]
	v_fma_f64 v[37:38], v[41:42], v[37:38], s[94:95]
	v_add_f64 v[53:54], -v[43:44], 1.0
	v_fma_f64 v[39:40], v[41:42], v[39:40], s[84:85]
	v_fma_f64 v[37:38], v[41:42], v[37:38], s[26:27]
	v_add_f64 v[15:16], v[53:54], -v[15:16]
	v_fma_f64 v[39:40], v[41:42], v[39:40], s[86:87]
	v_mul_f64 v[53:54], v[41:42], v[41:42]
	v_fma_f64 v[37:38], v[41:42], v[37:38], s[58:59]
	v_fma_f64 v[15:16], v[13:14], -v[35:36], v[15:16]
	v_fma_f64 v[39:40], v[41:42], v[39:40], s[76:77]
	v_fma_f64 v[15:16], v[53:54], v[39:40], v[15:16]
	v_mul_f64 v[39:40], v[13:14], -v[41:42]
	v_add_f64 v[15:16], v[43:44], v[15:16]
	v_mul_f64 v[43:44], v[35:36], 0.5
	v_fma_f64 v[37:38], v[39:40], v[37:38], v[43:44]
	v_fma_f64 v[35:36], v[41:42], v[37:38], -v[35:36]
	v_fma_f64 v[35:36], v[39:40], s[60:61], v[35:36]
	v_add_f64 v[13:14], v[13:14], -v[35:36]
	v_and_b32_e32 v35, 1, v52
	v_cmp_eq_u32_e32 vcc, 0, v35
	v_xor_b32_e32 v14, 0x80000000, v14
	v_cndmask_b32_e32 v13, v13, v15, vcc
	v_lshlrev_b32_e32 v15, 30, v52
	v_cndmask_b32_e32 v14, v14, v16, vcc
	v_and_b32_e32 v15, 0x80000000, v15
	v_xor_b32_e32 v14, v14, v15
	v_mul_f64 v[5:6], v[5:6], v[13:14]
	v_mov_b32_e32 v15, v21
	v_mov_b32_e32 v16, v22
	v_mul_f64 v[5:6], v[7:8], v[5:6]
	v_mul_f64 v[13:14], v[7:8], v[5:6]
.LBB93_312:                             ;   in Loop: Header=BB93_161 Depth=1
	s_or_b64 exec, exec, s[8:9]
                                        ; implicit-def: $vgpr5_vgpr6
.LBB93_313:                             ;   in Loop: Header=BB93_161 Depth=1
	s_andn2_saveexec_b64 s[8:9], s[12:13]
	s_cbranch_execz .LBB93_315
; %bb.314:                              ;   in Loop: Header=BB93_161 Depth=1
	v_add_f64 v[13:14], v[5:6], -v[5:6]
	v_mov_b32_e32 v16, v14
	v_mov_b32_e32 v15, v13
.LBB93_315:                             ;   in Loop: Header=BB93_161 Depth=1
	s_or_b64 exec, exec, s[8:9]
                                        ; implicit-def: $vgpr5_vgpr6
	s_andn2_saveexec_b64 s[12:13], s[56:57]
	s_cbranch_execnz .LBB93_295
.LBB93_316:                             ;   in Loop: Header=BB93_161 Depth=1
	s_or_b64 exec, exec, s[12:13]
	s_and_saveexec_b64 s[8:9], s[0:1]
	s_xor_b64 s[0:1], exec, s[8:9]
	s_cbranch_execz .LBB93_325
.LBB93_317:                             ;   in Loop: Header=BB93_161 Depth=1
	v_lshlrev_b64 v[5:6], 4, v[27:28]
	v_mov_b32_e32 v7, s63
	v_add_co_u32_e32 v5, vcc, s62, v5
	v_xor_b32_e32 v4, 0x80000000, v4
	v_addc_co_u32_e32 v6, vcc, v7, v6, vcc
	global_store_dwordx4 v[5:6], v[1:4], off
	s_or_b64 exec, exec, s[0:1]
	s_and_saveexec_b64 s[0:1], s[2:3]
	s_cbranch_execnz .LBB93_326
.LBB93_318:                             ;   in Loop: Header=BB93_161 Depth=1
	s_or_b64 exec, exec, s[0:1]
	s_and_saveexec_b64 s[0:1], s[4:5]
	s_cbranch_execz .LBB93_327
.LBB93_319:                             ;   in Loop: Header=BB93_161 Depth=1
	v_lshlrev_b64 v[1:2], 4, v[31:32]
	v_mov_b32_e32 v3, s63
	v_add_co_u32_e32 v1, vcc, s62, v1
	v_xor_b32_e32 v20, 0x80000000, v20
	v_addc_co_u32_e32 v2, vcc, v3, v2, vcc
	global_store_dwordx4 v[1:2], v[17:20], off
	s_or_b64 exec, exec, s[0:1]
	s_and_saveexec_b64 s[0:1], s[6:7]
	s_cbranch_execz .LBB93_160
	s_branch .LBB93_328
.LBB93_320:                             ;   in Loop: Header=BB93_161 Depth=1
	s_andn2_saveexec_b64 s[8:9], s[8:9]
	s_cbranch_execz .LBB93_322
.LBB93_321:                             ;   in Loop: Header=BB93_161 Depth=1
	v_mul_f64 v[35:36], |v[5:6]|, s[20:21]
	s_mov_b32 s22, s44
	v_rndne_f64_e32 v[40:41], v[35:36]
	v_fma_f64 v[35:36], v[40:41], s[42:43], |v[5:6]|
	v_mul_f64 v[37:38], v[40:41], s[44:45]
	v_cvt_i32_f64_e32 v22, v[40:41]
	v_fma_f64 v[54:55], v[40:41], s[44:45], v[35:36]
	v_add_f64 v[42:43], v[35:36], v[37:38]
	v_add_f64 v[52:53], v[35:36], -v[42:43]
	v_add_f64 v[42:43], v[42:43], -v[54:55]
	v_add_f64 v[35:36], v[52:53], v[37:38]
	v_fma_f64 v[37:38], v[40:41], s[22:23], v[37:38]
	v_add_f64 v[35:36], v[42:43], v[35:36]
	v_add_f64 v[35:36], v[35:36], -v[37:38]
	v_fma_f64 v[37:38], v[40:41], s[24:25], v[35:36]
	v_add_f64 v[35:36], v[54:55], v[37:38]
	v_add_f64 v[42:43], v[35:36], -v[54:55]
	v_add_f64 v[37:38], v[37:38], -v[42:43]
.LBB93_322:                             ;   in Loop: Header=BB93_161 Depth=1
	s_or_b64 exec, exec, s[8:9]
	v_mul_f64 v[40:41], v[7:8], v[7:8]
	v_mul_f64 v[42:43], v[35:36], v[35:36]
	v_mov_b32_e32 v52, s90
	v_mov_b32_e32 v53, s91
	;; [unrolled: 1-line block ×4, first 2 shown]
	v_mul_f64 v[66:67], v[13:14], 0.5
	v_mul_f64 v[74:75], v[37:38], 0.5
	v_fma_f64 v[54:55], v[40:41], s[92:93], v[52:53]
	v_fma_f64 v[52:53], v[42:43], s[92:93], v[52:53]
	;; [unrolled: 1-line block ×3, first 2 shown]
	v_mul_f64 v[60:61], v[40:41], 0.5
	v_fma_f64 v[56:57], v[42:43], s[80:81], v[56:57]
	v_mul_f64 v[62:63], v[42:43], 0.5
	v_mul_f64 v[68:69], v[7:8], -v[40:41]
	v_mul_f64 v[76:77], v[35:36], -v[42:43]
	v_fma_f64 v[54:55], v[40:41], v[54:55], s[94:95]
	v_fma_f64 v[52:53], v[42:43], v[52:53], s[94:95]
	;; [unrolled: 1-line block ×3, first 2 shown]
	v_add_f64 v[64:65], -v[60:61], 1.0
	v_fma_f64 v[56:57], v[42:43], v[56:57], s[82:83]
	v_add_f64 v[70:71], -v[62:63], 1.0
	s_mov_b32 s60, s76
	v_and_b32_e32 v44, 1, v39
	v_fma_f64 v[54:55], v[40:41], v[54:55], s[26:27]
	v_fma_f64 v[52:53], v[42:43], v[52:53], s[26:27]
	;; [unrolled: 1-line block ×3, first 2 shown]
	v_add_f64 v[72:73], -v[64:65], 1.0
	v_fma_f64 v[56:57], v[42:43], v[56:57], s[84:85]
	v_add_f64 v[78:79], -v[70:71], 1.0
	v_cmp_class_f64_e64 s[8:9], v[5:6], s72
	v_cmp_eq_u32_e32 vcc, 0, v44
	v_fma_f64 v[54:55], v[40:41], v[54:55], s[58:59]
	v_fma_f64 v[52:53], v[42:43], v[52:53], s[58:59]
	;; [unrolled: 1-line block ×3, first 2 shown]
	v_add_f64 v[60:61], v[72:73], -v[60:61]
	v_fma_f64 v[56:57], v[42:43], v[56:57], s[86:87]
	v_add_f64 v[62:63], v[78:79], -v[62:63]
	v_fma_f64 v[54:55], v[68:69], v[54:55], v[66:67]
	v_fma_f64 v[52:53], v[76:77], v[52:53], v[74:75]
	v_mul_f64 v[66:67], v[40:41], v[40:41]
	v_fma_f64 v[58:59], v[40:41], v[58:59], s[76:77]
	v_fma_f64 v[60:61], v[7:8], -v[13:14], v[60:61]
	v_fma_f64 v[13:14], v[40:41], v[54:55], -v[13:14]
	v_fma_f64 v[52:53], v[42:43], v[52:53], -v[37:38]
	v_mul_f64 v[40:41], v[42:43], v[42:43]
	v_fma_f64 v[42:43], v[42:43], v[56:57], s[76:77]
	v_fma_f64 v[37:38], v[35:36], -v[37:38], v[62:63]
	v_fma_f64 v[54:55], v[66:67], v[58:59], v[60:61]
	v_lshlrev_b32_e32 v56, 30, v39
	v_fma_f64 v[13:14], v[68:69], s[60:61], v[13:14]
	v_fma_f64 v[52:53], v[76:77], s[60:61], v[52:53]
	;; [unrolled: 1-line block ×3, first 2 shown]
	v_add_f64 v[39:40], v[64:65], v[54:55]
	v_and_b32_e32 v41, 1, v22
	v_lshlrev_b32_e32 v22, 30, v22
	v_add_f64 v[7:8], v[7:8], -v[13:14]
	v_add_f64 v[13:14], v[35:36], -v[52:53]
	v_xor_b32_e32 v42, v56, v6
	v_and_b32_e32 v22, 0x80000000, v22
	v_add_f64 v[35:36], v[70:71], v[37:38]
	v_and_b32_e32 v37, 0x80000000, v42
	v_cndmask_b32_e32 v7, v39, v7, vcc
	v_cndmask_b32_e32 v5, v40, v8, vcc
	v_xor_b32_e32 v6, 0x80000000, v14
	v_cmp_eq_u32_e32 vcc, 0, v41
	v_cndmask_b32_e32 v6, v6, v36, vcc
	v_cndmask_b32_e32 v8, v13, v35, vcc
	v_xor_b32_e32 v13, v5, v37
	v_xor_b32_e32 v14, v6, v22
	v_cndmask_b32_e64 v5, 0, v7, s[8:9]
	v_cndmask_b32_e64 v6, v51, v13, s[8:9]
	;; [unrolled: 1-line block ×4, first 2 shown]
	v_mul_f64 v[5:6], v[5:6], v[7:8]
.LBB93_323:                             ;   in Loop: Header=BB93_161 Depth=1
	s_or_b64 exec, exec, s[64:65]
	v_bfi_b32 v22, s70, 0, v6
	v_mov_b32_e32 v13, v21
	v_add_u32_e32 v16, -2.0, v16
	v_mov_b32_e32 v14, v22
.LBB93_324:                             ;   in Loop: Header=BB93_161 Depth=1
	s_or_b64 exec, exec, s[56:57]
	s_or_b64 exec, exec, s[12:13]
	s_and_saveexec_b64 s[8:9], s[0:1]
	s_xor_b64 s[0:1], exec, s[8:9]
	s_cbranch_execnz .LBB93_317
.LBB93_325:                             ;   in Loop: Header=BB93_161 Depth=1
	s_or_b64 exec, exec, s[0:1]
	s_and_saveexec_b64 s[0:1], s[2:3]
	s_cbranch_execz .LBB93_318
.LBB93_326:                             ;   in Loop: Header=BB93_161 Depth=1
	v_lshlrev_b64 v[1:2], 4, v[29:30]
	v_mov_b32_e32 v3, s63
	v_add_co_u32_e32 v1, vcc, s62, v1
	v_xor_b32_e32 v12, 0x80000000, v12
	v_addc_co_u32_e32 v2, vcc, v3, v2, vcc
	global_store_dwordx4 v[1:2], v[9:12], off
	s_or_b64 exec, exec, s[0:1]
	s_and_saveexec_b64 s[0:1], s[4:5]
	s_cbranch_execnz .LBB93_319
.LBB93_327:                             ;   in Loop: Header=BB93_161 Depth=1
	s_or_b64 exec, exec, s[0:1]
	s_and_saveexec_b64 s[0:1], s[6:7]
	s_cbranch_execz .LBB93_160
.LBB93_328:                             ;   in Loop: Header=BB93_161 Depth=1
	v_lshlrev_b64 v[1:2], 4, v[33:34]
	v_mov_b32_e32 v3, s63
	v_add_co_u32_e32 v1, vcc, s62, v1
	v_xor_b32_e32 v16, 0x80000000, v16
	v_addc_co_u32_e32 v2, vcc, v3, v2, vcc
	global_store_dwordx4 v[1:2], v[13:16], off
	s_branch .LBB93_160
.LBB93_329:
	s_endpgm
	.section	.rodata,"a",@progbits
	.p2align	6, 0x0
	.amdhsa_kernel _ZN2at6native12_GLOBAL__N_125multi_tensor_apply_kernelINS1_18TensorListMetadataILi2EEENS1_14UnaryOpFunctorIN3c107complexIdEELi2ELi1ELi1EEEJNS0_3TanIS8_EEEEEvT_T0_DpT1_
		.amdhsa_group_segment_fixed_size 0
		.amdhsa_private_segment_fixed_size 0
		.amdhsa_kernarg_size 3408
		.amdhsa_user_sgpr_count 6
		.amdhsa_user_sgpr_private_segment_buffer 1
		.amdhsa_user_sgpr_dispatch_ptr 0
		.amdhsa_user_sgpr_queue_ptr 0
		.amdhsa_user_sgpr_kernarg_segment_ptr 1
		.amdhsa_user_sgpr_dispatch_id 0
		.amdhsa_user_sgpr_flat_scratch_init 0
		.amdhsa_user_sgpr_private_segment_size 0
		.amdhsa_uses_dynamic_stack 0
		.amdhsa_system_sgpr_private_segment_wavefront_offset 0
		.amdhsa_system_sgpr_workgroup_id_x 1
		.amdhsa_system_sgpr_workgroup_id_y 0
		.amdhsa_system_sgpr_workgroup_id_z 0
		.amdhsa_system_sgpr_workgroup_info 0
		.amdhsa_system_vgpr_workitem_id 0
		.amdhsa_next_free_vgpr 82
		.amdhsa_next_free_sgpr 96
		.amdhsa_reserve_vcc 1
		.amdhsa_reserve_flat_scratch 0
		.amdhsa_float_round_mode_32 0
		.amdhsa_float_round_mode_16_64 0
		.amdhsa_float_denorm_mode_32 3
		.amdhsa_float_denorm_mode_16_64 3
		.amdhsa_dx10_clamp 1
		.amdhsa_ieee_mode 1
		.amdhsa_fp16_overflow 0
		.amdhsa_exception_fp_ieee_invalid_op 0
		.amdhsa_exception_fp_denorm_src 0
		.amdhsa_exception_fp_ieee_div_zero 0
		.amdhsa_exception_fp_ieee_overflow 0
		.amdhsa_exception_fp_ieee_underflow 0
		.amdhsa_exception_fp_ieee_inexact 0
		.amdhsa_exception_int_div_zero 0
	.end_amdhsa_kernel
	.section	.text._ZN2at6native12_GLOBAL__N_125multi_tensor_apply_kernelINS1_18TensorListMetadataILi2EEENS1_14UnaryOpFunctorIN3c107complexIdEELi2ELi1ELi1EEEJNS0_3TanIS8_EEEEEvT_T0_DpT1_,"axG",@progbits,_ZN2at6native12_GLOBAL__N_125multi_tensor_apply_kernelINS1_18TensorListMetadataILi2EEENS1_14UnaryOpFunctorIN3c107complexIdEELi2ELi1ELi1EEEJNS0_3TanIS8_EEEEEvT_T0_DpT1_,comdat
.Lfunc_end93:
	.size	_ZN2at6native12_GLOBAL__N_125multi_tensor_apply_kernelINS1_18TensorListMetadataILi2EEENS1_14UnaryOpFunctorIN3c107complexIdEELi2ELi1ELi1EEEJNS0_3TanIS8_EEEEEvT_T0_DpT1_, .Lfunc_end93-_ZN2at6native12_GLOBAL__N_125multi_tensor_apply_kernelINS1_18TensorListMetadataILi2EEENS1_14UnaryOpFunctorIN3c107complexIdEELi2ELi1ELi1EEEJNS0_3TanIS8_EEEEEvT_T0_DpT1_
                                        ; -- End function
	.set _ZN2at6native12_GLOBAL__N_125multi_tensor_apply_kernelINS1_18TensorListMetadataILi2EEENS1_14UnaryOpFunctorIN3c107complexIdEELi2ELi1ELi1EEEJNS0_3TanIS8_EEEEEvT_T0_DpT1_.num_vgpr, 82
	.set _ZN2at6native12_GLOBAL__N_125multi_tensor_apply_kernelINS1_18TensorListMetadataILi2EEENS1_14UnaryOpFunctorIN3c107complexIdEELi2ELi1ELi1EEEJNS0_3TanIS8_EEEEEvT_T0_DpT1_.num_agpr, 0
	.set _ZN2at6native12_GLOBAL__N_125multi_tensor_apply_kernelINS1_18TensorListMetadataILi2EEENS1_14UnaryOpFunctorIN3c107complexIdEELi2ELi1ELi1EEEJNS0_3TanIS8_EEEEEvT_T0_DpT1_.numbered_sgpr, 96
	.set _ZN2at6native12_GLOBAL__N_125multi_tensor_apply_kernelINS1_18TensorListMetadataILi2EEENS1_14UnaryOpFunctorIN3c107complexIdEELi2ELi1ELi1EEEJNS0_3TanIS8_EEEEEvT_T0_DpT1_.num_named_barrier, 0
	.set _ZN2at6native12_GLOBAL__N_125multi_tensor_apply_kernelINS1_18TensorListMetadataILi2EEENS1_14UnaryOpFunctorIN3c107complexIdEELi2ELi1ELi1EEEJNS0_3TanIS8_EEEEEvT_T0_DpT1_.private_seg_size, 0
	.set _ZN2at6native12_GLOBAL__N_125multi_tensor_apply_kernelINS1_18TensorListMetadataILi2EEENS1_14UnaryOpFunctorIN3c107complexIdEELi2ELi1ELi1EEEJNS0_3TanIS8_EEEEEvT_T0_DpT1_.uses_vcc, 1
	.set _ZN2at6native12_GLOBAL__N_125multi_tensor_apply_kernelINS1_18TensorListMetadataILi2EEENS1_14UnaryOpFunctorIN3c107complexIdEELi2ELi1ELi1EEEJNS0_3TanIS8_EEEEEvT_T0_DpT1_.uses_flat_scratch, 0
	.set _ZN2at6native12_GLOBAL__N_125multi_tensor_apply_kernelINS1_18TensorListMetadataILi2EEENS1_14UnaryOpFunctorIN3c107complexIdEELi2ELi1ELi1EEEJNS0_3TanIS8_EEEEEvT_T0_DpT1_.has_dyn_sized_stack, 0
	.set _ZN2at6native12_GLOBAL__N_125multi_tensor_apply_kernelINS1_18TensorListMetadataILi2EEENS1_14UnaryOpFunctorIN3c107complexIdEELi2ELi1ELi1EEEJNS0_3TanIS8_EEEEEvT_T0_DpT1_.has_recursion, 0
	.set _ZN2at6native12_GLOBAL__N_125multi_tensor_apply_kernelINS1_18TensorListMetadataILi2EEENS1_14UnaryOpFunctorIN3c107complexIdEELi2ELi1ELi1EEEJNS0_3TanIS8_EEEEEvT_T0_DpT1_.has_indirect_call, 0
	.section	.AMDGPU.csdata,"",@progbits
; Kernel info:
; codeLenInByte = 60480
; TotalNumSgprs: 100
; NumVgprs: 82
; ScratchSize: 0
; MemoryBound: 1
; FloatMode: 240
; IeeeMode: 1
; LDSByteSize: 0 bytes/workgroup (compile time only)
; SGPRBlocks: 12
; VGPRBlocks: 20
; NumSGPRsForWavesPerEU: 100
; NumVGPRsForWavesPerEU: 82
; Occupancy: 3
; WaveLimiterHint : 0
; COMPUTE_PGM_RSRC2:SCRATCH_EN: 0
; COMPUTE_PGM_RSRC2:USER_SGPR: 6
; COMPUTE_PGM_RSRC2:TRAP_HANDLER: 0
; COMPUTE_PGM_RSRC2:TGID_X_EN: 1
; COMPUTE_PGM_RSRC2:TGID_Y_EN: 0
; COMPUTE_PGM_RSRC2:TGID_Z_EN: 0
; COMPUTE_PGM_RSRC2:TIDIG_COMP_CNT: 0
	.section	.text._ZN2at6native12_GLOBAL__N_125multi_tensor_apply_kernelINS1_18TensorListMetadataILi2EEENS1_14UnaryOpFunctorIN3c107complexIfEELi2ELi1ELi1EEEJNS0_3TanIS8_EEEEEvT_T0_DpT1_,"axG",@progbits,_ZN2at6native12_GLOBAL__N_125multi_tensor_apply_kernelINS1_18TensorListMetadataILi2EEENS1_14UnaryOpFunctorIN3c107complexIfEELi2ELi1ELi1EEEJNS0_3TanIS8_EEEEEvT_T0_DpT1_,comdat
	.globl	_ZN2at6native12_GLOBAL__N_125multi_tensor_apply_kernelINS1_18TensorListMetadataILi2EEENS1_14UnaryOpFunctorIN3c107complexIfEELi2ELi1ELi1EEEJNS0_3TanIS8_EEEEEvT_T0_DpT1_ ; -- Begin function _ZN2at6native12_GLOBAL__N_125multi_tensor_apply_kernelINS1_18TensorListMetadataILi2EEENS1_14UnaryOpFunctorIN3c107complexIfEELi2ELi1ELi1EEEJNS0_3TanIS8_EEEEEvT_T0_DpT1_
	.p2align	8
	.type	_ZN2at6native12_GLOBAL__N_125multi_tensor_apply_kernelINS1_18TensorListMetadataILi2EEENS1_14UnaryOpFunctorIN3c107complexIfEELi2ELi1ELi1EEEJNS0_3TanIS8_EEEEEvT_T0_DpT1_,@function
_ZN2at6native12_GLOBAL__N_125multi_tensor_apply_kernelINS1_18TensorListMetadataILi2EEENS1_14UnaryOpFunctorIN3c107complexIfEELi2ELi1ELi1EEEJNS0_3TanIS8_EEEEEvT_T0_DpT1_: ; @_ZN2at6native12_GLOBAL__N_125multi_tensor_apply_kernelINS1_18TensorListMetadataILi2EEENS1_14UnaryOpFunctorIN3c107complexIfEELi2ELi1ELi1EEEJNS0_3TanIS8_EEEEEvT_T0_DpT1_
; %bb.0:
	v_mov_b32_e32 v1, s6
	global_load_ubyte v1, v1, s[4:5] offset:1536
	s_add_u32 s0, s4, s6
	s_mul_hi_u32 s2, s6, 3
	s_mul_i32 s6, s6, 3
	s_addc_u32 s7, s5, 0
	s_add_u32 s6, s0, s6
	s_addc_u32 s7, s7, s2
	s_load_dword s6, s[6:7], 0x740
	s_mov_b32 s1, 0
	s_mov_b32 s3, s1
	s_waitcnt lgkmcnt(0)
	s_ashr_i32 s7, s6, 31
	s_lshl_b64 s[16:17], s[6:7], 19
	s_waitcnt vmcnt(0)
	v_readfirstlane_b32 s0, v1
	s_lshl_b32 s0, s0, 3
	s_load_dwordx2 s[8:9], s[4:5], s0 offset:0x0
	s_load_dwordx2 s[10:11], s[4:5], s0 offset:0x400
	;; [unrolled: 1-line block ×3, first 2 shown]
	s_waitcnt lgkmcnt(0)
	s_add_u32 s14, s8, s16
	s_addc_u32 s15, s9, s17
	s_and_b32 s0, s14, 31
	s_add_u32 s16, s12, s16
	s_addc_u32 s17, s13, s17
	s_lshl_b64 s[6:7], s[6:7], 16
	s_and_b32 s2, s16, 31
	s_sub_u32 s8, s10, s6
	s_subb_u32 s9, s11, s7
	s_and_b32 s6, s10, 3
	s_mov_b32 s7, s1
	s_or_b64 s[2:3], s[2:3], s[6:7]
	s_or_b64 s[0:1], s[2:3], s[0:1]
	s_cmp_eq_u64 s[0:1], 0
	s_mov_b64 s[0:1], -1
	s_cbranch_scc0 .LBB94_157
; %bb.1:
	v_mov_b32_e32 v1, 0x10000
	v_mov_b32_e32 v2, 0
	v_cmp_lt_i64_e32 vcc, s[8:9], v[1:2]
	v_mov_b32_e32 v13, 0
	s_and_b64 s[0:1], vcc, exec
	s_cselect_b32 s11, s9, 0
	s_cselect_b32 s10, s8, 0x10000
	v_lshlrev_b32_e32 v12, 2, v0
	v_cmp_gt_i64_e32 vcc, s[10:11], v[12:13]
	s_and_saveexec_b64 s[12:13], vcc
	s_cbranch_execz .LBB94_156
; %bb.2:
	s_load_dword s0, s[4:5], 0xc5c
	v_mov_b32_e32 v1, v13
	v_mov_b32_e32 v15, v1
	v_lshlrev_b32_e32 v16, 5, v0
	s_mov_b64 s[18:19], 0
	s_waitcnt lgkmcnt(0)
	s_and_b32 s36, s0, 0xffff
	s_brev_b32 s33, -2
	s_lshl_b32 s37, s36, 5
	s_mov_b32 s38, 0x7f800000
	s_movk_i32 s39, 0x1f8
	s_mov_b32 s40, 0x41300000
	s_brev_b32 s41, 18
	s_mov_b32 s42, 0xfe5163ab
	s_mov_b32 s43, 0x3c439041
	;; [unrolled: 1-line block ×10, first 2 shown]
	v_mov_b32_e32 v17, 0x3f93f425
	s_mov_b32 s52, 0xbf317218
	v_mov_b32_e32 v18, 0x3d2aadcc
	v_mov_b32_e32 v19, 0x3e2aaa47
	v_mov_b32_e32 v20, 0x3efffffc
	s_mov_b32 s53, 0x42b2d4fc
	s_mov_b32 s54, 0x39800000
	;; [unrolled: 1-line block ×3, first 2 shown]
	v_mov_b32_e32 v21, 0x260
	v_mov_b32_e32 v22, 0xbe2aaa9d
	v_mov_b32_e32 v23, 0x3d2aabf7
	v_mov_b32_e32 v24, 0xbf000004
	s_mov_b32 s56, 0xbfb8aa3b
	s_mov_b32 s57, 0xb2a5705f
	;; [unrolled: 1-line block ×4, first 2 shown]
	v_not_b32_e32 v25, 63
	v_not_b32_e32 v26, 31
	v_mov_b32_e32 v27, 0x7f800000
	v_mov_b32_e32 v28, 0x7fc00000
	s_mov_b64 s[20:21], s[14:15]
	s_mov_b64 s[22:23], s[16:17]
	v_mov_b32_e32 v14, v0
	s_branch .LBB94_7
.LBB94_3:                               ;   in Loop: Header=BB94_7 Depth=1
	s_or_b64 exec, exec, s[0:1]
	v_mul_f32_e32 v2, v10, v10
	v_mov_b32_e32 v11, 0x3c0881c4
	v_fmac_f32_e32 v11, 0xb94c1982, v2
	v_fma_f32 v11, v2, v11, v22
	v_mul_f32_e32 v11, v2, v11
	v_fmac_f32_e32 v10, v10, v11
	v_mov_b32_e32 v11, 0xbab64f3b
	v_fmac_f32_e32 v11, 0x37d75334, v2
	v_fma_f32 v11, v2, v11, v23
	v_fma_f32 v11, v2, v11, v24
	v_fma_f32 v2, v2, v11, 1.0
	v_and_b32_e32 v11, 1, v4
	v_lshlrev_b32_e32 v4, 30, v4
	v_cmp_eq_u32_e32 vcc, 0, v11
	v_and_b32_e32 v4, 0x80000000, v4
	v_cndmask_b32_e32 v2, v2, v10, vcc
	v_xor_b32_e32 v1, v1, v4
	v_xor_b32_e32 v1, v1, v2
	v_mul_f32_e32 v2, v31, v31
	v_mov_b32_e32 v4, 0x3c0881c4
	v_fmac_f32_e32 v4, 0xb94c1982, v2
	v_fma_f32 v4, v2, v4, v22
	v_mul_f32_e32 v4, v2, v4
	v_fmac_f32_e32 v31, v31, v4
	v_mov_b32_e32 v4, 0xbab64f3b
	v_fmac_f32_e32 v4, 0x37d75334, v2
	v_fma_f32 v4, v2, v4, v23
	v_fma_f32 v4, v2, v4, v24
	v_fma_f32 v2, v2, v4, 1.0
	v_and_b32_e32 v4, 1, v12
	v_cmp_eq_u32_e32 vcc, 0, v4
	v_lshlrev_b32_e32 v4, 30, v12
	v_cndmask_b32_e64 v2, -v31, v2, vcc
	v_and_b32_e32 v4, 0x80000000, v4
	v_xor_b32_e32 v1, v1, v3
	v_xor_b32_e32 v2, v4, v2
	v_mul_f32_e32 v1, v1, v2
	v_cmp_class_f32_e64 vcc, v3, s39
	v_cndmask_b32_e32 v3, v28, v1, vcc
.LBB94_4:                               ;   in Loop: Header=BB94_7 Depth=1
	s_or_b64 exec, exec, s[28:29]
	v_add_u32_e32 v30, -2.0, v30
	v_bfi_b32 v11, s33, 0, v3
.LBB94_5:                               ;   in Loop: Header=BB94_7 Depth=1
	s_or_b64 exec, exec, s[26:27]
.LBB94_6:                               ;   in Loop: Header=BB94_7 Depth=1
	s_or_b64 exec, exec, s[24:25]
	v_mov_b32_e32 v2, s23
	v_add_co_u32_e32 v1, vcc, s22, v16
	v_addc_co_u32_e32 v2, vcc, 0, v2, vcc
	v_add_co_u32_e32 v14, vcc, s36, v14
	v_addc_co_u32_e32 v15, vcc, 0, v15, vcc
	v_lshlrev_b64 v[3:4], 2, v[14:15]
	s_add_u32 s22, s22, s37
	s_addc_u32 s23, s23, 0
	s_add_u32 s20, s20, s37
	v_cmp_le_i64_e32 vcc, s[10:11], v[3:4]
	s_addc_u32 s21, s21, 0
	v_xor_b32_e32 v10, 0x80000000, v8
	v_xor_b32_e32 v8, 0x80000000, v29
	;; [unrolled: 1-line block ×4, first 2 shown]
	s_or_b64 s[18:19], vcc, s[18:19]
	global_store_dwordx4 v[1:2], v[5:8], off
	global_store_dwordx4 v[1:2], v[9:12], off offset:16
	s_andn2_b64 exec, exec, s[18:19]
	s_cbranch_execz .LBB94_156
.LBB94_7:                               ; =>This Inner Loop Header: Depth=1
	v_mov_b32_e32 v1, s21
	v_add_co_u32_e32 v5, vcc, s20, v16
	v_addc_co_u32_e32 v6, vcc, 0, v1, vcc
	global_load_dwordx4 v[8:11], v[5:6], off
	global_load_dwordx4 v[1:4], v[5:6], off offset:16
                                        ; implicit-def: $vgpr5
                                        ; implicit-def: $vgpr6
	s_waitcnt vmcnt(1)
	v_and_b32_e32 v12, 0x7fffffff, v9
	v_cmp_gt_u32_e32 vcc, s38, v12
	s_and_saveexec_b64 s[0:1], vcc
	s_xor_b64 s[24:25], exec, s[0:1]
	s_cbranch_execz .LBB94_29
; %bb.8:                                ;   in Loop: Header=BB94_7 Depth=1
	v_cmp_class_f32_e64 s[0:1], v8, s39
                                        ; implicit-def: $vgpr5
                                        ; implicit-def: $vgpr6
	s_and_saveexec_b64 s[2:3], s[0:1]
	s_xor_b64 s[26:27], exec, s[2:3]
	s_cbranch_execz .LBB94_26
; %bb.9:                                ;   in Loop: Header=BB94_7 Depth=1
	v_and_b32_e32 v7, 0x7fffffff, v8
	v_cmp_gt_u32_e32 vcc, s40, v12
                                        ; implicit-def: $vgpr5
                                        ; implicit-def: $vgpr6
	s_and_saveexec_b64 s[0:1], vcc
	s_xor_b64 s[28:29], exec, s[0:1]
	s_cbranch_execz .LBB94_15
; %bb.10:                               ;   in Loop: Header=BB94_7 Depth=1
	v_cmp_nlt_f32_e64 s[0:1], |v8|, s41
                                        ; implicit-def: $vgpr6
                                        ; implicit-def: $vgpr5
	s_and_saveexec_b64 s[2:3], s[0:1]
	s_xor_b64 s[30:31], exec, s[2:3]
	s_cbranch_execz .LBB94_12
; %bb.11:                               ;   in Loop: Header=BB94_7 Depth=1
	v_and_b32_e32 v5, 0x7fffff, v7
	v_or_b32_e32 v35, 0x800000, v5
	v_mad_u64_u32 v[5:6], s[0:1], v35, s42, 0
	v_mov_b32_e32 v12, v6
	v_mad_u64_u32 v[29:30], s[0:1], v35, s43, v[12:13]
	v_lshrrev_b32_e32 v6, 23, v7
	v_add_u32_e32 v6, 0xffffff88, v6
	v_mov_b32_e32 v12, v30
	v_mad_u64_u32 v[30:31], s[0:1], v35, s44, v[12:13]
	v_cmp_lt_u32_e32 vcc, 63, v6
	v_mov_b32_e32 v12, v31
	v_mad_u64_u32 v[31:32], s[0:1], v35, s45, v[12:13]
	v_cndmask_b32_e32 v5, v30, v5, vcc
	v_mov_b32_e32 v12, v32
	v_mad_u64_u32 v[32:33], s[0:1], v35, s46, v[12:13]
	v_cndmask_b32_e32 v12, 0, v25, vcc
	v_add_u32_e32 v6, v12, v6
	v_mov_b32_e32 v12, v33
	v_mad_u64_u32 v[33:34], s[0:1], v35, s47, v[12:13]
	v_cmp_lt_u32_e64 s[0:1], 31, v6
	v_cndmask_b32_e64 v12, 0, v26, s[0:1]
	v_add_u32_e32 v6, v12, v6
	v_mov_b32_e32 v12, v34
	v_mad_u64_u32 v[34:35], s[2:3], v35, s48, v[12:13]
	v_cmp_lt_u32_e64 s[2:3], 31, v6
	v_cndmask_b32_e64 v12, 0, v26, s[2:3]
	v_add_u32_e32 v6, v12, v6
	v_cndmask_b32_e32 v12, v33, v31, vcc
	v_cndmask_b32_e32 v34, v34, v32, vcc
	;; [unrolled: 1-line block ×4, first 2 shown]
	v_cndmask_b32_e64 v35, v34, v12, s[0:1]
	v_cndmask_b32_e64 v33, v33, v34, s[0:1]
	;; [unrolled: 1-line block ×3, first 2 shown]
	v_cndmask_b32_e32 v29, v31, v29, vcc
	v_cndmask_b32_e64 v33, v33, v35, s[2:3]
	v_cndmask_b32_e64 v34, v35, v12, s[2:3]
	v_sub_u32_e32 v35, 32, v6
	v_cndmask_b32_e64 v31, v32, v29, s[0:1]
	v_alignbit_b32 v36, v33, v34, v35
	v_cmp_eq_u32_e64 s[6:7], 0, v6
	v_cndmask_b32_e64 v12, v12, v31, s[2:3]
	v_cndmask_b32_e64 v6, v36, v33, s[6:7]
	v_alignbit_b32 v32, v34, v12, v35
	v_cndmask_b32_e64 v32, v32, v34, s[6:7]
	v_bfe_u32 v36, v6, 29, 1
	v_cndmask_b32_e64 v5, v29, v5, s[0:1]
	v_alignbit_b32 v33, v6, v32, 30
	v_sub_u32_e32 v37, 0, v36
	v_cndmask_b32_e64 v5, v31, v5, s[2:3]
	v_xor_b32_e32 v33, v33, v37
	v_alignbit_b32 v29, v12, v5, v35
	v_cndmask_b32_e64 v12, v29, v12, s[6:7]
	v_ffbh_u32_e32 v30, v33
	v_alignbit_b32 v29, v32, v12, 30
	v_min_u32_e32 v30, 32, v30
	v_alignbit_b32 v5, v12, v5, 30
	v_xor_b32_e32 v29, v29, v37
	v_sub_u32_e32 v31, 31, v30
	v_xor_b32_e32 v5, v5, v37
	v_alignbit_b32 v32, v33, v29, v31
	v_alignbit_b32 v5, v29, v5, v31
	;; [unrolled: 1-line block ×3, first 2 shown]
	v_ffbh_u32_e32 v29, v12
	v_min_u32_e32 v29, 32, v29
	v_lshrrev_b32_e32 v34, 29, v6
	v_not_b32_e32 v31, v29
	v_alignbit_b32 v5, v12, v5, v31
	v_lshlrev_b32_e32 v12, 31, v34
	v_or_b32_e32 v31, 0x33000000, v12
	v_add_lshl_u32 v29, v29, v30, 23
	v_lshrrev_b32_e32 v5, 9, v5
	v_sub_u32_e32 v29, v31, v29
	v_or_b32_e32 v12, 0.5, v12
	v_lshlrev_b32_e32 v30, 23, v30
	v_or_b32_e32 v5, v29, v5
	v_lshrrev_b32_e32 v29, 9, v32
	v_sub_u32_e32 v12, v12, v30
	v_or_b32_e32 v12, v29, v12
	v_mul_f32_e32 v29, 0x3fc90fda, v12
	v_fma_f32 v30, v12, s49, -v29
	v_fmac_f32_e32 v30, 0x33a22168, v12
	v_fmac_f32_e32 v30, 0x3fc90fda, v5
	v_lshrrev_b32_e32 v6, 30, v6
	v_add_f32_e32 v5, v29, v30
	v_add_u32_e32 v6, v36, v6
.LBB94_12:                              ;   in Loop: Header=BB94_7 Depth=1
	s_andn2_saveexec_b64 s[0:1], s[30:31]
; %bb.13:                               ;   in Loop: Header=BB94_7 Depth=1
	v_mul_f32_e64 v5, |v8|, s50
	v_rndne_f32_e32 v12, v5
	v_cvt_i32_f32_e32 v6, v12
	v_fma_f32 v5, v12, s51, |v8|
	v_fmac_f32_e32 v5, 0xb3a22168, v12
	v_fmac_f32_e32 v5, 0xa7c234c4, v12
; %bb.14:                               ;   in Loop: Header=BB94_7 Depth=1
	s_or_b64 exec, exec, s[0:1]
	v_mul_f32_e32 v12, v5, v5
	v_mov_b32_e32 v29, 0xbf039337
	v_fmac_f32_e32 v29, 0x3c971480, v12
	v_fma_f32 v29, v12, v29, v17
	v_rcp_f32_e32 v29, v29
	v_mov_b32_e32 v30, 0x3ec54587
	v_fmac_f32_e32 v30, 0xbc8cedd3, v12
	v_and_b32_e32 v6, 1, v6
	v_mul_f32_e32 v29, v30, v29
	v_mul_f32_e32 v12, v12, v29
	v_fma_f32 v29, v12, v5, v5
	v_rcp_f32_e32 v30, v29
	v_sub_f32_e32 v31, v29, v5
	v_fma_f32 v5, v12, v5, -v31
	v_cmp_eq_u32_e32 vcc, 0, v6
	v_fma_f32 v12, v29, -v30, 1.0
	v_fma_f32 v5, v5, -v30, v12
	v_add_f32_e64 v6, |v9|, s52
	v_fma_f32 v5, v5, -v30, -v30
	v_sub_f32_e64 v12, v6, |v9|
	v_cndmask_b32_e32 v5, v5, v29, vcc
	v_sub_f32_e32 v29, v12, v6
	v_add_f32_e64 v29, |v9|, v29
	v_add_f32_e32 v12, 0x3f317218, v12
	v_sub_f32_e32 v12, v29, v12
	v_add_f32_e32 v12, 0x3102e308, v12
	v_add_f32_e32 v29, v6, v12
	v_sub_f32_e32 v6, v6, v29
	v_add_f32_e32 v6, v12, v6
	v_mul_f32_e32 v12, 0x3fb8aa3b, v29
	v_rndne_f32_e32 v12, v12
	v_fmac_f32_e32 v29, 0xbf317200, v12
	v_add_f32_e32 v30, v6, v29
	v_sub_f32_e32 v29, v29, v30
	v_add_f32_e32 v6, v6, v29
	v_mul_f32_e32 v29, 0x35bfbc00, v12
	v_sub_f32_e32 v31, v30, v29
	v_sub_f32_e32 v30, v30, v31
	;; [unrolled: 1-line block ×3, first 2 shown]
	v_add_f32_e32 v6, v6, v29
	v_add_f32_e32 v29, v31, v6
	v_sub_f32_e32 v30, v31, v29
	v_add_f32_e32 v6, v6, v30
	v_mul_f32_e32 v30, 0x2ea39ef3, v12
	v_sub_f32_e32 v31, v29, v30
	v_sub_f32_e32 v29, v29, v31
	;; [unrolled: 1-line block ×3, first 2 shown]
	v_add_f32_e32 v6, v6, v29
	v_add_f32_e32 v29, v31, v6
	v_sub_f32_e32 v31, v31, v29
	v_mov_b32_e32 v30, 0x3c091de6
	v_add_f32_e32 v6, v6, v31
	v_mul_f32_e32 v32, v29, v29
	v_fmac_f32_e32 v30, 0x3ab42872, v29
	v_add_f32_e32 v31, v6, v6
	v_fma_f32 v33, v29, v29, -v32
	v_fma_f32 v30, v29, v30, v18
	v_fmac_f32_e32 v33, v29, v31
	v_fma_f32 v30, v29, v30, v19
	v_add_f32_e32 v31, v32, v33
	v_fma_f32 v30, v29, v30, v20
	v_sub_f32_e32 v32, v31, v32
	v_sub_f32_e32 v32, v33, v32
	v_mul_f32_e32 v33, v30, v31
	v_fma_f32 v31, v31, v30, -v33
	v_fmac_f32_e32 v31, v32, v30
	v_add_f32_e32 v30, v33, v31
	v_sub_f32_e32 v32, v30, v33
	v_sub_f32_e32 v31, v31, v32
	v_add_f32_e32 v32, v29, v30
	v_sub_f32_e32 v29, v32, v29
	v_sub_f32_e32 v29, v30, v29
	v_add_f32_e32 v6, v6, v31
	v_add_f32_e32 v6, v6, v29
	;; [unrolled: 1-line block ×3, first 2 shown]
	v_sub_f32_e32 v30, v29, v32
	v_sub_f32_e32 v6, v6, v30
	v_add_f32_e32 v30, 1.0, v29
	v_add_f32_e32 v31, -1.0, v30
	v_cvt_i32_f32_e32 v12, v12
	v_sub_f32_e32 v29, v29, v31
	v_add_f32_e32 v6, v6, v29
	v_add_f32_e32 v29, v30, v6
	v_ldexp_f32 v31, v29, v12
	v_rcp_f32_e32 v32, v31
	v_sub_f32_e32 v29, v29, v30
	v_sub_f32_e32 v6, v6, v29
	v_ldexp_f32 v6, v6, v12
	v_mul_f32_e32 v12, v31, v32
	v_fma_f32 v29, v32, v31, -v12
	v_fmac_f32_e32 v29, v32, v6
	v_add_f32_e32 v30, v12, v29
	v_sub_f32_e32 v33, 1.0, v30
	v_sub_f32_e32 v34, 1.0, v33
	v_sub_f32_e32 v12, v30, v12
	v_sub_f32_e32 v34, v34, v30
	;; [unrolled: 1-line block ×3, first 2 shown]
	v_add_f32_e32 v12, v12, v34
	v_add_f32_e32 v29, v33, v12
	v_mul_f32_e32 v30, v32, v29
	v_mul_f32_e32 v34, v31, v30
	v_fma_f32 v35, v30, v31, -v34
	v_fmac_f32_e32 v35, v30, v6
	v_sub_f32_e32 v33, v33, v29
	v_add_f32_e32 v12, v12, v33
	v_add_f32_e32 v33, v34, v35
	v_sub_f32_e32 v36, v29, v33
	v_sub_f32_e32 v29, v29, v36
	;; [unrolled: 1-line block ×4, first 2 shown]
	v_add_f32_e32 v12, v12, v29
	v_sub_f32_e32 v29, v34, v35
	v_add_f32_e32 v12, v29, v12
	v_add_f32_e32 v12, v36, v12
	;; [unrolled: 1-line block ×3, first 2 shown]
	v_mul_f32_e32 v12, v32, v12
	v_sub_f32_e32 v32, v29, v32
	v_sub_f32_e32 v30, v30, v32
	v_add_f32_e32 v12, v30, v12
	v_add_f32_e32 v30, v29, v12
	v_sub_f32_e32 v29, v30, v29
	v_sub_f32_e32 v12, v12, v29
	v_ldexp_f32 v29, v30, -2
	v_sub_f32_e32 v30, v31, v29
	v_sub_f32_e32 v31, v31, v30
	;; [unrolled: 1-line block ×3, first 2 shown]
	v_ldexp_f32 v12, v12, -2
	v_add_f32_e32 v6, v6, v29
	v_sub_f32_e32 v6, v6, v12
	v_add_f32_e32 v6, v30, v6
	v_cmp_ngt_f32_e64 vcc, |v9|, s53
	v_cndmask_b32_e32 v6, v27, v6, vcc
	v_cmp_lt_f32_e64 s[0:1], |v9|, s54
	v_cndmask_b32_e64 v6, v6, |v9|, s[0:1]
	v_xor_b32_e32 v12, 0x80000000, v9
	v_bfi_b32 v6, s33, v6, v12
	v_fma_f32 v12, v6, v6, 1.0
	v_mul_f32_e32 v29, 0x4f800000, v12
	v_cmp_gt_f32_e32 vcc, s55, v12
	v_cndmask_b32_e32 v12, v12, v29, vcc
	v_sqrt_f32_e32 v29, v12
	v_xor_b32_e32 v5, v7, v5
	v_xor_b32_e32 v5, v5, v8
	v_fma_f32 v7, v5, v5, 1.0
	v_add_u32_e32 v30, -1, v29
	v_fma_f32 v31, -v30, v29, v12
	v_cmp_ge_f32_e64 s[0:1], 0, v31
	v_add_u32_e32 v31, 1, v29
	v_cndmask_b32_e64 v30, v29, v30, s[0:1]
	v_fma_f32 v29, -v31, v29, v12
	v_cmp_lt_f32_e64 s[0:1], 0, v29
	v_cndmask_b32_e64 v29, v30, v31, s[0:1]
	v_mul_f32_e32 v30, 0x37800000, v29
	v_cndmask_b32_e32 v29, v29, v30, vcc
	v_cmp_class_f32_e32 vcc, v12, v21
	v_cndmask_b32_e32 v12, v29, v12, vcc
	v_mul_f32_e32 v29, v6, v7
	v_mul_f32_e32 v7, v12, v7
	v_fma_f32 v29, v6, v29, 1.0
	v_mul_f32_e32 v6, v6, v7
	v_div_scale_f32 v7, s[0:1], v29, v29, v6
	v_div_scale_f32 v12, vcc, v6, v29, v6
	v_div_scale_f32 v30, s[0:1], v29, v29, v5
	v_div_scale_f32 v31, s[0:1], v5, v29, v5
	v_rcp_f32_e32 v32, v7
	v_fma_f32 v33, -v7, v32, 1.0
	v_fmac_f32_e32 v32, v33, v32
	v_mul_f32_e32 v33, v12, v32
	v_fma_f32 v34, -v7, v33, v12
	v_fmac_f32_e32 v33, v34, v32
	v_rcp_f32_e32 v34, v30
	v_fma_f32 v7, -v7, v33, v12
	v_div_fmas_f32 v7, v7, v32, v33
	s_mov_b64 vcc, s[0:1]
	v_fma_f32 v12, -v30, v34, 1.0
	v_fmac_f32_e32 v34, v12, v34
	v_mul_f32_e32 v12, v31, v34
	v_fma_f32 v32, -v30, v12, v31
	v_fmac_f32_e32 v12, v32, v34
	v_fma_f32 v30, -v30, v12, v31
	v_div_fmas_f32 v12, v30, v34, v12
	v_div_fixup_f32 v6, v7, v29, v6
                                        ; implicit-def: $vgpr7
	v_div_fixup_f32 v5, v12, v29, v5
.LBB94_15:                              ;   in Loop: Header=BB94_7 Depth=1
	s_andn2_saveexec_b64 s[28:29], s[28:29]
	s_cbranch_execz .LBB94_18
; %bb.16:                               ;   in Loop: Header=BB94_7 Depth=1
	v_lshrrev_b32_e32 v5, 23, v7
	v_and_b32_e32 v6, 0x7fffff, v7
	v_cmp_nlt_f32_e64 s[30:31], |v8|, s41
	v_add_u32_e32 v30, 0xffffff88, v5
	v_or_b32_e32 v5, 0x800000, v6
                                        ; implicit-def: $vgpr6
                                        ; implicit-def: $vgpr29
	s_and_saveexec_b64 s[0:1], s[30:31]
	s_xor_b64 s[34:35], exec, s[0:1]
	s_cbranch_execz .LBB94_19
; %bb.17:                               ;   in Loop: Header=BB94_7 Depth=1
	v_mad_u64_u32 v[31:32], s[0:1], v5, s42, 0
	v_cmp_lt_u32_e32 vcc, 63, v30
	v_cndmask_b32_e32 v6, 0, v25, vcc
	v_mov_b32_e32 v12, v32
	v_mad_u64_u32 v[32:33], s[0:1], v5, s43, v[12:13]
	v_add_u32_e32 v6, v6, v30
	v_mov_b32_e32 v12, v33
	v_mad_u64_u32 v[33:34], s[0:1], v5, s44, v[12:13]
	v_mov_b32_e32 v12, v34
	v_mad_u64_u32 v[34:35], s[0:1], v5, s45, v[12:13]
	v_cndmask_b32_e32 v31, v33, v31, vcc
	v_mov_b32_e32 v12, v35
	v_mad_u64_u32 v[35:36], s[0:1], v5, s46, v[12:13]
	v_cmp_lt_u32_e64 s[0:1], 31, v6
	v_cndmask_b32_e64 v12, 0, v26, s[0:1]
	v_add_u32_e32 v6, v12, v6
	v_mov_b32_e32 v12, v36
	v_mad_u64_u32 v[36:37], s[2:3], v5, s47, v[12:13]
	v_cmp_lt_u32_e64 s[2:3], 31, v6
	v_cndmask_b32_e64 v12, 0, v26, s[2:3]
	v_add_u32_e32 v6, v12, v6
	v_mov_b32_e32 v12, v37
	v_mad_u64_u32 v[37:38], s[6:7], v5, s48, v[12:13]
	v_cndmask_b32_e32 v12, v35, v33, vcc
	v_cndmask_b32_e32 v29, v36, v34, vcc
	;; [unrolled: 1-line block ×4, first 2 shown]
	v_cndmask_b32_e64 v39, v29, v12, s[0:1]
	v_cndmask_b32_e64 v29, v35, v29, s[0:1]
	;; [unrolled: 1-line block ×3, first 2 shown]
	v_cndmask_b32_e32 v32, v34, v32, vcc
	v_cndmask_b32_e64 v35, v35, v29, s[2:3]
	v_cndmask_b32_e64 v29, v29, v39, s[2:3]
	v_sub_u32_e32 v36, 32, v6
	v_cndmask_b32_e64 v12, v12, v32, s[0:1]
	v_alignbit_b32 v37, v35, v29, v36
	v_cmp_eq_u32_e64 s[6:7], 0, v6
	v_cndmask_b32_e64 v34, v39, v12, s[2:3]
	v_cndmask_b32_e64 v6, v37, v35, s[6:7]
	v_alignbit_b32 v35, v29, v34, v36
	v_cndmask_b32_e64 v29, v35, v29, s[6:7]
	v_bfe_u32 v38, v6, 29, 1
	v_cndmask_b32_e64 v31, v32, v31, s[0:1]
	v_alignbit_b32 v35, v6, v29, 30
	v_sub_u32_e32 v39, 0, v38
	v_cndmask_b32_e64 v12, v12, v31, s[2:3]
	v_xor_b32_e32 v35, v35, v39
	v_alignbit_b32 v31, v34, v12, v36
	v_cndmask_b32_e64 v31, v31, v34, s[6:7]
	v_ffbh_u32_e32 v32, v35
	v_alignbit_b32 v29, v29, v31, 30
	v_min_u32_e32 v32, 32, v32
	v_alignbit_b32 v12, v31, v12, 30
	v_xor_b32_e32 v29, v29, v39
	v_sub_u32_e32 v33, 31, v32
	v_xor_b32_e32 v12, v12, v39
	v_alignbit_b32 v34, v35, v29, v33
	v_alignbit_b32 v12, v29, v12, v33
	;; [unrolled: 1-line block ×3, first 2 shown]
	v_ffbh_u32_e32 v31, v29
	v_min_u32_e32 v31, 32, v31
	v_lshrrev_b32_e32 v37, 29, v6
	v_not_b32_e32 v33, v31
	v_alignbit_b32 v12, v29, v12, v33
	v_lshlrev_b32_e32 v29, 31, v37
	v_or_b32_e32 v33, 0x33000000, v29
	v_add_lshl_u32 v31, v31, v32, 23
	v_lshrrev_b32_e32 v12, 9, v12
	v_sub_u32_e32 v31, v33, v31
	v_or_b32_e32 v29, 0.5, v29
	v_lshlrev_b32_e32 v32, 23, v32
	v_or_b32_e32 v12, v31, v12
	v_lshrrev_b32_e32 v31, 9, v34
	v_sub_u32_e32 v29, v29, v32
	v_or_b32_e32 v29, v31, v29
	v_mul_f32_e32 v31, 0x3fc90fda, v29
	v_fma_f32 v32, v29, s49, -v31
	v_fmac_f32_e32 v32, 0x33a22168, v29
	v_fmac_f32_e32 v32, 0x3fc90fda, v12
	v_lshrrev_b32_e32 v6, 30, v6
	v_add_f32_e32 v29, v31, v32
	v_add_u32_e32 v6, v38, v6
	s_andn2_saveexec_b64 s[0:1], s[34:35]
	s_branch .LBB94_20
.LBB94_18:                              ;   in Loop: Header=BB94_7 Depth=1
	s_or_b64 exec, exec, s[28:29]
	s_andn2_saveexec_b64 s[0:1], s[26:27]
	s_cbranch_execnz .LBB94_27
	s_branch .LBB94_28
.LBB94_19:                              ;   in Loop: Header=BB94_7 Depth=1
	s_andn2_saveexec_b64 s[0:1], s[34:35]
.LBB94_20:                              ;   in Loop: Header=BB94_7 Depth=1
	v_mul_f32_e64 v6, |v8|, s50
	v_rndne_f32_e32 v12, v6
	v_cvt_i32_f32_e32 v6, v12
	v_fma_f32 v29, v12, s51, |v8|
	v_fmac_f32_e32 v29, 0xb3a22168, v12
	v_fmac_f32_e32 v29, 0xa7c234c4, v12
; %bb.21:                               ;   in Loop: Header=BB94_7 Depth=1
	s_or_b64 exec, exec, s[0:1]
                                        ; implicit-def: $vgpr12
                                        ; implicit-def: $vgpr31
	s_and_saveexec_b64 s[0:1], s[30:31]
	s_xor_b64 s[30:31], exec, s[0:1]
	s_cbranch_execz .LBB94_23
; %bb.22:                               ;   in Loop: Header=BB94_7 Depth=1
	v_mad_u64_u32 v[31:32], s[0:1], v5, s42, 0
	v_cmp_lt_u32_e32 vcc, 63, v30
	v_mov_b32_e32 v12, v32
	v_mad_u64_u32 v[32:33], s[0:1], v5, s43, v[12:13]
	v_mov_b32_e32 v12, v33
	v_mad_u64_u32 v[33:34], s[0:1], v5, s44, v[12:13]
	;; [unrolled: 2-line block ×3, first 2 shown]
	v_cndmask_b32_e32 v12, 0, v25, vcc
	v_add_u32_e32 v30, v12, v30
	v_mov_b32_e32 v12, v35
	v_mad_u64_u32 v[35:36], s[0:1], v5, s46, v[12:13]
	v_cmp_lt_u32_e64 s[0:1], 31, v30
	v_cndmask_b32_e64 v12, 0, v26, s[0:1]
	v_add_u32_e32 v30, v12, v30
	v_mov_b32_e32 v12, v36
	v_mad_u64_u32 v[36:37], s[2:3], v5, s47, v[12:13]
	v_cmp_lt_u32_e64 s[2:3], 31, v30
	v_cndmask_b32_e64 v12, 0, v26, s[2:3]
	v_add_u32_e32 v30, v12, v30
	v_mov_b32_e32 v12, v37
	v_mad_u64_u32 v[37:38], s[6:7], v5, s48, v[12:13]
	v_cndmask_b32_e32 v5, v35, v33, vcc
	v_cndmask_b32_e32 v12, v36, v34, vcc
	;; [unrolled: 1-line block ×4, first 2 shown]
	v_cndmask_b32_e64 v39, v12, v5, s[0:1]
	v_cndmask_b32_e64 v12, v35, v12, s[0:1]
	;; [unrolled: 1-line block ×3, first 2 shown]
	v_cndmask_b32_e32 v32, v34, v32, vcc
	v_cndmask_b32_e64 v35, v35, v12, s[2:3]
	v_cndmask_b32_e64 v12, v12, v39, s[2:3]
	v_sub_u32_e32 v36, 32, v30
	v_cndmask_b32_e64 v5, v5, v32, s[0:1]
	v_alignbit_b32 v37, v35, v12, v36
	v_cmp_eq_u32_e64 s[6:7], 0, v30
	v_cndmask_b32_e64 v34, v39, v5, s[2:3]
	v_cndmask_b32_e64 v30, v37, v35, s[6:7]
	v_alignbit_b32 v35, v12, v34, v36
	v_cndmask_b32_e32 v31, v33, v31, vcc
	v_cndmask_b32_e64 v12, v35, v12, s[6:7]
	v_bfe_u32 v38, v30, 29, 1
	v_cndmask_b32_e64 v31, v32, v31, s[0:1]
	v_alignbit_b32 v35, v30, v12, 30
	v_sub_u32_e32 v39, 0, v38
	v_cndmask_b32_e64 v5, v5, v31, s[2:3]
	v_xor_b32_e32 v35, v35, v39
	v_alignbit_b32 v31, v34, v5, v36
	v_cndmask_b32_e64 v31, v31, v34, s[6:7]
	v_ffbh_u32_e32 v32, v35
	v_alignbit_b32 v12, v12, v31, 30
	v_min_u32_e32 v32, 32, v32
	v_alignbit_b32 v5, v31, v5, 30
	v_xor_b32_e32 v12, v12, v39
	v_sub_u32_e32 v33, 31, v32
	v_xor_b32_e32 v5, v5, v39
	v_alignbit_b32 v34, v35, v12, v33
	v_alignbit_b32 v5, v12, v5, v33
	;; [unrolled: 1-line block ×3, first 2 shown]
	v_ffbh_u32_e32 v31, v12
	v_min_u32_e32 v31, 32, v31
	v_lshrrev_b32_e32 v37, 29, v30
	v_not_b32_e32 v33, v31
	v_alignbit_b32 v5, v12, v5, v33
	v_lshlrev_b32_e32 v12, 31, v37
	v_or_b32_e32 v33, 0x33000000, v12
	v_add_lshl_u32 v31, v31, v32, 23
	v_lshrrev_b32_e32 v5, 9, v5
	v_sub_u32_e32 v31, v33, v31
	v_or_b32_e32 v12, 0.5, v12
	v_lshlrev_b32_e32 v32, 23, v32
	v_or_b32_e32 v5, v31, v5
	v_lshrrev_b32_e32 v31, 9, v34
	v_sub_u32_e32 v12, v12, v32
	v_or_b32_e32 v12, v31, v12
	v_mul_f32_e32 v31, 0x3fc90fda, v12
	v_fma_f32 v32, v12, s49, -v31
	v_fmac_f32_e32 v32, 0x33a22168, v12
	v_fmac_f32_e32 v32, 0x3fc90fda, v5
	v_lshrrev_b32_e32 v5, 30, v30
	v_add_f32_e32 v31, v31, v32
	v_add_u32_e32 v12, v38, v5
	s_andn2_saveexec_b64 s[0:1], s[30:31]
	s_cbranch_execnz .LBB94_24
	s_branch .LBB94_25
.LBB94_23:                              ;   in Loop: Header=BB94_7 Depth=1
	s_andn2_saveexec_b64 s[0:1], s[30:31]
.LBB94_24:                              ;   in Loop: Header=BB94_7 Depth=1
	v_mul_f32_e64 v5, |v8|, s50
	v_rndne_f32_e32 v5, v5
	v_cvt_i32_f32_e32 v12, v5
	v_fma_f32 v31, v5, s51, |v8|
	v_fmac_f32_e32 v31, 0xb3a22168, v5
	v_fmac_f32_e32 v31, 0xa7c234c4, v5
.LBB94_25:                              ;   in Loop: Header=BB94_7 Depth=1
	s_or_b64 exec, exec, s[0:1]
	v_mul_f32_e32 v5, v29, v29
	v_mov_b32_e32 v30, 0x3c0881c4
	v_fmac_f32_e32 v30, 0xb94c1982, v5
	v_fma_f32 v30, v5, v30, v22
	v_mul_f32_e32 v30, v5, v30
	v_fmac_f32_e32 v29, v29, v30
	v_mov_b32_e32 v30, 0xbab64f3b
	v_fmac_f32_e32 v30, 0x37d75334, v5
	v_fma_f32 v30, v5, v30, v23
	v_fma_f32 v30, v5, v30, v24
	v_fma_f32 v5, v5, v30, 1.0
	v_and_b32_e32 v30, 1, v6
	v_lshlrev_b32_e32 v6, 30, v6
	v_and_b32_e32 v6, 0x80000000, v6
	v_cmp_eq_u32_e32 vcc, 0, v30
	v_xor_b32_e32 v6, v7, v6
	v_mul_f32_e64 v7, |v9|, s56
	v_cndmask_b32_e32 v5, v5, v29, vcc
	v_rndne_f32_e32 v29, v7
	v_sub_f32_e32 v30, v7, v29
	v_fma_f32 v7, |v9|, s56, -v7
	v_fma_f32 v7, |v9|, s57, v7
	v_add_f32_e32 v7, v30, v7
	v_exp_f32_e32 v7, v7
	v_cvt_i32_f32_e32 v29, v29
	v_xor_b32_e32 v5, v6, v5
	v_mov_b32_e32 v30, 0x3c0881c4
	v_cmp_ngt_f32_e64 vcc, |v9|, s58
	v_ldexp_f32 v6, v7, v29
	v_mul_f32_e32 v29, v31, v31
	v_fmac_f32_e32 v30, 0xb94c1982, v29
	v_fma_f32 v30, v29, v30, v22
	v_mul_f32_e32 v30, v29, v30
	v_fmac_f32_e32 v31, v31, v30
	v_mov_b32_e32 v30, 0xbab64f3b
	v_fmac_f32_e32 v30, 0x37d75334, v29
	v_fma_f32 v30, v29, v30, v23
	v_fma_f32 v30, v29, v30, v24
	v_cndmask_b32_e32 v6, 0, v6, vcc
	v_cmp_nlt_f32_e64 vcc, |v9|, s59
	v_fma_f32 v29, v29, v30, 1.0
	v_and_b32_e32 v30, 1, v12
	v_cndmask_b32_e32 v7, v27, v6, vcc
	v_cmp_eq_u32_e32 vcc, 0, v30
	v_lshlrev_b32_e32 v12, 30, v12
	v_xor_b32_e32 v5, v5, v8
	v_cndmask_b32_e64 v29, -v31, v29, vcc
	v_and_b32_e32 v12, 0x80000000, v12
	v_mul_f32_e32 v5, 4.0, v5
	v_xor_b32_e32 v12, v12, v29
	v_mul_f32_e32 v5, v5, v12
	v_xor_b32_e32 v6, 0x80000000, v9
	v_mul_f32_e32 v5, v7, v5
	v_bfi_b32 v6, s33, 1.0, v6
	v_mul_f32_e32 v5, v7, v5
	s_or_b64 exec, exec, s[28:29]
.LBB94_26:                              ;   in Loop: Header=BB94_7 Depth=1
	s_andn2_saveexec_b64 s[0:1], s[26:27]
.LBB94_27:                              ;   in Loop: Header=BB94_7 Depth=1
	v_sub_f32_e32 v5, v8, v8
	v_mov_b32_e32 v6, v5
.LBB94_28:                              ;   in Loop: Header=BB94_7 Depth=1
	s_or_b64 exec, exec, s[0:1]
.LBB94_29:                              ;   in Loop: Header=BB94_7 Depth=1
	s_andn2_saveexec_b64 s[24:25], s[24:25]
	s_cbranch_execz .LBB94_45
; %bb.30:                               ;   in Loop: Header=BB94_7 Depth=1
	v_xor_b32_e32 v6, 0x80000000, v9
	v_and_b32_e32 v5, 0x7fffff, v6
	v_cmp_ne_u32_e32 vcc, 0, v5
                                        ; implicit-def: $vgpr5
	s_and_saveexec_b64 s[0:1], vcc
	s_xor_b64 s[0:1], exec, s[0:1]
; %bb.31:                               ;   in Loop: Header=BB94_7 Depth=1
	v_mul_f32_e64 v5, v8, -v9
	v_cmp_eq_f32_e32 vcc, 0, v8
	v_cndmask_b32_e32 v5, v5, v8, vcc
; %bb.32:                               ;   in Loop: Header=BB94_7 Depth=1
	s_andn2_saveexec_b64 s[26:27], s[0:1]
	s_cbranch_execz .LBB94_44
; %bb.33:                               ;   in Loop: Header=BB94_7 Depth=1
	v_cmp_neq_f32_e64 s[0:1], |v8|, s38
	s_and_saveexec_b64 s[28:29], s[0:1]
	s_cbranch_execz .LBB94_43
; %bb.34:                               ;   in Loop: Header=BB94_7 Depth=1
	v_and_b32_e32 v5, 0x7fffffff, v8
	v_lshrrev_b32_e32 v7, 23, v5
	v_and_b32_e32 v9, 0x7fffff, v5
	v_cmp_nlt_f32_e64 s[30:31], |v8|, s41
	v_add_u32_e32 v30, 0xffffff88, v7
	v_or_b32_e32 v9, 0x800000, v9
                                        ; implicit-def: $vgpr7
                                        ; implicit-def: $vgpr29
	s_and_saveexec_b64 s[0:1], s[30:31]
	s_xor_b64 s[34:35], exec, s[0:1]
	s_cbranch_execz .LBB94_36
; %bb.35:                               ;   in Loop: Header=BB94_7 Depth=1
	v_mad_u64_u32 v[31:32], s[0:1], v9, s42, 0
	v_cmp_lt_u32_e32 vcc, 63, v30
	v_cndmask_b32_e32 v7, 0, v25, vcc
	v_mov_b32_e32 v12, v32
	v_mad_u64_u32 v[32:33], s[0:1], v9, s43, v[12:13]
	v_add_u32_e32 v7, v7, v30
	v_mov_b32_e32 v12, v33
	v_mad_u64_u32 v[33:34], s[0:1], v9, s44, v[12:13]
	v_mov_b32_e32 v12, v34
	v_mad_u64_u32 v[34:35], s[0:1], v9, s45, v[12:13]
	v_cndmask_b32_e32 v31, v33, v31, vcc
	v_mov_b32_e32 v12, v35
	v_mad_u64_u32 v[35:36], s[0:1], v9, s46, v[12:13]
	v_cmp_lt_u32_e64 s[0:1], 31, v7
	v_cndmask_b32_e64 v12, 0, v26, s[0:1]
	v_add_u32_e32 v7, v12, v7
	v_mov_b32_e32 v12, v36
	v_mad_u64_u32 v[36:37], s[2:3], v9, s47, v[12:13]
	v_cmp_lt_u32_e64 s[2:3], 31, v7
	v_cndmask_b32_e64 v12, 0, v26, s[2:3]
	v_add_u32_e32 v7, v12, v7
	v_mov_b32_e32 v12, v37
	v_mad_u64_u32 v[37:38], s[6:7], v9, s48, v[12:13]
	v_cndmask_b32_e32 v12, v35, v33, vcc
	v_cndmask_b32_e32 v29, v36, v34, vcc
	;; [unrolled: 1-line block ×4, first 2 shown]
	v_cndmask_b32_e64 v39, v29, v12, s[0:1]
	v_cndmask_b32_e64 v29, v35, v29, s[0:1]
	;; [unrolled: 1-line block ×3, first 2 shown]
	v_cndmask_b32_e32 v32, v34, v32, vcc
	v_cndmask_b32_e64 v35, v35, v29, s[2:3]
	v_cndmask_b32_e64 v29, v29, v39, s[2:3]
	v_sub_u32_e32 v36, 32, v7
	v_cndmask_b32_e64 v12, v12, v32, s[0:1]
	v_alignbit_b32 v37, v35, v29, v36
	v_cmp_eq_u32_e64 s[6:7], 0, v7
	v_cndmask_b32_e64 v34, v39, v12, s[2:3]
	v_cndmask_b32_e64 v7, v37, v35, s[6:7]
	v_alignbit_b32 v35, v29, v34, v36
	v_cndmask_b32_e64 v29, v35, v29, s[6:7]
	v_bfe_u32 v38, v7, 29, 1
	v_cndmask_b32_e64 v31, v32, v31, s[0:1]
	v_alignbit_b32 v35, v7, v29, 30
	v_sub_u32_e32 v39, 0, v38
	v_cndmask_b32_e64 v12, v12, v31, s[2:3]
	v_xor_b32_e32 v35, v35, v39
	v_alignbit_b32 v31, v34, v12, v36
	v_cndmask_b32_e64 v31, v31, v34, s[6:7]
	v_ffbh_u32_e32 v32, v35
	v_alignbit_b32 v29, v29, v31, 30
	v_min_u32_e32 v32, 32, v32
	v_alignbit_b32 v12, v31, v12, 30
	v_xor_b32_e32 v29, v29, v39
	v_sub_u32_e32 v33, 31, v32
	v_xor_b32_e32 v12, v12, v39
	v_alignbit_b32 v34, v35, v29, v33
	v_alignbit_b32 v12, v29, v12, v33
	;; [unrolled: 1-line block ×3, first 2 shown]
	v_ffbh_u32_e32 v31, v29
	v_min_u32_e32 v31, 32, v31
	v_lshrrev_b32_e32 v37, 29, v7
	v_not_b32_e32 v33, v31
	v_alignbit_b32 v12, v29, v12, v33
	v_lshlrev_b32_e32 v29, 31, v37
	v_or_b32_e32 v33, 0x33000000, v29
	v_add_lshl_u32 v31, v31, v32, 23
	v_lshrrev_b32_e32 v12, 9, v12
	v_sub_u32_e32 v31, v33, v31
	v_or_b32_e32 v29, 0.5, v29
	v_lshlrev_b32_e32 v32, 23, v32
	v_or_b32_e32 v12, v31, v12
	v_lshrrev_b32_e32 v31, 9, v34
	v_sub_u32_e32 v29, v29, v32
	v_or_b32_e32 v29, v31, v29
	v_mul_f32_e32 v31, 0x3fc90fda, v29
	v_fma_f32 v32, v29, s49, -v31
	v_fmac_f32_e32 v32, 0x33a22168, v29
	v_fmac_f32_e32 v32, 0x3fc90fda, v12
	v_lshrrev_b32_e32 v7, 30, v7
	v_add_f32_e32 v29, v31, v32
	v_add_u32_e32 v7, v38, v7
.LBB94_36:                              ;   in Loop: Header=BB94_7 Depth=1
	s_or_saveexec_b64 s[0:1], s[34:35]
	v_mul_f32_e64 v12, |v8|, s50
	v_rndne_f32_e32 v32, v12
	s_xor_b64 exec, exec, s[0:1]
; %bb.37:                               ;   in Loop: Header=BB94_7 Depth=1
	v_cvt_i32_f32_e32 v7, v32
	v_fma_f32 v29, v32, s51, |v8|
	v_fmac_f32_e32 v29, 0xb3a22168, v32
	v_fmac_f32_e32 v29, 0xa7c234c4, v32
; %bb.38:                               ;   in Loop: Header=BB94_7 Depth=1
	s_or_b64 exec, exec, s[0:1]
                                        ; implicit-def: $vgpr12
                                        ; implicit-def: $vgpr31
	s_and_saveexec_b64 s[0:1], s[30:31]
	s_xor_b64 s[30:31], exec, s[0:1]
	s_cbranch_execz .LBB94_40
; %bb.39:                               ;   in Loop: Header=BB94_7 Depth=1
	v_mad_u64_u32 v[31:32], s[0:1], v9, s42, 0
	v_cmp_lt_u32_e32 vcc, 63, v30
	v_mov_b32_e32 v12, v32
	v_mad_u64_u32 v[32:33], s[0:1], v9, s43, v[12:13]
	v_mov_b32_e32 v12, v33
	v_mad_u64_u32 v[33:34], s[0:1], v9, s44, v[12:13]
	;; [unrolled: 2-line block ×3, first 2 shown]
	v_cndmask_b32_e32 v12, 0, v25, vcc
	v_add_u32_e32 v30, v12, v30
	v_mov_b32_e32 v12, v35
	v_mad_u64_u32 v[35:36], s[0:1], v9, s46, v[12:13]
	v_cmp_lt_u32_e64 s[0:1], 31, v30
	v_cndmask_b32_e64 v12, 0, v26, s[0:1]
	v_add_u32_e32 v30, v12, v30
	v_mov_b32_e32 v12, v36
	v_mad_u64_u32 v[36:37], s[2:3], v9, s47, v[12:13]
	v_cmp_lt_u32_e64 s[2:3], 31, v30
	v_cndmask_b32_e64 v12, 0, v26, s[2:3]
	v_add_u32_e32 v30, v12, v30
	v_mov_b32_e32 v12, v37
	v_mad_u64_u32 v[37:38], s[6:7], v9, s48, v[12:13]
	v_cndmask_b32_e32 v9, v35, v33, vcc
	v_cndmask_b32_e32 v12, v36, v34, vcc
	;; [unrolled: 1-line block ×4, first 2 shown]
	v_cndmask_b32_e64 v39, v12, v9, s[0:1]
	v_cndmask_b32_e64 v12, v35, v12, s[0:1]
	;; [unrolled: 1-line block ×3, first 2 shown]
	v_cndmask_b32_e32 v32, v34, v32, vcc
	v_cndmask_b32_e64 v35, v35, v12, s[2:3]
	v_cndmask_b32_e64 v12, v12, v39, s[2:3]
	v_sub_u32_e32 v36, 32, v30
	v_cndmask_b32_e64 v9, v9, v32, s[0:1]
	v_alignbit_b32 v37, v35, v12, v36
	v_cmp_eq_u32_e64 s[6:7], 0, v30
	v_cndmask_b32_e64 v34, v39, v9, s[2:3]
	v_cndmask_b32_e64 v30, v37, v35, s[6:7]
	v_alignbit_b32 v35, v12, v34, v36
	v_cndmask_b32_e32 v31, v33, v31, vcc
	v_cndmask_b32_e64 v12, v35, v12, s[6:7]
	v_bfe_u32 v38, v30, 29, 1
	v_cndmask_b32_e64 v31, v32, v31, s[0:1]
	v_alignbit_b32 v35, v30, v12, 30
	v_sub_u32_e32 v39, 0, v38
	v_cndmask_b32_e64 v9, v9, v31, s[2:3]
	v_xor_b32_e32 v35, v35, v39
	v_alignbit_b32 v31, v34, v9, v36
	v_cndmask_b32_e64 v31, v31, v34, s[6:7]
	v_ffbh_u32_e32 v32, v35
	v_alignbit_b32 v12, v12, v31, 30
	v_min_u32_e32 v32, 32, v32
	v_alignbit_b32 v9, v31, v9, 30
	v_xor_b32_e32 v12, v12, v39
	v_sub_u32_e32 v33, 31, v32
	v_xor_b32_e32 v9, v9, v39
	v_alignbit_b32 v34, v35, v12, v33
	v_alignbit_b32 v9, v12, v9, v33
	;; [unrolled: 1-line block ×3, first 2 shown]
	v_ffbh_u32_e32 v31, v12
	v_min_u32_e32 v31, 32, v31
	v_lshrrev_b32_e32 v37, 29, v30
	v_not_b32_e32 v33, v31
	v_alignbit_b32 v9, v12, v9, v33
	v_lshlrev_b32_e32 v12, 31, v37
	v_or_b32_e32 v33, 0x33000000, v12
	v_add_lshl_u32 v31, v31, v32, 23
	v_lshrrev_b32_e32 v9, 9, v9
	v_sub_u32_e32 v31, v33, v31
	v_or_b32_e32 v12, 0.5, v12
	v_lshlrev_b32_e32 v32, 23, v32
	v_or_b32_e32 v9, v31, v9
	v_lshrrev_b32_e32 v31, 9, v34
	v_sub_u32_e32 v12, v12, v32
	v_or_b32_e32 v12, v31, v12
	v_mul_f32_e32 v31, 0x3fc90fda, v12
	v_fma_f32 v32, v12, s49, -v31
	v_fmac_f32_e32 v32, 0x33a22168, v12
	v_fmac_f32_e32 v32, 0x3fc90fda, v9
	v_lshrrev_b32_e32 v9, 30, v30
	v_add_f32_e32 v31, v31, v32
	v_add_u32_e32 v12, v38, v9
                                        ; implicit-def: $vgpr32
	s_andn2_saveexec_b64 s[0:1], s[30:31]
	s_cbranch_execnz .LBB94_41
	s_branch .LBB94_42
.LBB94_40:                              ;   in Loop: Header=BB94_7 Depth=1
	s_andn2_saveexec_b64 s[0:1], s[30:31]
.LBB94_41:                              ;   in Loop: Header=BB94_7 Depth=1
	v_cvt_i32_f32_e32 v12, v32
	v_fma_f32 v31, v32, s51, |v8|
	v_fmac_f32_e32 v31, 0xb3a22168, v32
	v_fmac_f32_e32 v31, 0xa7c234c4, v32
.LBB94_42:                              ;   in Loop: Header=BB94_7 Depth=1
	s_or_b64 exec, exec, s[0:1]
	v_mul_f32_e32 v9, v29, v29
	v_mov_b32_e32 v30, 0x3c0881c4
	v_fmac_f32_e32 v30, 0xb94c1982, v9
	v_fma_f32 v30, v9, v30, v22
	v_mul_f32_e32 v30, v9, v30
	v_fmac_f32_e32 v29, v29, v30
	v_mov_b32_e32 v30, 0xbab64f3b
	v_fmac_f32_e32 v30, 0x37d75334, v9
	v_fma_f32 v30, v9, v30, v23
	v_fma_f32 v30, v9, v30, v24
	v_fma_f32 v9, v9, v30, 1.0
	v_and_b32_e32 v30, 1, v7
	v_lshlrev_b32_e32 v7, 30, v7
	v_cmp_eq_u32_e32 vcc, 0, v30
	v_and_b32_e32 v7, 0x80000000, v7
	v_cndmask_b32_e32 v9, v9, v29, vcc
	v_xor_b32_e32 v5, v5, v7
	v_xor_b32_e32 v5, v5, v9
	v_mul_f32_e32 v7, v31, v31
	v_mov_b32_e32 v9, 0x3c0881c4
	v_fmac_f32_e32 v9, 0xb94c1982, v7
	v_fma_f32 v9, v7, v9, v22
	v_mul_f32_e32 v9, v7, v9
	v_fmac_f32_e32 v31, v31, v9
	v_mov_b32_e32 v9, 0xbab64f3b
	v_fmac_f32_e32 v9, 0x37d75334, v7
	v_fma_f32 v9, v7, v9, v23
	v_fma_f32 v9, v7, v9, v24
	v_fma_f32 v7, v7, v9, 1.0
	v_and_b32_e32 v9, 1, v12
	v_cmp_eq_u32_e32 vcc, 0, v9
	v_lshlrev_b32_e32 v9, 30, v12
	v_cndmask_b32_e64 v7, -v31, v7, vcc
	v_and_b32_e32 v9, 0x80000000, v9
	v_xor_b32_e32 v5, v5, v8
	v_xor_b32_e32 v7, v9, v7
	v_mul_f32_e32 v5, v5, v7
	v_cmp_class_f32_e64 vcc, v8, s39
	v_cndmask_b32_e32 v8, v28, v5, vcc
.LBB94_43:                              ;   in Loop: Header=BB94_7 Depth=1
	s_or_b64 exec, exec, s[28:29]
	v_add_u32_e32 v6, -2.0, v6
	v_bfi_b32 v5, s33, 0, v8
.LBB94_44:                              ;   in Loop: Header=BB94_7 Depth=1
	s_or_b64 exec, exec, s[26:27]
.LBB94_45:                              ;   in Loop: Header=BB94_7 Depth=1
	s_or_b64 exec, exec, s[24:25]
	v_and_b32_e32 v7, 0x7fffffff, v11
	v_cmp_gt_u32_e32 vcc, s38, v7
                                        ; implicit-def: $vgpr29
	s_and_saveexec_b64 s[0:1], vcc
	s_xor_b64 s[24:25], exec, s[0:1]
	s_cbranch_execz .LBB94_67
; %bb.46:                               ;   in Loop: Header=BB94_7 Depth=1
	v_cmp_class_f32_e64 s[0:1], v10, s39
                                        ; implicit-def: $vgpr29
	s_and_saveexec_b64 s[2:3], s[0:1]
	s_xor_b64 s[26:27], exec, s[2:3]
	s_cbranch_execz .LBB94_64
; %bb.47:                               ;   in Loop: Header=BB94_7 Depth=1
	v_and_b32_e32 v8, 0x7fffffff, v10
	v_cmp_gt_u32_e32 vcc, s40, v7
                                        ; implicit-def: $vgpr29
	s_and_saveexec_b64 s[0:1], vcc
	s_xor_b64 s[28:29], exec, s[0:1]
	s_cbranch_execz .LBB94_53
; %bb.48:                               ;   in Loop: Header=BB94_7 Depth=1
	v_cmp_nlt_f32_e64 s[0:1], |v10|, s41
                                        ; implicit-def: $vgpr9
                                        ; implicit-def: $vgpr7
	s_and_saveexec_b64 s[2:3], s[0:1]
	s_xor_b64 s[30:31], exec, s[2:3]
	s_cbranch_execz .LBB94_50
; %bb.49:                               ;   in Loop: Header=BB94_7 Depth=1
	v_and_b32_e32 v7, 0x7fffff, v8
	v_or_b32_e32 v7, 0x800000, v7
	v_mad_u64_u32 v[29:30], s[0:1], v7, s42, 0
	v_lshrrev_b32_e32 v9, 23, v8
	v_add_u32_e32 v9, 0xffffff88, v9
	v_mov_b32_e32 v12, v30
	v_mad_u64_u32 v[30:31], s[0:1], v7, s43, v[12:13]
	v_cmp_lt_u32_e32 vcc, 63, v9
	v_mov_b32_e32 v12, v31
	v_mad_u64_u32 v[31:32], s[0:1], v7, s44, v[12:13]
	v_mov_b32_e32 v12, v32
	v_mad_u64_u32 v[32:33], s[0:1], v7, s45, v[12:13]
	v_cndmask_b32_e32 v29, v31, v29, vcc
	v_mov_b32_e32 v12, v33
	v_mad_u64_u32 v[33:34], s[0:1], v7, s46, v[12:13]
	v_cndmask_b32_e32 v12, 0, v25, vcc
	v_add_u32_e32 v9, v12, v9
	v_mov_b32_e32 v12, v34
	v_mad_u64_u32 v[34:35], s[0:1], v7, s47, v[12:13]
	v_cmp_lt_u32_e64 s[0:1], 31, v9
	v_cndmask_b32_e64 v12, 0, v26, s[0:1]
	v_add_u32_e32 v9, v12, v9
	v_mov_b32_e32 v12, v35
	v_mad_u64_u32 v[35:36], s[2:3], v7, s48, v[12:13]
	v_cmp_lt_u32_e64 s[2:3], 31, v9
	v_cndmask_b32_e64 v7, 0, v26, s[2:3]
	v_add_u32_e32 v7, v7, v9
	v_cndmask_b32_e32 v9, v34, v32, vcc
	v_cndmask_b32_e32 v12, v35, v33, vcc
	v_cndmask_b32_e32 v34, v36, v34, vcc
	v_cndmask_b32_e32 v33, v33, v31, vcc
	v_cndmask_b32_e64 v35, v12, v9, s[0:1]
	v_cndmask_b32_e64 v12, v34, v12, s[0:1]
	;; [unrolled: 1-line block ×5, first 2 shown]
	v_sub_u32_e32 v35, 32, v7
	v_cmp_eq_u32_e64 s[6:7], 0, v7
	v_cndmask_b32_e32 v7, v32, v30, vcc
	v_cndmask_b32_e64 v30, v33, v7, s[0:1]
	v_alignbit_b32 v36, v12, v34, v35
	v_cndmask_b32_e64 v9, v9, v30, s[2:3]
	v_cndmask_b32_e64 v12, v36, v12, s[6:7]
	v_alignbit_b32 v32, v34, v9, v35
	v_cndmask_b32_e64 v32, v32, v34, s[6:7]
	v_bfe_u32 v36, v12, 29, 1
	v_cndmask_b32_e64 v7, v7, v29, s[0:1]
	v_alignbit_b32 v33, v12, v32, 30
	v_sub_u32_e32 v37, 0, v36
	v_cndmask_b32_e64 v7, v30, v7, s[2:3]
	v_xor_b32_e32 v33, v33, v37
	v_alignbit_b32 v29, v9, v7, v35
	v_cndmask_b32_e64 v9, v29, v9, s[6:7]
	v_ffbh_u32_e32 v30, v33
	v_alignbit_b32 v29, v32, v9, 30
	v_min_u32_e32 v30, 32, v30
	v_alignbit_b32 v7, v9, v7, 30
	v_xor_b32_e32 v29, v29, v37
	v_sub_u32_e32 v31, 31, v30
	v_xor_b32_e32 v7, v7, v37
	v_alignbit_b32 v32, v33, v29, v31
	v_alignbit_b32 v7, v29, v7, v31
	;; [unrolled: 1-line block ×3, first 2 shown]
	v_ffbh_u32_e32 v29, v9
	v_min_u32_e32 v29, 32, v29
	v_lshrrev_b32_e32 v34, 29, v12
	v_not_b32_e32 v31, v29
	v_alignbit_b32 v7, v9, v7, v31
	v_lshlrev_b32_e32 v9, 31, v34
	v_or_b32_e32 v31, 0x33000000, v9
	v_add_lshl_u32 v29, v29, v30, 23
	v_lshrrev_b32_e32 v7, 9, v7
	v_sub_u32_e32 v29, v31, v29
	v_or_b32_e32 v9, 0.5, v9
	v_lshlrev_b32_e32 v30, 23, v30
	v_or_b32_e32 v7, v29, v7
	v_lshrrev_b32_e32 v29, 9, v32
	v_sub_u32_e32 v9, v9, v30
	v_or_b32_e32 v9, v29, v9
	v_mul_f32_e32 v29, 0x3fc90fda, v9
	v_fma_f32 v30, v9, s49, -v29
	v_fmac_f32_e32 v30, 0x33a22168, v9
	v_fmac_f32_e32 v30, 0x3fc90fda, v7
	v_lshrrev_b32_e32 v9, 30, v12
	v_add_f32_e32 v7, v29, v30
	v_add_u32_e32 v9, v36, v9
.LBB94_50:                              ;   in Loop: Header=BB94_7 Depth=1
	s_andn2_saveexec_b64 s[0:1], s[30:31]
; %bb.51:                               ;   in Loop: Header=BB94_7 Depth=1
	v_mul_f32_e64 v7, |v10|, s50
	v_rndne_f32_e32 v12, v7
	v_cvt_i32_f32_e32 v9, v12
	v_fma_f32 v7, v12, s51, |v10|
	v_fmac_f32_e32 v7, 0xb3a22168, v12
	v_fmac_f32_e32 v7, 0xa7c234c4, v12
; %bb.52:                               ;   in Loop: Header=BB94_7 Depth=1
	s_or_b64 exec, exec, s[0:1]
	v_mul_f32_e32 v12, v7, v7
	v_mov_b32_e32 v29, 0xbf039337
	v_fmac_f32_e32 v29, 0x3c971480, v12
	v_fma_f32 v29, v12, v29, v17
	v_rcp_f32_e32 v29, v29
	v_mov_b32_e32 v30, 0x3ec54587
	v_fmac_f32_e32 v30, 0xbc8cedd3, v12
	v_and_b32_e32 v9, 1, v9
	v_mul_f32_e32 v29, v30, v29
	v_mul_f32_e32 v12, v12, v29
	v_fma_f32 v29, v12, v7, v7
	v_rcp_f32_e32 v30, v29
	v_sub_f32_e32 v31, v29, v7
	v_fma_f32 v7, v12, v7, -v31
	v_cmp_eq_u32_e32 vcc, 0, v9
	v_fma_f32 v12, v29, -v30, 1.0
	v_fma_f32 v7, v7, -v30, v12
	v_add_f32_e64 v9, |v11|, s52
	v_fma_f32 v7, v7, -v30, -v30
	v_sub_f32_e64 v12, v9, |v11|
	v_cndmask_b32_e32 v7, v7, v29, vcc
	v_sub_f32_e32 v29, v12, v9
	v_add_f32_e64 v29, |v11|, v29
	v_add_f32_e32 v12, 0x3f317218, v12
	v_sub_f32_e32 v12, v29, v12
	v_add_f32_e32 v12, 0x3102e308, v12
	v_add_f32_e32 v29, v9, v12
	v_sub_f32_e32 v9, v9, v29
	v_add_f32_e32 v9, v12, v9
	v_mul_f32_e32 v12, 0x3fb8aa3b, v29
	v_rndne_f32_e32 v12, v12
	v_fmac_f32_e32 v29, 0xbf317200, v12
	v_add_f32_e32 v30, v9, v29
	v_sub_f32_e32 v29, v29, v30
	v_add_f32_e32 v9, v9, v29
	v_mul_f32_e32 v29, 0x35bfbc00, v12
	v_sub_f32_e32 v31, v30, v29
	v_sub_f32_e32 v30, v30, v31
	;; [unrolled: 1-line block ×3, first 2 shown]
	v_add_f32_e32 v9, v9, v29
	v_add_f32_e32 v29, v31, v9
	v_sub_f32_e32 v30, v31, v29
	v_add_f32_e32 v9, v9, v30
	v_mul_f32_e32 v30, 0x2ea39ef3, v12
	v_sub_f32_e32 v31, v29, v30
	v_sub_f32_e32 v29, v29, v31
	;; [unrolled: 1-line block ×3, first 2 shown]
	v_add_f32_e32 v9, v9, v29
	v_add_f32_e32 v29, v31, v9
	v_sub_f32_e32 v31, v31, v29
	v_mov_b32_e32 v30, 0x3c091de6
	v_add_f32_e32 v9, v9, v31
	v_mul_f32_e32 v32, v29, v29
	v_fmac_f32_e32 v30, 0x3ab42872, v29
	v_add_f32_e32 v31, v9, v9
	v_fma_f32 v33, v29, v29, -v32
	v_fma_f32 v30, v29, v30, v18
	v_fmac_f32_e32 v33, v29, v31
	v_fma_f32 v30, v29, v30, v19
	v_add_f32_e32 v31, v32, v33
	v_fma_f32 v30, v29, v30, v20
	v_sub_f32_e32 v32, v31, v32
	v_sub_f32_e32 v32, v33, v32
	v_mul_f32_e32 v33, v30, v31
	v_fma_f32 v31, v31, v30, -v33
	v_fmac_f32_e32 v31, v32, v30
	v_add_f32_e32 v30, v33, v31
	v_sub_f32_e32 v32, v30, v33
	v_sub_f32_e32 v31, v31, v32
	v_add_f32_e32 v32, v29, v30
	v_sub_f32_e32 v29, v32, v29
	v_sub_f32_e32 v29, v30, v29
	v_add_f32_e32 v9, v9, v31
	v_add_f32_e32 v9, v9, v29
	;; [unrolled: 1-line block ×3, first 2 shown]
	v_sub_f32_e32 v30, v29, v32
	v_sub_f32_e32 v9, v9, v30
	v_add_f32_e32 v30, 1.0, v29
	v_add_f32_e32 v31, -1.0, v30
	v_cvt_i32_f32_e32 v12, v12
	v_sub_f32_e32 v29, v29, v31
	v_add_f32_e32 v9, v9, v29
	v_add_f32_e32 v29, v30, v9
	v_ldexp_f32 v31, v29, v12
	v_rcp_f32_e32 v32, v31
	v_sub_f32_e32 v29, v29, v30
	v_sub_f32_e32 v9, v9, v29
	v_ldexp_f32 v9, v9, v12
	v_mul_f32_e32 v12, v31, v32
	v_fma_f32 v29, v32, v31, -v12
	v_fmac_f32_e32 v29, v32, v9
	v_add_f32_e32 v30, v12, v29
	v_sub_f32_e32 v33, 1.0, v30
	v_sub_f32_e32 v34, 1.0, v33
	v_sub_f32_e32 v12, v30, v12
	v_sub_f32_e32 v34, v34, v30
	;; [unrolled: 1-line block ×3, first 2 shown]
	v_add_f32_e32 v12, v12, v34
	v_add_f32_e32 v29, v33, v12
	v_mul_f32_e32 v30, v32, v29
	v_mul_f32_e32 v34, v31, v30
	v_fma_f32 v35, v30, v31, -v34
	v_fmac_f32_e32 v35, v30, v9
	v_sub_f32_e32 v33, v33, v29
	v_add_f32_e32 v12, v12, v33
	v_add_f32_e32 v33, v34, v35
	v_sub_f32_e32 v36, v29, v33
	v_sub_f32_e32 v29, v29, v36
	;; [unrolled: 1-line block ×4, first 2 shown]
	v_add_f32_e32 v12, v12, v29
	v_sub_f32_e32 v29, v34, v35
	v_add_f32_e32 v12, v29, v12
	v_add_f32_e32 v12, v36, v12
	;; [unrolled: 1-line block ×3, first 2 shown]
	v_mul_f32_e32 v12, v32, v12
	v_sub_f32_e32 v32, v29, v32
	v_sub_f32_e32 v30, v30, v32
	v_add_f32_e32 v12, v30, v12
	v_add_f32_e32 v30, v29, v12
	v_sub_f32_e32 v29, v30, v29
	v_sub_f32_e32 v12, v12, v29
	v_ldexp_f32 v29, v30, -2
	v_sub_f32_e32 v30, v31, v29
	v_sub_f32_e32 v31, v31, v30
	;; [unrolled: 1-line block ×3, first 2 shown]
	v_ldexp_f32 v12, v12, -2
	v_add_f32_e32 v9, v9, v29
	v_sub_f32_e32 v9, v9, v12
	v_add_f32_e32 v9, v30, v9
	v_cmp_ngt_f32_e64 vcc, |v11|, s53
	v_cndmask_b32_e32 v9, v27, v9, vcc
	v_cmp_lt_f32_e64 s[0:1], |v11|, s54
	v_cndmask_b32_e64 v9, v9, |v11|, s[0:1]
	v_xor_b32_e32 v11, 0x80000000, v11
	v_bfi_b32 v9, s33, v9, v11
	v_fma_f32 v11, v9, v9, 1.0
	v_mul_f32_e32 v12, 0x4f800000, v11
	v_cmp_gt_f32_e32 vcc, s55, v11
	v_cndmask_b32_e32 v11, v11, v12, vcc
	v_sqrt_f32_e32 v12, v11
	v_xor_b32_e32 v7, v8, v7
	v_xor_b32_e32 v7, v7, v10
	v_fma_f32 v8, v7, v7, 1.0
	v_add_u32_e32 v10, -1, v12
	v_fma_f32 v29, -v10, v12, v11
	v_cmp_ge_f32_e64 s[0:1], 0, v29
	v_add_u32_e32 v29, 1, v12
	v_cndmask_b32_e64 v10, v12, v10, s[0:1]
	v_fma_f32 v12, -v29, v12, v11
	v_cmp_lt_f32_e64 s[0:1], 0, v12
	v_cndmask_b32_e64 v10, v10, v29, s[0:1]
	v_mul_f32_e32 v12, 0x37800000, v10
	v_cndmask_b32_e32 v10, v10, v12, vcc
	v_cmp_class_f32_e32 vcc, v11, v21
	v_cndmask_b32_e32 v10, v10, v11, vcc
	v_mul_f32_e32 v11, v9, v8
	v_mul_f32_e32 v8, v10, v8
	v_fma_f32 v11, v9, v11, 1.0
	v_mul_f32_e32 v8, v9, v8
	v_div_scale_f32 v9, s[0:1], v11, v11, v8
	v_div_scale_f32 v10, vcc, v8, v11, v8
	v_div_scale_f32 v12, s[0:1], v11, v11, v7
	v_div_scale_f32 v29, s[0:1], v7, v11, v7
	v_rcp_f32_e32 v30, v9
	v_fma_f32 v31, -v9, v30, 1.0
	v_fmac_f32_e32 v30, v31, v30
	v_mul_f32_e32 v31, v10, v30
	v_fma_f32 v32, -v9, v31, v10
	v_fmac_f32_e32 v31, v32, v30
	v_rcp_f32_e32 v32, v12
	v_fma_f32 v9, -v9, v31, v10
	v_div_fmas_f32 v9, v9, v30, v31
	s_mov_b64 vcc, s[0:1]
	v_fma_f32 v10, -v12, v32, 1.0
	v_fmac_f32_e32 v32, v10, v32
	v_mul_f32_e32 v10, v29, v32
	v_fma_f32 v30, -v12, v10, v29
	v_fmac_f32_e32 v10, v30, v32
	v_fma_f32 v12, -v12, v10, v29
	v_div_fmas_f32 v10, v12, v32, v10
	v_div_fixup_f32 v29, v9, v11, v8
	v_div_fixup_f32 v7, v10, v11, v7
                                        ; implicit-def: $vgpr8_vgpr9_vgpr10_vgpr11
                                        ; implicit-def: $vgpr8
.LBB94_53:                              ;   in Loop: Header=BB94_7 Depth=1
	s_andn2_saveexec_b64 s[28:29], s[28:29]
	s_cbranch_execz .LBB94_63
; %bb.54:                               ;   in Loop: Header=BB94_7 Depth=1
	v_lshrrev_b32_e32 v7, 23, v8
	v_and_b32_e32 v9, 0x7fffff, v8
	v_cmp_nlt_f32_e64 s[30:31], |v10|, s41
	v_add_u32_e32 v30, 0xffffff88, v7
	v_or_b32_e32 v7, 0x800000, v9
                                        ; implicit-def: $vgpr9
                                        ; implicit-def: $vgpr29
	s_and_saveexec_b64 s[0:1], s[30:31]
	s_xor_b64 s[34:35], exec, s[0:1]
	s_cbranch_execz .LBB94_56
; %bb.55:                               ;   in Loop: Header=BB94_7 Depth=1
	v_mad_u64_u32 v[31:32], s[0:1], v7, s42, 0
	v_cmp_lt_u32_e32 vcc, 63, v30
	v_cndmask_b32_e32 v9, 0, v25, vcc
	v_mov_b32_e32 v12, v32
	v_mad_u64_u32 v[32:33], s[0:1], v7, s43, v[12:13]
	v_add_u32_e32 v9, v9, v30
	v_mov_b32_e32 v12, v33
	v_mad_u64_u32 v[33:34], s[0:1], v7, s44, v[12:13]
	v_mov_b32_e32 v12, v34
	v_mad_u64_u32 v[34:35], s[0:1], v7, s45, v[12:13]
	v_cndmask_b32_e32 v31, v33, v31, vcc
	v_mov_b32_e32 v12, v35
	v_mad_u64_u32 v[35:36], s[0:1], v7, s46, v[12:13]
	v_cmp_lt_u32_e64 s[0:1], 31, v9
	v_cndmask_b32_e64 v12, 0, v26, s[0:1]
	v_add_u32_e32 v9, v12, v9
	v_mov_b32_e32 v12, v36
	v_mad_u64_u32 v[36:37], s[2:3], v7, s47, v[12:13]
	v_cmp_lt_u32_e64 s[2:3], 31, v9
	v_cndmask_b32_e64 v12, 0, v26, s[2:3]
	v_add_u32_e32 v9, v12, v9
	v_mov_b32_e32 v12, v37
	v_mad_u64_u32 v[37:38], s[6:7], v7, s48, v[12:13]
	v_cndmask_b32_e32 v12, v35, v33, vcc
	v_cndmask_b32_e32 v29, v36, v34, vcc
	;; [unrolled: 1-line block ×4, first 2 shown]
	v_cndmask_b32_e64 v39, v29, v12, s[0:1]
	v_cndmask_b32_e64 v29, v35, v29, s[0:1]
	v_cndmask_b32_e64 v35, v36, v35, s[0:1]
	v_cndmask_b32_e32 v32, v34, v32, vcc
	v_cndmask_b32_e64 v35, v35, v29, s[2:3]
	v_cndmask_b32_e64 v29, v29, v39, s[2:3]
	v_sub_u32_e32 v36, 32, v9
	v_cndmask_b32_e64 v12, v12, v32, s[0:1]
	v_alignbit_b32 v37, v35, v29, v36
	v_cmp_eq_u32_e64 s[6:7], 0, v9
	v_cndmask_b32_e64 v34, v39, v12, s[2:3]
	v_cndmask_b32_e64 v9, v37, v35, s[6:7]
	v_alignbit_b32 v35, v29, v34, v36
	v_cndmask_b32_e64 v29, v35, v29, s[6:7]
	v_bfe_u32 v38, v9, 29, 1
	v_cndmask_b32_e64 v31, v32, v31, s[0:1]
	v_alignbit_b32 v35, v9, v29, 30
	v_sub_u32_e32 v39, 0, v38
	v_cndmask_b32_e64 v12, v12, v31, s[2:3]
	v_xor_b32_e32 v35, v35, v39
	v_alignbit_b32 v31, v34, v12, v36
	v_cndmask_b32_e64 v31, v31, v34, s[6:7]
	v_ffbh_u32_e32 v32, v35
	v_alignbit_b32 v29, v29, v31, 30
	v_min_u32_e32 v32, 32, v32
	v_alignbit_b32 v12, v31, v12, 30
	v_xor_b32_e32 v29, v29, v39
	v_sub_u32_e32 v33, 31, v32
	v_xor_b32_e32 v12, v12, v39
	v_alignbit_b32 v34, v35, v29, v33
	v_alignbit_b32 v12, v29, v12, v33
	;; [unrolled: 1-line block ×3, first 2 shown]
	v_ffbh_u32_e32 v31, v29
	v_min_u32_e32 v31, 32, v31
	v_lshrrev_b32_e32 v37, 29, v9
	v_not_b32_e32 v33, v31
	v_alignbit_b32 v12, v29, v12, v33
	v_lshlrev_b32_e32 v29, 31, v37
	v_or_b32_e32 v33, 0x33000000, v29
	v_add_lshl_u32 v31, v31, v32, 23
	v_lshrrev_b32_e32 v12, 9, v12
	v_sub_u32_e32 v31, v33, v31
	v_or_b32_e32 v29, 0.5, v29
	v_lshlrev_b32_e32 v32, 23, v32
	v_or_b32_e32 v12, v31, v12
	v_lshrrev_b32_e32 v31, 9, v34
	v_sub_u32_e32 v29, v29, v32
	v_or_b32_e32 v29, v31, v29
	v_mul_f32_e32 v31, 0x3fc90fda, v29
	v_fma_f32 v32, v29, s49, -v31
	v_fmac_f32_e32 v32, 0x33a22168, v29
	v_fmac_f32_e32 v32, 0x3fc90fda, v12
	v_lshrrev_b32_e32 v9, 30, v9
	v_add_f32_e32 v29, v31, v32
	v_add_u32_e32 v9, v38, v9
	s_andn2_saveexec_b64 s[0:1], s[34:35]
	s_branch .LBB94_57
.LBB94_56:                              ;   in Loop: Header=BB94_7 Depth=1
	s_andn2_saveexec_b64 s[0:1], s[34:35]
.LBB94_57:                              ;   in Loop: Header=BB94_7 Depth=1
	v_mul_f32_e64 v9, |v10|, s50
	v_rndne_f32_e32 v12, v9
	v_cvt_i32_f32_e32 v9, v12
	v_fma_f32 v29, v12, s51, |v10|
	v_fmac_f32_e32 v29, 0xb3a22168, v12
	v_fmac_f32_e32 v29, 0xa7c234c4, v12
; %bb.58:                               ;   in Loop: Header=BB94_7 Depth=1
	s_or_b64 exec, exec, s[0:1]
                                        ; implicit-def: $vgpr12
                                        ; implicit-def: $vgpr31
	s_and_saveexec_b64 s[0:1], s[30:31]
	s_xor_b64 s[30:31], exec, s[0:1]
	s_cbranch_execz .LBB94_60
; %bb.59:                               ;   in Loop: Header=BB94_7 Depth=1
	v_mad_u64_u32 v[31:32], s[0:1], v7, s42, 0
	v_cmp_lt_u32_e32 vcc, 63, v30
	v_mov_b32_e32 v12, v32
	v_mad_u64_u32 v[32:33], s[0:1], v7, s43, v[12:13]
	v_mov_b32_e32 v12, v33
	v_mad_u64_u32 v[33:34], s[0:1], v7, s44, v[12:13]
	;; [unrolled: 2-line block ×3, first 2 shown]
	v_cndmask_b32_e32 v12, 0, v25, vcc
	v_add_u32_e32 v30, v12, v30
	v_mov_b32_e32 v12, v35
	v_mad_u64_u32 v[35:36], s[0:1], v7, s46, v[12:13]
	v_cmp_lt_u32_e64 s[0:1], 31, v30
	v_cndmask_b32_e64 v12, 0, v26, s[0:1]
	v_add_u32_e32 v30, v12, v30
	v_mov_b32_e32 v12, v36
	v_mad_u64_u32 v[36:37], s[2:3], v7, s47, v[12:13]
	v_cmp_lt_u32_e64 s[2:3], 31, v30
	v_cndmask_b32_e64 v12, 0, v26, s[2:3]
	v_add_u32_e32 v30, v12, v30
	v_mov_b32_e32 v12, v37
	v_mad_u64_u32 v[37:38], s[6:7], v7, s48, v[12:13]
	v_cndmask_b32_e32 v7, v35, v33, vcc
	v_cndmask_b32_e32 v12, v36, v34, vcc
	;; [unrolled: 1-line block ×4, first 2 shown]
	v_cndmask_b32_e64 v39, v12, v7, s[0:1]
	v_cndmask_b32_e64 v12, v35, v12, s[0:1]
	;; [unrolled: 1-line block ×3, first 2 shown]
	v_cndmask_b32_e32 v32, v34, v32, vcc
	v_cndmask_b32_e64 v35, v35, v12, s[2:3]
	v_cndmask_b32_e64 v12, v12, v39, s[2:3]
	v_sub_u32_e32 v36, 32, v30
	v_cndmask_b32_e64 v7, v7, v32, s[0:1]
	v_alignbit_b32 v37, v35, v12, v36
	v_cmp_eq_u32_e64 s[6:7], 0, v30
	v_cndmask_b32_e64 v34, v39, v7, s[2:3]
	v_cndmask_b32_e64 v30, v37, v35, s[6:7]
	v_alignbit_b32 v35, v12, v34, v36
	v_cndmask_b32_e32 v31, v33, v31, vcc
	v_cndmask_b32_e64 v12, v35, v12, s[6:7]
	v_bfe_u32 v38, v30, 29, 1
	v_cndmask_b32_e64 v31, v32, v31, s[0:1]
	v_alignbit_b32 v35, v30, v12, 30
	v_sub_u32_e32 v39, 0, v38
	v_cndmask_b32_e64 v7, v7, v31, s[2:3]
	v_xor_b32_e32 v35, v35, v39
	v_alignbit_b32 v31, v34, v7, v36
	v_cndmask_b32_e64 v31, v31, v34, s[6:7]
	v_ffbh_u32_e32 v32, v35
	v_alignbit_b32 v12, v12, v31, 30
	v_min_u32_e32 v32, 32, v32
	v_alignbit_b32 v7, v31, v7, 30
	v_xor_b32_e32 v12, v12, v39
	v_sub_u32_e32 v33, 31, v32
	v_xor_b32_e32 v7, v7, v39
	v_alignbit_b32 v34, v35, v12, v33
	v_alignbit_b32 v7, v12, v7, v33
	;; [unrolled: 1-line block ×3, first 2 shown]
	v_ffbh_u32_e32 v31, v12
	v_min_u32_e32 v31, 32, v31
	v_lshrrev_b32_e32 v37, 29, v30
	v_not_b32_e32 v33, v31
	v_alignbit_b32 v7, v12, v7, v33
	v_lshlrev_b32_e32 v12, 31, v37
	v_or_b32_e32 v33, 0x33000000, v12
	v_add_lshl_u32 v31, v31, v32, 23
	v_lshrrev_b32_e32 v7, 9, v7
	v_sub_u32_e32 v31, v33, v31
	v_or_b32_e32 v12, 0.5, v12
	v_lshlrev_b32_e32 v32, 23, v32
	v_or_b32_e32 v7, v31, v7
	v_lshrrev_b32_e32 v31, 9, v34
	v_sub_u32_e32 v12, v12, v32
	v_or_b32_e32 v12, v31, v12
	v_mul_f32_e32 v31, 0x3fc90fda, v12
	v_fma_f32 v32, v12, s49, -v31
	v_fmac_f32_e32 v32, 0x33a22168, v12
	v_fmac_f32_e32 v32, 0x3fc90fda, v7
	v_lshrrev_b32_e32 v7, 30, v30
	v_add_f32_e32 v31, v31, v32
	v_add_u32_e32 v12, v38, v7
	s_andn2_saveexec_b64 s[0:1], s[30:31]
	s_cbranch_execnz .LBB94_61
	s_branch .LBB94_62
.LBB94_60:                              ;   in Loop: Header=BB94_7 Depth=1
	s_andn2_saveexec_b64 s[0:1], s[30:31]
.LBB94_61:                              ;   in Loop: Header=BB94_7 Depth=1
	v_mul_f32_e64 v7, |v10|, s50
	v_rndne_f32_e32 v7, v7
	v_cvt_i32_f32_e32 v12, v7
	v_fma_f32 v31, v7, s51, |v10|
	v_fmac_f32_e32 v31, 0xb3a22168, v7
	v_fmac_f32_e32 v31, 0xa7c234c4, v7
.LBB94_62:                              ;   in Loop: Header=BB94_7 Depth=1
	s_or_b64 exec, exec, s[0:1]
	v_mul_f32_e32 v7, v29, v29
	v_mov_b32_e32 v30, 0x3c0881c4
	v_fmac_f32_e32 v30, 0xb94c1982, v7
	v_fma_f32 v30, v7, v30, v22
	v_mul_f32_e32 v30, v7, v30
	v_fmac_f32_e32 v29, v29, v30
	v_mov_b32_e32 v30, 0xbab64f3b
	v_fmac_f32_e32 v30, 0x37d75334, v7
	v_fma_f32 v30, v7, v30, v23
	v_fma_f32 v30, v7, v30, v24
	v_fma_f32 v7, v7, v30, 1.0
	v_and_b32_e32 v30, 1, v9
	v_lshlrev_b32_e32 v9, 30, v9
	v_and_b32_e32 v9, 0x80000000, v9
	v_cmp_eq_u32_e32 vcc, 0, v30
	v_xor_b32_e32 v8, v8, v9
	v_mul_f32_e64 v9, |v11|, s56
	v_cndmask_b32_e32 v7, v7, v29, vcc
	v_rndne_f32_e32 v29, v9
	v_sub_f32_e32 v30, v9, v29
	v_fma_f32 v9, |v11|, s56, -v9
	v_fma_f32 v9, |v11|, s57, v9
	v_add_f32_e32 v9, v30, v9
	v_exp_f32_e32 v9, v9
	v_cvt_i32_f32_e32 v29, v29
	v_xor_b32_e32 v7, v8, v7
	v_xor_b32_e32 v7, v7, v10
	v_mov_b32_e32 v10, 0x3c0881c4
	v_ldexp_f32 v8, v9, v29
	v_xor_b32_e32 v9, 0x80000000, v11
	v_bfi_b32 v29, s33, 1.0, v9
	v_mul_f32_e32 v9, v31, v31
	v_fmac_f32_e32 v10, 0xb94c1982, v9
	v_fma_f32 v10, v9, v10, v22
	v_mul_f32_e32 v10, v9, v10
	v_fmac_f32_e32 v31, v31, v10
	v_mov_b32_e32 v10, 0xbab64f3b
	v_fmac_f32_e32 v10, 0x37d75334, v9
	v_fma_f32 v10, v9, v10, v23
	v_cmp_ngt_f32_e64 vcc, |v11|, s58
	v_fma_f32 v10, v9, v10, v24
	v_cndmask_b32_e32 v8, 0, v8, vcc
	v_cmp_nlt_f32_e64 vcc, |v11|, s59
	v_fma_f32 v9, v9, v10, 1.0
	v_and_b32_e32 v10, 1, v12
	v_cndmask_b32_e32 v8, v27, v8, vcc
	v_cmp_eq_u32_e32 vcc, 0, v10
	v_lshlrev_b32_e32 v10, 30, v12
	v_cndmask_b32_e64 v9, -v31, v9, vcc
	v_and_b32_e32 v10, 0x80000000, v10
	v_mul_f32_e32 v7, 4.0, v7
	v_xor_b32_e32 v9, v10, v9
	v_mul_f32_e32 v7, v7, v9
	v_mul_f32_e32 v7, v8, v7
	;; [unrolled: 1-line block ×3, first 2 shown]
.LBB94_63:                              ;   in Loop: Header=BB94_7 Depth=1
	s_or_b64 exec, exec, s[28:29]
                                        ; implicit-def: $vgpr8_vgpr9_vgpr10_vgpr11
.LBB94_64:                              ;   in Loop: Header=BB94_7 Depth=1
	s_andn2_saveexec_b64 s[0:1], s[26:27]
; %bb.65:                               ;   in Loop: Header=BB94_7 Depth=1
	v_sub_f32_e32 v7, v10, v10
	v_mov_b32_e32 v29, v7
; %bb.66:                               ;   in Loop: Header=BB94_7 Depth=1
	s_or_b64 exec, exec, s[0:1]
                                        ; implicit-def: $vgpr8_vgpr9_vgpr10_vgpr11
.LBB94_67:                              ;   in Loop: Header=BB94_7 Depth=1
	s_andn2_saveexec_b64 s[24:25], s[24:25]
	s_cbranch_execz .LBB94_83
; %bb.68:                               ;   in Loop: Header=BB94_7 Depth=1
	v_xor_b32_e32 v29, 0x80000000, v11
	v_and_b32_e32 v7, 0x7fffff, v29
	v_cmp_ne_u32_e32 vcc, 0, v7
	s_and_saveexec_b64 s[0:1], vcc
	s_xor_b64 s[0:1], exec, s[0:1]
; %bb.69:                               ;   in Loop: Header=BB94_7 Depth=1
	v_mul_f32_e64 v7, v10, -v11
	v_cmp_eq_f32_e32 vcc, 0, v10
	v_cndmask_b32_e32 v7, v7, v10, vcc
                                        ; implicit-def: $vgpr8_vgpr9_vgpr10_vgpr11
; %bb.70:                               ;   in Loop: Header=BB94_7 Depth=1
	s_andn2_saveexec_b64 s[26:27], s[0:1]
	s_cbranch_execz .LBB94_82
; %bb.71:                               ;   in Loop: Header=BB94_7 Depth=1
	v_cmp_neq_f32_e64 s[0:1], |v10|, s38
	s_and_saveexec_b64 s[28:29], s[0:1]
	s_cbranch_execz .LBB94_81
; %bb.72:                               ;   in Loop: Header=BB94_7 Depth=1
	v_and_b32_e32 v7, 0x7fffffff, v10
	v_lshrrev_b32_e32 v8, 23, v7
	v_and_b32_e32 v9, 0x7fffff, v7
	v_cmp_nlt_f32_e64 s[30:31], |v10|, s41
	v_add_u32_e32 v30, 0xffffff88, v8
	v_or_b32_e32 v8, 0x800000, v9
                                        ; implicit-def: $vgpr9
                                        ; implicit-def: $vgpr11
	s_and_saveexec_b64 s[0:1], s[30:31]
	s_xor_b64 s[34:35], exec, s[0:1]
	s_cbranch_execz .LBB94_74
; %bb.73:                               ;   in Loop: Header=BB94_7 Depth=1
	v_mad_u64_u32 v[11:12], s[0:1], v8, s42, 0
	v_cmp_lt_u32_e32 vcc, 63, v30
	v_cndmask_b32_e32 v9, 0, v25, vcc
	v_mad_u64_u32 v[31:32], s[0:1], v8, s43, v[12:13]
	v_add_u32_e32 v9, v9, v30
	v_mov_b32_e32 v12, v32
	v_mad_u64_u32 v[32:33], s[0:1], v8, s44, v[12:13]
	v_mov_b32_e32 v12, v33
	v_mad_u64_u32 v[33:34], s[0:1], v8, s45, v[12:13]
	v_cndmask_b32_e32 v11, v32, v11, vcc
	v_mov_b32_e32 v12, v34
	v_mad_u64_u32 v[34:35], s[0:1], v8, s46, v[12:13]
	v_cmp_lt_u32_e64 s[0:1], 31, v9
	v_cndmask_b32_e64 v12, 0, v26, s[0:1]
	v_add_u32_e32 v9, v12, v9
	v_mov_b32_e32 v12, v35
	v_mad_u64_u32 v[35:36], s[2:3], v8, s47, v[12:13]
	v_cmp_lt_u32_e64 s[2:3], 31, v9
	v_cndmask_b32_e64 v12, 0, v26, s[2:3]
	v_add_u32_e32 v9, v12, v9
	v_mov_b32_e32 v12, v36
	v_mad_u64_u32 v[36:37], s[6:7], v8, s48, v[12:13]
	v_cndmask_b32_e32 v12, v34, v32, vcc
	v_cndmask_b32_e32 v38, v35, v33, vcc
	;; [unrolled: 1-line block ×4, first 2 shown]
	v_cndmask_b32_e64 v39, v38, v12, s[0:1]
	v_cndmask_b32_e64 v36, v34, v38, s[0:1]
	;; [unrolled: 1-line block ×3, first 2 shown]
	v_cndmask_b32_e32 v31, v33, v31, vcc
	v_cndmask_b32_e64 v34, v34, v36, s[2:3]
	v_cndmask_b32_e64 v35, v36, v39, s[2:3]
	v_sub_u32_e32 v36, 32, v9
	v_cndmask_b32_e64 v12, v12, v31, s[0:1]
	v_alignbit_b32 v37, v34, v35, v36
	v_cmp_eq_u32_e64 s[6:7], 0, v9
	v_cndmask_b32_e64 v33, v39, v12, s[2:3]
	v_cndmask_b32_e64 v9, v37, v34, s[6:7]
	v_alignbit_b32 v34, v35, v33, v36
	v_cndmask_b32_e64 v34, v34, v35, s[6:7]
	v_bfe_u32 v38, v9, 29, 1
	v_cndmask_b32_e64 v11, v31, v11, s[0:1]
	v_alignbit_b32 v35, v9, v34, 30
	v_sub_u32_e32 v39, 0, v38
	v_cndmask_b32_e64 v11, v12, v11, s[2:3]
	v_xor_b32_e32 v35, v35, v39
	v_alignbit_b32 v12, v33, v11, v36
	v_cndmask_b32_e64 v12, v12, v33, s[6:7]
	v_ffbh_u32_e32 v32, v35
	v_alignbit_b32 v31, v34, v12, 30
	v_min_u32_e32 v32, 32, v32
	v_alignbit_b32 v11, v12, v11, 30
	v_xor_b32_e32 v31, v31, v39
	v_sub_u32_e32 v33, 31, v32
	v_xor_b32_e32 v11, v11, v39
	v_alignbit_b32 v34, v35, v31, v33
	v_alignbit_b32 v11, v31, v11, v33
	;; [unrolled: 1-line block ×3, first 2 shown]
	v_ffbh_u32_e32 v31, v12
	v_min_u32_e32 v31, 32, v31
	v_lshrrev_b32_e32 v37, 29, v9
	v_not_b32_e32 v33, v31
	v_alignbit_b32 v11, v12, v11, v33
	v_lshlrev_b32_e32 v12, 31, v37
	v_or_b32_e32 v33, 0x33000000, v12
	v_add_lshl_u32 v31, v31, v32, 23
	v_lshrrev_b32_e32 v11, 9, v11
	v_sub_u32_e32 v31, v33, v31
	v_or_b32_e32 v12, 0.5, v12
	v_lshlrev_b32_e32 v32, 23, v32
	v_or_b32_e32 v11, v31, v11
	v_lshrrev_b32_e32 v31, 9, v34
	v_sub_u32_e32 v12, v12, v32
	v_or_b32_e32 v12, v31, v12
	v_mul_f32_e32 v31, 0x3fc90fda, v12
	v_fma_f32 v32, v12, s49, -v31
	v_fmac_f32_e32 v32, 0x33a22168, v12
	v_fmac_f32_e32 v32, 0x3fc90fda, v11
	v_lshrrev_b32_e32 v9, 30, v9
	v_add_f32_e32 v11, v31, v32
	v_add_u32_e32 v9, v38, v9
.LBB94_74:                              ;   in Loop: Header=BB94_7 Depth=1
	s_or_saveexec_b64 s[0:1], s[34:35]
	v_mul_f32_e64 v12, |v10|, s50
	v_rndne_f32_e32 v32, v12
	s_xor_b64 exec, exec, s[0:1]
; %bb.75:                               ;   in Loop: Header=BB94_7 Depth=1
	v_cvt_i32_f32_e32 v9, v32
	v_fma_f32 v11, v32, s51, |v10|
	v_fmac_f32_e32 v11, 0xb3a22168, v32
	v_fmac_f32_e32 v11, 0xa7c234c4, v32
; %bb.76:                               ;   in Loop: Header=BB94_7 Depth=1
	s_or_b64 exec, exec, s[0:1]
                                        ; implicit-def: $vgpr12
                                        ; implicit-def: $vgpr31
	s_and_saveexec_b64 s[0:1], s[30:31]
	s_xor_b64 s[30:31], exec, s[0:1]
	s_cbranch_execz .LBB94_78
; %bb.77:                               ;   in Loop: Header=BB94_7 Depth=1
	v_mad_u64_u32 v[31:32], s[0:1], v8, s42, 0
	v_cmp_lt_u32_e32 vcc, 63, v30
	v_mov_b32_e32 v12, v32
	v_mad_u64_u32 v[32:33], s[0:1], v8, s43, v[12:13]
	v_mov_b32_e32 v12, v33
	v_mad_u64_u32 v[33:34], s[0:1], v8, s44, v[12:13]
	;; [unrolled: 2-line block ×3, first 2 shown]
	v_cndmask_b32_e32 v12, 0, v25, vcc
	v_add_u32_e32 v30, v12, v30
	v_mov_b32_e32 v12, v35
	v_mad_u64_u32 v[35:36], s[0:1], v8, s46, v[12:13]
	v_cmp_lt_u32_e64 s[0:1], 31, v30
	v_cndmask_b32_e64 v12, 0, v26, s[0:1]
	v_add_u32_e32 v30, v12, v30
	v_mov_b32_e32 v12, v36
	v_mad_u64_u32 v[36:37], s[2:3], v8, s47, v[12:13]
	v_cmp_lt_u32_e64 s[2:3], 31, v30
	v_cndmask_b32_e64 v12, 0, v26, s[2:3]
	v_add_u32_e32 v30, v12, v30
	v_mov_b32_e32 v12, v37
	v_mad_u64_u32 v[37:38], s[6:7], v8, s48, v[12:13]
	v_cndmask_b32_e32 v8, v35, v33, vcc
	v_cndmask_b32_e32 v12, v36, v34, vcc
	;; [unrolled: 1-line block ×4, first 2 shown]
	v_cndmask_b32_e64 v39, v12, v8, s[0:1]
	v_cndmask_b32_e64 v12, v35, v12, s[0:1]
	;; [unrolled: 1-line block ×3, first 2 shown]
	v_cndmask_b32_e32 v32, v34, v32, vcc
	v_cndmask_b32_e64 v35, v35, v12, s[2:3]
	v_cndmask_b32_e64 v12, v12, v39, s[2:3]
	v_sub_u32_e32 v36, 32, v30
	v_cndmask_b32_e64 v8, v8, v32, s[0:1]
	v_alignbit_b32 v37, v35, v12, v36
	v_cmp_eq_u32_e64 s[6:7], 0, v30
	v_cndmask_b32_e64 v34, v39, v8, s[2:3]
	v_cndmask_b32_e64 v30, v37, v35, s[6:7]
	v_alignbit_b32 v35, v12, v34, v36
	v_cndmask_b32_e32 v31, v33, v31, vcc
	v_cndmask_b32_e64 v12, v35, v12, s[6:7]
	v_bfe_u32 v38, v30, 29, 1
	v_cndmask_b32_e64 v31, v32, v31, s[0:1]
	v_alignbit_b32 v35, v30, v12, 30
	v_sub_u32_e32 v39, 0, v38
	v_cndmask_b32_e64 v8, v8, v31, s[2:3]
	v_xor_b32_e32 v35, v35, v39
	v_alignbit_b32 v31, v34, v8, v36
	v_cndmask_b32_e64 v31, v31, v34, s[6:7]
	v_ffbh_u32_e32 v32, v35
	v_alignbit_b32 v12, v12, v31, 30
	v_min_u32_e32 v32, 32, v32
	v_alignbit_b32 v8, v31, v8, 30
	v_xor_b32_e32 v12, v12, v39
	v_sub_u32_e32 v33, 31, v32
	v_xor_b32_e32 v8, v8, v39
	v_alignbit_b32 v34, v35, v12, v33
	v_alignbit_b32 v8, v12, v8, v33
	;; [unrolled: 1-line block ×3, first 2 shown]
	v_ffbh_u32_e32 v31, v12
	v_min_u32_e32 v31, 32, v31
	v_lshrrev_b32_e32 v37, 29, v30
	v_not_b32_e32 v33, v31
	v_alignbit_b32 v8, v12, v8, v33
	v_lshlrev_b32_e32 v12, 31, v37
	v_or_b32_e32 v33, 0x33000000, v12
	v_add_lshl_u32 v31, v31, v32, 23
	v_lshrrev_b32_e32 v8, 9, v8
	v_sub_u32_e32 v31, v33, v31
	v_or_b32_e32 v12, 0.5, v12
	v_lshlrev_b32_e32 v32, 23, v32
	v_or_b32_e32 v8, v31, v8
	v_lshrrev_b32_e32 v31, 9, v34
	v_sub_u32_e32 v12, v12, v32
	v_or_b32_e32 v12, v31, v12
	v_mul_f32_e32 v31, 0x3fc90fda, v12
	v_fma_f32 v32, v12, s49, -v31
	v_fmac_f32_e32 v32, 0x33a22168, v12
	v_fmac_f32_e32 v32, 0x3fc90fda, v8
	v_lshrrev_b32_e32 v8, 30, v30
	v_add_f32_e32 v31, v31, v32
	v_add_u32_e32 v12, v38, v8
                                        ; implicit-def: $vgpr32
	s_andn2_saveexec_b64 s[0:1], s[30:31]
	s_cbranch_execnz .LBB94_79
	s_branch .LBB94_80
.LBB94_78:                              ;   in Loop: Header=BB94_7 Depth=1
	s_andn2_saveexec_b64 s[0:1], s[30:31]
.LBB94_79:                              ;   in Loop: Header=BB94_7 Depth=1
	v_cvt_i32_f32_e32 v12, v32
	v_fma_f32 v31, v32, s51, |v10|
	v_fmac_f32_e32 v31, 0xb3a22168, v32
	v_fmac_f32_e32 v31, 0xa7c234c4, v32
.LBB94_80:                              ;   in Loop: Header=BB94_7 Depth=1
	s_or_b64 exec, exec, s[0:1]
	v_mul_f32_e32 v8, v11, v11
	v_mov_b32_e32 v30, 0x3c0881c4
	v_fmac_f32_e32 v30, 0xb94c1982, v8
	v_fma_f32 v30, v8, v30, v22
	v_mul_f32_e32 v30, v8, v30
	v_fmac_f32_e32 v11, v11, v30
	v_mov_b32_e32 v30, 0xbab64f3b
	v_fmac_f32_e32 v30, 0x37d75334, v8
	v_fma_f32 v30, v8, v30, v23
	v_fma_f32 v30, v8, v30, v24
	v_fma_f32 v8, v8, v30, 1.0
	v_and_b32_e32 v30, 1, v9
	v_lshlrev_b32_e32 v9, 30, v9
	v_cmp_eq_u32_e32 vcc, 0, v30
	v_and_b32_e32 v9, 0x80000000, v9
	v_cndmask_b32_e32 v8, v8, v11, vcc
	v_xor_b32_e32 v7, v7, v9
	v_xor_b32_e32 v7, v7, v8
	v_mul_f32_e32 v8, v31, v31
	v_mov_b32_e32 v9, 0x3c0881c4
	v_fmac_f32_e32 v9, 0xb94c1982, v8
	v_fma_f32 v9, v8, v9, v22
	v_mul_f32_e32 v9, v8, v9
	v_fmac_f32_e32 v31, v31, v9
	v_mov_b32_e32 v9, 0xbab64f3b
	v_fmac_f32_e32 v9, 0x37d75334, v8
	v_fma_f32 v9, v8, v9, v23
	v_fma_f32 v9, v8, v9, v24
	v_fma_f32 v8, v8, v9, 1.0
	v_and_b32_e32 v9, 1, v12
	v_cmp_eq_u32_e32 vcc, 0, v9
	v_lshlrev_b32_e32 v9, 30, v12
	v_cndmask_b32_e64 v8, -v31, v8, vcc
	v_and_b32_e32 v9, 0x80000000, v9
	v_xor_b32_e32 v7, v7, v10
	v_xor_b32_e32 v8, v9, v8
	v_mul_f32_e32 v7, v7, v8
	v_cmp_class_f32_e64 vcc, v10, s39
	v_cndmask_b32_e32 v10, v28, v7, vcc
.LBB94_81:                              ;   in Loop: Header=BB94_7 Depth=1
	s_or_b64 exec, exec, s[28:29]
	v_add_u32_e32 v29, -2.0, v29
	v_bfi_b32 v7, s33, 0, v10
.LBB94_82:                              ;   in Loop: Header=BB94_7 Depth=1
	s_or_b64 exec, exec, s[26:27]
.LBB94_83:                              ;   in Loop: Header=BB94_7 Depth=1
	s_or_b64 exec, exec, s[24:25]
	s_waitcnt vmcnt(0)
	v_and_b32_e32 v11, 0x7fffffff, v2
	v_cmp_gt_u32_e32 vcc, s38, v11
                                        ; implicit-def: $vgpr9
                                        ; implicit-def: $vgpr8
	s_and_saveexec_b64 s[0:1], vcc
	s_xor_b64 s[24:25], exec, s[0:1]
	s_cbranch_execz .LBB94_105
; %bb.84:                               ;   in Loop: Header=BB94_7 Depth=1
	v_cmp_class_f32_e64 s[0:1], v1, s39
                                        ; implicit-def: $vgpr9
                                        ; implicit-def: $vgpr8
	s_and_saveexec_b64 s[2:3], s[0:1]
	s_xor_b64 s[26:27], exec, s[2:3]
	s_cbranch_execz .LBB94_102
; %bb.85:                               ;   in Loop: Header=BB94_7 Depth=1
	v_and_b32_e32 v10, 0x7fffffff, v1
	v_cmp_gt_u32_e32 vcc, s40, v11
                                        ; implicit-def: $vgpr9
                                        ; implicit-def: $vgpr8
	s_and_saveexec_b64 s[0:1], vcc
	s_xor_b64 s[28:29], exec, s[0:1]
	s_cbranch_execz .LBB94_91
; %bb.86:                               ;   in Loop: Header=BB94_7 Depth=1
	v_cmp_nlt_f32_e64 s[0:1], |v1|, s41
                                        ; implicit-def: $vgpr9
                                        ; implicit-def: $vgpr8
	s_and_saveexec_b64 s[2:3], s[0:1]
	s_xor_b64 s[30:31], exec, s[2:3]
	s_cbranch_execz .LBB94_88
; %bb.87:                               ;   in Loop: Header=BB94_7 Depth=1
	v_and_b32_e32 v8, 0x7fffff, v10
	v_or_b32_e32 v35, 0x800000, v8
	v_mad_u64_u32 v[8:9], s[0:1], v35, s42, 0
	v_mov_b32_e32 v12, v9
	v_mad_u64_u32 v[11:12], s[0:1], v35, s43, v[12:13]
	v_lshrrev_b32_e32 v9, 23, v10
	v_add_u32_e32 v9, 0xffffff88, v9
	v_mad_u64_u32 v[30:31], s[0:1], v35, s44, v[12:13]
	v_cmp_lt_u32_e32 vcc, 63, v9
	v_mov_b32_e32 v12, v31
	v_mad_u64_u32 v[31:32], s[0:1], v35, s45, v[12:13]
	v_cndmask_b32_e32 v8, v30, v8, vcc
	v_mov_b32_e32 v12, v32
	v_mad_u64_u32 v[32:33], s[0:1], v35, s46, v[12:13]
	v_cndmask_b32_e32 v12, 0, v25, vcc
	v_add_u32_e32 v9, v12, v9
	v_mov_b32_e32 v12, v33
	v_mad_u64_u32 v[33:34], s[0:1], v35, s47, v[12:13]
	v_cmp_lt_u32_e64 s[0:1], 31, v9
	v_cndmask_b32_e64 v12, 0, v26, s[0:1]
	v_add_u32_e32 v9, v12, v9
	v_mov_b32_e32 v12, v34
	v_mad_u64_u32 v[34:35], s[2:3], v35, s48, v[12:13]
	v_cmp_lt_u32_e64 s[2:3], 31, v9
	v_cndmask_b32_e64 v12, 0, v26, s[2:3]
	v_add_u32_e32 v9, v12, v9
	v_cndmask_b32_e32 v12, v33, v31, vcc
	v_cndmask_b32_e32 v34, v34, v32, vcc
	;; [unrolled: 1-line block ×4, first 2 shown]
	v_cndmask_b32_e64 v35, v34, v12, s[0:1]
	v_cndmask_b32_e64 v33, v33, v34, s[0:1]
	;; [unrolled: 1-line block ×3, first 2 shown]
	v_cndmask_b32_e32 v11, v31, v11, vcc
	v_cndmask_b32_e64 v33, v33, v35, s[2:3]
	v_cndmask_b32_e64 v34, v35, v12, s[2:3]
	v_sub_u32_e32 v35, 32, v9
	v_cndmask_b32_e64 v31, v32, v11, s[0:1]
	v_alignbit_b32 v36, v33, v34, v35
	v_cmp_eq_u32_e64 s[6:7], 0, v9
	v_cndmask_b32_e64 v12, v12, v31, s[2:3]
	v_cndmask_b32_e64 v9, v36, v33, s[6:7]
	v_alignbit_b32 v32, v34, v12, v35
	v_cndmask_b32_e64 v32, v32, v34, s[6:7]
	v_bfe_u32 v36, v9, 29, 1
	v_cndmask_b32_e64 v8, v11, v8, s[0:1]
	v_alignbit_b32 v33, v9, v32, 30
	v_sub_u32_e32 v37, 0, v36
	v_cndmask_b32_e64 v8, v31, v8, s[2:3]
	v_xor_b32_e32 v33, v33, v37
	v_alignbit_b32 v11, v12, v8, v35
	v_cndmask_b32_e64 v11, v11, v12, s[6:7]
	v_ffbh_u32_e32 v30, v33
	v_alignbit_b32 v12, v32, v11, 30
	v_min_u32_e32 v30, 32, v30
	v_alignbit_b32 v8, v11, v8, 30
	v_xor_b32_e32 v12, v12, v37
	v_sub_u32_e32 v31, 31, v30
	v_xor_b32_e32 v8, v8, v37
	v_alignbit_b32 v32, v33, v12, v31
	v_alignbit_b32 v8, v12, v8, v31
	;; [unrolled: 1-line block ×3, first 2 shown]
	v_ffbh_u32_e32 v12, v11
	v_min_u32_e32 v12, 32, v12
	v_lshrrev_b32_e32 v34, 29, v9
	v_not_b32_e32 v31, v12
	v_alignbit_b32 v8, v11, v8, v31
	v_lshlrev_b32_e32 v11, 31, v34
	v_or_b32_e32 v31, 0x33000000, v11
	v_add_lshl_u32 v12, v12, v30, 23
	v_lshrrev_b32_e32 v8, 9, v8
	v_sub_u32_e32 v12, v31, v12
	v_or_b32_e32 v11, 0.5, v11
	v_lshlrev_b32_e32 v30, 23, v30
	v_or_b32_e32 v8, v12, v8
	v_lshrrev_b32_e32 v12, 9, v32
	v_sub_u32_e32 v11, v11, v30
	v_or_b32_e32 v11, v12, v11
	v_mul_f32_e32 v12, 0x3fc90fda, v11
	v_fma_f32 v30, v11, s49, -v12
	v_fmac_f32_e32 v30, 0x33a22168, v11
	v_fmac_f32_e32 v30, 0x3fc90fda, v8
	v_lshrrev_b32_e32 v9, 30, v9
	v_add_f32_e32 v8, v12, v30
	v_add_u32_e32 v9, v36, v9
.LBB94_88:                              ;   in Loop: Header=BB94_7 Depth=1
	s_andn2_saveexec_b64 s[0:1], s[30:31]
; %bb.89:                               ;   in Loop: Header=BB94_7 Depth=1
	v_mul_f32_e64 v8, |v1|, s50
	v_rndne_f32_e32 v11, v8
	v_cvt_i32_f32_e32 v9, v11
	v_fma_f32 v8, v11, s51, |v1|
	v_fmac_f32_e32 v8, 0xb3a22168, v11
	v_fmac_f32_e32 v8, 0xa7c234c4, v11
; %bb.90:                               ;   in Loop: Header=BB94_7 Depth=1
	s_or_b64 exec, exec, s[0:1]
	v_mul_f32_e32 v11, v8, v8
	v_mov_b32_e32 v12, 0xbf039337
	v_fmac_f32_e32 v12, 0x3c971480, v11
	v_fma_f32 v12, v11, v12, v17
	v_rcp_f32_e32 v12, v12
	v_mov_b32_e32 v30, 0x3ec54587
	v_fmac_f32_e32 v30, 0xbc8cedd3, v11
	v_and_b32_e32 v9, 1, v9
	v_mul_f32_e32 v12, v30, v12
	v_mul_f32_e32 v11, v11, v12
	v_fma_f32 v12, v11, v8, v8
	v_rcp_f32_e32 v30, v12
	v_sub_f32_e32 v31, v12, v8
	v_fma_f32 v8, v11, v8, -v31
	v_cmp_eq_u32_e32 vcc, 0, v9
	v_fma_f32 v11, v12, -v30, 1.0
	v_fma_f32 v8, v8, -v30, v11
	v_add_f32_e64 v9, |v2|, s52
	v_fma_f32 v8, v8, -v30, -v30
	v_sub_f32_e64 v11, v9, |v2|
	v_cndmask_b32_e32 v8, v8, v12, vcc
	v_sub_f32_e32 v12, v11, v9
	v_add_f32_e64 v12, |v2|, v12
	v_add_f32_e32 v11, 0x3f317218, v11
	v_sub_f32_e32 v11, v12, v11
	v_add_f32_e32 v11, 0x3102e308, v11
	v_add_f32_e32 v12, v9, v11
	v_sub_f32_e32 v9, v9, v12
	v_add_f32_e32 v9, v11, v9
	v_mul_f32_e32 v11, 0x3fb8aa3b, v12
	v_rndne_f32_e32 v11, v11
	v_fmac_f32_e32 v12, 0xbf317200, v11
	v_add_f32_e32 v30, v9, v12
	v_sub_f32_e32 v12, v12, v30
	v_add_f32_e32 v9, v9, v12
	v_mul_f32_e32 v12, 0x35bfbc00, v11
	v_sub_f32_e32 v31, v30, v12
	v_sub_f32_e32 v30, v30, v31
	;; [unrolled: 1-line block ×3, first 2 shown]
	v_add_f32_e32 v9, v9, v12
	v_add_f32_e32 v12, v31, v9
	v_sub_f32_e32 v30, v31, v12
	v_add_f32_e32 v9, v9, v30
	v_mul_f32_e32 v30, 0x2ea39ef3, v11
	v_sub_f32_e32 v31, v12, v30
	v_sub_f32_e32 v12, v12, v31
	;; [unrolled: 1-line block ×3, first 2 shown]
	v_add_f32_e32 v9, v9, v12
	v_add_f32_e32 v12, v31, v9
	v_sub_f32_e32 v31, v31, v12
	v_mov_b32_e32 v30, 0x3c091de6
	v_add_f32_e32 v9, v9, v31
	v_mul_f32_e32 v32, v12, v12
	v_fmac_f32_e32 v30, 0x3ab42872, v12
	v_add_f32_e32 v31, v9, v9
	v_fma_f32 v33, v12, v12, -v32
	v_fma_f32 v30, v12, v30, v18
	v_fmac_f32_e32 v33, v12, v31
	v_fma_f32 v30, v12, v30, v19
	v_add_f32_e32 v31, v32, v33
	v_fma_f32 v30, v12, v30, v20
	v_sub_f32_e32 v32, v31, v32
	v_sub_f32_e32 v32, v33, v32
	v_mul_f32_e32 v33, v30, v31
	v_fma_f32 v31, v31, v30, -v33
	v_fmac_f32_e32 v31, v32, v30
	v_add_f32_e32 v30, v33, v31
	v_sub_f32_e32 v32, v30, v33
	v_sub_f32_e32 v31, v31, v32
	v_add_f32_e32 v32, v12, v30
	v_sub_f32_e32 v12, v32, v12
	v_sub_f32_e32 v12, v30, v12
	v_add_f32_e32 v9, v9, v31
	v_add_f32_e32 v9, v9, v12
	;; [unrolled: 1-line block ×3, first 2 shown]
	v_sub_f32_e32 v30, v12, v32
	v_sub_f32_e32 v9, v9, v30
	v_add_f32_e32 v30, 1.0, v12
	v_add_f32_e32 v31, -1.0, v30
	v_cvt_i32_f32_e32 v11, v11
	v_sub_f32_e32 v12, v12, v31
	v_add_f32_e32 v9, v9, v12
	v_add_f32_e32 v12, v30, v9
	v_ldexp_f32 v31, v12, v11
	v_rcp_f32_e32 v32, v31
	v_sub_f32_e32 v12, v12, v30
	v_sub_f32_e32 v9, v9, v12
	v_ldexp_f32 v9, v9, v11
	v_mul_f32_e32 v11, v31, v32
	v_fma_f32 v12, v32, v31, -v11
	v_fmac_f32_e32 v12, v32, v9
	v_add_f32_e32 v30, v11, v12
	v_sub_f32_e32 v33, 1.0, v30
	v_sub_f32_e32 v34, 1.0, v33
	v_sub_f32_e32 v11, v30, v11
	v_sub_f32_e32 v34, v34, v30
	;; [unrolled: 1-line block ×3, first 2 shown]
	v_add_f32_e32 v11, v11, v34
	v_add_f32_e32 v12, v33, v11
	v_mul_f32_e32 v30, v32, v12
	v_mul_f32_e32 v34, v31, v30
	v_fma_f32 v35, v30, v31, -v34
	v_fmac_f32_e32 v35, v30, v9
	v_sub_f32_e32 v33, v33, v12
	v_add_f32_e32 v11, v11, v33
	v_add_f32_e32 v33, v34, v35
	v_sub_f32_e32 v36, v12, v33
	v_sub_f32_e32 v12, v12, v36
	;; [unrolled: 1-line block ×4, first 2 shown]
	v_add_f32_e32 v11, v11, v12
	v_sub_f32_e32 v12, v34, v35
	v_add_f32_e32 v11, v12, v11
	v_add_f32_e32 v11, v36, v11
	;; [unrolled: 1-line block ×3, first 2 shown]
	v_mul_f32_e32 v11, v32, v11
	v_sub_f32_e32 v32, v12, v32
	v_sub_f32_e32 v30, v30, v32
	v_add_f32_e32 v11, v30, v11
	v_add_f32_e32 v30, v12, v11
	v_sub_f32_e32 v12, v30, v12
	v_sub_f32_e32 v11, v11, v12
	v_ldexp_f32 v12, v30, -2
	v_sub_f32_e32 v30, v31, v12
	v_sub_f32_e32 v31, v31, v30
	;; [unrolled: 1-line block ×3, first 2 shown]
	v_ldexp_f32 v11, v11, -2
	v_add_f32_e32 v9, v9, v12
	v_sub_f32_e32 v9, v9, v11
	v_add_f32_e32 v9, v30, v9
	v_cmp_ngt_f32_e64 vcc, |v2|, s53
	v_cndmask_b32_e32 v9, v27, v9, vcc
	v_cmp_lt_f32_e64 s[0:1], |v2|, s54
	v_cndmask_b32_e64 v9, v9, |v2|, s[0:1]
	v_xor_b32_e32 v11, 0x80000000, v2
	v_bfi_b32 v9, s33, v9, v11
	v_fma_f32 v11, v9, v9, 1.0
	v_mul_f32_e32 v12, 0x4f800000, v11
	v_cmp_gt_f32_e32 vcc, s55, v11
	v_cndmask_b32_e32 v11, v11, v12, vcc
	v_sqrt_f32_e32 v12, v11
	v_xor_b32_e32 v8, v10, v8
	v_xor_b32_e32 v10, v8, v1
	v_fma_f32 v8, v10, v10, 1.0
	v_add_u32_e32 v30, -1, v12
	v_fma_f32 v31, -v30, v12, v11
	v_cmp_ge_f32_e64 s[0:1], 0, v31
	v_add_u32_e32 v31, 1, v12
	v_cndmask_b32_e64 v30, v12, v30, s[0:1]
	v_fma_f32 v12, -v31, v12, v11
	v_cmp_lt_f32_e64 s[0:1], 0, v12
	v_cndmask_b32_e64 v12, v30, v31, s[0:1]
	v_mul_f32_e32 v30, 0x37800000, v12
	v_cndmask_b32_e32 v12, v12, v30, vcc
	v_cmp_class_f32_e32 vcc, v11, v21
	v_cndmask_b32_e32 v11, v12, v11, vcc
	v_mul_f32_e32 v12, v9, v8
	v_mul_f32_e32 v8, v11, v8
	v_fma_f32 v12, v9, v12, 1.0
	v_mul_f32_e32 v8, v9, v8
	v_div_scale_f32 v9, s[0:1], v12, v12, v8
	v_div_scale_f32 v11, vcc, v8, v12, v8
	v_div_scale_f32 v30, s[0:1], v12, v12, v10
	v_div_scale_f32 v31, s[0:1], v10, v12, v10
	v_rcp_f32_e32 v32, v9
	v_fma_f32 v33, -v9, v32, 1.0
	v_fmac_f32_e32 v32, v33, v32
	v_mul_f32_e32 v33, v11, v32
	v_fma_f32 v34, -v9, v33, v11
	v_fmac_f32_e32 v33, v34, v32
	v_rcp_f32_e32 v34, v30
	v_fma_f32 v9, -v9, v33, v11
	v_div_fmas_f32 v9, v9, v32, v33
	s_mov_b64 vcc, s[0:1]
	v_fma_f32 v11, -v30, v34, 1.0
	v_fmac_f32_e32 v34, v11, v34
	v_mul_f32_e32 v11, v31, v34
	v_fma_f32 v32, -v30, v11, v31
	v_fmac_f32_e32 v11, v32, v34
	v_fma_f32 v30, -v30, v11, v31
	v_div_fmas_f32 v11, v30, v34, v11
	v_div_fixup_f32 v8, v9, v12, v8
	v_div_fixup_f32 v9, v11, v12, v10
                                        ; implicit-def: $vgpr10
.LBB94_91:                              ;   in Loop: Header=BB94_7 Depth=1
	s_andn2_saveexec_b64 s[28:29], s[28:29]
	s_cbranch_execz .LBB94_101
; %bb.92:                               ;   in Loop: Header=BB94_7 Depth=1
	v_lshrrev_b32_e32 v8, 23, v10
	v_and_b32_e32 v9, 0x7fffff, v10
	v_cmp_nlt_f32_e64 s[30:31], |v1|, s41
	v_add_u32_e32 v30, 0xffffff88, v8
	v_or_b32_e32 v8, 0x800000, v9
                                        ; implicit-def: $vgpr9
                                        ; implicit-def: $vgpr11
	s_and_saveexec_b64 s[0:1], s[30:31]
	s_xor_b64 s[34:35], exec, s[0:1]
	s_cbranch_execz .LBB94_94
; %bb.93:                               ;   in Loop: Header=BB94_7 Depth=1
	v_mad_u64_u32 v[11:12], s[0:1], v8, s42, 0
	v_cmp_lt_u32_e32 vcc, 63, v30
	v_cndmask_b32_e32 v9, 0, v25, vcc
	v_mad_u64_u32 v[31:32], s[0:1], v8, s43, v[12:13]
	v_add_u32_e32 v9, v9, v30
	v_mov_b32_e32 v12, v32
	v_mad_u64_u32 v[32:33], s[0:1], v8, s44, v[12:13]
	v_mov_b32_e32 v12, v33
	v_mad_u64_u32 v[33:34], s[0:1], v8, s45, v[12:13]
	v_cndmask_b32_e32 v11, v32, v11, vcc
	v_mov_b32_e32 v12, v34
	v_mad_u64_u32 v[34:35], s[0:1], v8, s46, v[12:13]
	v_cmp_lt_u32_e64 s[0:1], 31, v9
	v_cndmask_b32_e64 v12, 0, v26, s[0:1]
	v_add_u32_e32 v9, v12, v9
	v_mov_b32_e32 v12, v35
	v_mad_u64_u32 v[35:36], s[2:3], v8, s47, v[12:13]
	v_cmp_lt_u32_e64 s[2:3], 31, v9
	v_cndmask_b32_e64 v12, 0, v26, s[2:3]
	v_add_u32_e32 v9, v12, v9
	v_mov_b32_e32 v12, v36
	v_mad_u64_u32 v[36:37], s[6:7], v8, s48, v[12:13]
	v_cndmask_b32_e32 v12, v34, v32, vcc
	v_cndmask_b32_e32 v38, v35, v33, vcc
	;; [unrolled: 1-line block ×4, first 2 shown]
	v_cndmask_b32_e64 v39, v38, v12, s[0:1]
	v_cndmask_b32_e64 v36, v34, v38, s[0:1]
	;; [unrolled: 1-line block ×3, first 2 shown]
	v_cndmask_b32_e32 v31, v33, v31, vcc
	v_cndmask_b32_e64 v34, v34, v36, s[2:3]
	v_cndmask_b32_e64 v35, v36, v39, s[2:3]
	v_sub_u32_e32 v36, 32, v9
	v_cndmask_b32_e64 v12, v12, v31, s[0:1]
	v_alignbit_b32 v37, v34, v35, v36
	v_cmp_eq_u32_e64 s[6:7], 0, v9
	v_cndmask_b32_e64 v33, v39, v12, s[2:3]
	v_cndmask_b32_e64 v9, v37, v34, s[6:7]
	v_alignbit_b32 v34, v35, v33, v36
	v_cndmask_b32_e64 v34, v34, v35, s[6:7]
	v_bfe_u32 v38, v9, 29, 1
	v_cndmask_b32_e64 v11, v31, v11, s[0:1]
	v_alignbit_b32 v35, v9, v34, 30
	v_sub_u32_e32 v39, 0, v38
	v_cndmask_b32_e64 v11, v12, v11, s[2:3]
	v_xor_b32_e32 v35, v35, v39
	v_alignbit_b32 v12, v33, v11, v36
	v_cndmask_b32_e64 v12, v12, v33, s[6:7]
	v_ffbh_u32_e32 v32, v35
	v_alignbit_b32 v31, v34, v12, 30
	v_min_u32_e32 v32, 32, v32
	v_alignbit_b32 v11, v12, v11, 30
	v_xor_b32_e32 v31, v31, v39
	v_sub_u32_e32 v33, 31, v32
	v_xor_b32_e32 v11, v11, v39
	v_alignbit_b32 v34, v35, v31, v33
	v_alignbit_b32 v11, v31, v11, v33
	;; [unrolled: 1-line block ×3, first 2 shown]
	v_ffbh_u32_e32 v31, v12
	v_min_u32_e32 v31, 32, v31
	v_lshrrev_b32_e32 v37, 29, v9
	v_not_b32_e32 v33, v31
	v_alignbit_b32 v11, v12, v11, v33
	v_lshlrev_b32_e32 v12, 31, v37
	v_or_b32_e32 v33, 0x33000000, v12
	v_add_lshl_u32 v31, v31, v32, 23
	v_lshrrev_b32_e32 v11, 9, v11
	v_sub_u32_e32 v31, v33, v31
	v_or_b32_e32 v12, 0.5, v12
	v_lshlrev_b32_e32 v32, 23, v32
	v_or_b32_e32 v11, v31, v11
	v_lshrrev_b32_e32 v31, 9, v34
	v_sub_u32_e32 v12, v12, v32
	v_or_b32_e32 v12, v31, v12
	v_mul_f32_e32 v31, 0x3fc90fda, v12
	v_fma_f32 v32, v12, s49, -v31
	v_fmac_f32_e32 v32, 0x33a22168, v12
	v_fmac_f32_e32 v32, 0x3fc90fda, v11
	v_lshrrev_b32_e32 v9, 30, v9
	v_add_f32_e32 v11, v31, v32
	v_add_u32_e32 v9, v38, v9
	s_andn2_saveexec_b64 s[0:1], s[34:35]
	s_branch .LBB94_95
.LBB94_94:                              ;   in Loop: Header=BB94_7 Depth=1
	s_andn2_saveexec_b64 s[0:1], s[34:35]
.LBB94_95:                              ;   in Loop: Header=BB94_7 Depth=1
	v_mul_f32_e64 v9, |v1|, s50
	v_rndne_f32_e32 v12, v9
	v_cvt_i32_f32_e32 v9, v12
	v_fma_f32 v11, v12, s51, |v1|
	v_fmac_f32_e32 v11, 0xb3a22168, v12
	v_fmac_f32_e32 v11, 0xa7c234c4, v12
; %bb.96:                               ;   in Loop: Header=BB94_7 Depth=1
	s_or_b64 exec, exec, s[0:1]
                                        ; implicit-def: $vgpr12
                                        ; implicit-def: $vgpr31
	s_and_saveexec_b64 s[0:1], s[30:31]
	s_xor_b64 s[30:31], exec, s[0:1]
	s_cbranch_execz .LBB94_98
; %bb.97:                               ;   in Loop: Header=BB94_7 Depth=1
	v_mad_u64_u32 v[31:32], s[0:1], v8, s42, 0
	v_cmp_lt_u32_e32 vcc, 63, v30
	v_mov_b32_e32 v12, v32
	v_mad_u64_u32 v[32:33], s[0:1], v8, s43, v[12:13]
	v_mov_b32_e32 v12, v33
	v_mad_u64_u32 v[33:34], s[0:1], v8, s44, v[12:13]
	;; [unrolled: 2-line block ×3, first 2 shown]
	v_cndmask_b32_e32 v12, 0, v25, vcc
	v_add_u32_e32 v30, v12, v30
	v_mov_b32_e32 v12, v35
	v_mad_u64_u32 v[35:36], s[0:1], v8, s46, v[12:13]
	v_cmp_lt_u32_e64 s[0:1], 31, v30
	v_cndmask_b32_e64 v12, 0, v26, s[0:1]
	v_add_u32_e32 v30, v12, v30
	v_mov_b32_e32 v12, v36
	v_mad_u64_u32 v[36:37], s[2:3], v8, s47, v[12:13]
	v_cmp_lt_u32_e64 s[2:3], 31, v30
	v_cndmask_b32_e64 v12, 0, v26, s[2:3]
	v_add_u32_e32 v30, v12, v30
	v_mov_b32_e32 v12, v37
	v_mad_u64_u32 v[37:38], s[6:7], v8, s48, v[12:13]
	v_cndmask_b32_e32 v8, v35, v33, vcc
	v_cndmask_b32_e32 v12, v36, v34, vcc
	;; [unrolled: 1-line block ×4, first 2 shown]
	v_cndmask_b32_e64 v39, v12, v8, s[0:1]
	v_cndmask_b32_e64 v12, v35, v12, s[0:1]
	;; [unrolled: 1-line block ×3, first 2 shown]
	v_cndmask_b32_e32 v32, v34, v32, vcc
	v_cndmask_b32_e64 v35, v35, v12, s[2:3]
	v_cndmask_b32_e64 v12, v12, v39, s[2:3]
	v_sub_u32_e32 v36, 32, v30
	v_cndmask_b32_e64 v8, v8, v32, s[0:1]
	v_alignbit_b32 v37, v35, v12, v36
	v_cmp_eq_u32_e64 s[6:7], 0, v30
	v_cndmask_b32_e64 v34, v39, v8, s[2:3]
	v_cndmask_b32_e64 v30, v37, v35, s[6:7]
	v_alignbit_b32 v35, v12, v34, v36
	v_cndmask_b32_e32 v31, v33, v31, vcc
	v_cndmask_b32_e64 v12, v35, v12, s[6:7]
	v_bfe_u32 v38, v30, 29, 1
	v_cndmask_b32_e64 v31, v32, v31, s[0:1]
	v_alignbit_b32 v35, v30, v12, 30
	v_sub_u32_e32 v39, 0, v38
	v_cndmask_b32_e64 v8, v8, v31, s[2:3]
	v_xor_b32_e32 v35, v35, v39
	v_alignbit_b32 v31, v34, v8, v36
	v_cndmask_b32_e64 v31, v31, v34, s[6:7]
	v_ffbh_u32_e32 v32, v35
	v_alignbit_b32 v12, v12, v31, 30
	v_min_u32_e32 v32, 32, v32
	v_alignbit_b32 v8, v31, v8, 30
	v_xor_b32_e32 v12, v12, v39
	v_sub_u32_e32 v33, 31, v32
	v_xor_b32_e32 v8, v8, v39
	v_alignbit_b32 v34, v35, v12, v33
	v_alignbit_b32 v8, v12, v8, v33
	;; [unrolled: 1-line block ×3, first 2 shown]
	v_ffbh_u32_e32 v31, v12
	v_min_u32_e32 v31, 32, v31
	v_lshrrev_b32_e32 v37, 29, v30
	v_not_b32_e32 v33, v31
	v_alignbit_b32 v8, v12, v8, v33
	v_lshlrev_b32_e32 v12, 31, v37
	v_or_b32_e32 v33, 0x33000000, v12
	v_add_lshl_u32 v31, v31, v32, 23
	v_lshrrev_b32_e32 v8, 9, v8
	v_sub_u32_e32 v31, v33, v31
	v_or_b32_e32 v12, 0.5, v12
	v_lshlrev_b32_e32 v32, 23, v32
	v_or_b32_e32 v8, v31, v8
	v_lshrrev_b32_e32 v31, 9, v34
	v_sub_u32_e32 v12, v12, v32
	v_or_b32_e32 v12, v31, v12
	v_mul_f32_e32 v31, 0x3fc90fda, v12
	v_fma_f32 v32, v12, s49, -v31
	v_fmac_f32_e32 v32, 0x33a22168, v12
	v_fmac_f32_e32 v32, 0x3fc90fda, v8
	v_lshrrev_b32_e32 v8, 30, v30
	v_add_f32_e32 v31, v31, v32
	v_add_u32_e32 v12, v38, v8
	s_andn2_saveexec_b64 s[0:1], s[30:31]
	s_cbranch_execnz .LBB94_99
	s_branch .LBB94_100
.LBB94_98:                              ;   in Loop: Header=BB94_7 Depth=1
	s_andn2_saveexec_b64 s[0:1], s[30:31]
.LBB94_99:                              ;   in Loop: Header=BB94_7 Depth=1
	v_mul_f32_e64 v8, |v1|, s50
	v_rndne_f32_e32 v8, v8
	v_cvt_i32_f32_e32 v12, v8
	v_fma_f32 v31, v8, s51, |v1|
	v_fmac_f32_e32 v31, 0xb3a22168, v8
	v_fmac_f32_e32 v31, 0xa7c234c4, v8
.LBB94_100:                             ;   in Loop: Header=BB94_7 Depth=1
	s_or_b64 exec, exec, s[0:1]
	v_mul_f32_e32 v8, v11, v11
	v_mov_b32_e32 v30, 0x3c0881c4
	v_fmac_f32_e32 v30, 0xb94c1982, v8
	v_fma_f32 v30, v8, v30, v22
	v_mul_f32_e32 v30, v8, v30
	v_fmac_f32_e32 v11, v11, v30
	v_mov_b32_e32 v30, 0xbab64f3b
	v_fmac_f32_e32 v30, 0x37d75334, v8
	v_fma_f32 v30, v8, v30, v23
	v_fma_f32 v30, v8, v30, v24
	v_fma_f32 v8, v8, v30, 1.0
	v_and_b32_e32 v30, 1, v9
	v_lshlrev_b32_e32 v9, 30, v9
	v_and_b32_e32 v9, 0x80000000, v9
	v_cmp_eq_u32_e32 vcc, 0, v30
	v_xor_b32_e32 v9, v10, v9
	v_mul_f32_e64 v10, |v2|, s56
	v_cndmask_b32_e32 v8, v8, v11, vcc
	v_rndne_f32_e32 v11, v10
	v_sub_f32_e32 v30, v10, v11
	v_fma_f32 v10, |v2|, s56, -v10
	v_fma_f32 v10, |v2|, s57, v10
	v_add_f32_e32 v10, v30, v10
	v_exp_f32_e32 v10, v10
	v_cvt_i32_f32_e32 v11, v11
	v_xor_b32_e32 v8, v9, v8
	v_xor_b32_e32 v8, v8, v1
	v_mul_f32_e32 v9, 4.0, v8
	v_ldexp_f32 v8, v10, v11
	v_mul_f32_e32 v11, v31, v31
	v_mov_b32_e32 v30, 0x3c0881c4
	v_fmac_f32_e32 v30, 0xb94c1982, v11
	v_fma_f32 v30, v11, v30, v22
	v_mul_f32_e32 v30, v11, v30
	v_fmac_f32_e32 v31, v31, v30
	v_mov_b32_e32 v30, 0xbab64f3b
	v_fmac_f32_e32 v30, 0x37d75334, v11
	v_fma_f32 v30, v11, v30, v23
	v_cmp_ngt_f32_e64 vcc, |v2|, s58
	v_fma_f32 v30, v11, v30, v24
	v_cndmask_b32_e32 v8, 0, v8, vcc
	v_cmp_nlt_f32_e64 vcc, |v2|, s59
	v_fma_f32 v11, v11, v30, 1.0
	v_and_b32_e32 v30, 1, v12
	v_cndmask_b32_e32 v10, v27, v8, vcc
	v_cmp_eq_u32_e32 vcc, 0, v30
	v_lshlrev_b32_e32 v12, 30, v12
	v_cndmask_b32_e64 v11, -v31, v11, vcc
	v_and_b32_e32 v12, 0x80000000, v12
	v_xor_b32_e32 v11, v12, v11
	v_mul_f32_e32 v9, v9, v11
	v_xor_b32_e32 v8, 0x80000000, v2
	v_mul_f32_e32 v9, v10, v9
	v_bfi_b32 v8, s33, 1.0, v8
	v_mul_f32_e32 v9, v10, v9
.LBB94_101:                             ;   in Loop: Header=BB94_7 Depth=1
	s_or_b64 exec, exec, s[28:29]
.LBB94_102:                             ;   in Loop: Header=BB94_7 Depth=1
	s_andn2_saveexec_b64 s[0:1], s[26:27]
; %bb.103:                              ;   in Loop: Header=BB94_7 Depth=1
	v_sub_f32_e32 v9, v1, v1
	v_mov_b32_e32 v8, v9
; %bb.104:                              ;   in Loop: Header=BB94_7 Depth=1
	s_or_b64 exec, exec, s[0:1]
.LBB94_105:                             ;   in Loop: Header=BB94_7 Depth=1
	s_andn2_saveexec_b64 s[24:25], s[24:25]
	s_cbranch_execz .LBB94_121
; %bb.106:                              ;   in Loop: Header=BB94_7 Depth=1
	v_xor_b32_e32 v8, 0x80000000, v2
	v_and_b32_e32 v9, 0x7fffff, v8
	v_cmp_ne_u32_e32 vcc, 0, v9
                                        ; implicit-def: $vgpr9
	s_and_saveexec_b64 s[0:1], vcc
	s_xor_b64 s[0:1], exec, s[0:1]
; %bb.107:                              ;   in Loop: Header=BB94_7 Depth=1
	v_mul_f32_e64 v2, v1, -v2
	v_cmp_eq_f32_e32 vcc, 0, v1
	v_cndmask_b32_e32 v9, v2, v1, vcc
; %bb.108:                              ;   in Loop: Header=BB94_7 Depth=1
	s_andn2_saveexec_b64 s[26:27], s[0:1]
	s_cbranch_execz .LBB94_120
; %bb.109:                              ;   in Loop: Header=BB94_7 Depth=1
	v_cmp_neq_f32_e64 s[0:1], |v1|, s38
	s_and_saveexec_b64 s[28:29], s[0:1]
	s_cbranch_execz .LBB94_119
; %bb.110:                              ;   in Loop: Header=BB94_7 Depth=1
	v_and_b32_e32 v2, 0x7fffffff, v1
	v_lshrrev_b32_e32 v9, 23, v2
	v_and_b32_e32 v10, 0x7fffff, v2
	v_cmp_nlt_f32_e64 s[30:31], |v1|, s41
	v_add_u32_e32 v30, 0xffffff88, v9
	v_or_b32_e32 v9, 0x800000, v10
                                        ; implicit-def: $vgpr10
                                        ; implicit-def: $vgpr11
	s_and_saveexec_b64 s[0:1], s[30:31]
	s_xor_b64 s[34:35], exec, s[0:1]
	s_cbranch_execz .LBB94_112
; %bb.111:                              ;   in Loop: Header=BB94_7 Depth=1
	v_mad_u64_u32 v[10:11], s[0:1], v9, s42, 0
	v_cmp_lt_u32_e32 vcc, 63, v30
	v_mov_b32_e32 v12, v11
	v_mad_u64_u32 v[11:12], s[0:1], v9, s43, v[12:13]
	v_mad_u64_u32 v[31:32], s[0:1], v9, s44, v[12:13]
	v_mov_b32_e32 v12, v32
	v_mad_u64_u32 v[32:33], s[0:1], v9, s45, v[12:13]
	v_cndmask_b32_e32 v12, 0, v25, vcc
	v_add_u32_e32 v35, v12, v30
	v_mov_b32_e32 v12, v33
	v_mad_u64_u32 v[33:34], s[0:1], v9, s46, v[12:13]
	v_cmp_lt_u32_e64 s[0:1], 31, v35
	v_cndmask_b32_e64 v12, 0, v26, s[0:1]
	v_add_u32_e32 v36, v12, v35
	v_mov_b32_e32 v12, v34
	v_mad_u64_u32 v[34:35], s[2:3], v9, s47, v[12:13]
	v_cmp_lt_u32_e64 s[2:3], 31, v36
	v_cndmask_b32_e64 v12, 0, v26, s[2:3]
	v_add_u32_e32 v37, v12, v36
	v_mov_b32_e32 v12, v35
	v_mad_u64_u32 v[35:36], s[6:7], v9, s48, v[12:13]
	v_cndmask_b32_e32 v12, v33, v31, vcc
	v_cndmask_b32_e32 v38, v34, v32, vcc
	;; [unrolled: 1-line block ×4, first 2 shown]
	v_cndmask_b32_e64 v39, v38, v12, s[0:1]
	v_cndmask_b32_e64 v35, v33, v38, s[0:1]
	;; [unrolled: 1-line block ×3, first 2 shown]
	v_cndmask_b32_e32 v11, v32, v11, vcc
	v_cndmask_b32_e64 v33, v33, v35, s[2:3]
	v_cndmask_b32_e64 v34, v35, v39, s[2:3]
	v_sub_u32_e32 v35, 32, v37
	v_cndmask_b32_e64 v12, v12, v11, s[0:1]
	v_alignbit_b32 v36, v33, v34, v35
	v_cmp_eq_u32_e64 s[6:7], 0, v37
	v_cndmask_b32_e64 v32, v39, v12, s[2:3]
	v_cndmask_b32_e64 v33, v36, v33, s[6:7]
	v_alignbit_b32 v36, v34, v32, v35
	v_cndmask_b32_e32 v10, v31, v10, vcc
	v_cndmask_b32_e64 v34, v36, v34, s[6:7]
	v_bfe_u32 v38, v33, 29, 1
	v_cndmask_b32_e64 v10, v11, v10, s[0:1]
	v_alignbit_b32 v36, v33, v34, 30
	v_sub_u32_e32 v39, 0, v38
	v_cndmask_b32_e64 v10, v12, v10, s[2:3]
	v_xor_b32_e32 v36, v36, v39
	v_alignbit_b32 v11, v32, v10, v35
	v_cndmask_b32_e64 v11, v11, v32, s[6:7]
	v_ffbh_u32_e32 v31, v36
	v_alignbit_b32 v12, v34, v11, 30
	v_min_u32_e32 v31, 32, v31
	v_alignbit_b32 v10, v11, v10, 30
	v_xor_b32_e32 v12, v12, v39
	v_sub_u32_e32 v32, 31, v31
	v_xor_b32_e32 v10, v10, v39
	v_alignbit_b32 v34, v36, v12, v32
	v_alignbit_b32 v10, v12, v10, v32
	;; [unrolled: 1-line block ×3, first 2 shown]
	v_ffbh_u32_e32 v12, v11
	v_min_u32_e32 v12, 32, v12
	v_lshrrev_b32_e32 v37, 29, v33
	v_not_b32_e32 v32, v12
	v_alignbit_b32 v10, v11, v10, v32
	v_lshlrev_b32_e32 v11, 31, v37
	v_or_b32_e32 v32, 0x33000000, v11
	v_add_lshl_u32 v12, v12, v31, 23
	v_lshrrev_b32_e32 v10, 9, v10
	v_sub_u32_e32 v12, v32, v12
	v_or_b32_e32 v11, 0.5, v11
	v_lshlrev_b32_e32 v31, 23, v31
	v_or_b32_e32 v10, v12, v10
	v_lshrrev_b32_e32 v12, 9, v34
	v_sub_u32_e32 v11, v11, v31
	v_or_b32_e32 v11, v12, v11
	v_mul_f32_e32 v12, 0x3fc90fda, v11
	v_fma_f32 v31, v11, s49, -v12
	v_fmac_f32_e32 v31, 0x33a22168, v11
	v_fmac_f32_e32 v31, 0x3fc90fda, v10
	v_lshrrev_b32_e32 v10, 30, v33
	v_add_f32_e32 v11, v12, v31
	v_add_u32_e32 v10, v38, v10
.LBB94_112:                             ;   in Loop: Header=BB94_7 Depth=1
	s_or_saveexec_b64 s[0:1], s[34:35]
	v_mul_f32_e64 v12, |v1|, s50
	v_rndne_f32_e32 v32, v12
	s_xor_b64 exec, exec, s[0:1]
; %bb.113:                              ;   in Loop: Header=BB94_7 Depth=1
	v_cvt_i32_f32_e32 v10, v32
	v_fma_f32 v11, v32, s51, |v1|
	v_fmac_f32_e32 v11, 0xb3a22168, v32
	v_fmac_f32_e32 v11, 0xa7c234c4, v32
; %bb.114:                              ;   in Loop: Header=BB94_7 Depth=1
	s_or_b64 exec, exec, s[0:1]
                                        ; implicit-def: $vgpr12
                                        ; implicit-def: $vgpr31
	s_and_saveexec_b64 s[0:1], s[30:31]
	s_xor_b64 s[30:31], exec, s[0:1]
	s_cbranch_execz .LBB94_116
; %bb.115:                              ;   in Loop: Header=BB94_7 Depth=1
	v_mad_u64_u32 v[31:32], s[0:1], v9, s42, 0
	v_cmp_lt_u32_e32 vcc, 63, v30
	v_mov_b32_e32 v12, v32
	v_mad_u64_u32 v[32:33], s[0:1], v9, s43, v[12:13]
	v_mov_b32_e32 v12, v33
	v_mad_u64_u32 v[33:34], s[0:1], v9, s44, v[12:13]
	;; [unrolled: 2-line block ×3, first 2 shown]
	v_cndmask_b32_e32 v12, 0, v25, vcc
	v_add_u32_e32 v30, v12, v30
	v_mov_b32_e32 v12, v35
	v_mad_u64_u32 v[35:36], s[0:1], v9, s46, v[12:13]
	v_cmp_lt_u32_e64 s[0:1], 31, v30
	v_cndmask_b32_e64 v12, 0, v26, s[0:1]
	v_add_u32_e32 v30, v12, v30
	v_mov_b32_e32 v12, v36
	v_mad_u64_u32 v[36:37], s[2:3], v9, s47, v[12:13]
	v_cmp_lt_u32_e64 s[2:3], 31, v30
	v_cndmask_b32_e64 v12, 0, v26, s[2:3]
	v_add_u32_e32 v30, v12, v30
	v_mov_b32_e32 v12, v37
	v_mad_u64_u32 v[37:38], s[6:7], v9, s48, v[12:13]
	v_cndmask_b32_e32 v9, v35, v33, vcc
	v_cndmask_b32_e32 v12, v36, v34, vcc
	;; [unrolled: 1-line block ×4, first 2 shown]
	v_cndmask_b32_e64 v39, v12, v9, s[0:1]
	v_cndmask_b32_e64 v12, v35, v12, s[0:1]
	;; [unrolled: 1-line block ×3, first 2 shown]
	v_cndmask_b32_e32 v32, v34, v32, vcc
	v_cndmask_b32_e64 v35, v35, v12, s[2:3]
	v_cndmask_b32_e64 v12, v12, v39, s[2:3]
	v_sub_u32_e32 v36, 32, v30
	v_cndmask_b32_e64 v9, v9, v32, s[0:1]
	v_alignbit_b32 v37, v35, v12, v36
	v_cmp_eq_u32_e64 s[6:7], 0, v30
	v_cndmask_b32_e64 v34, v39, v9, s[2:3]
	v_cndmask_b32_e64 v30, v37, v35, s[6:7]
	v_alignbit_b32 v35, v12, v34, v36
	v_cndmask_b32_e32 v31, v33, v31, vcc
	v_cndmask_b32_e64 v12, v35, v12, s[6:7]
	v_bfe_u32 v38, v30, 29, 1
	v_cndmask_b32_e64 v31, v32, v31, s[0:1]
	v_alignbit_b32 v35, v30, v12, 30
	v_sub_u32_e32 v39, 0, v38
	v_cndmask_b32_e64 v9, v9, v31, s[2:3]
	v_xor_b32_e32 v35, v35, v39
	v_alignbit_b32 v31, v34, v9, v36
	v_cndmask_b32_e64 v31, v31, v34, s[6:7]
	v_ffbh_u32_e32 v32, v35
	v_alignbit_b32 v12, v12, v31, 30
	v_min_u32_e32 v32, 32, v32
	v_alignbit_b32 v9, v31, v9, 30
	v_xor_b32_e32 v12, v12, v39
	v_sub_u32_e32 v33, 31, v32
	v_xor_b32_e32 v9, v9, v39
	v_alignbit_b32 v34, v35, v12, v33
	v_alignbit_b32 v9, v12, v9, v33
	;; [unrolled: 1-line block ×3, first 2 shown]
	v_ffbh_u32_e32 v31, v12
	v_min_u32_e32 v31, 32, v31
	v_lshrrev_b32_e32 v37, 29, v30
	v_not_b32_e32 v33, v31
	v_alignbit_b32 v9, v12, v9, v33
	v_lshlrev_b32_e32 v12, 31, v37
	v_or_b32_e32 v33, 0x33000000, v12
	v_add_lshl_u32 v31, v31, v32, 23
	v_lshrrev_b32_e32 v9, 9, v9
	v_sub_u32_e32 v31, v33, v31
	v_or_b32_e32 v12, 0.5, v12
	v_lshlrev_b32_e32 v32, 23, v32
	v_or_b32_e32 v9, v31, v9
	v_lshrrev_b32_e32 v31, 9, v34
	v_sub_u32_e32 v12, v12, v32
	v_or_b32_e32 v12, v31, v12
	v_mul_f32_e32 v31, 0x3fc90fda, v12
	v_fma_f32 v32, v12, s49, -v31
	v_fmac_f32_e32 v32, 0x33a22168, v12
	v_fmac_f32_e32 v32, 0x3fc90fda, v9
	v_lshrrev_b32_e32 v9, 30, v30
	v_add_f32_e32 v31, v31, v32
	v_add_u32_e32 v12, v38, v9
                                        ; implicit-def: $vgpr32
	s_andn2_saveexec_b64 s[0:1], s[30:31]
	s_cbranch_execnz .LBB94_117
	s_branch .LBB94_118
.LBB94_116:                             ;   in Loop: Header=BB94_7 Depth=1
	s_andn2_saveexec_b64 s[0:1], s[30:31]
.LBB94_117:                             ;   in Loop: Header=BB94_7 Depth=1
	v_cvt_i32_f32_e32 v12, v32
	v_fma_f32 v31, v32, s51, |v1|
	v_fmac_f32_e32 v31, 0xb3a22168, v32
	v_fmac_f32_e32 v31, 0xa7c234c4, v32
.LBB94_118:                             ;   in Loop: Header=BB94_7 Depth=1
	s_or_b64 exec, exec, s[0:1]
	v_mul_f32_e32 v9, v11, v11
	v_mov_b32_e32 v30, 0x3c0881c4
	v_fmac_f32_e32 v30, 0xb94c1982, v9
	v_fma_f32 v30, v9, v30, v22
	v_mul_f32_e32 v30, v9, v30
	v_fmac_f32_e32 v11, v11, v30
	v_mov_b32_e32 v30, 0xbab64f3b
	v_fmac_f32_e32 v30, 0x37d75334, v9
	v_fma_f32 v30, v9, v30, v23
	v_fma_f32 v30, v9, v30, v24
	v_fma_f32 v9, v9, v30, 1.0
	v_and_b32_e32 v30, 1, v10
	v_lshlrev_b32_e32 v10, 30, v10
	v_cmp_eq_u32_e32 vcc, 0, v30
	v_and_b32_e32 v10, 0x80000000, v10
	v_cndmask_b32_e32 v9, v9, v11, vcc
	v_xor_b32_e32 v2, v2, v10
	v_xor_b32_e32 v2, v2, v9
	v_mul_f32_e32 v9, v31, v31
	v_mov_b32_e32 v10, 0x3c0881c4
	v_fmac_f32_e32 v10, 0xb94c1982, v9
	v_fma_f32 v10, v9, v10, v22
	v_mul_f32_e32 v10, v9, v10
	v_fmac_f32_e32 v31, v31, v10
	v_mov_b32_e32 v10, 0xbab64f3b
	v_fmac_f32_e32 v10, 0x37d75334, v9
	v_fma_f32 v10, v9, v10, v23
	v_fma_f32 v10, v9, v10, v24
	v_fma_f32 v9, v9, v10, 1.0
	v_and_b32_e32 v10, 1, v12
	v_cmp_eq_u32_e32 vcc, 0, v10
	v_lshlrev_b32_e32 v10, 30, v12
	v_cndmask_b32_e64 v9, -v31, v9, vcc
	v_and_b32_e32 v10, 0x80000000, v10
	v_xor_b32_e32 v2, v2, v1
	v_xor_b32_e32 v9, v10, v9
	v_mul_f32_e32 v2, v2, v9
	v_cmp_class_f32_e64 vcc, v1, s39
	v_cndmask_b32_e32 v1, v28, v2, vcc
.LBB94_119:                             ;   in Loop: Header=BB94_7 Depth=1
	s_or_b64 exec, exec, s[28:29]
	v_add_u32_e32 v8, -2.0, v8
	v_bfi_b32 v9, s33, 0, v1
.LBB94_120:                             ;   in Loop: Header=BB94_7 Depth=1
	s_or_b64 exec, exec, s[26:27]
.LBB94_121:                             ;   in Loop: Header=BB94_7 Depth=1
	s_or_b64 exec, exec, s[24:25]
	v_and_b32_e32 v2, 0x7fffffff, v4
	v_cmp_gt_u32_e32 vcc, s38, v2
                                        ; implicit-def: $vgpr30
	s_and_saveexec_b64 s[0:1], vcc
	s_xor_b64 s[24:25], exec, s[0:1]
	s_cbranch_execz .LBB94_143
; %bb.122:                              ;   in Loop: Header=BB94_7 Depth=1
	v_cmp_class_f32_e64 s[0:1], v3, s39
                                        ; implicit-def: $vgpr30
	s_and_saveexec_b64 s[2:3], s[0:1]
	s_xor_b64 s[26:27], exec, s[2:3]
	s_cbranch_execz .LBB94_140
; %bb.123:                              ;   in Loop: Header=BB94_7 Depth=1
	v_and_b32_e32 v1, 0x7fffffff, v3
	v_cmp_gt_u32_e32 vcc, s40, v2
                                        ; implicit-def: $vgpr30
	s_and_saveexec_b64 s[0:1], vcc
	s_xor_b64 s[28:29], exec, s[0:1]
	s_cbranch_execz .LBB94_129
; %bb.124:                              ;   in Loop: Header=BB94_7 Depth=1
	v_cmp_nlt_f32_e64 s[0:1], |v3|, s41
                                        ; implicit-def: $vgpr10
                                        ; implicit-def: $vgpr2
	s_and_saveexec_b64 s[2:3], s[0:1]
	s_xor_b64 s[30:31], exec, s[2:3]
	s_cbranch_execz .LBB94_126
; %bb.125:                              ;   in Loop: Header=BB94_7 Depth=1
	v_and_b32_e32 v2, 0x7fffff, v1
	v_or_b32_e32 v2, 0x800000, v2
	v_mad_u64_u32 v[10:11], s[0:1], v2, s42, 0
	v_mov_b32_e32 v12, v11
	v_mad_u64_u32 v[11:12], s[0:1], v2, s43, v[12:13]
	v_mad_u64_u32 v[30:31], s[0:1], v2, s44, v[12:13]
	v_mov_b32_e32 v12, v31
	v_mad_u64_u32 v[31:32], s[0:1], v2, s45, v[12:13]
	v_lshrrev_b32_e32 v12, 23, v1
	v_add_u32_e32 v34, 0xffffff88, v12
	v_mov_b32_e32 v12, v32
	v_mad_u64_u32 v[32:33], s[0:1], v2, s46, v[12:13]
	v_cmp_lt_u32_e32 vcc, 63, v34
	v_cndmask_b32_e32 v12, 0, v25, vcc
	v_add_u32_e32 v35, v12, v34
	v_mov_b32_e32 v12, v33
	v_mad_u64_u32 v[33:34], s[0:1], v2, s47, v[12:13]
	v_cmp_lt_u32_e64 s[0:1], 31, v35
	v_cndmask_b32_e64 v12, 0, v26, s[0:1]
	v_add_u32_e32 v36, v12, v35
	v_mov_b32_e32 v12, v34
	v_mad_u64_u32 v[34:35], s[2:3], v2, s48, v[12:13]
	v_cmp_lt_u32_e64 s[2:3], 31, v36
	v_cndmask_b32_e64 v2, 0, v26, s[2:3]
	v_cndmask_b32_e32 v12, v33, v31, vcc
	v_cndmask_b32_e32 v34, v34, v32, vcc
	;; [unrolled: 1-line block ×4, first 2 shown]
	v_add_u32_e32 v2, v2, v36
	v_cndmask_b32_e64 v35, v34, v12, s[0:1]
	v_cndmask_b32_e64 v33, v33, v34, s[0:1]
	;; [unrolled: 1-line block ×5, first 2 shown]
	v_sub_u32_e32 v35, 32, v2
	v_cmp_eq_u32_e64 s[6:7], 0, v2
	v_cndmask_b32_e32 v2, v31, v11, vcc
	v_cndmask_b32_e64 v11, v32, v2, s[0:1]
	v_alignbit_b32 v36, v33, v34, v35
	v_cndmask_b32_e64 v12, v12, v11, s[2:3]
	v_cndmask_b32_e64 v33, v36, v33, s[6:7]
	v_alignbit_b32 v31, v34, v12, v35
	v_cndmask_b32_e32 v10, v30, v10, vcc
	v_cndmask_b32_e64 v31, v31, v34, s[6:7]
	v_bfe_u32 v36, v33, 29, 1
	v_cndmask_b32_e64 v2, v2, v10, s[0:1]
	v_alignbit_b32 v32, v33, v31, 30
	v_sub_u32_e32 v37, 0, v36
	v_cndmask_b32_e64 v2, v11, v2, s[2:3]
	v_xor_b32_e32 v32, v32, v37
	v_alignbit_b32 v10, v12, v2, v35
	v_cndmask_b32_e64 v10, v10, v12, s[6:7]
	v_ffbh_u32_e32 v12, v32
	v_alignbit_b32 v11, v31, v10, 30
	v_min_u32_e32 v12, 32, v12
	v_alignbit_b32 v2, v10, v2, 30
	v_xor_b32_e32 v11, v11, v37
	v_sub_u32_e32 v30, 31, v12
	v_xor_b32_e32 v2, v2, v37
	v_alignbit_b32 v31, v32, v11, v30
	v_alignbit_b32 v2, v11, v2, v30
	;; [unrolled: 1-line block ×3, first 2 shown]
	v_ffbh_u32_e32 v11, v10
	v_min_u32_e32 v11, 32, v11
	v_lshrrev_b32_e32 v34, 29, v33
	v_not_b32_e32 v30, v11
	v_alignbit_b32 v2, v10, v2, v30
	v_lshlrev_b32_e32 v10, 31, v34
	v_or_b32_e32 v30, 0x33000000, v10
	v_add_lshl_u32 v11, v11, v12, 23
	v_lshrrev_b32_e32 v2, 9, v2
	v_sub_u32_e32 v11, v30, v11
	v_or_b32_e32 v10, 0.5, v10
	v_lshlrev_b32_e32 v12, 23, v12
	v_or_b32_e32 v2, v11, v2
	v_lshrrev_b32_e32 v11, 9, v31
	v_sub_u32_e32 v10, v10, v12
	v_or_b32_e32 v10, v11, v10
	v_mul_f32_e32 v11, 0x3fc90fda, v10
	v_fma_f32 v12, v10, s49, -v11
	v_fmac_f32_e32 v12, 0x33a22168, v10
	v_fmac_f32_e32 v12, 0x3fc90fda, v2
	v_lshrrev_b32_e32 v10, 30, v33
	v_add_f32_e32 v2, v11, v12
	v_add_u32_e32 v10, v36, v10
.LBB94_126:                             ;   in Loop: Header=BB94_7 Depth=1
	s_andn2_saveexec_b64 s[0:1], s[30:31]
; %bb.127:                              ;   in Loop: Header=BB94_7 Depth=1
	v_mul_f32_e64 v2, |v3|, s50
	v_rndne_f32_e32 v11, v2
	v_cvt_i32_f32_e32 v10, v11
	v_fma_f32 v2, v11, s51, |v3|
	v_fmac_f32_e32 v2, 0xb3a22168, v11
	v_fmac_f32_e32 v2, 0xa7c234c4, v11
; %bb.128:                              ;   in Loop: Header=BB94_7 Depth=1
	s_or_b64 exec, exec, s[0:1]
	v_mul_f32_e32 v11, v2, v2
	v_mov_b32_e32 v12, 0xbf039337
	v_fmac_f32_e32 v12, 0x3c971480, v11
	v_fma_f32 v12, v11, v12, v17
	v_rcp_f32_e32 v12, v12
	v_mov_b32_e32 v30, 0x3ec54587
	v_fmac_f32_e32 v30, 0xbc8cedd3, v11
	v_and_b32_e32 v10, 1, v10
	v_mul_f32_e32 v12, v30, v12
	v_mul_f32_e32 v11, v11, v12
	v_fma_f32 v12, v11, v2, v2
	v_rcp_f32_e32 v30, v12
	v_sub_f32_e32 v31, v12, v2
	v_fma_f32 v2, v11, v2, -v31
	v_cmp_eq_u32_e32 vcc, 0, v10
	v_fma_f32 v11, v12, -v30, 1.0
	v_fma_f32 v2, v2, -v30, v11
	v_add_f32_e64 v10, |v4|, s52
	v_fma_f32 v2, v2, -v30, -v30
	v_sub_f32_e64 v11, v10, |v4|
	v_cndmask_b32_e32 v2, v2, v12, vcc
	v_sub_f32_e32 v12, v11, v10
	v_add_f32_e64 v12, |v4|, v12
	v_add_f32_e32 v11, 0x3f317218, v11
	v_sub_f32_e32 v11, v12, v11
	v_add_f32_e32 v11, 0x3102e308, v11
	v_add_f32_e32 v12, v10, v11
	v_sub_f32_e32 v10, v10, v12
	v_add_f32_e32 v10, v11, v10
	v_mul_f32_e32 v11, 0x3fb8aa3b, v12
	v_rndne_f32_e32 v11, v11
	v_fmac_f32_e32 v12, 0xbf317200, v11
	v_add_f32_e32 v30, v10, v12
	v_sub_f32_e32 v12, v12, v30
	v_add_f32_e32 v10, v10, v12
	v_mul_f32_e32 v12, 0x35bfbc00, v11
	v_sub_f32_e32 v31, v30, v12
	v_sub_f32_e32 v30, v30, v31
	;; [unrolled: 1-line block ×3, first 2 shown]
	v_add_f32_e32 v10, v10, v12
	v_add_f32_e32 v12, v31, v10
	v_sub_f32_e32 v30, v31, v12
	v_add_f32_e32 v10, v10, v30
	v_mul_f32_e32 v30, 0x2ea39ef3, v11
	v_sub_f32_e32 v31, v12, v30
	v_sub_f32_e32 v12, v12, v31
	;; [unrolled: 1-line block ×3, first 2 shown]
	v_add_f32_e32 v10, v10, v12
	v_add_f32_e32 v12, v31, v10
	v_sub_f32_e32 v31, v31, v12
	v_mov_b32_e32 v30, 0x3c091de6
	v_add_f32_e32 v10, v10, v31
	v_mul_f32_e32 v32, v12, v12
	v_fmac_f32_e32 v30, 0x3ab42872, v12
	v_add_f32_e32 v31, v10, v10
	v_fma_f32 v33, v12, v12, -v32
	v_fma_f32 v30, v12, v30, v18
	v_fmac_f32_e32 v33, v12, v31
	v_fma_f32 v30, v12, v30, v19
	v_add_f32_e32 v31, v32, v33
	v_fma_f32 v30, v12, v30, v20
	v_sub_f32_e32 v32, v31, v32
	v_sub_f32_e32 v32, v33, v32
	v_mul_f32_e32 v33, v30, v31
	v_fma_f32 v31, v31, v30, -v33
	v_fmac_f32_e32 v31, v32, v30
	v_add_f32_e32 v30, v33, v31
	v_sub_f32_e32 v32, v30, v33
	v_sub_f32_e32 v31, v31, v32
	v_add_f32_e32 v32, v12, v30
	v_sub_f32_e32 v12, v32, v12
	v_sub_f32_e32 v12, v30, v12
	v_add_f32_e32 v10, v10, v31
	v_add_f32_e32 v10, v10, v12
	;; [unrolled: 1-line block ×3, first 2 shown]
	v_sub_f32_e32 v30, v12, v32
	v_sub_f32_e32 v10, v10, v30
	v_add_f32_e32 v30, 1.0, v12
	v_add_f32_e32 v31, -1.0, v30
	v_cvt_i32_f32_e32 v11, v11
	v_sub_f32_e32 v12, v12, v31
	v_add_f32_e32 v10, v10, v12
	v_add_f32_e32 v12, v30, v10
	v_ldexp_f32 v31, v12, v11
	v_rcp_f32_e32 v32, v31
	v_sub_f32_e32 v12, v12, v30
	v_sub_f32_e32 v10, v10, v12
	v_ldexp_f32 v10, v10, v11
	v_mul_f32_e32 v11, v31, v32
	v_fma_f32 v12, v32, v31, -v11
	v_fmac_f32_e32 v12, v32, v10
	v_add_f32_e32 v30, v11, v12
	v_sub_f32_e32 v33, 1.0, v30
	v_sub_f32_e32 v34, 1.0, v33
	v_sub_f32_e32 v11, v30, v11
	v_sub_f32_e32 v34, v34, v30
	;; [unrolled: 1-line block ×3, first 2 shown]
	v_add_f32_e32 v11, v11, v34
	v_add_f32_e32 v12, v33, v11
	v_mul_f32_e32 v30, v32, v12
	v_mul_f32_e32 v34, v31, v30
	v_fma_f32 v35, v30, v31, -v34
	v_fmac_f32_e32 v35, v30, v10
	v_sub_f32_e32 v33, v33, v12
	v_add_f32_e32 v11, v11, v33
	v_add_f32_e32 v33, v34, v35
	v_sub_f32_e32 v36, v12, v33
	v_sub_f32_e32 v12, v12, v36
	;; [unrolled: 1-line block ×4, first 2 shown]
	v_add_f32_e32 v11, v11, v12
	v_sub_f32_e32 v12, v34, v35
	v_add_f32_e32 v11, v12, v11
	v_add_f32_e32 v11, v36, v11
	;; [unrolled: 1-line block ×3, first 2 shown]
	v_mul_f32_e32 v11, v32, v11
	v_sub_f32_e32 v32, v12, v32
	v_sub_f32_e32 v30, v30, v32
	v_add_f32_e32 v11, v30, v11
	v_add_f32_e32 v30, v12, v11
	v_sub_f32_e32 v12, v30, v12
	v_sub_f32_e32 v11, v11, v12
	v_ldexp_f32 v12, v30, -2
	v_sub_f32_e32 v30, v31, v12
	v_sub_f32_e32 v31, v31, v30
	;; [unrolled: 1-line block ×3, first 2 shown]
	v_ldexp_f32 v11, v11, -2
	v_add_f32_e32 v10, v10, v12
	v_sub_f32_e32 v10, v10, v11
	v_add_f32_e32 v10, v30, v10
	v_cmp_ngt_f32_e64 vcc, |v4|, s53
	v_cndmask_b32_e32 v10, v27, v10, vcc
	v_cmp_lt_f32_e64 s[0:1], |v4|, s54
	v_cndmask_b32_e64 v10, v10, |v4|, s[0:1]
	v_xor_b32_e32 v4, 0x80000000, v4
	v_bfi_b32 v4, s33, v10, v4
	v_fma_f32 v10, v4, v4, 1.0
	v_mul_f32_e32 v11, 0x4f800000, v10
	v_cmp_gt_f32_e32 vcc, s55, v10
	v_cndmask_b32_e32 v10, v10, v11, vcc
	v_sqrt_f32_e32 v11, v10
	v_xor_b32_e32 v1, v1, v2
	v_xor_b32_e32 v1, v1, v3
	v_fma_f32 v2, v1, v1, 1.0
	v_add_u32_e32 v3, -1, v11
	v_fma_f32 v12, -v3, v11, v10
	v_cmp_ge_f32_e64 s[0:1], 0, v12
	v_add_u32_e32 v12, 1, v11
	v_cndmask_b32_e64 v3, v11, v3, s[0:1]
	v_fma_f32 v11, -v12, v11, v10
	v_cmp_lt_f32_e64 s[0:1], 0, v11
	v_cndmask_b32_e64 v3, v3, v12, s[0:1]
	v_mul_f32_e32 v11, 0x37800000, v3
	v_cndmask_b32_e32 v3, v3, v11, vcc
	v_cmp_class_f32_e32 vcc, v10, v21
	v_cndmask_b32_e32 v3, v3, v10, vcc
	v_mul_f32_e32 v10, v4, v2
	v_mul_f32_e32 v2, v3, v2
	v_fma_f32 v10, v4, v10, 1.0
	v_mul_f32_e32 v2, v4, v2
	v_div_scale_f32 v3, s[0:1], v10, v10, v2
	v_div_scale_f32 v4, vcc, v2, v10, v2
	v_div_scale_f32 v11, s[0:1], v10, v10, v1
	v_div_scale_f32 v12, s[0:1], v1, v10, v1
	v_rcp_f32_e32 v30, v3
	v_fma_f32 v31, -v3, v30, 1.0
	v_fmac_f32_e32 v30, v31, v30
	v_mul_f32_e32 v31, v4, v30
	v_fma_f32 v32, -v3, v31, v4
	v_fmac_f32_e32 v31, v32, v30
	v_rcp_f32_e32 v32, v11
	v_fma_f32 v3, -v3, v31, v4
	v_div_fmas_f32 v3, v3, v30, v31
	s_mov_b64 vcc, s[0:1]
	v_fma_f32 v4, -v11, v32, 1.0
	v_fmac_f32_e32 v32, v4, v32
	v_mul_f32_e32 v4, v12, v32
	v_fma_f32 v30, -v11, v4, v12
	v_fmac_f32_e32 v4, v30, v32
	v_fma_f32 v11, -v11, v4, v12
	v_div_fmas_f32 v4, v11, v32, v4
	v_div_fixup_f32 v30, v3, v10, v2
	v_div_fixup_f32 v11, v4, v10, v1
                                        ; implicit-def: $vgpr1_vgpr2_vgpr3_vgpr4
                                        ; implicit-def: $vgpr1
.LBB94_129:                             ;   in Loop: Header=BB94_7 Depth=1
	s_andn2_saveexec_b64 s[28:29], s[28:29]
	s_cbranch_execz .LBB94_139
; %bb.130:                              ;   in Loop: Header=BB94_7 Depth=1
	v_lshrrev_b32_e32 v2, 23, v1
	v_and_b32_e32 v10, 0x7fffff, v1
	v_cmp_nlt_f32_e64 s[30:31], |v3|, s41
	v_add_u32_e32 v30, 0xffffff88, v2
	v_or_b32_e32 v2, 0x800000, v10
                                        ; implicit-def: $vgpr10
                                        ; implicit-def: $vgpr11
	s_and_saveexec_b64 s[0:1], s[30:31]
	s_xor_b64 s[34:35], exec, s[0:1]
	s_cbranch_execz .LBB94_132
; %bb.131:                              ;   in Loop: Header=BB94_7 Depth=1
	v_mad_u64_u32 v[10:11], s[0:1], v2, s42, 0
	v_cmp_lt_u32_e32 vcc, 63, v30
	v_mov_b32_e32 v12, v11
	v_mad_u64_u32 v[11:12], s[0:1], v2, s43, v[12:13]
	v_mad_u64_u32 v[31:32], s[0:1], v2, s44, v[12:13]
	v_mov_b32_e32 v12, v32
	v_mad_u64_u32 v[32:33], s[0:1], v2, s45, v[12:13]
	v_cndmask_b32_e32 v12, 0, v25, vcc
	v_add_u32_e32 v35, v12, v30
	v_mov_b32_e32 v12, v33
	v_mad_u64_u32 v[33:34], s[0:1], v2, s46, v[12:13]
	v_cmp_lt_u32_e64 s[0:1], 31, v35
	v_cndmask_b32_e64 v12, 0, v26, s[0:1]
	v_add_u32_e32 v36, v12, v35
	v_mov_b32_e32 v12, v34
	v_mad_u64_u32 v[34:35], s[2:3], v2, s47, v[12:13]
	v_cmp_lt_u32_e64 s[2:3], 31, v36
	v_cndmask_b32_e64 v12, 0, v26, s[2:3]
	v_add_u32_e32 v37, v12, v36
	v_mov_b32_e32 v12, v35
	v_mad_u64_u32 v[35:36], s[6:7], v2, s48, v[12:13]
	v_cndmask_b32_e32 v12, v33, v31, vcc
	v_cndmask_b32_e32 v38, v34, v32, vcc
	;; [unrolled: 1-line block ×4, first 2 shown]
	v_cndmask_b32_e64 v39, v38, v12, s[0:1]
	v_cndmask_b32_e64 v35, v33, v38, s[0:1]
	;; [unrolled: 1-line block ×3, first 2 shown]
	v_cndmask_b32_e32 v11, v32, v11, vcc
	v_cndmask_b32_e64 v33, v33, v35, s[2:3]
	v_cndmask_b32_e64 v34, v35, v39, s[2:3]
	v_sub_u32_e32 v35, 32, v37
	v_cndmask_b32_e64 v12, v12, v11, s[0:1]
	v_alignbit_b32 v36, v33, v34, v35
	v_cmp_eq_u32_e64 s[6:7], 0, v37
	v_cndmask_b32_e64 v32, v39, v12, s[2:3]
	v_cndmask_b32_e64 v33, v36, v33, s[6:7]
	v_alignbit_b32 v36, v34, v32, v35
	v_cndmask_b32_e32 v10, v31, v10, vcc
	v_cndmask_b32_e64 v34, v36, v34, s[6:7]
	v_bfe_u32 v38, v33, 29, 1
	v_cndmask_b32_e64 v10, v11, v10, s[0:1]
	v_alignbit_b32 v36, v33, v34, 30
	v_sub_u32_e32 v39, 0, v38
	v_cndmask_b32_e64 v10, v12, v10, s[2:3]
	v_xor_b32_e32 v36, v36, v39
	v_alignbit_b32 v11, v32, v10, v35
	v_cndmask_b32_e64 v11, v11, v32, s[6:7]
	v_ffbh_u32_e32 v31, v36
	v_alignbit_b32 v12, v34, v11, 30
	v_min_u32_e32 v31, 32, v31
	v_alignbit_b32 v10, v11, v10, 30
	v_xor_b32_e32 v12, v12, v39
	v_sub_u32_e32 v32, 31, v31
	v_xor_b32_e32 v10, v10, v39
	v_alignbit_b32 v34, v36, v12, v32
	v_alignbit_b32 v10, v12, v10, v32
	;; [unrolled: 1-line block ×3, first 2 shown]
	v_ffbh_u32_e32 v12, v11
	v_min_u32_e32 v12, 32, v12
	v_lshrrev_b32_e32 v37, 29, v33
	v_not_b32_e32 v32, v12
	v_alignbit_b32 v10, v11, v10, v32
	v_lshlrev_b32_e32 v11, 31, v37
	v_or_b32_e32 v32, 0x33000000, v11
	v_add_lshl_u32 v12, v12, v31, 23
	v_lshrrev_b32_e32 v10, 9, v10
	v_sub_u32_e32 v12, v32, v12
	v_or_b32_e32 v11, 0.5, v11
	v_lshlrev_b32_e32 v31, 23, v31
	v_or_b32_e32 v10, v12, v10
	v_lshrrev_b32_e32 v12, 9, v34
	v_sub_u32_e32 v11, v11, v31
	v_or_b32_e32 v11, v12, v11
	v_mul_f32_e32 v12, 0x3fc90fda, v11
	v_fma_f32 v31, v11, s49, -v12
	v_fmac_f32_e32 v31, 0x33a22168, v11
	v_fmac_f32_e32 v31, 0x3fc90fda, v10
	v_lshrrev_b32_e32 v10, 30, v33
	v_add_f32_e32 v11, v12, v31
	v_add_u32_e32 v10, v38, v10
	s_andn2_saveexec_b64 s[0:1], s[34:35]
	s_branch .LBB94_133
.LBB94_132:                             ;   in Loop: Header=BB94_7 Depth=1
	s_andn2_saveexec_b64 s[0:1], s[34:35]
.LBB94_133:                             ;   in Loop: Header=BB94_7 Depth=1
	v_mul_f32_e64 v10, |v3|, s50
	v_rndne_f32_e32 v12, v10
	v_cvt_i32_f32_e32 v10, v12
	v_fma_f32 v11, v12, s51, |v3|
	v_fmac_f32_e32 v11, 0xb3a22168, v12
	v_fmac_f32_e32 v11, 0xa7c234c4, v12
; %bb.134:                              ;   in Loop: Header=BB94_7 Depth=1
	s_or_b64 exec, exec, s[0:1]
                                        ; implicit-def: $vgpr12
                                        ; implicit-def: $vgpr31
	s_and_saveexec_b64 s[0:1], s[30:31]
	s_xor_b64 s[30:31], exec, s[0:1]
	s_cbranch_execz .LBB94_136
; %bb.135:                              ;   in Loop: Header=BB94_7 Depth=1
	v_mad_u64_u32 v[31:32], s[0:1], v2, s42, 0
	v_cmp_lt_u32_e32 vcc, 63, v30
	v_mov_b32_e32 v12, v32
	v_mad_u64_u32 v[32:33], s[0:1], v2, s43, v[12:13]
	v_mov_b32_e32 v12, v33
	v_mad_u64_u32 v[33:34], s[0:1], v2, s44, v[12:13]
	;; [unrolled: 2-line block ×3, first 2 shown]
	v_cndmask_b32_e32 v12, 0, v25, vcc
	v_add_u32_e32 v30, v12, v30
	v_mov_b32_e32 v12, v35
	v_mad_u64_u32 v[35:36], s[0:1], v2, s46, v[12:13]
	v_cmp_lt_u32_e64 s[0:1], 31, v30
	v_cndmask_b32_e64 v12, 0, v26, s[0:1]
	v_add_u32_e32 v30, v12, v30
	v_mov_b32_e32 v12, v36
	v_mad_u64_u32 v[36:37], s[2:3], v2, s47, v[12:13]
	v_cmp_lt_u32_e64 s[2:3], 31, v30
	v_cndmask_b32_e64 v12, 0, v26, s[2:3]
	v_add_u32_e32 v30, v12, v30
	v_mov_b32_e32 v12, v37
	v_mad_u64_u32 v[37:38], s[6:7], v2, s48, v[12:13]
	v_cndmask_b32_e32 v2, v35, v33, vcc
	v_cndmask_b32_e32 v12, v36, v34, vcc
	;; [unrolled: 1-line block ×4, first 2 shown]
	v_cndmask_b32_e64 v39, v12, v2, s[0:1]
	v_cndmask_b32_e64 v12, v35, v12, s[0:1]
	;; [unrolled: 1-line block ×3, first 2 shown]
	v_cndmask_b32_e32 v32, v34, v32, vcc
	v_cndmask_b32_e64 v35, v35, v12, s[2:3]
	v_cndmask_b32_e64 v12, v12, v39, s[2:3]
	v_sub_u32_e32 v36, 32, v30
	v_cndmask_b32_e64 v2, v2, v32, s[0:1]
	v_alignbit_b32 v37, v35, v12, v36
	v_cmp_eq_u32_e64 s[6:7], 0, v30
	v_cndmask_b32_e64 v34, v39, v2, s[2:3]
	v_cndmask_b32_e64 v30, v37, v35, s[6:7]
	v_alignbit_b32 v35, v12, v34, v36
	v_cndmask_b32_e32 v31, v33, v31, vcc
	v_cndmask_b32_e64 v12, v35, v12, s[6:7]
	v_bfe_u32 v38, v30, 29, 1
	v_cndmask_b32_e64 v31, v32, v31, s[0:1]
	v_alignbit_b32 v35, v30, v12, 30
	v_sub_u32_e32 v39, 0, v38
	v_cndmask_b32_e64 v2, v2, v31, s[2:3]
	v_xor_b32_e32 v35, v35, v39
	v_alignbit_b32 v31, v34, v2, v36
	v_cndmask_b32_e64 v31, v31, v34, s[6:7]
	v_ffbh_u32_e32 v32, v35
	v_alignbit_b32 v12, v12, v31, 30
	v_min_u32_e32 v32, 32, v32
	v_alignbit_b32 v2, v31, v2, 30
	v_xor_b32_e32 v12, v12, v39
	v_sub_u32_e32 v33, 31, v32
	v_xor_b32_e32 v2, v2, v39
	v_alignbit_b32 v34, v35, v12, v33
	v_alignbit_b32 v2, v12, v2, v33
	;; [unrolled: 1-line block ×3, first 2 shown]
	v_ffbh_u32_e32 v31, v12
	v_min_u32_e32 v31, 32, v31
	v_lshrrev_b32_e32 v37, 29, v30
	v_not_b32_e32 v33, v31
	v_alignbit_b32 v2, v12, v2, v33
	v_lshlrev_b32_e32 v12, 31, v37
	v_or_b32_e32 v33, 0x33000000, v12
	v_add_lshl_u32 v31, v31, v32, 23
	v_lshrrev_b32_e32 v2, 9, v2
	v_sub_u32_e32 v31, v33, v31
	v_or_b32_e32 v12, 0.5, v12
	v_lshlrev_b32_e32 v32, 23, v32
	v_or_b32_e32 v2, v31, v2
	v_lshrrev_b32_e32 v31, 9, v34
	v_sub_u32_e32 v12, v12, v32
	v_or_b32_e32 v12, v31, v12
	v_mul_f32_e32 v31, 0x3fc90fda, v12
	v_fma_f32 v32, v12, s49, -v31
	v_fmac_f32_e32 v32, 0x33a22168, v12
	v_fmac_f32_e32 v32, 0x3fc90fda, v2
	v_lshrrev_b32_e32 v2, 30, v30
	v_add_f32_e32 v31, v31, v32
	v_add_u32_e32 v12, v38, v2
	s_andn2_saveexec_b64 s[0:1], s[30:31]
	s_cbranch_execnz .LBB94_137
	s_branch .LBB94_138
.LBB94_136:                             ;   in Loop: Header=BB94_7 Depth=1
	s_andn2_saveexec_b64 s[0:1], s[30:31]
.LBB94_137:                             ;   in Loop: Header=BB94_7 Depth=1
	v_mul_f32_e64 v2, |v3|, s50
	v_rndne_f32_e32 v2, v2
	v_cvt_i32_f32_e32 v12, v2
	v_fma_f32 v31, v2, s51, |v3|
	v_fmac_f32_e32 v31, 0xb3a22168, v2
	v_fmac_f32_e32 v31, 0xa7c234c4, v2
.LBB94_138:                             ;   in Loop: Header=BB94_7 Depth=1
	s_or_b64 exec, exec, s[0:1]
	v_mul_f32_e32 v2, v11, v11
	v_mov_b32_e32 v30, 0x3c0881c4
	v_fmac_f32_e32 v30, 0xb94c1982, v2
	v_fma_f32 v30, v2, v30, v22
	v_mul_f32_e32 v30, v2, v30
	v_fmac_f32_e32 v11, v11, v30
	v_mov_b32_e32 v30, 0xbab64f3b
	v_fmac_f32_e32 v30, 0x37d75334, v2
	v_fma_f32 v30, v2, v30, v23
	v_fma_f32 v30, v2, v30, v24
	v_fma_f32 v2, v2, v30, 1.0
	v_and_b32_e32 v30, 1, v10
	v_lshlrev_b32_e32 v10, 30, v10
	v_and_b32_e32 v10, 0x80000000, v10
	v_cmp_eq_u32_e32 vcc, 0, v30
	v_xor_b32_e32 v1, v1, v10
	v_mul_f32_e64 v10, |v4|, s56
	v_cndmask_b32_e32 v2, v2, v11, vcc
	v_rndne_f32_e32 v11, v10
	v_sub_f32_e32 v30, v10, v11
	v_fma_f32 v10, |v4|, s56, -v10
	v_fma_f32 v10, |v4|, s57, v10
	v_add_f32_e32 v10, v30, v10
	v_exp_f32_e32 v10, v10
	v_cvt_i32_f32_e32 v11, v11
	v_xor_b32_e32 v1, v1, v2
	v_xor_b32_e32 v1, v1, v3
	v_cmp_ngt_f32_e64 vcc, |v4|, s58
	v_ldexp_f32 v2, v10, v11
	v_xor_b32_e32 v3, 0x80000000, v4
	v_cndmask_b32_e32 v2, 0, v2, vcc
	v_cmp_nlt_f32_e64 vcc, |v4|, s59
	v_bfi_b32 v30, s33, 1.0, v3
	v_mul_f32_e32 v3, v31, v31
	v_mov_b32_e32 v4, 0x3c0881c4
	v_fmac_f32_e32 v4, 0xb94c1982, v3
	v_fma_f32 v4, v3, v4, v22
	v_mul_f32_e32 v4, v3, v4
	v_fmac_f32_e32 v31, v31, v4
	v_mov_b32_e32 v4, 0xbab64f3b
	v_fmac_f32_e32 v4, 0x37d75334, v3
	v_fma_f32 v4, v3, v4, v23
	v_fma_f32 v4, v3, v4, v24
	v_fma_f32 v3, v3, v4, 1.0
	v_and_b32_e32 v4, 1, v12
	v_cndmask_b32_e32 v2, v27, v2, vcc
	v_cmp_eq_u32_e32 vcc, 0, v4
	v_lshlrev_b32_e32 v4, 30, v12
	v_cndmask_b32_e64 v3, -v31, v3, vcc
	v_and_b32_e32 v4, 0x80000000, v4
	v_mul_f32_e32 v1, 4.0, v1
	v_xor_b32_e32 v3, v4, v3
	v_mul_f32_e32 v1, v1, v3
	v_mul_f32_e32 v1, v2, v1
	;; [unrolled: 1-line block ×3, first 2 shown]
.LBB94_139:                             ;   in Loop: Header=BB94_7 Depth=1
	s_or_b64 exec, exec, s[28:29]
                                        ; implicit-def: $vgpr1_vgpr2_vgpr3_vgpr4
.LBB94_140:                             ;   in Loop: Header=BB94_7 Depth=1
	s_andn2_saveexec_b64 s[0:1], s[26:27]
; %bb.141:                              ;   in Loop: Header=BB94_7 Depth=1
	v_sub_f32_e32 v11, v3, v3
	v_mov_b32_e32 v30, v11
; %bb.142:                              ;   in Loop: Header=BB94_7 Depth=1
	s_or_b64 exec, exec, s[0:1]
                                        ; implicit-def: $vgpr1_vgpr2_vgpr3_vgpr4
.LBB94_143:                             ;   in Loop: Header=BB94_7 Depth=1
	s_andn2_saveexec_b64 s[24:25], s[24:25]
	s_cbranch_execz .LBB94_6
; %bb.144:                              ;   in Loop: Header=BB94_7 Depth=1
	v_xor_b32_e32 v30, 0x80000000, v4
	v_and_b32_e32 v1, 0x7fffff, v30
	v_cmp_ne_u32_e32 vcc, 0, v1
	s_and_saveexec_b64 s[0:1], vcc
	s_xor_b64 s[0:1], exec, s[0:1]
; %bb.145:                              ;   in Loop: Header=BB94_7 Depth=1
	v_mul_f32_e64 v1, v3, -v4
	v_cmp_eq_f32_e32 vcc, 0, v3
	v_cndmask_b32_e32 v11, v1, v3, vcc
                                        ; implicit-def: $vgpr1_vgpr2_vgpr3_vgpr4
; %bb.146:                              ;   in Loop: Header=BB94_7 Depth=1
	s_andn2_saveexec_b64 s[26:27], s[0:1]
	s_cbranch_execz .LBB94_5
; %bb.147:                              ;   in Loop: Header=BB94_7 Depth=1
	v_cmp_neq_f32_e64 s[0:1], |v3|, s38
	s_and_saveexec_b64 s[28:29], s[0:1]
	s_cbranch_execz .LBB94_4
; %bb.148:                              ;   in Loop: Header=BB94_7 Depth=1
	v_and_b32_e32 v1, 0x7fffffff, v3
	v_lshrrev_b32_e32 v2, 23, v1
	v_and_b32_e32 v4, 0x7fffff, v1
	v_cmp_nlt_f32_e64 s[30:31], |v3|, s41
	v_add_u32_e32 v11, 0xffffff88, v2
	v_or_b32_e32 v2, 0x800000, v4
                                        ; implicit-def: $vgpr4
                                        ; implicit-def: $vgpr10
	s_and_saveexec_b64 s[0:1], s[30:31]
	s_xor_b64 s[34:35], exec, s[0:1]
	s_cbranch_execz .LBB94_150
; %bb.149:                              ;   in Loop: Header=BB94_7 Depth=1
	v_mad_u64_u32 v[31:32], s[0:1], v2, s42, 0
	v_cmp_lt_u32_e32 vcc, 63, v11
	v_cndmask_b32_e32 v4, 0, v25, vcc
	v_mov_b32_e32 v12, v32
	v_mad_u64_u32 v[32:33], s[0:1], v2, s43, v[12:13]
	v_add_u32_e32 v4, v4, v11
	v_mov_b32_e32 v12, v33
	v_mad_u64_u32 v[33:34], s[0:1], v2, s44, v[12:13]
	v_mov_b32_e32 v12, v34
	v_mad_u64_u32 v[34:35], s[0:1], v2, s45, v[12:13]
	v_cndmask_b32_e32 v31, v33, v31, vcc
	v_mov_b32_e32 v12, v35
	v_mad_u64_u32 v[35:36], s[0:1], v2, s46, v[12:13]
	v_cmp_lt_u32_e64 s[0:1], 31, v4
	v_cndmask_b32_e64 v10, 0, v26, s[0:1]
	v_mov_b32_e32 v12, v36
	v_mad_u64_u32 v[36:37], s[2:3], v2, s47, v[12:13]
	v_add_u32_e32 v4, v10, v4
	v_cmp_lt_u32_e64 s[2:3], 31, v4
	v_mov_b32_e32 v12, v37
	v_mad_u64_u32 v[37:38], s[6:7], v2, s48, v[12:13]
	v_cndmask_b32_e64 v10, 0, v26, s[2:3]
	v_add_u32_e32 v4, v10, v4
	v_cndmask_b32_e32 v10, v35, v33, vcc
	v_cndmask_b32_e32 v12, v36, v34, vcc
	;; [unrolled: 1-line block ×4, first 2 shown]
	v_cndmask_b32_e64 v39, v12, v10, s[0:1]
	v_cndmask_b32_e64 v12, v35, v12, s[0:1]
	;; [unrolled: 1-line block ×3, first 2 shown]
	v_cndmask_b32_e32 v32, v34, v32, vcc
	v_cndmask_b32_e64 v35, v35, v12, s[2:3]
	v_cndmask_b32_e64 v12, v12, v39, s[2:3]
	v_sub_u32_e32 v36, 32, v4
	v_cndmask_b32_e64 v10, v10, v32, s[0:1]
	v_alignbit_b32 v37, v35, v12, v36
	v_cmp_eq_u32_e64 s[6:7], 0, v4
	v_cndmask_b32_e64 v34, v39, v10, s[2:3]
	v_cndmask_b32_e64 v4, v37, v35, s[6:7]
	v_alignbit_b32 v35, v12, v34, v36
	v_cndmask_b32_e64 v12, v35, v12, s[6:7]
	v_bfe_u32 v38, v4, 29, 1
	v_cndmask_b32_e64 v31, v32, v31, s[0:1]
	v_alignbit_b32 v35, v4, v12, 30
	v_sub_u32_e32 v39, 0, v38
	v_cndmask_b32_e64 v10, v10, v31, s[2:3]
	v_xor_b32_e32 v35, v35, v39
	v_alignbit_b32 v31, v34, v10, v36
	v_cndmask_b32_e64 v31, v31, v34, s[6:7]
	v_ffbh_u32_e32 v32, v35
	v_alignbit_b32 v12, v12, v31, 30
	v_min_u32_e32 v32, 32, v32
	v_alignbit_b32 v10, v31, v10, 30
	v_xor_b32_e32 v12, v12, v39
	v_sub_u32_e32 v33, 31, v32
	v_xor_b32_e32 v10, v10, v39
	v_alignbit_b32 v34, v35, v12, v33
	v_alignbit_b32 v10, v12, v10, v33
	;; [unrolled: 1-line block ×3, first 2 shown]
	v_ffbh_u32_e32 v31, v12
	v_min_u32_e32 v31, 32, v31
	v_lshrrev_b32_e32 v37, 29, v4
	v_not_b32_e32 v33, v31
	v_alignbit_b32 v10, v12, v10, v33
	v_lshlrev_b32_e32 v12, 31, v37
	v_or_b32_e32 v33, 0x33000000, v12
	v_add_lshl_u32 v31, v31, v32, 23
	v_lshrrev_b32_e32 v10, 9, v10
	v_sub_u32_e32 v31, v33, v31
	v_or_b32_e32 v12, 0.5, v12
	v_lshlrev_b32_e32 v32, 23, v32
	v_or_b32_e32 v10, v31, v10
	v_lshrrev_b32_e32 v31, 9, v34
	v_sub_u32_e32 v12, v12, v32
	v_or_b32_e32 v12, v31, v12
	v_mul_f32_e32 v31, 0x3fc90fda, v12
	v_fma_f32 v32, v12, s49, -v31
	v_fmac_f32_e32 v32, 0x33a22168, v12
	v_fmac_f32_e32 v32, 0x3fc90fda, v10
	v_lshrrev_b32_e32 v4, 30, v4
	v_add_f32_e32 v10, v31, v32
	v_add_u32_e32 v4, v38, v4
.LBB94_150:                             ;   in Loop: Header=BB94_7 Depth=1
	s_or_saveexec_b64 s[0:1], s[34:35]
	v_mul_f32_e64 v12, |v3|, s50
	v_rndne_f32_e32 v32, v12
	s_xor_b64 exec, exec, s[0:1]
; %bb.151:                              ;   in Loop: Header=BB94_7 Depth=1
	v_cvt_i32_f32_e32 v4, v32
	v_fma_f32 v10, v32, s51, |v3|
	v_fmac_f32_e32 v10, 0xb3a22168, v32
	v_fmac_f32_e32 v10, 0xa7c234c4, v32
; %bb.152:                              ;   in Loop: Header=BB94_7 Depth=1
	s_or_b64 exec, exec, s[0:1]
                                        ; implicit-def: $vgpr12
                                        ; implicit-def: $vgpr31
	s_and_saveexec_b64 s[0:1], s[30:31]
	s_xor_b64 s[30:31], exec, s[0:1]
	s_cbranch_execz .LBB94_154
; %bb.153:                              ;   in Loop: Header=BB94_7 Depth=1
	v_mad_u64_u32 v[31:32], s[0:1], v2, s42, 0
	v_cmp_lt_u32_e32 vcc, 63, v11
	v_mov_b32_e32 v12, v32
	v_mad_u64_u32 v[32:33], s[0:1], v2, s43, v[12:13]
	v_mov_b32_e32 v12, v33
	v_mad_u64_u32 v[33:34], s[0:1], v2, s44, v[12:13]
	;; [unrolled: 2-line block ×3, first 2 shown]
	v_cndmask_b32_e32 v12, 0, v25, vcc
	v_add_u32_e32 v36, v12, v11
	v_mov_b32_e32 v12, v35
	v_mad_u64_u32 v[11:12], s[0:1], v2, s46, v[12:13]
	v_cmp_lt_u32_e64 s[0:1], 31, v36
	v_cndmask_b32_e64 v35, 0, v26, s[0:1]
	v_add_u32_e32 v37, v35, v36
	v_mad_u64_u32 v[35:36], s[2:3], v2, s47, v[12:13]
	v_cmp_lt_u32_e64 s[2:3], 31, v37
	v_cndmask_b32_e64 v12, 0, v26, s[2:3]
	v_add_u32_e32 v38, v12, v37
	v_mov_b32_e32 v12, v36
	v_mad_u64_u32 v[36:37], s[6:7], v2, s48, v[12:13]
	v_cndmask_b32_e32 v2, v11, v33, vcc
	v_cndmask_b32_e32 v12, v35, v34, vcc
	;; [unrolled: 1-line block ×4, first 2 shown]
	v_cndmask_b32_e64 v39, v12, v2, s[0:1]
	v_cndmask_b32_e64 v12, v11, v12, s[0:1]
	;; [unrolled: 1-line block ×3, first 2 shown]
	v_cndmask_b32_e32 v32, v34, v32, vcc
	v_cndmask_b32_e64 v11, v11, v12, s[2:3]
	v_cndmask_b32_e64 v12, v12, v39, s[2:3]
	v_sub_u32_e32 v35, 32, v38
	v_cndmask_b32_e64 v2, v2, v32, s[0:1]
	v_alignbit_b32 v36, v11, v12, v35
	v_cmp_eq_u32_e64 s[6:7], 0, v38
	v_cndmask_b32_e64 v34, v39, v2, s[2:3]
	v_cndmask_b32_e64 v11, v36, v11, s[6:7]
	v_alignbit_b32 v36, v12, v34, v35
	v_cndmask_b32_e32 v31, v33, v31, vcc
	v_cndmask_b32_e64 v12, v36, v12, s[6:7]
	v_bfe_u32 v38, v11, 29, 1
	v_cndmask_b32_e64 v31, v32, v31, s[0:1]
	v_alignbit_b32 v36, v11, v12, 30
	v_sub_u32_e32 v39, 0, v38
	v_cndmask_b32_e64 v2, v2, v31, s[2:3]
	v_xor_b32_e32 v36, v36, v39
	v_alignbit_b32 v31, v34, v2, v35
	v_cndmask_b32_e64 v31, v31, v34, s[6:7]
	v_ffbh_u32_e32 v32, v36
	v_alignbit_b32 v12, v12, v31, 30
	v_min_u32_e32 v32, 32, v32
	v_alignbit_b32 v2, v31, v2, 30
	v_xor_b32_e32 v12, v12, v39
	v_sub_u32_e32 v33, 31, v32
	v_xor_b32_e32 v2, v2, v39
	v_alignbit_b32 v34, v36, v12, v33
	v_alignbit_b32 v2, v12, v2, v33
	;; [unrolled: 1-line block ×3, first 2 shown]
	v_ffbh_u32_e32 v31, v12
	v_min_u32_e32 v31, 32, v31
	v_lshrrev_b32_e32 v37, 29, v11
	v_not_b32_e32 v33, v31
	v_alignbit_b32 v2, v12, v2, v33
	v_lshlrev_b32_e32 v12, 31, v37
	v_or_b32_e32 v33, 0x33000000, v12
	v_add_lshl_u32 v31, v31, v32, 23
	v_lshrrev_b32_e32 v2, 9, v2
	v_sub_u32_e32 v31, v33, v31
	v_or_b32_e32 v12, 0.5, v12
	v_lshlrev_b32_e32 v32, 23, v32
	v_or_b32_e32 v2, v31, v2
	v_lshrrev_b32_e32 v31, 9, v34
	v_sub_u32_e32 v12, v12, v32
	v_or_b32_e32 v12, v31, v12
	v_mul_f32_e32 v31, 0x3fc90fda, v12
	v_fma_f32 v32, v12, s49, -v31
	v_fmac_f32_e32 v32, 0x33a22168, v12
	v_fmac_f32_e32 v32, 0x3fc90fda, v2
	v_lshrrev_b32_e32 v2, 30, v11
	v_add_f32_e32 v31, v31, v32
	v_add_u32_e32 v12, v38, v2
                                        ; implicit-def: $vgpr32
	s_andn2_saveexec_b64 s[0:1], s[30:31]
	s_cbranch_execz .LBB94_3
	s_branch .LBB94_155
.LBB94_154:                             ;   in Loop: Header=BB94_7 Depth=1
	s_andn2_saveexec_b64 s[0:1], s[30:31]
	s_cbranch_execz .LBB94_3
.LBB94_155:                             ;   in Loop: Header=BB94_7 Depth=1
	v_cvt_i32_f32_e32 v12, v32
	v_fma_f32 v31, v32, s51, |v3|
	v_fmac_f32_e32 v31, 0xb3a22168, v32
	v_fmac_f32_e32 v31, 0xa7c234c4, v32
	s_branch .LBB94_3
.LBB94_156:
	s_or_b64 exec, exec, s[12:13]
	s_mov_b64 s[0:1], 0
.LBB94_157:
	s_andn2_b64 vcc, exec, s[0:1]
	s_cbranch_vccnz .LBB94_329
; %bb.158:
	v_cmp_lt_i64_e64 s[0:1], s[8:9], 1
	s_and_b64 vcc, exec, s[0:1]
	s_cbranch_vccnz .LBB94_329
; %bb.159:
	v_mov_b32_e32 v3, 0x10000
	s_load_dword s2, s[4:5], 0xc5c
	v_mov_b32_e32 v4, 0
	v_cmp_lt_i64_e32 vcc, s[8:9], v[3:4]
	v_mov_b32_e32 v2, 0
	s_and_b64 s[0:1], vcc, exec
	v_cmp_lt_u64_e32 vcc, s[8:9], v[3:4]
	s_cselect_b32 s19, s9, 0
	s_cselect_b32 s18, s8, 0x10000
	s_waitcnt lgkmcnt(0)
	s_and_b32 s33, s2, 0xffff
	s_and_b64 s[0:1], vcc, exec
	s_cselect_b32 s21, s9, 0
	s_cselect_b32 s20, s8, 0x10000
	s_lshl_b32 s36, s33, 1
	s_mul_i32 s37, s33, 3
	s_lshl_b32 s38, s33, 2
	s_mov_b64 s[22:23], 0
	s_brev_b32 s39, -2
	s_mov_b32 s40, 0x7f800000
	s_movk_i32 s41, 0x1f8
	s_mov_b32 s42, 0x41300000
	s_brev_b32 s43, 18
	s_mov_b32 s44, 0xfe5163ab
	s_mov_b32 s45, 0x3c439041
	;; [unrolled: 1-line block ×10, first 2 shown]
	v_mov_b32_e32 v21, 0x3f93f425
	s_mov_b32 s54, 0xbf317218
	v_mov_b32_e32 v22, 0x3d2aadcc
	v_mov_b32_e32 v23, 0x3e2aaa47
	;; [unrolled: 1-line block ×3, first 2 shown]
	s_mov_b32 s55, 0x42b2d4fc
	s_mov_b32 s56, 0x39800000
	;; [unrolled: 1-line block ×3, first 2 shown]
	v_mov_b32_e32 v25, 0x260
	v_mov_b32_e32 v26, 0xbe2aaa9d
	;; [unrolled: 1-line block ×4, first 2 shown]
	s_mov_b32 s58, 0xbfb8aa3b
	s_mov_b32 s59, 0xb2a5705f
	;; [unrolled: 1-line block ×4, first 2 shown]
	v_not_b32_e32 v29, 63
	v_not_b32_e32 v30, 31
	v_mov_b32_e32 v31, 0x7f800000
	v_mov_b32_e32 v32, 0x7fc00000
	s_branch .LBB94_161
.LBB94_160:                             ;   in Loop: Header=BB94_161 Depth=1
	s_or_b64 exec, exec, s[0:1]
	s_add_u32 s22, s22, s38
	v_mov_b32_e32 v3, s18
	s_addc_u32 s23, s23, 0
	v_mov_b32_e32 v4, s19
	v_cmp_ge_i64_e32 vcc, s[22:23], v[3:4]
	s_cbranch_vccnz .LBB94_329
.LBB94_161:                             ; =>This Inner Loop Header: Depth=1
	v_mov_b32_e32 v1, s23
	v_add_co_u32_e32 v3, vcc, s22, v0
	v_addc_co_u32_e32 v4, vcc, 0, v1, vcc
	v_cmp_gt_u64_e64 s[0:1], s[20:21], v[3:4]
	v_mov_b32_e32 v20, 0
	v_mov_b32_e32 v19, 0
	s_and_saveexec_b64 s[2:3], s[0:1]
	s_cbranch_execz .LBB94_163
; %bb.162:                              ;   in Loop: Header=BB94_161 Depth=1
	v_lshlrev_b64 v[5:6], 3, v[3:4]
	v_mov_b32_e32 v1, s15
	v_add_co_u32_e32 v5, vcc, s14, v5
	v_addc_co_u32_e32 v6, vcc, v1, v6, vcc
	global_load_dwordx2 v[19:20], v[5:6], off
.LBB94_163:                             ;   in Loop: Header=BB94_161 Depth=1
	s_or_b64 exec, exec, s[2:3]
	v_add_co_u32_e32 v5, vcc, s33, v3
	v_addc_co_u32_e32 v6, vcc, 0, v4, vcc
	v_cmp_gt_u64_e64 s[2:3], s[20:21], v[5:6]
	v_mov_b32_e32 v15, 0
	v_mov_b32_e32 v18, 0
	;; [unrolled: 1-line block ×3, first 2 shown]
	s_and_saveexec_b64 s[4:5], s[2:3]
	s_cbranch_execz .LBB94_165
; %bb.164:                              ;   in Loop: Header=BB94_161 Depth=1
	v_lshlrev_b64 v[7:8], 3, v[5:6]
	v_mov_b32_e32 v1, s15
	v_add_co_u32_e32 v7, vcc, s14, v7
	v_addc_co_u32_e32 v8, vcc, v1, v8, vcc
	global_load_dwordx2 v[17:18], v[7:8], off
.LBB94_165:                             ;   in Loop: Header=BB94_161 Depth=1
	s_or_b64 exec, exec, s[4:5]
	v_add_co_u32_e32 v7, vcc, s36, v3
	v_addc_co_u32_e32 v8, vcc, 0, v4, vcc
	v_cmp_gt_u64_e64 s[4:5], s[20:21], v[7:8]
	v_mov_b32_e32 v14, 0
	s_and_saveexec_b64 s[6:7], s[4:5]
	s_cbranch_execz .LBB94_167
; %bb.166:                              ;   in Loop: Header=BB94_161 Depth=1
	v_lshlrev_b64 v[9:10], 3, v[7:8]
	v_mov_b32_e32 v1, s15
	v_add_co_u32_e32 v9, vcc, s14, v9
	v_addc_co_u32_e32 v10, vcc, v1, v10, vcc
	global_load_dwordx2 v[14:15], v[9:10], off
.LBB94_167:                             ;   in Loop: Header=BB94_161 Depth=1
	s_or_b64 exec, exec, s[6:7]
	v_add_co_u32_e32 v9, vcc, s37, v3
	v_addc_co_u32_e32 v10, vcc, 0, v4, vcc
	v_cmp_gt_u64_e64 s[6:7], s[20:21], v[9:10]
	v_mov_b32_e32 v12, 0
	v_mov_b32_e32 v11, 0
	s_and_saveexec_b64 s[8:9], s[6:7]
	s_cbranch_execz .LBB94_169
; %bb.168:                              ;   in Loop: Header=BB94_161 Depth=1
	v_lshlrev_b64 v[11:12], 3, v[9:10]
	v_mov_b32_e32 v1, s15
	v_add_co_u32_e32 v11, vcc, s14, v11
	v_addc_co_u32_e32 v12, vcc, v1, v12, vcc
	global_load_dwordx2 v[11:12], v[11:12], off
.LBB94_169:                             ;   in Loop: Header=BB94_161 Depth=1
	s_or_b64 exec, exec, s[8:9]
	s_waitcnt vmcnt(0)
	v_and_b32_e32 v1, 0x7fffffff, v20
	v_cmp_gt_u32_e32 vcc, s40, v1
                                        ; implicit-def: $vgpr13
                                        ; implicit-def: $vgpr33
	s_and_saveexec_b64 s[8:9], vcc
	s_xor_b64 s[24:25], exec, s[8:9]
	s_cbranch_execz .LBB94_190
; %bb.170:                              ;   in Loop: Header=BB94_161 Depth=1
	v_cmp_class_f32_e64 s[8:9], v19, s41
                                        ; implicit-def: $vgpr13
                                        ; implicit-def: $vgpr33
	s_and_saveexec_b64 s[10:11], s[8:9]
	s_xor_b64 s[26:27], exec, s[10:11]
	s_cbranch_execz .LBB94_187
; %bb.171:                              ;   in Loop: Header=BB94_161 Depth=1
	v_and_b32_e32 v16, 0x7fffffff, v19
	v_cmp_gt_u32_e32 vcc, s42, v1
                                        ; implicit-def: $vgpr13
                                        ; implicit-def: $vgpr33
	s_and_saveexec_b64 s[8:9], vcc
	s_xor_b64 s[28:29], exec, s[8:9]
	s_cbranch_execz .LBB94_177
; %bb.172:                              ;   in Loop: Header=BB94_161 Depth=1
	v_cmp_nlt_f32_e64 s[8:9], |v19|, s43
                                        ; implicit-def: $vgpr13
                                        ; implicit-def: $vgpr1
	s_and_saveexec_b64 s[10:11], s[8:9]
	s_xor_b64 s[30:31], exec, s[10:11]
	s_cbranch_execz .LBB94_174
; %bb.173:                              ;   in Loop: Header=BB94_161 Depth=1
	v_and_b32_e32 v1, 0x7fffff, v16
	v_or_b32_e32 v13, 0x800000, v1
	v_mad_u64_u32 v[33:34], s[8:9], v13, s44, 0
	v_mov_b32_e32 v1, v34
	v_mad_u64_u32 v[34:35], s[8:9], v13, s45, v[1:2]
	v_mov_b32_e32 v1, v35
	;; [unrolled: 2-line block ×3, first 2 shown]
	v_mad_u64_u32 v[36:37], s[8:9], v13, s47, v[1:2]
	v_lshrrev_b32_e32 v1, 23, v16
	v_add_u32_e32 v39, 0xffffff88, v1
	v_mov_b32_e32 v1, v37
	v_mad_u64_u32 v[37:38], s[8:9], v13, s48, v[1:2]
	v_cmp_lt_u32_e32 vcc, 63, v39
	v_cndmask_b32_e32 v1, 0, v29, vcc
	v_add_u32_e32 v40, v1, v39
	v_mov_b32_e32 v1, v38
	v_mad_u64_u32 v[38:39], s[8:9], v13, s49, v[1:2]
	v_cmp_lt_u32_e64 s[8:9], 31, v40
	v_cndmask_b32_e64 v1, 0, v30, s[8:9]
	v_add_u32_e32 v41, v1, v40
	v_mov_b32_e32 v1, v39
	v_mad_u64_u32 v[39:40], s[10:11], v13, s50, v[1:2]
	v_cmp_lt_u32_e64 s[10:11], 31, v41
	v_cndmask_b32_e64 v1, 0, v30, s[10:11]
	v_cndmask_b32_e32 v13, v38, v36, vcc
	v_cndmask_b32_e32 v39, v39, v37, vcc
	;; [unrolled: 1-line block ×4, first 2 shown]
	v_add_u32_e32 v1, v1, v41
	v_cndmask_b32_e64 v40, v39, v13, s[8:9]
	v_cndmask_b32_e64 v38, v38, v39, s[8:9]
	;; [unrolled: 1-line block ×5, first 2 shown]
	v_sub_u32_e32 v40, 32, v1
	v_cmp_eq_u32_e64 s[12:13], 0, v1
	v_cndmask_b32_e32 v1, v36, v34, vcc
	v_cndmask_b32_e64 v34, v37, v1, s[8:9]
	v_alignbit_b32 v41, v38, v39, v40
	v_cndmask_b32_e64 v13, v13, v34, s[10:11]
	v_cndmask_b32_e64 v38, v41, v38, s[12:13]
	v_alignbit_b32 v36, v39, v13, v40
	v_cndmask_b32_e32 v33, v35, v33, vcc
	v_cndmask_b32_e64 v36, v36, v39, s[12:13]
	v_bfe_u32 v41, v38, 29, 1
	v_cndmask_b32_e64 v1, v1, v33, s[8:9]
	v_alignbit_b32 v37, v38, v36, 30
	v_sub_u32_e32 v42, 0, v41
	v_cndmask_b32_e64 v1, v34, v1, s[10:11]
	v_xor_b32_e32 v37, v37, v42
	v_alignbit_b32 v33, v13, v1, v40
	v_cndmask_b32_e64 v13, v33, v13, s[12:13]
	v_ffbh_u32_e32 v34, v37
	v_alignbit_b32 v33, v36, v13, 30
	v_min_u32_e32 v34, 32, v34
	v_alignbit_b32 v1, v13, v1, 30
	v_xor_b32_e32 v33, v33, v42
	v_sub_u32_e32 v35, 31, v34
	v_xor_b32_e32 v1, v1, v42
	v_alignbit_b32 v36, v37, v33, v35
	v_alignbit_b32 v1, v33, v1, v35
	;; [unrolled: 1-line block ×3, first 2 shown]
	v_ffbh_u32_e32 v33, v13
	v_min_u32_e32 v33, 32, v33
	v_lshrrev_b32_e32 v39, 29, v38
	v_not_b32_e32 v35, v33
	v_alignbit_b32 v1, v13, v1, v35
	v_lshlrev_b32_e32 v13, 31, v39
	v_or_b32_e32 v35, 0x33000000, v13
	v_add_lshl_u32 v33, v33, v34, 23
	v_lshrrev_b32_e32 v1, 9, v1
	v_sub_u32_e32 v33, v35, v33
	v_or_b32_e32 v13, 0.5, v13
	v_lshlrev_b32_e32 v34, 23, v34
	v_or_b32_e32 v1, v33, v1
	v_lshrrev_b32_e32 v33, 9, v36
	v_sub_u32_e32 v13, v13, v34
	v_or_b32_e32 v13, v33, v13
	v_mul_f32_e32 v33, 0x3fc90fda, v13
	v_fma_f32 v34, v13, s51, -v33
	v_fmac_f32_e32 v34, 0x33a22168, v13
	v_fmac_f32_e32 v34, 0x3fc90fda, v1
	v_lshrrev_b32_e32 v13, 30, v38
	v_add_f32_e32 v1, v33, v34
	v_add_u32_e32 v13, v41, v13
.LBB94_174:                             ;   in Loop: Header=BB94_161 Depth=1
	s_andn2_saveexec_b64 s[8:9], s[30:31]
; %bb.175:                              ;   in Loop: Header=BB94_161 Depth=1
	v_mul_f32_e64 v1, |v19|, s52
	v_rndne_f32_e32 v33, v1
	v_cvt_i32_f32_e32 v13, v33
	v_fma_f32 v1, v33, s53, |v19|
	v_fmac_f32_e32 v1, 0xb3a22168, v33
	v_fmac_f32_e32 v1, 0xa7c234c4, v33
; %bb.176:                              ;   in Loop: Header=BB94_161 Depth=1
	s_or_b64 exec, exec, s[8:9]
	v_mul_f32_e32 v33, v1, v1
	v_mov_b32_e32 v34, 0xbf039337
	v_fmac_f32_e32 v34, 0x3c971480, v33
	v_fma_f32 v34, v33, v34, v21
	v_rcp_f32_e32 v34, v34
	v_mov_b32_e32 v35, 0x3ec54587
	v_fmac_f32_e32 v35, 0xbc8cedd3, v33
	v_and_b32_e32 v13, 1, v13
	v_mul_f32_e32 v34, v35, v34
	v_mul_f32_e32 v33, v33, v34
	v_fma_f32 v34, v33, v1, v1
	v_rcp_f32_e32 v35, v34
	v_sub_f32_e32 v36, v34, v1
	v_fma_f32 v1, v33, v1, -v36
	v_cmp_eq_u32_e32 vcc, 0, v13
	v_fma_f32 v33, v34, -v35, 1.0
	v_fma_f32 v1, v1, -v35, v33
	v_add_f32_e64 v13, |v20|, s54
	v_fma_f32 v1, v1, -v35, -v35
	v_sub_f32_e64 v33, v13, |v20|
	v_cndmask_b32_e32 v1, v1, v34, vcc
	v_sub_f32_e32 v34, v33, v13
	v_add_f32_e64 v34, |v20|, v34
	v_add_f32_e32 v33, 0x3f317218, v33
	v_sub_f32_e32 v33, v34, v33
	v_add_f32_e32 v33, 0x3102e308, v33
	v_add_f32_e32 v34, v13, v33
	v_sub_f32_e32 v13, v13, v34
	v_add_f32_e32 v13, v33, v13
	v_mul_f32_e32 v33, 0x3fb8aa3b, v34
	v_rndne_f32_e32 v33, v33
	v_fmac_f32_e32 v34, 0xbf317200, v33
	v_add_f32_e32 v35, v13, v34
	v_sub_f32_e32 v34, v34, v35
	v_add_f32_e32 v13, v13, v34
	v_mul_f32_e32 v34, 0x35bfbc00, v33
	v_sub_f32_e32 v36, v35, v34
	v_sub_f32_e32 v35, v35, v36
	;; [unrolled: 1-line block ×3, first 2 shown]
	v_add_f32_e32 v13, v13, v34
	v_add_f32_e32 v34, v36, v13
	v_sub_f32_e32 v35, v36, v34
	v_add_f32_e32 v13, v13, v35
	v_mul_f32_e32 v35, 0x2ea39ef3, v33
	v_sub_f32_e32 v36, v34, v35
	v_sub_f32_e32 v34, v34, v36
	;; [unrolled: 1-line block ×3, first 2 shown]
	v_add_f32_e32 v13, v13, v34
	v_add_f32_e32 v34, v36, v13
	v_sub_f32_e32 v36, v36, v34
	v_mov_b32_e32 v35, 0x3c091de6
	v_add_f32_e32 v13, v13, v36
	v_mul_f32_e32 v37, v34, v34
	v_fmac_f32_e32 v35, 0x3ab42872, v34
	v_add_f32_e32 v36, v13, v13
	v_fma_f32 v38, v34, v34, -v37
	v_fma_f32 v35, v34, v35, v22
	v_fmac_f32_e32 v38, v34, v36
	v_fma_f32 v35, v34, v35, v23
	v_add_f32_e32 v36, v37, v38
	v_fma_f32 v35, v34, v35, v24
	v_sub_f32_e32 v37, v36, v37
	v_sub_f32_e32 v37, v38, v37
	v_mul_f32_e32 v38, v35, v36
	v_fma_f32 v36, v36, v35, -v38
	v_fmac_f32_e32 v36, v37, v35
	v_add_f32_e32 v35, v38, v36
	v_sub_f32_e32 v37, v35, v38
	v_sub_f32_e32 v36, v36, v37
	v_add_f32_e32 v37, v34, v35
	v_sub_f32_e32 v34, v37, v34
	v_sub_f32_e32 v34, v35, v34
	v_add_f32_e32 v13, v13, v36
	v_add_f32_e32 v13, v13, v34
	;; [unrolled: 1-line block ×3, first 2 shown]
	v_sub_f32_e32 v35, v34, v37
	v_sub_f32_e32 v13, v13, v35
	v_add_f32_e32 v35, 1.0, v34
	v_add_f32_e32 v36, -1.0, v35
	v_cvt_i32_f32_e32 v33, v33
	v_sub_f32_e32 v34, v34, v36
	v_add_f32_e32 v13, v13, v34
	v_add_f32_e32 v34, v35, v13
	v_ldexp_f32 v36, v34, v33
	v_rcp_f32_e32 v37, v36
	v_sub_f32_e32 v34, v34, v35
	v_sub_f32_e32 v13, v13, v34
	v_ldexp_f32 v13, v13, v33
	v_mul_f32_e32 v33, v36, v37
	v_fma_f32 v34, v37, v36, -v33
	v_fmac_f32_e32 v34, v37, v13
	v_add_f32_e32 v35, v33, v34
	v_sub_f32_e32 v38, 1.0, v35
	v_sub_f32_e32 v39, 1.0, v38
	v_sub_f32_e32 v33, v35, v33
	v_sub_f32_e32 v39, v39, v35
	;; [unrolled: 1-line block ×3, first 2 shown]
	v_add_f32_e32 v33, v33, v39
	v_add_f32_e32 v34, v38, v33
	v_mul_f32_e32 v35, v37, v34
	v_mul_f32_e32 v39, v36, v35
	v_fma_f32 v40, v35, v36, -v39
	v_fmac_f32_e32 v40, v35, v13
	v_sub_f32_e32 v38, v38, v34
	v_add_f32_e32 v33, v33, v38
	v_add_f32_e32 v38, v39, v40
	v_sub_f32_e32 v41, v34, v38
	v_sub_f32_e32 v34, v34, v41
	;; [unrolled: 1-line block ×4, first 2 shown]
	v_add_f32_e32 v33, v33, v34
	v_sub_f32_e32 v34, v39, v40
	v_add_f32_e32 v33, v34, v33
	v_add_f32_e32 v33, v41, v33
	;; [unrolled: 1-line block ×3, first 2 shown]
	v_mul_f32_e32 v33, v37, v33
	v_sub_f32_e32 v37, v34, v37
	v_sub_f32_e32 v35, v35, v37
	v_add_f32_e32 v33, v35, v33
	v_add_f32_e32 v35, v34, v33
	v_sub_f32_e32 v34, v35, v34
	v_sub_f32_e32 v33, v33, v34
	v_ldexp_f32 v34, v35, -2
	v_sub_f32_e32 v35, v36, v34
	v_sub_f32_e32 v36, v36, v35
	v_sub_f32_e32 v34, v36, v34
	v_ldexp_f32 v33, v33, -2
	v_add_f32_e32 v13, v13, v34
	v_sub_f32_e32 v13, v13, v33
	v_add_f32_e32 v13, v35, v13
	v_cmp_ngt_f32_e64 vcc, |v20|, s55
	v_cndmask_b32_e32 v13, v31, v13, vcc
	v_cmp_lt_f32_e64 s[8:9], |v20|, s56
	v_cndmask_b32_e64 v13, v13, |v20|, s[8:9]
	v_xor_b32_e32 v20, 0x80000000, v20
	v_bfi_b32 v13, s39, v13, v20
	v_fma_f32 v20, v13, v13, 1.0
	v_mul_f32_e32 v33, 0x4f800000, v20
	v_cmp_gt_f32_e32 vcc, s57, v20
	v_cndmask_b32_e32 v20, v20, v33, vcc
	v_sqrt_f32_e32 v33, v20
	v_xor_b32_e32 v1, v16, v1
	v_xor_b32_e32 v1, v1, v19
	v_fma_f32 v16, v1, v1, 1.0
	v_add_u32_e32 v19, -1, v33
	v_fma_f32 v34, -v19, v33, v20
	v_cmp_ge_f32_e64 s[8:9], 0, v34
	v_add_u32_e32 v34, 1, v33
	v_cndmask_b32_e64 v19, v33, v19, s[8:9]
	v_fma_f32 v33, -v34, v33, v20
	v_cmp_lt_f32_e64 s[8:9], 0, v33
	v_cndmask_b32_e64 v19, v19, v34, s[8:9]
	v_mul_f32_e32 v33, 0x37800000, v19
	v_cndmask_b32_e32 v19, v19, v33, vcc
	v_cmp_class_f32_e32 vcc, v20, v25
	v_cndmask_b32_e32 v19, v19, v20, vcc
	v_mul_f32_e32 v20, v13, v16
	v_mul_f32_e32 v16, v19, v16
	v_fma_f32 v20, v13, v20, 1.0
	v_mul_f32_e32 v13, v13, v16
	v_div_scale_f32 v16, s[8:9], v20, v20, v13
	v_div_scale_f32 v19, vcc, v13, v20, v13
	v_div_scale_f32 v33, s[8:9], v20, v20, v1
	v_div_scale_f32 v34, s[8:9], v1, v20, v1
	v_rcp_f32_e32 v35, v16
	v_fma_f32 v36, -v16, v35, 1.0
	v_fmac_f32_e32 v35, v36, v35
	v_mul_f32_e32 v36, v19, v35
	v_fma_f32 v37, -v16, v36, v19
	v_fmac_f32_e32 v36, v37, v35
	v_rcp_f32_e32 v37, v33
	v_fma_f32 v16, -v16, v36, v19
	v_div_fmas_f32 v16, v16, v35, v36
	s_mov_b64 vcc, s[8:9]
	v_fma_f32 v19, -v33, v37, 1.0
	v_fmac_f32_e32 v37, v19, v37
	v_mul_f32_e32 v19, v34, v37
	v_fma_f32 v35, -v33, v19, v34
	v_fmac_f32_e32 v19, v35, v37
	v_fma_f32 v33, -v33, v19, v34
	v_div_fmas_f32 v19, v33, v37, v19
	v_div_fixup_f32 v33, v16, v20, v13
                                        ; implicit-def: $vgpr16
	v_div_fixup_f32 v13, v19, v20, v1
                                        ; implicit-def: $vgpr19
.LBB94_177:                             ;   in Loop: Header=BB94_161 Depth=1
	s_andn2_saveexec_b64 s[28:29], s[28:29]
	s_cbranch_execz .LBB94_197
; %bb.178:                              ;   in Loop: Header=BB94_161 Depth=1
	v_cmp_nlt_f32_e64 s[30:31], |v19|, s43
                                        ; implicit-def: $vgpr13
                                        ; implicit-def: $vgpr33
	s_and_saveexec_b64 s[8:9], s[30:31]
	s_xor_b64 s[34:35], exec, s[8:9]
	s_cbranch_execz .LBB94_180
; %bb.179:                              ;   in Loop: Header=BB94_161 Depth=1
	v_and_b32_e32 v1, 0x7fffff, v16
	v_or_b32_e32 v13, 0x800000, v1
	v_mad_u64_u32 v[33:34], s[8:9], v13, s44, 0
	v_mov_b32_e32 v1, v34
	v_mad_u64_u32 v[34:35], s[8:9], v13, s45, v[1:2]
	v_mov_b32_e32 v1, v35
	;; [unrolled: 2-line block ×3, first 2 shown]
	v_mad_u64_u32 v[36:37], s[8:9], v13, s47, v[1:2]
	v_lshrrev_b32_e32 v1, 23, v16
	v_add_u32_e32 v39, 0xffffff88, v1
	v_mov_b32_e32 v1, v37
	v_mad_u64_u32 v[37:38], s[8:9], v13, s48, v[1:2]
	v_cmp_lt_u32_e32 vcc, 63, v39
	v_cndmask_b32_e32 v1, 0, v29, vcc
	v_add_u32_e32 v40, v1, v39
	v_mov_b32_e32 v1, v38
	v_mad_u64_u32 v[38:39], s[8:9], v13, s49, v[1:2]
	v_cmp_lt_u32_e64 s[8:9], 31, v40
	v_cndmask_b32_e64 v1, 0, v30, s[8:9]
	v_add_u32_e32 v41, v1, v40
	v_mov_b32_e32 v1, v39
	v_mad_u64_u32 v[39:40], s[10:11], v13, s50, v[1:2]
	v_cmp_lt_u32_e64 s[10:11], 31, v41
	v_cndmask_b32_e64 v1, 0, v30, s[10:11]
	v_cndmask_b32_e32 v13, v38, v36, vcc
	v_cndmask_b32_e32 v39, v39, v37, vcc
	;; [unrolled: 1-line block ×4, first 2 shown]
	v_add_u32_e32 v1, v1, v41
	v_cndmask_b32_e64 v40, v39, v13, s[8:9]
	v_cndmask_b32_e64 v38, v38, v39, s[8:9]
	;; [unrolled: 1-line block ×3, first 2 shown]
	v_cndmask_b32_e32 v34, v36, v34, vcc
	v_cndmask_b32_e64 v38, v38, v40, s[10:11]
	v_cndmask_b32_e64 v39, v40, v13, s[10:11]
	v_sub_u32_e32 v40, 32, v1
	v_cndmask_b32_e64 v36, v37, v34, s[8:9]
	v_alignbit_b32 v41, v38, v39, v40
	v_cmp_eq_u32_e64 s[12:13], 0, v1
	v_cndmask_b32_e64 v13, v13, v36, s[10:11]
	v_cndmask_b32_e64 v1, v41, v38, s[12:13]
	v_alignbit_b32 v37, v39, v13, v40
	v_cndmask_b32_e32 v33, v35, v33, vcc
	v_cndmask_b32_e64 v37, v37, v39, s[12:13]
	v_bfe_u32 v41, v1, 29, 1
	v_cndmask_b32_e64 v33, v34, v33, s[8:9]
	v_alignbit_b32 v38, v1, v37, 30
	v_sub_u32_e32 v42, 0, v41
	v_cndmask_b32_e64 v33, v36, v33, s[10:11]
	v_xor_b32_e32 v38, v38, v42
	v_alignbit_b32 v34, v13, v33, v40
	v_cndmask_b32_e64 v13, v34, v13, s[12:13]
	v_ffbh_u32_e32 v35, v38
	v_alignbit_b32 v34, v37, v13, 30
	v_min_u32_e32 v35, 32, v35
	v_alignbit_b32 v13, v13, v33, 30
	v_xor_b32_e32 v34, v34, v42
	v_sub_u32_e32 v36, 31, v35
	v_xor_b32_e32 v13, v13, v42
	v_alignbit_b32 v37, v38, v34, v36
	v_alignbit_b32 v13, v34, v13, v36
	;; [unrolled: 1-line block ×3, first 2 shown]
	v_ffbh_u32_e32 v34, v33
	v_min_u32_e32 v34, 32, v34
	v_lshrrev_b32_e32 v39, 29, v1
	v_not_b32_e32 v36, v34
	v_alignbit_b32 v13, v33, v13, v36
	v_lshlrev_b32_e32 v33, 31, v39
	v_or_b32_e32 v36, 0x33000000, v33
	v_add_lshl_u32 v34, v34, v35, 23
	v_lshrrev_b32_e32 v13, 9, v13
	v_sub_u32_e32 v34, v36, v34
	v_or_b32_e32 v33, 0.5, v33
	v_lshlrev_b32_e32 v35, 23, v35
	v_or_b32_e32 v13, v34, v13
	v_lshrrev_b32_e32 v34, 9, v37
	v_sub_u32_e32 v33, v33, v35
	v_or_b32_e32 v33, v34, v33
	v_mul_f32_e32 v34, 0x3fc90fda, v33
	v_fma_f32 v35, v33, s51, -v34
	v_fmac_f32_e32 v35, 0x33a22168, v33
	v_fmac_f32_e32 v35, 0x3fc90fda, v13
	v_lshrrev_b32_e32 v1, 30, v1
	v_add_f32_e32 v33, v34, v35
	v_add_u32_e32 v13, v41, v1
	s_andn2_saveexec_b64 s[8:9], s[34:35]
	s_branch .LBB94_181
.LBB94_180:                             ;   in Loop: Header=BB94_161 Depth=1
	s_andn2_saveexec_b64 s[8:9], s[34:35]
.LBB94_181:                             ;   in Loop: Header=BB94_161 Depth=1
	v_mul_f32_e64 v1, |v19|, s52
	v_rndne_f32_e32 v1, v1
	v_cvt_i32_f32_e32 v13, v1
	v_fma_f32 v33, v1, s53, |v19|
	v_fmac_f32_e32 v33, 0xb3a22168, v1
	v_fmac_f32_e32 v33, 0xa7c234c4, v1
; %bb.182:                              ;   in Loop: Header=BB94_161 Depth=1
	s_or_b64 exec, exec, s[8:9]
                                        ; implicit-def: $vgpr1
                                        ; implicit-def: $vgpr34
	s_and_saveexec_b64 s[8:9], s[30:31]
	s_xor_b64 s[30:31], exec, s[8:9]
	s_cbranch_execz .LBB94_184
; %bb.183:                              ;   in Loop: Header=BB94_161 Depth=1
	v_and_b32_e32 v1, 0x7fffff, v16
	v_or_b32_e32 v41, 0x800000, v1
	v_mad_u64_u32 v[34:35], s[8:9], v41, s44, 0
	v_mov_b32_e32 v1, v35
	v_mad_u64_u32 v[35:36], s[8:9], v41, s45, v[1:2]
	v_mov_b32_e32 v1, v36
	;; [unrolled: 2-line block ×3, first 2 shown]
	v_mad_u64_u32 v[37:38], s[8:9], v41, s47, v[1:2]
	v_lshrrev_b32_e32 v1, 23, v16
	v_add_u32_e32 v40, 0xffffff88, v1
	v_mov_b32_e32 v1, v38
	v_mad_u64_u32 v[38:39], s[8:9], v41, s48, v[1:2]
	v_cmp_lt_u32_e32 vcc, 63, v40
	v_cndmask_b32_e32 v1, 0, v29, vcc
	v_add_u32_e32 v42, v1, v40
	v_mov_b32_e32 v1, v39
	v_mad_u64_u32 v[39:40], s[8:9], v41, s49, v[1:2]
	v_cmp_lt_u32_e64 s[8:9], 31, v42
	v_cndmask_b32_e64 v1, 0, v30, s[8:9]
	v_add_u32_e32 v42, v1, v42
	v_mov_b32_e32 v1, v40
	v_mad_u64_u32 v[40:41], s[10:11], v41, s50, v[1:2]
	v_cmp_lt_u32_e64 s[10:11], 31, v42
	v_cndmask_b32_e64 v1, 0, v30, s[10:11]
	v_add_u32_e32 v1, v1, v42
	v_cndmask_b32_e32 v42, v39, v37, vcc
	v_cndmask_b32_e32 v40, v40, v38, vcc
	;; [unrolled: 1-line block ×4, first 2 shown]
	v_cndmask_b32_e64 v41, v40, v42, s[8:9]
	v_cndmask_b32_e64 v39, v39, v40, s[8:9]
	v_cndmask_b32_e64 v40, v42, v38, s[8:9]
	v_cndmask_b32_e32 v35, v37, v35, vcc
	v_cndmask_b32_e64 v39, v39, v41, s[10:11]
	v_cndmask_b32_e64 v41, v41, v40, s[10:11]
	v_sub_u32_e32 v42, 32, v1
	v_cndmask_b32_e64 v37, v38, v35, s[8:9]
	v_alignbit_b32 v43, v39, v41, v42
	v_cmp_eq_u32_e64 s[12:13], 0, v1
	v_cndmask_b32_e64 v38, v40, v37, s[10:11]
	v_cndmask_b32_e64 v1, v43, v39, s[12:13]
	v_alignbit_b32 v39, v41, v38, v42
	v_cndmask_b32_e32 v34, v36, v34, vcc
	v_cndmask_b32_e64 v39, v39, v41, s[12:13]
	v_bfe_u32 v43, v1, 29, 1
	v_cndmask_b32_e64 v34, v35, v34, s[8:9]
	v_alignbit_b32 v40, v1, v39, 30
	v_sub_u32_e32 v44, 0, v43
	v_cndmask_b32_e64 v34, v37, v34, s[10:11]
	v_xor_b32_e32 v40, v40, v44
	v_alignbit_b32 v35, v38, v34, v42
	v_cndmask_b32_e64 v35, v35, v38, s[12:13]
	v_ffbh_u32_e32 v37, v40
	v_alignbit_b32 v36, v39, v35, 30
	v_min_u32_e32 v37, 32, v37
	v_alignbit_b32 v34, v35, v34, 30
	v_xor_b32_e32 v36, v36, v44
	v_sub_u32_e32 v38, 31, v37
	v_xor_b32_e32 v34, v34, v44
	v_alignbit_b32 v39, v40, v36, v38
	v_alignbit_b32 v34, v36, v34, v38
	;; [unrolled: 1-line block ×3, first 2 shown]
	v_ffbh_u32_e32 v36, v35
	v_min_u32_e32 v36, 32, v36
	v_lshrrev_b32_e32 v41, 29, v1
	v_not_b32_e32 v38, v36
	v_alignbit_b32 v34, v35, v34, v38
	v_lshlrev_b32_e32 v35, 31, v41
	v_or_b32_e32 v38, 0x33000000, v35
	v_add_lshl_u32 v36, v36, v37, 23
	v_lshrrev_b32_e32 v34, 9, v34
	v_sub_u32_e32 v36, v38, v36
	v_or_b32_e32 v35, 0.5, v35
	v_lshlrev_b32_e32 v37, 23, v37
	v_or_b32_e32 v34, v36, v34
	v_lshrrev_b32_e32 v36, 9, v39
	v_sub_u32_e32 v35, v35, v37
	v_or_b32_e32 v35, v36, v35
	v_mul_f32_e32 v36, 0x3fc90fda, v35
	v_fma_f32 v37, v35, s51, -v36
	v_fmac_f32_e32 v37, 0x33a22168, v35
	v_fmac_f32_e32 v37, 0x3fc90fda, v34
	v_lshrrev_b32_e32 v1, 30, v1
	v_add_f32_e32 v34, v36, v37
	v_add_u32_e32 v1, v43, v1
	s_andn2_saveexec_b64 s[8:9], s[30:31]
	s_cbranch_execnz .LBB94_185
	s_branch .LBB94_186
.LBB94_184:                             ;   in Loop: Header=BB94_161 Depth=1
	s_andn2_saveexec_b64 s[8:9], s[30:31]
.LBB94_185:                             ;   in Loop: Header=BB94_161 Depth=1
	v_mul_f32_e64 v1, |v19|, s52
	v_rndne_f32_e32 v35, v1
	v_cvt_i32_f32_e32 v1, v35
	v_fma_f32 v34, v35, s53, |v19|
	v_fmac_f32_e32 v34, 0xb3a22168, v35
	v_fmac_f32_e32 v34, 0xa7c234c4, v35
.LBB94_186:                             ;   in Loop: Header=BB94_161 Depth=1
	s_or_b64 exec, exec, s[8:9]
	v_mul_f32_e32 v35, v33, v33
	v_mov_b32_e32 v36, 0x3c0881c4
	v_fmac_f32_e32 v36, 0xb94c1982, v35
	v_fma_f32 v36, v35, v36, v26
	v_mul_f32_e32 v36, v35, v36
	v_fmac_f32_e32 v33, v33, v36
	v_mov_b32_e32 v36, 0xbab64f3b
	v_fmac_f32_e32 v36, 0x37d75334, v35
	v_fma_f32 v36, v35, v36, v27
	v_fma_f32 v36, v35, v36, v28
	v_fma_f32 v35, v35, v36, 1.0
	v_and_b32_e32 v36, 1, v13
	v_lshlrev_b32_e32 v13, 30, v13
	v_and_b32_e32 v13, 0x80000000, v13
	v_cmp_eq_u32_e32 vcc, 0, v36
	v_xor_b32_e32 v13, v16, v13
	v_mul_f32_e64 v16, |v20|, s58
	v_cndmask_b32_e32 v33, v35, v33, vcc
	v_rndne_f32_e32 v35, v16
	v_sub_f32_e32 v36, v16, v35
	v_fma_f32 v16, |v20|, s58, -v16
	v_fma_f32 v16, |v20|, s59, v16
	v_add_f32_e32 v16, v36, v16
	v_exp_f32_e32 v16, v16
	v_cvt_i32_f32_e32 v35, v35
	v_xor_b32_e32 v13, v13, v33
	v_xor_b32_e32 v13, v13, v19
	v_cmp_ngt_f32_e64 vcc, |v20|, s60
	v_ldexp_f32 v16, v16, v35
	v_xor_b32_e32 v19, 0x80000000, v20
	v_cndmask_b32_e32 v16, 0, v16, vcc
	v_cmp_nlt_f32_e64 vcc, |v20|, s61
	v_bfi_b32 v33, s39, 1.0, v19
	v_mul_f32_e32 v19, v34, v34
	v_mov_b32_e32 v20, 0x3c0881c4
	v_fmac_f32_e32 v20, 0xb94c1982, v19
	v_fma_f32 v20, v19, v20, v26
	v_mul_f32_e32 v20, v19, v20
	v_fmac_f32_e32 v34, v34, v20
	v_mov_b32_e32 v20, 0xbab64f3b
	v_fmac_f32_e32 v20, 0x37d75334, v19
	v_fma_f32 v20, v19, v20, v27
	v_fma_f32 v20, v19, v20, v28
	v_fma_f32 v19, v19, v20, 1.0
	v_and_b32_e32 v20, 1, v1
	v_cndmask_b32_e32 v16, v31, v16, vcc
	v_cmp_eq_u32_e32 vcc, 0, v20
	v_lshlrev_b32_e32 v1, 30, v1
	v_cndmask_b32_e64 v19, -v34, v19, vcc
	v_and_b32_e32 v1, 0x80000000, v1
	v_mul_f32_e32 v13, 4.0, v13
	v_xor_b32_e32 v1, v1, v19
	v_mul_f32_e32 v1, v13, v1
	v_mul_f32_e32 v1, v16, v1
	;; [unrolled: 1-line block ×3, first 2 shown]
	s_or_b64 exec, exec, s[28:29]
                                        ; implicit-def: $vgpr19
.LBB94_187:                             ;   in Loop: Header=BB94_161 Depth=1
	s_andn2_saveexec_b64 s[8:9], s[26:27]
.LBB94_188:                             ;   in Loop: Header=BB94_161 Depth=1
	v_sub_f32_e32 v13, v19, v19
	v_mov_b32_e32 v33, v13
.LBB94_189:                             ;   in Loop: Header=BB94_161 Depth=1
	s_or_b64 exec, exec, s[8:9]
                                        ; implicit-def: $vgpr20
.LBB94_190:                             ;   in Loop: Header=BB94_161 Depth=1
	s_andn2_saveexec_b64 s[24:25], s[24:25]
	s_cbranch_execz .LBB94_207
; %bb.191:                              ;   in Loop: Header=BB94_161 Depth=1
	v_xor_b32_e32 v33, 0x80000000, v20
	v_and_b32_e32 v1, 0x7fffff, v33
	v_cmp_ne_u32_e32 vcc, 0, v1
                                        ; implicit-def: $vgpr13
	s_and_saveexec_b64 s[8:9], vcc
	s_xor_b64 s[8:9], exec, s[8:9]
; %bb.192:                              ;   in Loop: Header=BB94_161 Depth=1
	v_mul_f32_e64 v1, v19, -v20
	v_cmp_eq_f32_e32 vcc, 0, v19
	v_cndmask_b32_e32 v13, v1, v19, vcc
                                        ; implicit-def: $vgpr19
; %bb.193:                              ;   in Loop: Header=BB94_161 Depth=1
	s_andn2_saveexec_b64 s[26:27], s[8:9]
	s_cbranch_execz .LBB94_206
; %bb.194:                              ;   in Loop: Header=BB94_161 Depth=1
	v_cmp_neq_f32_e64 s[8:9], |v19|, s40
	s_and_saveexec_b64 s[28:29], s[8:9]
	s_cbranch_execz .LBB94_205
; %bb.195:                              ;   in Loop: Header=BB94_161 Depth=1
	v_and_b32_e32 v13, 0x7fffffff, v19
	v_cmp_nlt_f32_e64 s[30:31], |v19|, s43
                                        ; implicit-def: $vgpr16
                                        ; implicit-def: $vgpr20
	s_and_saveexec_b64 s[8:9], s[30:31]
	s_xor_b64 s[34:35], exec, s[8:9]
	s_cbranch_execz .LBB94_198
; %bb.196:                              ;   in Loop: Header=BB94_161 Depth=1
	v_and_b32_e32 v1, 0x7fffff, v13
	v_or_b32_e32 v16, 0x800000, v1
	v_mad_u64_u32 v[34:35], s[8:9], v16, s44, 0
	v_mov_b32_e32 v1, v35
	v_mad_u64_u32 v[35:36], s[8:9], v16, s45, v[1:2]
	v_mov_b32_e32 v1, v36
	;; [unrolled: 2-line block ×3, first 2 shown]
	v_mad_u64_u32 v[37:38], s[8:9], v16, s47, v[1:2]
	v_lshrrev_b32_e32 v1, 23, v13
	v_add_u32_e32 v20, 0xffffff88, v1
	v_mov_b32_e32 v1, v38
	v_mad_u64_u32 v[38:39], s[8:9], v16, s48, v[1:2]
	v_cmp_lt_u32_e32 vcc, 63, v20
	v_cndmask_b32_e32 v1, 0, v29, vcc
	v_add_u32_e32 v20, v1, v20
	v_mov_b32_e32 v1, v39
	v_mad_u64_u32 v[39:40], s[8:9], v16, s49, v[1:2]
	v_cmp_lt_u32_e64 s[8:9], 31, v20
	v_cndmask_b32_e64 v1, 0, v30, s[8:9]
	v_add_u32_e32 v20, v1, v20
	v_mov_b32_e32 v1, v40
	v_mad_u64_u32 v[40:41], s[10:11], v16, s50, v[1:2]
	v_cmp_lt_u32_e64 s[10:11], 31, v20
	v_cndmask_b32_e64 v1, 0, v30, s[10:11]
	v_add_u32_e32 v1, v1, v20
	v_cndmask_b32_e32 v16, v39, v37, vcc
	v_cndmask_b32_e32 v20, v40, v38, vcc
	;; [unrolled: 1-line block ×4, first 2 shown]
	v_cndmask_b32_e64 v40, v20, v16, s[8:9]
	v_cndmask_b32_e64 v20, v39, v20, s[8:9]
	;; [unrolled: 1-line block ×5, first 2 shown]
	v_sub_u32_e32 v40, 32, v1
	v_alignbit_b32 v41, v20, v39, v40
	v_cmp_eq_u32_e64 s[12:13], 0, v1
	v_cndmask_b32_e64 v1, v41, v20, s[12:13]
	v_cndmask_b32_e32 v20, v37, v35, vcc
	v_cndmask_b32_e64 v35, v38, v20, s[8:9]
	v_cndmask_b32_e64 v16, v16, v35, s[10:11]
	v_alignbit_b32 v37, v39, v16, v40
	v_cndmask_b32_e32 v34, v36, v34, vcc
	v_cndmask_b32_e64 v37, v37, v39, s[12:13]
	v_bfe_u32 v41, v1, 29, 1
	v_cndmask_b32_e64 v20, v20, v34, s[8:9]
	v_alignbit_b32 v38, v1, v37, 30
	v_sub_u32_e32 v42, 0, v41
	v_cndmask_b32_e64 v20, v35, v20, s[10:11]
	v_xor_b32_e32 v38, v38, v42
	v_alignbit_b32 v34, v16, v20, v40
	v_cndmask_b32_e64 v16, v34, v16, s[12:13]
	v_ffbh_u32_e32 v35, v38
	v_alignbit_b32 v34, v37, v16, 30
	v_min_u32_e32 v35, 32, v35
	v_alignbit_b32 v16, v16, v20, 30
	v_xor_b32_e32 v34, v34, v42
	v_sub_u32_e32 v36, 31, v35
	v_xor_b32_e32 v16, v16, v42
	v_alignbit_b32 v37, v38, v34, v36
	v_alignbit_b32 v16, v34, v16, v36
	;; [unrolled: 1-line block ×3, first 2 shown]
	v_ffbh_u32_e32 v34, v20
	v_min_u32_e32 v34, 32, v34
	v_lshrrev_b32_e32 v39, 29, v1
	v_not_b32_e32 v36, v34
	v_alignbit_b32 v16, v20, v16, v36
	v_lshlrev_b32_e32 v20, 31, v39
	v_or_b32_e32 v36, 0x33000000, v20
	v_add_lshl_u32 v34, v34, v35, 23
	v_lshrrev_b32_e32 v16, 9, v16
	v_sub_u32_e32 v34, v36, v34
	v_or_b32_e32 v20, 0.5, v20
	v_lshlrev_b32_e32 v35, 23, v35
	v_or_b32_e32 v16, v34, v16
	v_lshrrev_b32_e32 v34, 9, v37
	v_sub_u32_e32 v20, v20, v35
	v_or_b32_e32 v20, v34, v20
	v_mul_f32_e32 v34, 0x3fc90fda, v20
	v_fma_f32 v35, v20, s51, -v34
	v_fmac_f32_e32 v35, 0x33a22168, v20
	v_fmac_f32_e32 v35, 0x3fc90fda, v16
	v_lshrrev_b32_e32 v1, 30, v1
	v_add_f32_e32 v20, v34, v35
	v_add_u32_e32 v16, v41, v1
	s_andn2_saveexec_b64 s[8:9], s[34:35]
	s_branch .LBB94_199
.LBB94_197:                             ;   in Loop: Header=BB94_161 Depth=1
	s_or_b64 exec, exec, s[28:29]
                                        ; implicit-def: $vgpr19
	s_andn2_saveexec_b64 s[8:9], s[26:27]
	s_cbranch_execnz .LBB94_188
	s_branch .LBB94_189
.LBB94_198:                             ;   in Loop: Header=BB94_161 Depth=1
	s_andn2_saveexec_b64 s[8:9], s[34:35]
.LBB94_199:                             ;   in Loop: Header=BB94_161 Depth=1
	v_mul_f32_e64 v1, |v19|, s52
	v_rndne_f32_e32 v1, v1
	v_cvt_i32_f32_e32 v16, v1
	v_fma_f32 v20, v1, s53, |v19|
	v_fmac_f32_e32 v20, 0xb3a22168, v1
	v_fmac_f32_e32 v20, 0xa7c234c4, v1
; %bb.200:                              ;   in Loop: Header=BB94_161 Depth=1
	s_or_b64 exec, exec, s[8:9]
                                        ; implicit-def: $vgpr1
                                        ; implicit-def: $vgpr34
	s_and_saveexec_b64 s[8:9], s[30:31]
	s_xor_b64 s[30:31], exec, s[8:9]
	s_cbranch_execz .LBB94_202
; %bb.201:                              ;   in Loop: Header=BB94_161 Depth=1
	v_and_b32_e32 v1, 0x7fffff, v13
	v_or_b32_e32 v41, 0x800000, v1
	v_mad_u64_u32 v[34:35], s[8:9], v41, s44, 0
	v_mov_b32_e32 v1, v35
	v_mad_u64_u32 v[35:36], s[8:9], v41, s45, v[1:2]
	v_mov_b32_e32 v1, v36
	;; [unrolled: 2-line block ×3, first 2 shown]
	v_mad_u64_u32 v[37:38], s[8:9], v41, s47, v[1:2]
	v_lshrrev_b32_e32 v1, 23, v13
	v_add_u32_e32 v40, 0xffffff88, v1
	v_mov_b32_e32 v1, v38
	v_mad_u64_u32 v[38:39], s[8:9], v41, s48, v[1:2]
	v_cmp_lt_u32_e32 vcc, 63, v40
	v_cndmask_b32_e32 v1, 0, v29, vcc
	v_add_u32_e32 v42, v1, v40
	v_mov_b32_e32 v1, v39
	v_mad_u64_u32 v[39:40], s[8:9], v41, s49, v[1:2]
	v_cmp_lt_u32_e64 s[8:9], 31, v42
	v_cndmask_b32_e64 v1, 0, v30, s[8:9]
	v_add_u32_e32 v42, v1, v42
	v_mov_b32_e32 v1, v40
	v_mad_u64_u32 v[40:41], s[10:11], v41, s50, v[1:2]
	v_cmp_lt_u32_e64 s[10:11], 31, v42
	v_cndmask_b32_e64 v1, 0, v30, s[10:11]
	v_add_u32_e32 v1, v1, v42
	v_cndmask_b32_e32 v42, v39, v37, vcc
	v_cndmask_b32_e32 v40, v40, v38, vcc
	;; [unrolled: 1-line block ×4, first 2 shown]
	v_cndmask_b32_e64 v41, v40, v42, s[8:9]
	v_cndmask_b32_e64 v39, v39, v40, s[8:9]
	v_cndmask_b32_e64 v40, v42, v38, s[8:9]
	v_cndmask_b32_e32 v35, v37, v35, vcc
	v_cndmask_b32_e64 v39, v39, v41, s[10:11]
	v_cndmask_b32_e64 v41, v41, v40, s[10:11]
	v_sub_u32_e32 v42, 32, v1
	v_cndmask_b32_e64 v37, v38, v35, s[8:9]
	v_alignbit_b32 v43, v39, v41, v42
	v_cmp_eq_u32_e64 s[12:13], 0, v1
	v_cndmask_b32_e64 v38, v40, v37, s[10:11]
	v_cndmask_b32_e64 v1, v43, v39, s[12:13]
	v_alignbit_b32 v39, v41, v38, v42
	v_cndmask_b32_e32 v34, v36, v34, vcc
	v_cndmask_b32_e64 v39, v39, v41, s[12:13]
	v_bfe_u32 v43, v1, 29, 1
	v_cndmask_b32_e64 v34, v35, v34, s[8:9]
	v_alignbit_b32 v40, v1, v39, 30
	v_sub_u32_e32 v44, 0, v43
	v_cndmask_b32_e64 v34, v37, v34, s[10:11]
	v_xor_b32_e32 v40, v40, v44
	v_alignbit_b32 v35, v38, v34, v42
	v_cndmask_b32_e64 v35, v35, v38, s[12:13]
	v_ffbh_u32_e32 v37, v40
	v_alignbit_b32 v36, v39, v35, 30
	v_min_u32_e32 v37, 32, v37
	v_alignbit_b32 v34, v35, v34, 30
	v_xor_b32_e32 v36, v36, v44
	v_sub_u32_e32 v38, 31, v37
	v_xor_b32_e32 v34, v34, v44
	v_alignbit_b32 v39, v40, v36, v38
	v_alignbit_b32 v34, v36, v34, v38
	;; [unrolled: 1-line block ×3, first 2 shown]
	v_ffbh_u32_e32 v36, v35
	v_min_u32_e32 v36, 32, v36
	v_lshrrev_b32_e32 v41, 29, v1
	v_not_b32_e32 v38, v36
	v_alignbit_b32 v34, v35, v34, v38
	v_lshlrev_b32_e32 v35, 31, v41
	v_or_b32_e32 v38, 0x33000000, v35
	v_add_lshl_u32 v36, v36, v37, 23
	v_lshrrev_b32_e32 v34, 9, v34
	v_sub_u32_e32 v36, v38, v36
	v_or_b32_e32 v35, 0.5, v35
	v_lshlrev_b32_e32 v37, 23, v37
	v_or_b32_e32 v34, v36, v34
	v_lshrrev_b32_e32 v36, 9, v39
	v_sub_u32_e32 v35, v35, v37
	v_or_b32_e32 v35, v36, v35
	v_mul_f32_e32 v36, 0x3fc90fda, v35
	v_fma_f32 v37, v35, s51, -v36
	v_fmac_f32_e32 v37, 0x33a22168, v35
	v_fmac_f32_e32 v37, 0x3fc90fda, v34
	v_lshrrev_b32_e32 v1, 30, v1
	v_add_f32_e32 v34, v36, v37
	v_add_u32_e32 v1, v43, v1
	s_andn2_saveexec_b64 s[8:9], s[30:31]
	s_cbranch_execnz .LBB94_203
	s_branch .LBB94_204
.LBB94_202:                             ;   in Loop: Header=BB94_161 Depth=1
	s_andn2_saveexec_b64 s[8:9], s[30:31]
.LBB94_203:                             ;   in Loop: Header=BB94_161 Depth=1
	v_mul_f32_e64 v1, |v19|, s52
	v_rndne_f32_e32 v35, v1
	v_cvt_i32_f32_e32 v1, v35
	v_fma_f32 v34, v35, s53, |v19|
	v_fmac_f32_e32 v34, 0xb3a22168, v35
	v_fmac_f32_e32 v34, 0xa7c234c4, v35
.LBB94_204:                             ;   in Loop: Header=BB94_161 Depth=1
	s_or_b64 exec, exec, s[8:9]
	v_mul_f32_e32 v35, v20, v20
	v_mov_b32_e32 v36, 0x3c0881c4
	v_fmac_f32_e32 v36, 0xb94c1982, v35
	v_fma_f32 v36, v35, v36, v26
	v_mul_f32_e32 v36, v35, v36
	v_fmac_f32_e32 v20, v20, v36
	v_mov_b32_e32 v36, 0xbab64f3b
	v_fmac_f32_e32 v36, 0x37d75334, v35
	v_fma_f32 v36, v35, v36, v27
	v_fma_f32 v36, v35, v36, v28
	v_fma_f32 v35, v35, v36, 1.0
	v_and_b32_e32 v36, 1, v16
	v_lshlrev_b32_e32 v16, 30, v16
	v_cmp_eq_u32_e32 vcc, 0, v36
	v_and_b32_e32 v16, 0x80000000, v16
	v_cndmask_b32_e32 v20, v35, v20, vcc
	v_xor_b32_e32 v13, v13, v16
	v_xor_b32_e32 v13, v13, v20
	v_mul_f32_e32 v16, v34, v34
	v_mov_b32_e32 v20, 0x3c0881c4
	v_fmac_f32_e32 v20, 0xb94c1982, v16
	v_fma_f32 v20, v16, v20, v26
	v_mul_f32_e32 v20, v16, v20
	v_fmac_f32_e32 v34, v34, v20
	v_mov_b32_e32 v20, 0xbab64f3b
	v_fmac_f32_e32 v20, 0x37d75334, v16
	v_fma_f32 v20, v16, v20, v27
	v_fma_f32 v20, v16, v20, v28
	v_fma_f32 v16, v16, v20, 1.0
	v_and_b32_e32 v20, 1, v1
	v_cmp_eq_u32_e32 vcc, 0, v20
	v_lshlrev_b32_e32 v1, 30, v1
	v_cndmask_b32_e64 v16, -v34, v16, vcc
	v_and_b32_e32 v1, 0x80000000, v1
	v_xor_b32_e32 v13, v13, v19
	v_xor_b32_e32 v1, v1, v16
	v_mul_f32_e32 v1, v13, v1
	v_cmp_class_f32_e64 vcc, v19, s41
	v_cndmask_b32_e32 v19, v32, v1, vcc
.LBB94_205:                             ;   in Loop: Header=BB94_161 Depth=1
	s_or_b64 exec, exec, s[28:29]
	v_add_u32_e32 v33, -2.0, v33
	v_bfi_b32 v13, s39, 0, v19
.LBB94_206:                             ;   in Loop: Header=BB94_161 Depth=1
	s_or_b64 exec, exec, s[26:27]
.LBB94_207:                             ;   in Loop: Header=BB94_161 Depth=1
	s_or_b64 exec, exec, s[24:25]
	v_and_b32_e32 v1, 0x7fffffff, v18
	v_cmp_gt_u32_e32 vcc, s40, v1
                                        ; implicit-def: $vgpr16
                                        ; implicit-def: $vgpr19
	s_and_saveexec_b64 s[8:9], vcc
	s_xor_b64 s[24:25], exec, s[8:9]
	s_cbranch_execz .LBB94_229
; %bb.208:                              ;   in Loop: Header=BB94_161 Depth=1
	v_cmp_class_f32_e64 s[8:9], v17, s41
                                        ; implicit-def: $vgpr16
                                        ; implicit-def: $vgpr19
	s_and_saveexec_b64 s[10:11], s[8:9]
	s_xor_b64 s[26:27], exec, s[10:11]
	s_cbranch_execz .LBB94_226
; %bb.209:                              ;   in Loop: Header=BB94_161 Depth=1
	v_and_b32_e32 v20, 0x7fffffff, v17
	v_cmp_gt_u32_e32 vcc, s42, v1
                                        ; implicit-def: $vgpr16
                                        ; implicit-def: $vgpr19
	s_and_saveexec_b64 s[8:9], vcc
	s_xor_b64 s[28:29], exec, s[8:9]
	s_cbranch_execz .LBB94_215
; %bb.210:                              ;   in Loop: Header=BB94_161 Depth=1
	v_cmp_nlt_f32_e64 s[8:9], |v17|, s43
                                        ; implicit-def: $vgpr16
                                        ; implicit-def: $vgpr1
	s_and_saveexec_b64 s[10:11], s[8:9]
	s_xor_b64 s[30:31], exec, s[10:11]
	s_cbranch_execz .LBB94_212
; %bb.211:                              ;   in Loop: Header=BB94_161 Depth=1
	v_and_b32_e32 v1, 0x7fffff, v20
	v_or_b32_e32 v16, 0x800000, v1
	v_mad_u64_u32 v[34:35], s[8:9], v16, s44, 0
	v_mov_b32_e32 v1, v35
	v_mad_u64_u32 v[35:36], s[8:9], v16, s45, v[1:2]
	v_mov_b32_e32 v1, v36
	;; [unrolled: 2-line block ×3, first 2 shown]
	v_mad_u64_u32 v[37:38], s[8:9], v16, s47, v[1:2]
	v_lshrrev_b32_e32 v1, 23, v20
	v_add_u32_e32 v19, 0xffffff88, v1
	v_mov_b32_e32 v1, v38
	v_mad_u64_u32 v[38:39], s[8:9], v16, s48, v[1:2]
	v_cmp_lt_u32_e32 vcc, 63, v19
	v_cndmask_b32_e32 v1, 0, v29, vcc
	v_add_u32_e32 v19, v1, v19
	v_mov_b32_e32 v1, v39
	v_mad_u64_u32 v[39:40], s[8:9], v16, s49, v[1:2]
	v_cmp_lt_u32_e64 s[8:9], 31, v19
	v_cndmask_b32_e64 v1, 0, v30, s[8:9]
	v_add_u32_e32 v19, v1, v19
	v_mov_b32_e32 v1, v40
	v_mad_u64_u32 v[40:41], s[10:11], v16, s50, v[1:2]
	v_cmp_lt_u32_e64 s[10:11], 31, v19
	v_cndmask_b32_e64 v1, 0, v30, s[10:11]
	v_add_u32_e32 v1, v1, v19
	v_cndmask_b32_e32 v16, v39, v37, vcc
	v_cndmask_b32_e32 v19, v40, v38, vcc
	;; [unrolled: 1-line block ×4, first 2 shown]
	v_cndmask_b32_e64 v40, v19, v16, s[8:9]
	v_cndmask_b32_e64 v19, v39, v19, s[8:9]
	;; [unrolled: 1-line block ×5, first 2 shown]
	v_sub_u32_e32 v40, 32, v1
	v_cmp_eq_u32_e64 s[12:13], 0, v1
	v_cndmask_b32_e32 v1, v37, v35, vcc
	v_cndmask_b32_e64 v35, v38, v1, s[8:9]
	v_alignbit_b32 v41, v19, v39, v40
	v_cndmask_b32_e64 v16, v16, v35, s[10:11]
	v_cndmask_b32_e64 v19, v41, v19, s[12:13]
	v_alignbit_b32 v37, v39, v16, v40
	v_cndmask_b32_e32 v34, v36, v34, vcc
	v_cndmask_b32_e64 v37, v37, v39, s[12:13]
	v_bfe_u32 v41, v19, 29, 1
	v_cndmask_b32_e64 v1, v1, v34, s[8:9]
	v_alignbit_b32 v38, v19, v37, 30
	v_sub_u32_e32 v42, 0, v41
	v_cndmask_b32_e64 v1, v35, v1, s[10:11]
	v_xor_b32_e32 v38, v38, v42
	v_alignbit_b32 v34, v16, v1, v40
	v_cndmask_b32_e64 v16, v34, v16, s[12:13]
	v_ffbh_u32_e32 v35, v38
	v_alignbit_b32 v34, v37, v16, 30
	v_min_u32_e32 v35, 32, v35
	v_alignbit_b32 v1, v16, v1, 30
	v_xor_b32_e32 v34, v34, v42
	v_sub_u32_e32 v36, 31, v35
	v_xor_b32_e32 v1, v1, v42
	v_alignbit_b32 v37, v38, v34, v36
	v_alignbit_b32 v1, v34, v1, v36
	;; [unrolled: 1-line block ×3, first 2 shown]
	v_ffbh_u32_e32 v34, v16
	v_min_u32_e32 v34, 32, v34
	v_lshrrev_b32_e32 v39, 29, v19
	v_not_b32_e32 v36, v34
	v_alignbit_b32 v1, v16, v1, v36
	v_lshlrev_b32_e32 v16, 31, v39
	v_or_b32_e32 v36, 0x33000000, v16
	v_add_lshl_u32 v34, v34, v35, 23
	v_lshrrev_b32_e32 v1, 9, v1
	v_sub_u32_e32 v34, v36, v34
	v_or_b32_e32 v16, 0.5, v16
	v_lshlrev_b32_e32 v35, 23, v35
	v_or_b32_e32 v1, v34, v1
	v_lshrrev_b32_e32 v34, 9, v37
	v_sub_u32_e32 v16, v16, v35
	v_or_b32_e32 v16, v34, v16
	v_mul_f32_e32 v34, 0x3fc90fda, v16
	v_fma_f32 v35, v16, s51, -v34
	v_fmac_f32_e32 v35, 0x33a22168, v16
	v_fmac_f32_e32 v35, 0x3fc90fda, v1
	v_lshrrev_b32_e32 v16, 30, v19
	v_add_f32_e32 v1, v34, v35
	v_add_u32_e32 v16, v41, v16
.LBB94_212:                             ;   in Loop: Header=BB94_161 Depth=1
	s_andn2_saveexec_b64 s[8:9], s[30:31]
; %bb.213:                              ;   in Loop: Header=BB94_161 Depth=1
	v_mul_f32_e64 v1, |v17|, s52
	v_rndne_f32_e32 v19, v1
	v_cvt_i32_f32_e32 v16, v19
	v_fma_f32 v1, v19, s53, |v17|
	v_fmac_f32_e32 v1, 0xb3a22168, v19
	v_fmac_f32_e32 v1, 0xa7c234c4, v19
; %bb.214:                              ;   in Loop: Header=BB94_161 Depth=1
	s_or_b64 exec, exec, s[8:9]
	v_mul_f32_e32 v19, v1, v1
	v_mov_b32_e32 v34, 0xbf039337
	v_fmac_f32_e32 v34, 0x3c971480, v19
	v_fma_f32 v34, v19, v34, v21
	v_rcp_f32_e32 v34, v34
	v_mov_b32_e32 v35, 0x3ec54587
	v_fmac_f32_e32 v35, 0xbc8cedd3, v19
	v_and_b32_e32 v16, 1, v16
	v_mul_f32_e32 v34, v35, v34
	v_mul_f32_e32 v19, v19, v34
	v_fma_f32 v34, v19, v1, v1
	v_rcp_f32_e32 v35, v34
	v_sub_f32_e32 v36, v34, v1
	v_fma_f32 v1, v19, v1, -v36
	v_cmp_eq_u32_e32 vcc, 0, v16
	v_fma_f32 v19, v34, -v35, 1.0
	v_fma_f32 v1, v1, -v35, v19
	v_add_f32_e64 v16, |v18|, s54
	v_fma_f32 v1, v1, -v35, -v35
	v_sub_f32_e64 v19, v16, |v18|
	v_cndmask_b32_e32 v1, v1, v34, vcc
	v_sub_f32_e32 v34, v19, v16
	v_add_f32_e64 v34, |v18|, v34
	v_add_f32_e32 v19, 0x3f317218, v19
	v_sub_f32_e32 v19, v34, v19
	v_add_f32_e32 v19, 0x3102e308, v19
	v_add_f32_e32 v34, v16, v19
	v_sub_f32_e32 v16, v16, v34
	v_add_f32_e32 v16, v19, v16
	v_mul_f32_e32 v19, 0x3fb8aa3b, v34
	v_rndne_f32_e32 v19, v19
	v_fmac_f32_e32 v34, 0xbf317200, v19
	v_add_f32_e32 v35, v16, v34
	v_sub_f32_e32 v34, v34, v35
	v_add_f32_e32 v16, v16, v34
	v_mul_f32_e32 v34, 0x35bfbc00, v19
	v_sub_f32_e32 v36, v35, v34
	v_sub_f32_e32 v35, v35, v36
	;; [unrolled: 1-line block ×3, first 2 shown]
	v_add_f32_e32 v16, v16, v34
	v_add_f32_e32 v34, v36, v16
	v_sub_f32_e32 v35, v36, v34
	v_add_f32_e32 v16, v16, v35
	v_mul_f32_e32 v35, 0x2ea39ef3, v19
	v_sub_f32_e32 v36, v34, v35
	v_sub_f32_e32 v34, v34, v36
	;; [unrolled: 1-line block ×3, first 2 shown]
	v_add_f32_e32 v16, v16, v34
	v_add_f32_e32 v34, v36, v16
	v_sub_f32_e32 v36, v36, v34
	v_mov_b32_e32 v35, 0x3c091de6
	v_add_f32_e32 v16, v16, v36
	v_mul_f32_e32 v37, v34, v34
	v_fmac_f32_e32 v35, 0x3ab42872, v34
	v_add_f32_e32 v36, v16, v16
	v_fma_f32 v38, v34, v34, -v37
	v_fma_f32 v35, v34, v35, v22
	v_fmac_f32_e32 v38, v34, v36
	v_fma_f32 v35, v34, v35, v23
	v_add_f32_e32 v36, v37, v38
	v_fma_f32 v35, v34, v35, v24
	v_sub_f32_e32 v37, v36, v37
	v_sub_f32_e32 v37, v38, v37
	v_mul_f32_e32 v38, v35, v36
	v_fma_f32 v36, v36, v35, -v38
	v_fmac_f32_e32 v36, v37, v35
	v_add_f32_e32 v35, v38, v36
	v_sub_f32_e32 v37, v35, v38
	v_sub_f32_e32 v36, v36, v37
	v_add_f32_e32 v37, v34, v35
	v_sub_f32_e32 v34, v37, v34
	v_sub_f32_e32 v34, v35, v34
	v_add_f32_e32 v16, v16, v36
	v_add_f32_e32 v16, v16, v34
	;; [unrolled: 1-line block ×3, first 2 shown]
	v_sub_f32_e32 v35, v34, v37
	v_sub_f32_e32 v16, v16, v35
	v_add_f32_e32 v35, 1.0, v34
	v_add_f32_e32 v36, -1.0, v35
	v_cvt_i32_f32_e32 v19, v19
	v_sub_f32_e32 v34, v34, v36
	v_add_f32_e32 v16, v16, v34
	v_add_f32_e32 v34, v35, v16
	v_ldexp_f32 v36, v34, v19
	v_rcp_f32_e32 v37, v36
	v_sub_f32_e32 v34, v34, v35
	v_sub_f32_e32 v16, v16, v34
	v_ldexp_f32 v16, v16, v19
	v_mul_f32_e32 v19, v36, v37
	v_fma_f32 v34, v37, v36, -v19
	v_fmac_f32_e32 v34, v37, v16
	v_add_f32_e32 v35, v19, v34
	v_sub_f32_e32 v38, 1.0, v35
	v_sub_f32_e32 v39, 1.0, v38
	v_sub_f32_e32 v19, v35, v19
	v_sub_f32_e32 v39, v39, v35
	;; [unrolled: 1-line block ×3, first 2 shown]
	v_add_f32_e32 v19, v19, v39
	v_add_f32_e32 v34, v38, v19
	v_mul_f32_e32 v35, v37, v34
	v_mul_f32_e32 v39, v36, v35
	v_fma_f32 v40, v35, v36, -v39
	v_fmac_f32_e32 v40, v35, v16
	v_sub_f32_e32 v38, v38, v34
	v_add_f32_e32 v19, v19, v38
	v_add_f32_e32 v38, v39, v40
	v_sub_f32_e32 v41, v34, v38
	v_sub_f32_e32 v34, v34, v41
	;; [unrolled: 1-line block ×4, first 2 shown]
	v_add_f32_e32 v19, v19, v34
	v_sub_f32_e32 v34, v39, v40
	v_add_f32_e32 v19, v34, v19
	v_add_f32_e32 v19, v41, v19
	;; [unrolled: 1-line block ×3, first 2 shown]
	v_mul_f32_e32 v19, v37, v19
	v_sub_f32_e32 v37, v34, v37
	v_sub_f32_e32 v35, v35, v37
	v_add_f32_e32 v19, v35, v19
	v_add_f32_e32 v35, v34, v19
	v_sub_f32_e32 v34, v35, v34
	v_sub_f32_e32 v19, v19, v34
	v_ldexp_f32 v34, v35, -2
	v_sub_f32_e32 v35, v36, v34
	v_sub_f32_e32 v36, v36, v35
	;; [unrolled: 1-line block ×3, first 2 shown]
	v_ldexp_f32 v19, v19, -2
	v_add_f32_e32 v16, v16, v34
	v_sub_f32_e32 v16, v16, v19
	v_add_f32_e32 v16, v35, v16
	v_cmp_ngt_f32_e64 vcc, |v18|, s55
	v_cndmask_b32_e32 v16, v31, v16, vcc
	v_cmp_lt_f32_e64 s[8:9], |v18|, s56
	v_cndmask_b32_e64 v16, v16, |v18|, s[8:9]
	v_xor_b32_e32 v18, 0x80000000, v18
	v_bfi_b32 v16, s39, v16, v18
	v_fma_f32 v18, v16, v16, 1.0
	v_mul_f32_e32 v19, 0x4f800000, v18
	v_cmp_gt_f32_e32 vcc, s57, v18
	v_cndmask_b32_e32 v18, v18, v19, vcc
	v_sqrt_f32_e32 v19, v18
	v_xor_b32_e32 v1, v20, v1
	v_xor_b32_e32 v1, v1, v17
	v_fma_f32 v17, v1, v1, 1.0
	v_add_u32_e32 v20, -1, v19
	v_fma_f32 v34, -v20, v19, v18
	v_cmp_ge_f32_e64 s[8:9], 0, v34
	v_add_u32_e32 v34, 1, v19
	v_cndmask_b32_e64 v20, v19, v20, s[8:9]
	v_fma_f32 v19, -v34, v19, v18
	v_cmp_lt_f32_e64 s[8:9], 0, v19
	v_cndmask_b32_e64 v19, v20, v34, s[8:9]
	v_mul_f32_e32 v20, 0x37800000, v19
	v_cndmask_b32_e32 v19, v19, v20, vcc
	v_cmp_class_f32_e32 vcc, v18, v25
	v_cndmask_b32_e32 v18, v19, v18, vcc
	v_mul_f32_e32 v19, v16, v17
	v_mul_f32_e32 v17, v18, v17
	v_fma_f32 v20, v16, v19, 1.0
	v_mul_f32_e32 v16, v16, v17
	v_div_scale_f32 v17, s[8:9], v20, v20, v16
	v_div_scale_f32 v18, vcc, v16, v20, v16
	v_div_scale_f32 v19, s[8:9], v20, v20, v1
	v_div_scale_f32 v34, s[8:9], v1, v20, v1
	v_rcp_f32_e32 v35, v17
	v_fma_f32 v36, -v17, v35, 1.0
	v_fmac_f32_e32 v35, v36, v35
	v_mul_f32_e32 v36, v18, v35
	v_fma_f32 v37, -v17, v36, v18
	v_fmac_f32_e32 v36, v37, v35
	v_rcp_f32_e32 v37, v19
	v_fma_f32 v17, -v17, v36, v18
	v_div_fmas_f32 v17, v17, v35, v36
	s_mov_b64 vcc, s[8:9]
	v_fma_f32 v18, -v19, v37, 1.0
	v_fmac_f32_e32 v37, v18, v37
	v_mul_f32_e32 v18, v34, v37
	v_fma_f32 v35, -v19, v18, v34
	v_fmac_f32_e32 v18, v35, v37
	v_fma_f32 v19, -v19, v18, v34
	v_div_fmas_f32 v18, v19, v37, v18
	v_div_fixup_f32 v19, v17, v20, v16
	v_div_fixup_f32 v16, v18, v20, v1
                                        ; implicit-def: $vgpr17
                                        ; implicit-def: $vgpr20
.LBB94_215:                             ;   in Loop: Header=BB94_161 Depth=1
	s_andn2_saveexec_b64 s[28:29], s[28:29]
	s_cbranch_execz .LBB94_225
; %bb.216:                              ;   in Loop: Header=BB94_161 Depth=1
	v_cmp_nlt_f32_e64 s[30:31], |v17|, s43
                                        ; implicit-def: $vgpr16
                                        ; implicit-def: $vgpr19
	s_and_saveexec_b64 s[8:9], s[30:31]
	s_xor_b64 s[34:35], exec, s[8:9]
	s_cbranch_execz .LBB94_218
; %bb.217:                              ;   in Loop: Header=BB94_161 Depth=1
	v_and_b32_e32 v1, 0x7fffff, v20
	v_or_b32_e32 v16, 0x800000, v1
	v_mad_u64_u32 v[34:35], s[8:9], v16, s44, 0
	v_mov_b32_e32 v1, v35
	v_mad_u64_u32 v[35:36], s[8:9], v16, s45, v[1:2]
	v_mov_b32_e32 v1, v36
	;; [unrolled: 2-line block ×3, first 2 shown]
	v_mad_u64_u32 v[37:38], s[8:9], v16, s47, v[1:2]
	v_lshrrev_b32_e32 v1, 23, v20
	v_add_u32_e32 v19, 0xffffff88, v1
	v_mov_b32_e32 v1, v38
	v_mad_u64_u32 v[38:39], s[8:9], v16, s48, v[1:2]
	v_cmp_lt_u32_e32 vcc, 63, v19
	v_cndmask_b32_e32 v1, 0, v29, vcc
	v_add_u32_e32 v19, v1, v19
	v_mov_b32_e32 v1, v39
	v_mad_u64_u32 v[39:40], s[8:9], v16, s49, v[1:2]
	v_cmp_lt_u32_e64 s[8:9], 31, v19
	v_cndmask_b32_e64 v1, 0, v30, s[8:9]
	v_add_u32_e32 v19, v1, v19
	v_mov_b32_e32 v1, v40
	v_mad_u64_u32 v[40:41], s[10:11], v16, s50, v[1:2]
	v_cmp_lt_u32_e64 s[10:11], 31, v19
	v_cndmask_b32_e64 v1, 0, v30, s[10:11]
	v_add_u32_e32 v1, v1, v19
	v_cndmask_b32_e32 v16, v39, v37, vcc
	v_cndmask_b32_e32 v19, v40, v38, vcc
	;; [unrolled: 1-line block ×4, first 2 shown]
	v_cndmask_b32_e64 v40, v19, v16, s[8:9]
	v_cndmask_b32_e64 v19, v39, v19, s[8:9]
	;; [unrolled: 1-line block ×5, first 2 shown]
	v_sub_u32_e32 v40, 32, v1
	v_alignbit_b32 v41, v19, v39, v40
	v_cmp_eq_u32_e64 s[12:13], 0, v1
	v_cndmask_b32_e64 v1, v41, v19, s[12:13]
	v_cndmask_b32_e32 v19, v37, v35, vcc
	v_cndmask_b32_e64 v35, v38, v19, s[8:9]
	v_cndmask_b32_e64 v16, v16, v35, s[10:11]
	v_alignbit_b32 v37, v39, v16, v40
	v_cndmask_b32_e32 v34, v36, v34, vcc
	v_cndmask_b32_e64 v37, v37, v39, s[12:13]
	v_bfe_u32 v41, v1, 29, 1
	v_cndmask_b32_e64 v19, v19, v34, s[8:9]
	v_alignbit_b32 v38, v1, v37, 30
	v_sub_u32_e32 v42, 0, v41
	v_cndmask_b32_e64 v19, v35, v19, s[10:11]
	v_xor_b32_e32 v38, v38, v42
	v_alignbit_b32 v34, v16, v19, v40
	v_cndmask_b32_e64 v16, v34, v16, s[12:13]
	v_ffbh_u32_e32 v35, v38
	v_alignbit_b32 v34, v37, v16, 30
	v_min_u32_e32 v35, 32, v35
	v_alignbit_b32 v16, v16, v19, 30
	v_xor_b32_e32 v34, v34, v42
	v_sub_u32_e32 v36, 31, v35
	v_xor_b32_e32 v16, v16, v42
	v_alignbit_b32 v37, v38, v34, v36
	v_alignbit_b32 v16, v34, v16, v36
	v_alignbit_b32 v19, v37, v16, 9
	v_ffbh_u32_e32 v34, v19
	v_min_u32_e32 v34, 32, v34
	v_lshrrev_b32_e32 v39, 29, v1
	v_not_b32_e32 v36, v34
	v_alignbit_b32 v16, v19, v16, v36
	v_lshlrev_b32_e32 v19, 31, v39
	v_or_b32_e32 v36, 0x33000000, v19
	v_add_lshl_u32 v34, v34, v35, 23
	v_lshrrev_b32_e32 v16, 9, v16
	v_sub_u32_e32 v34, v36, v34
	v_or_b32_e32 v19, 0.5, v19
	v_lshlrev_b32_e32 v35, 23, v35
	v_or_b32_e32 v16, v34, v16
	v_lshrrev_b32_e32 v34, 9, v37
	v_sub_u32_e32 v19, v19, v35
	v_or_b32_e32 v19, v34, v19
	v_mul_f32_e32 v34, 0x3fc90fda, v19
	v_fma_f32 v35, v19, s51, -v34
	v_fmac_f32_e32 v35, 0x33a22168, v19
	v_fmac_f32_e32 v35, 0x3fc90fda, v16
	v_lshrrev_b32_e32 v1, 30, v1
	v_add_f32_e32 v19, v34, v35
	v_add_u32_e32 v16, v41, v1
	s_andn2_saveexec_b64 s[8:9], s[34:35]
	s_branch .LBB94_219
.LBB94_218:                             ;   in Loop: Header=BB94_161 Depth=1
	s_andn2_saveexec_b64 s[8:9], s[34:35]
.LBB94_219:                             ;   in Loop: Header=BB94_161 Depth=1
	v_mul_f32_e64 v1, |v17|, s52
	v_rndne_f32_e32 v1, v1
	v_cvt_i32_f32_e32 v16, v1
	v_fma_f32 v19, v1, s53, |v17|
	v_fmac_f32_e32 v19, 0xb3a22168, v1
	v_fmac_f32_e32 v19, 0xa7c234c4, v1
; %bb.220:                              ;   in Loop: Header=BB94_161 Depth=1
	s_or_b64 exec, exec, s[8:9]
                                        ; implicit-def: $vgpr1
                                        ; implicit-def: $vgpr34
	s_and_saveexec_b64 s[8:9], s[30:31]
	s_xor_b64 s[30:31], exec, s[8:9]
	s_cbranch_execz .LBB94_222
; %bb.221:                              ;   in Loop: Header=BB94_161 Depth=1
	v_and_b32_e32 v1, 0x7fffff, v20
	v_or_b32_e32 v41, 0x800000, v1
	v_mad_u64_u32 v[34:35], s[8:9], v41, s44, 0
	v_mov_b32_e32 v1, v35
	v_mad_u64_u32 v[35:36], s[8:9], v41, s45, v[1:2]
	v_mov_b32_e32 v1, v36
	;; [unrolled: 2-line block ×3, first 2 shown]
	v_mad_u64_u32 v[37:38], s[8:9], v41, s47, v[1:2]
	v_lshrrev_b32_e32 v1, 23, v20
	v_add_u32_e32 v40, 0xffffff88, v1
	v_mov_b32_e32 v1, v38
	v_mad_u64_u32 v[38:39], s[8:9], v41, s48, v[1:2]
	v_cmp_lt_u32_e32 vcc, 63, v40
	v_cndmask_b32_e32 v1, 0, v29, vcc
	v_add_u32_e32 v42, v1, v40
	v_mov_b32_e32 v1, v39
	v_mad_u64_u32 v[39:40], s[8:9], v41, s49, v[1:2]
	v_cmp_lt_u32_e64 s[8:9], 31, v42
	v_cndmask_b32_e64 v1, 0, v30, s[8:9]
	v_add_u32_e32 v42, v1, v42
	v_mov_b32_e32 v1, v40
	v_mad_u64_u32 v[40:41], s[10:11], v41, s50, v[1:2]
	v_cmp_lt_u32_e64 s[10:11], 31, v42
	v_cndmask_b32_e64 v1, 0, v30, s[10:11]
	v_add_u32_e32 v1, v1, v42
	v_cndmask_b32_e32 v42, v39, v37, vcc
	v_cndmask_b32_e32 v40, v40, v38, vcc
	;; [unrolled: 1-line block ×4, first 2 shown]
	v_cndmask_b32_e64 v41, v40, v42, s[8:9]
	v_cndmask_b32_e64 v39, v39, v40, s[8:9]
	;; [unrolled: 1-line block ×3, first 2 shown]
	v_cndmask_b32_e32 v35, v37, v35, vcc
	v_cndmask_b32_e64 v39, v39, v41, s[10:11]
	v_cndmask_b32_e64 v41, v41, v40, s[10:11]
	v_sub_u32_e32 v42, 32, v1
	v_cndmask_b32_e64 v37, v38, v35, s[8:9]
	v_alignbit_b32 v43, v39, v41, v42
	v_cmp_eq_u32_e64 s[12:13], 0, v1
	v_cndmask_b32_e64 v38, v40, v37, s[10:11]
	v_cndmask_b32_e64 v1, v43, v39, s[12:13]
	v_alignbit_b32 v39, v41, v38, v42
	v_cndmask_b32_e32 v34, v36, v34, vcc
	v_cndmask_b32_e64 v39, v39, v41, s[12:13]
	v_bfe_u32 v43, v1, 29, 1
	v_cndmask_b32_e64 v34, v35, v34, s[8:9]
	v_alignbit_b32 v40, v1, v39, 30
	v_sub_u32_e32 v44, 0, v43
	v_cndmask_b32_e64 v34, v37, v34, s[10:11]
	v_xor_b32_e32 v40, v40, v44
	v_alignbit_b32 v35, v38, v34, v42
	v_cndmask_b32_e64 v35, v35, v38, s[12:13]
	v_ffbh_u32_e32 v37, v40
	v_alignbit_b32 v36, v39, v35, 30
	v_min_u32_e32 v37, 32, v37
	v_alignbit_b32 v34, v35, v34, 30
	v_xor_b32_e32 v36, v36, v44
	v_sub_u32_e32 v38, 31, v37
	v_xor_b32_e32 v34, v34, v44
	v_alignbit_b32 v39, v40, v36, v38
	v_alignbit_b32 v34, v36, v34, v38
	;; [unrolled: 1-line block ×3, first 2 shown]
	v_ffbh_u32_e32 v36, v35
	v_min_u32_e32 v36, 32, v36
	v_lshrrev_b32_e32 v41, 29, v1
	v_not_b32_e32 v38, v36
	v_alignbit_b32 v34, v35, v34, v38
	v_lshlrev_b32_e32 v35, 31, v41
	v_or_b32_e32 v38, 0x33000000, v35
	v_add_lshl_u32 v36, v36, v37, 23
	v_lshrrev_b32_e32 v34, 9, v34
	v_sub_u32_e32 v36, v38, v36
	v_or_b32_e32 v35, 0.5, v35
	v_lshlrev_b32_e32 v37, 23, v37
	v_or_b32_e32 v34, v36, v34
	v_lshrrev_b32_e32 v36, 9, v39
	v_sub_u32_e32 v35, v35, v37
	v_or_b32_e32 v35, v36, v35
	v_mul_f32_e32 v36, 0x3fc90fda, v35
	v_fma_f32 v37, v35, s51, -v36
	v_fmac_f32_e32 v37, 0x33a22168, v35
	v_fmac_f32_e32 v37, 0x3fc90fda, v34
	v_lshrrev_b32_e32 v1, 30, v1
	v_add_f32_e32 v34, v36, v37
	v_add_u32_e32 v1, v43, v1
	s_andn2_saveexec_b64 s[8:9], s[30:31]
	s_cbranch_execnz .LBB94_223
	s_branch .LBB94_224
.LBB94_222:                             ;   in Loop: Header=BB94_161 Depth=1
	s_andn2_saveexec_b64 s[8:9], s[30:31]
.LBB94_223:                             ;   in Loop: Header=BB94_161 Depth=1
	v_mul_f32_e64 v1, |v17|, s52
	v_rndne_f32_e32 v35, v1
	v_cvt_i32_f32_e32 v1, v35
	v_fma_f32 v34, v35, s53, |v17|
	v_fmac_f32_e32 v34, 0xb3a22168, v35
	v_fmac_f32_e32 v34, 0xa7c234c4, v35
.LBB94_224:                             ;   in Loop: Header=BB94_161 Depth=1
	s_or_b64 exec, exec, s[8:9]
	v_mul_f32_e32 v35, v19, v19
	v_mov_b32_e32 v36, 0x3c0881c4
	v_fmac_f32_e32 v36, 0xb94c1982, v35
	v_fma_f32 v36, v35, v36, v26
	v_mul_f32_e32 v36, v35, v36
	v_fmac_f32_e32 v19, v19, v36
	v_mov_b32_e32 v36, 0xbab64f3b
	v_fmac_f32_e32 v36, 0x37d75334, v35
	v_fma_f32 v36, v35, v36, v27
	v_fma_f32 v36, v35, v36, v28
	v_fma_f32 v35, v35, v36, 1.0
	v_and_b32_e32 v36, 1, v16
	v_lshlrev_b32_e32 v16, 30, v16
	v_and_b32_e32 v16, 0x80000000, v16
	v_cmp_eq_u32_e32 vcc, 0, v36
	v_xor_b32_e32 v16, v20, v16
	v_mul_f32_e64 v20, |v18|, s58
	v_cndmask_b32_e32 v19, v35, v19, vcc
	v_rndne_f32_e32 v35, v20
	v_sub_f32_e32 v36, v20, v35
	v_fma_f32 v20, |v18|, s58, -v20
	v_fma_f32 v20, |v18|, s59, v20
	v_add_f32_e32 v20, v36, v20
	v_exp_f32_e32 v20, v20
	v_cvt_i32_f32_e32 v35, v35
	v_xor_b32_e32 v16, v16, v19
	v_xor_b32_e32 v16, v16, v17
	v_cmp_ngt_f32_e64 vcc, |v18|, s60
	v_ldexp_f32 v17, v20, v35
	v_cndmask_b32_e32 v17, 0, v17, vcc
	v_cmp_nlt_f32_e64 vcc, |v18|, s61
	v_xor_b32_e32 v18, 0x80000000, v18
	v_bfi_b32 v19, s39, 1.0, v18
	v_mul_f32_e32 v18, v34, v34
	v_mov_b32_e32 v20, 0x3c0881c4
	v_fmac_f32_e32 v20, 0xb94c1982, v18
	v_fma_f32 v20, v18, v20, v26
	v_mul_f32_e32 v20, v18, v20
	v_fmac_f32_e32 v34, v34, v20
	v_mov_b32_e32 v20, 0xbab64f3b
	v_fmac_f32_e32 v20, 0x37d75334, v18
	v_fma_f32 v20, v18, v20, v27
	v_fma_f32 v20, v18, v20, v28
	v_fma_f32 v18, v18, v20, 1.0
	v_and_b32_e32 v20, 1, v1
	v_cndmask_b32_e32 v17, v31, v17, vcc
	v_cmp_eq_u32_e32 vcc, 0, v20
	v_lshlrev_b32_e32 v1, 30, v1
	v_cndmask_b32_e64 v18, -v34, v18, vcc
	v_and_b32_e32 v1, 0x80000000, v1
	v_mul_f32_e32 v16, 4.0, v16
	v_xor_b32_e32 v1, v1, v18
	v_mul_f32_e32 v1, v16, v1
	v_mul_f32_e32 v1, v17, v1
	;; [unrolled: 1-line block ×3, first 2 shown]
.LBB94_225:                             ;   in Loop: Header=BB94_161 Depth=1
	s_or_b64 exec, exec, s[28:29]
                                        ; implicit-def: $vgpr17
.LBB94_226:                             ;   in Loop: Header=BB94_161 Depth=1
	s_andn2_saveexec_b64 s[8:9], s[26:27]
; %bb.227:                              ;   in Loop: Header=BB94_161 Depth=1
	v_sub_f32_e32 v16, v17, v17
	v_mov_b32_e32 v19, v16
; %bb.228:                              ;   in Loop: Header=BB94_161 Depth=1
	s_or_b64 exec, exec, s[8:9]
                                        ; implicit-def: $vgpr18
.LBB94_229:                             ;   in Loop: Header=BB94_161 Depth=1
	s_andn2_saveexec_b64 s[24:25], s[24:25]
	s_cbranch_execz .LBB94_245
; %bb.230:                              ;   in Loop: Header=BB94_161 Depth=1
	v_xor_b32_e32 v19, 0x80000000, v18
	v_and_b32_e32 v1, 0x7fffff, v19
	v_cmp_ne_u32_e32 vcc, 0, v1
                                        ; implicit-def: $vgpr16
	s_and_saveexec_b64 s[8:9], vcc
	s_xor_b64 s[8:9], exec, s[8:9]
; %bb.231:                              ;   in Loop: Header=BB94_161 Depth=1
	v_mul_f32_e64 v1, v17, -v18
	v_cmp_eq_f32_e32 vcc, 0, v17
	v_cndmask_b32_e32 v16, v1, v17, vcc
                                        ; implicit-def: $vgpr17
; %bb.232:                              ;   in Loop: Header=BB94_161 Depth=1
	s_andn2_saveexec_b64 s[26:27], s[8:9]
	s_cbranch_execz .LBB94_244
; %bb.233:                              ;   in Loop: Header=BB94_161 Depth=1
	v_cmp_neq_f32_e64 s[8:9], |v17|, s40
	s_and_saveexec_b64 s[28:29], s[8:9]
	s_cbranch_execz .LBB94_243
; %bb.234:                              ;   in Loop: Header=BB94_161 Depth=1
	v_and_b32_e32 v16, 0x7fffffff, v17
	v_cmp_nlt_f32_e64 s[30:31], |v17|, s43
                                        ; implicit-def: $vgpr18
                                        ; implicit-def: $vgpr20
	s_and_saveexec_b64 s[8:9], s[30:31]
	s_xor_b64 s[34:35], exec, s[8:9]
	s_cbranch_execz .LBB94_236
; %bb.235:                              ;   in Loop: Header=BB94_161 Depth=1
	v_and_b32_e32 v1, 0x7fffff, v16
	v_or_b32_e32 v18, 0x800000, v1
	v_mad_u64_u32 v[34:35], s[8:9], v18, s44, 0
	v_mov_b32_e32 v1, v35
	v_mad_u64_u32 v[35:36], s[8:9], v18, s45, v[1:2]
	v_mov_b32_e32 v1, v36
	v_mad_u64_u32 v[36:37], s[8:9], v18, s46, v[1:2]
	v_mov_b32_e32 v1, v37
	v_mad_u64_u32 v[37:38], s[8:9], v18, s47, v[1:2]
	v_lshrrev_b32_e32 v1, 23, v16
	v_add_u32_e32 v20, 0xffffff88, v1
	v_mov_b32_e32 v1, v38
	v_mad_u64_u32 v[38:39], s[8:9], v18, s48, v[1:2]
	v_cmp_lt_u32_e32 vcc, 63, v20
	v_cndmask_b32_e32 v1, 0, v29, vcc
	v_add_u32_e32 v20, v1, v20
	v_mov_b32_e32 v1, v39
	v_mad_u64_u32 v[39:40], s[8:9], v18, s49, v[1:2]
	v_cmp_lt_u32_e64 s[8:9], 31, v20
	v_cndmask_b32_e64 v1, 0, v30, s[8:9]
	v_add_u32_e32 v20, v1, v20
	v_mov_b32_e32 v1, v40
	v_mad_u64_u32 v[40:41], s[10:11], v18, s50, v[1:2]
	v_cmp_lt_u32_e64 s[10:11], 31, v20
	v_cndmask_b32_e64 v1, 0, v30, s[10:11]
	v_add_u32_e32 v1, v1, v20
	v_cndmask_b32_e32 v18, v39, v37, vcc
	v_cndmask_b32_e32 v20, v40, v38, vcc
	;; [unrolled: 1-line block ×4, first 2 shown]
	v_cndmask_b32_e64 v40, v20, v18, s[8:9]
	v_cndmask_b32_e64 v20, v39, v20, s[8:9]
	;; [unrolled: 1-line block ×5, first 2 shown]
	v_sub_u32_e32 v40, 32, v1
	v_alignbit_b32 v41, v20, v39, v40
	v_cmp_eq_u32_e64 s[12:13], 0, v1
	v_cndmask_b32_e64 v1, v41, v20, s[12:13]
	v_cndmask_b32_e32 v20, v37, v35, vcc
	v_cndmask_b32_e64 v35, v38, v20, s[8:9]
	v_cndmask_b32_e64 v18, v18, v35, s[10:11]
	v_alignbit_b32 v37, v39, v18, v40
	v_cndmask_b32_e32 v34, v36, v34, vcc
	v_cndmask_b32_e64 v37, v37, v39, s[12:13]
	v_bfe_u32 v41, v1, 29, 1
	v_cndmask_b32_e64 v20, v20, v34, s[8:9]
	v_alignbit_b32 v38, v1, v37, 30
	v_sub_u32_e32 v42, 0, v41
	v_cndmask_b32_e64 v20, v35, v20, s[10:11]
	v_xor_b32_e32 v38, v38, v42
	v_alignbit_b32 v34, v18, v20, v40
	v_cndmask_b32_e64 v18, v34, v18, s[12:13]
	v_ffbh_u32_e32 v35, v38
	v_alignbit_b32 v34, v37, v18, 30
	v_min_u32_e32 v35, 32, v35
	v_alignbit_b32 v18, v18, v20, 30
	v_xor_b32_e32 v34, v34, v42
	v_sub_u32_e32 v36, 31, v35
	v_xor_b32_e32 v18, v18, v42
	v_alignbit_b32 v37, v38, v34, v36
	v_alignbit_b32 v18, v34, v18, v36
	;; [unrolled: 1-line block ×3, first 2 shown]
	v_ffbh_u32_e32 v34, v20
	v_min_u32_e32 v34, 32, v34
	v_lshrrev_b32_e32 v39, 29, v1
	v_not_b32_e32 v36, v34
	v_alignbit_b32 v18, v20, v18, v36
	v_lshlrev_b32_e32 v20, 31, v39
	v_or_b32_e32 v36, 0x33000000, v20
	v_add_lshl_u32 v34, v34, v35, 23
	v_lshrrev_b32_e32 v18, 9, v18
	v_sub_u32_e32 v34, v36, v34
	v_or_b32_e32 v20, 0.5, v20
	v_lshlrev_b32_e32 v35, 23, v35
	v_or_b32_e32 v18, v34, v18
	v_lshrrev_b32_e32 v34, 9, v37
	v_sub_u32_e32 v20, v20, v35
	v_or_b32_e32 v20, v34, v20
	v_mul_f32_e32 v34, 0x3fc90fda, v20
	v_fma_f32 v35, v20, s51, -v34
	v_fmac_f32_e32 v35, 0x33a22168, v20
	v_fmac_f32_e32 v35, 0x3fc90fda, v18
	v_lshrrev_b32_e32 v1, 30, v1
	v_add_f32_e32 v20, v34, v35
	v_add_u32_e32 v18, v41, v1
	s_andn2_saveexec_b64 s[8:9], s[34:35]
	s_branch .LBB94_237
.LBB94_236:                             ;   in Loop: Header=BB94_161 Depth=1
	s_andn2_saveexec_b64 s[8:9], s[34:35]
.LBB94_237:                             ;   in Loop: Header=BB94_161 Depth=1
	v_mul_f32_e64 v1, |v17|, s52
	v_rndne_f32_e32 v1, v1
	v_cvt_i32_f32_e32 v18, v1
	v_fma_f32 v20, v1, s53, |v17|
	v_fmac_f32_e32 v20, 0xb3a22168, v1
	v_fmac_f32_e32 v20, 0xa7c234c4, v1
; %bb.238:                              ;   in Loop: Header=BB94_161 Depth=1
	s_or_b64 exec, exec, s[8:9]
                                        ; implicit-def: $vgpr1
                                        ; implicit-def: $vgpr34
	s_and_saveexec_b64 s[8:9], s[30:31]
	s_xor_b64 s[30:31], exec, s[8:9]
	s_cbranch_execz .LBB94_240
; %bb.239:                              ;   in Loop: Header=BB94_161 Depth=1
	v_and_b32_e32 v1, 0x7fffff, v16
	v_or_b32_e32 v41, 0x800000, v1
	v_mad_u64_u32 v[34:35], s[8:9], v41, s44, 0
	v_mov_b32_e32 v1, v35
	v_mad_u64_u32 v[35:36], s[8:9], v41, s45, v[1:2]
	v_mov_b32_e32 v1, v36
	;; [unrolled: 2-line block ×3, first 2 shown]
	v_mad_u64_u32 v[37:38], s[8:9], v41, s47, v[1:2]
	v_lshrrev_b32_e32 v1, 23, v16
	v_add_u32_e32 v40, 0xffffff88, v1
	v_mov_b32_e32 v1, v38
	v_mad_u64_u32 v[38:39], s[8:9], v41, s48, v[1:2]
	v_cmp_lt_u32_e32 vcc, 63, v40
	v_cndmask_b32_e32 v1, 0, v29, vcc
	v_add_u32_e32 v42, v1, v40
	v_mov_b32_e32 v1, v39
	v_mad_u64_u32 v[39:40], s[8:9], v41, s49, v[1:2]
	v_cmp_lt_u32_e64 s[8:9], 31, v42
	v_cndmask_b32_e64 v1, 0, v30, s[8:9]
	v_add_u32_e32 v42, v1, v42
	v_mov_b32_e32 v1, v40
	v_mad_u64_u32 v[40:41], s[10:11], v41, s50, v[1:2]
	v_cmp_lt_u32_e64 s[10:11], 31, v42
	v_cndmask_b32_e64 v1, 0, v30, s[10:11]
	v_add_u32_e32 v1, v1, v42
	v_cndmask_b32_e32 v42, v39, v37, vcc
	v_cndmask_b32_e32 v40, v40, v38, vcc
	;; [unrolled: 1-line block ×4, first 2 shown]
	v_cndmask_b32_e64 v41, v40, v42, s[8:9]
	v_cndmask_b32_e64 v39, v39, v40, s[8:9]
	;; [unrolled: 1-line block ×3, first 2 shown]
	v_cndmask_b32_e32 v35, v37, v35, vcc
	v_cndmask_b32_e64 v39, v39, v41, s[10:11]
	v_cndmask_b32_e64 v41, v41, v40, s[10:11]
	v_sub_u32_e32 v42, 32, v1
	v_cndmask_b32_e64 v37, v38, v35, s[8:9]
	v_alignbit_b32 v43, v39, v41, v42
	v_cmp_eq_u32_e64 s[12:13], 0, v1
	v_cndmask_b32_e64 v38, v40, v37, s[10:11]
	v_cndmask_b32_e64 v1, v43, v39, s[12:13]
	v_alignbit_b32 v39, v41, v38, v42
	v_cndmask_b32_e32 v34, v36, v34, vcc
	v_cndmask_b32_e64 v39, v39, v41, s[12:13]
	v_bfe_u32 v43, v1, 29, 1
	v_cndmask_b32_e64 v34, v35, v34, s[8:9]
	v_alignbit_b32 v40, v1, v39, 30
	v_sub_u32_e32 v44, 0, v43
	v_cndmask_b32_e64 v34, v37, v34, s[10:11]
	v_xor_b32_e32 v40, v40, v44
	v_alignbit_b32 v35, v38, v34, v42
	v_cndmask_b32_e64 v35, v35, v38, s[12:13]
	v_ffbh_u32_e32 v37, v40
	v_alignbit_b32 v36, v39, v35, 30
	v_min_u32_e32 v37, 32, v37
	v_alignbit_b32 v34, v35, v34, 30
	v_xor_b32_e32 v36, v36, v44
	v_sub_u32_e32 v38, 31, v37
	v_xor_b32_e32 v34, v34, v44
	v_alignbit_b32 v39, v40, v36, v38
	v_alignbit_b32 v34, v36, v34, v38
	;; [unrolled: 1-line block ×3, first 2 shown]
	v_ffbh_u32_e32 v36, v35
	v_min_u32_e32 v36, 32, v36
	v_lshrrev_b32_e32 v41, 29, v1
	v_not_b32_e32 v38, v36
	v_alignbit_b32 v34, v35, v34, v38
	v_lshlrev_b32_e32 v35, 31, v41
	v_or_b32_e32 v38, 0x33000000, v35
	v_add_lshl_u32 v36, v36, v37, 23
	v_lshrrev_b32_e32 v34, 9, v34
	v_sub_u32_e32 v36, v38, v36
	v_or_b32_e32 v35, 0.5, v35
	v_lshlrev_b32_e32 v37, 23, v37
	v_or_b32_e32 v34, v36, v34
	v_lshrrev_b32_e32 v36, 9, v39
	v_sub_u32_e32 v35, v35, v37
	v_or_b32_e32 v35, v36, v35
	v_mul_f32_e32 v36, 0x3fc90fda, v35
	v_fma_f32 v37, v35, s51, -v36
	v_fmac_f32_e32 v37, 0x33a22168, v35
	v_fmac_f32_e32 v37, 0x3fc90fda, v34
	v_lshrrev_b32_e32 v1, 30, v1
	v_add_f32_e32 v34, v36, v37
	v_add_u32_e32 v1, v43, v1
	s_andn2_saveexec_b64 s[8:9], s[30:31]
	s_cbranch_execnz .LBB94_241
	s_branch .LBB94_242
.LBB94_240:                             ;   in Loop: Header=BB94_161 Depth=1
	s_andn2_saveexec_b64 s[8:9], s[30:31]
.LBB94_241:                             ;   in Loop: Header=BB94_161 Depth=1
	v_mul_f32_e64 v1, |v17|, s52
	v_rndne_f32_e32 v35, v1
	v_cvt_i32_f32_e32 v1, v35
	v_fma_f32 v34, v35, s53, |v17|
	v_fmac_f32_e32 v34, 0xb3a22168, v35
	v_fmac_f32_e32 v34, 0xa7c234c4, v35
.LBB94_242:                             ;   in Loop: Header=BB94_161 Depth=1
	s_or_b64 exec, exec, s[8:9]
	v_mul_f32_e32 v35, v20, v20
	v_mov_b32_e32 v36, 0x3c0881c4
	v_fmac_f32_e32 v36, 0xb94c1982, v35
	v_fma_f32 v36, v35, v36, v26
	v_mul_f32_e32 v36, v35, v36
	v_fmac_f32_e32 v20, v20, v36
	v_mov_b32_e32 v36, 0xbab64f3b
	v_fmac_f32_e32 v36, 0x37d75334, v35
	v_fma_f32 v36, v35, v36, v27
	v_fma_f32 v36, v35, v36, v28
	v_fma_f32 v35, v35, v36, 1.0
	v_and_b32_e32 v36, 1, v18
	v_lshlrev_b32_e32 v18, 30, v18
	v_cmp_eq_u32_e32 vcc, 0, v36
	v_and_b32_e32 v18, 0x80000000, v18
	v_cndmask_b32_e32 v20, v35, v20, vcc
	v_xor_b32_e32 v16, v16, v18
	v_xor_b32_e32 v16, v16, v20
	v_mul_f32_e32 v18, v34, v34
	v_mov_b32_e32 v20, 0x3c0881c4
	v_fmac_f32_e32 v20, 0xb94c1982, v18
	v_fma_f32 v20, v18, v20, v26
	v_mul_f32_e32 v20, v18, v20
	v_fmac_f32_e32 v34, v34, v20
	v_mov_b32_e32 v20, 0xbab64f3b
	v_fmac_f32_e32 v20, 0x37d75334, v18
	v_fma_f32 v20, v18, v20, v27
	v_fma_f32 v20, v18, v20, v28
	v_fma_f32 v18, v18, v20, 1.0
	v_and_b32_e32 v20, 1, v1
	v_cmp_eq_u32_e32 vcc, 0, v20
	v_lshlrev_b32_e32 v1, 30, v1
	v_cndmask_b32_e64 v18, -v34, v18, vcc
	v_and_b32_e32 v1, 0x80000000, v1
	v_xor_b32_e32 v16, v16, v17
	v_xor_b32_e32 v1, v1, v18
	v_mul_f32_e32 v1, v16, v1
	v_cmp_class_f32_e64 vcc, v17, s41
	v_cndmask_b32_e32 v17, v32, v1, vcc
.LBB94_243:                             ;   in Loop: Header=BB94_161 Depth=1
	s_or_b64 exec, exec, s[28:29]
	v_add_u32_e32 v19, -2.0, v19
	v_bfi_b32 v16, s39, 0, v17
.LBB94_244:                             ;   in Loop: Header=BB94_161 Depth=1
	s_or_b64 exec, exec, s[26:27]
.LBB94_245:                             ;   in Loop: Header=BB94_161 Depth=1
	s_or_b64 exec, exec, s[24:25]
	v_and_b32_e32 v1, 0x7fffffff, v15
	v_cmp_gt_u32_e32 vcc, s40, v1
                                        ; implicit-def: $vgpr18
                                        ; implicit-def: $vgpr20
	s_and_saveexec_b64 s[8:9], vcc
	s_xor_b64 s[24:25], exec, s[8:9]
	s_cbranch_execz .LBB94_267
; %bb.246:                              ;   in Loop: Header=BB94_161 Depth=1
	v_cmp_class_f32_e64 s[8:9], v14, s41
                                        ; implicit-def: $vgpr18
                                        ; implicit-def: $vgpr20
	s_and_saveexec_b64 s[10:11], s[8:9]
	s_xor_b64 s[26:27], exec, s[10:11]
	s_cbranch_execz .LBB94_264
; %bb.247:                              ;   in Loop: Header=BB94_161 Depth=1
	v_and_b32_e32 v17, 0x7fffffff, v14
	v_cmp_gt_u32_e32 vcc, s42, v1
                                        ; implicit-def: $vgpr18
                                        ; implicit-def: $vgpr20
	s_and_saveexec_b64 s[8:9], vcc
	s_xor_b64 s[28:29], exec, s[8:9]
	s_cbranch_execz .LBB94_253
; %bb.248:                              ;   in Loop: Header=BB94_161 Depth=1
	v_cmp_nlt_f32_e64 s[8:9], |v14|, s43
                                        ; implicit-def: $vgpr18
                                        ; implicit-def: $vgpr1
	s_and_saveexec_b64 s[10:11], s[8:9]
	s_xor_b64 s[30:31], exec, s[10:11]
	s_cbranch_execz .LBB94_250
; %bb.249:                              ;   in Loop: Header=BB94_161 Depth=1
	v_and_b32_e32 v1, 0x7fffff, v17
	v_or_b32_e32 v18, 0x800000, v1
	v_mad_u64_u32 v[34:35], s[8:9], v18, s44, 0
	v_mov_b32_e32 v1, v35
	v_mad_u64_u32 v[35:36], s[8:9], v18, s45, v[1:2]
	v_mov_b32_e32 v1, v36
	;; [unrolled: 2-line block ×3, first 2 shown]
	v_mad_u64_u32 v[37:38], s[8:9], v18, s47, v[1:2]
	v_lshrrev_b32_e32 v1, 23, v17
	v_add_u32_e32 v20, 0xffffff88, v1
	v_mov_b32_e32 v1, v38
	v_mad_u64_u32 v[38:39], s[8:9], v18, s48, v[1:2]
	v_cmp_lt_u32_e32 vcc, 63, v20
	v_cndmask_b32_e32 v1, 0, v29, vcc
	v_add_u32_e32 v20, v1, v20
	v_mov_b32_e32 v1, v39
	v_mad_u64_u32 v[39:40], s[8:9], v18, s49, v[1:2]
	v_cmp_lt_u32_e64 s[8:9], 31, v20
	v_cndmask_b32_e64 v1, 0, v30, s[8:9]
	v_add_u32_e32 v20, v1, v20
	v_mov_b32_e32 v1, v40
	v_mad_u64_u32 v[40:41], s[10:11], v18, s50, v[1:2]
	v_cmp_lt_u32_e64 s[10:11], 31, v20
	v_cndmask_b32_e64 v1, 0, v30, s[10:11]
	v_add_u32_e32 v1, v1, v20
	v_cndmask_b32_e32 v18, v39, v37, vcc
	v_cndmask_b32_e32 v20, v40, v38, vcc
	;; [unrolled: 1-line block ×4, first 2 shown]
	v_cndmask_b32_e64 v40, v20, v18, s[8:9]
	v_cndmask_b32_e64 v20, v39, v20, s[8:9]
	;; [unrolled: 1-line block ×5, first 2 shown]
	v_sub_u32_e32 v40, 32, v1
	v_cmp_eq_u32_e64 s[12:13], 0, v1
	v_cndmask_b32_e32 v1, v37, v35, vcc
	v_cndmask_b32_e64 v35, v38, v1, s[8:9]
	v_alignbit_b32 v41, v20, v39, v40
	v_cndmask_b32_e64 v18, v18, v35, s[10:11]
	v_cndmask_b32_e64 v20, v41, v20, s[12:13]
	v_alignbit_b32 v37, v39, v18, v40
	v_cndmask_b32_e32 v34, v36, v34, vcc
	v_cndmask_b32_e64 v37, v37, v39, s[12:13]
	v_bfe_u32 v41, v20, 29, 1
	v_cndmask_b32_e64 v1, v1, v34, s[8:9]
	v_alignbit_b32 v38, v20, v37, 30
	v_sub_u32_e32 v42, 0, v41
	v_cndmask_b32_e64 v1, v35, v1, s[10:11]
	v_xor_b32_e32 v38, v38, v42
	v_alignbit_b32 v34, v18, v1, v40
	v_cndmask_b32_e64 v18, v34, v18, s[12:13]
	v_ffbh_u32_e32 v35, v38
	v_alignbit_b32 v34, v37, v18, 30
	v_min_u32_e32 v35, 32, v35
	v_alignbit_b32 v1, v18, v1, 30
	v_xor_b32_e32 v34, v34, v42
	v_sub_u32_e32 v36, 31, v35
	v_xor_b32_e32 v1, v1, v42
	v_alignbit_b32 v37, v38, v34, v36
	v_alignbit_b32 v1, v34, v1, v36
	;; [unrolled: 1-line block ×3, first 2 shown]
	v_ffbh_u32_e32 v34, v18
	v_min_u32_e32 v34, 32, v34
	v_lshrrev_b32_e32 v39, 29, v20
	v_not_b32_e32 v36, v34
	v_alignbit_b32 v1, v18, v1, v36
	v_lshlrev_b32_e32 v18, 31, v39
	v_or_b32_e32 v36, 0x33000000, v18
	v_add_lshl_u32 v34, v34, v35, 23
	v_lshrrev_b32_e32 v1, 9, v1
	v_sub_u32_e32 v34, v36, v34
	v_or_b32_e32 v18, 0.5, v18
	v_lshlrev_b32_e32 v35, 23, v35
	v_or_b32_e32 v1, v34, v1
	v_lshrrev_b32_e32 v34, 9, v37
	v_sub_u32_e32 v18, v18, v35
	v_or_b32_e32 v18, v34, v18
	v_mul_f32_e32 v34, 0x3fc90fda, v18
	v_fma_f32 v35, v18, s51, -v34
	v_fmac_f32_e32 v35, 0x33a22168, v18
	v_fmac_f32_e32 v35, 0x3fc90fda, v1
	v_lshrrev_b32_e32 v18, 30, v20
	v_add_f32_e32 v1, v34, v35
	v_add_u32_e32 v18, v41, v18
.LBB94_250:                             ;   in Loop: Header=BB94_161 Depth=1
	s_andn2_saveexec_b64 s[8:9], s[30:31]
; %bb.251:                              ;   in Loop: Header=BB94_161 Depth=1
	v_mul_f32_e64 v1, |v14|, s52
	v_rndne_f32_e32 v20, v1
	v_cvt_i32_f32_e32 v18, v20
	v_fma_f32 v1, v20, s53, |v14|
	v_fmac_f32_e32 v1, 0xb3a22168, v20
	v_fmac_f32_e32 v1, 0xa7c234c4, v20
; %bb.252:                              ;   in Loop: Header=BB94_161 Depth=1
	s_or_b64 exec, exec, s[8:9]
	v_mul_f32_e32 v20, v1, v1
	v_mov_b32_e32 v34, 0xbf039337
	v_fmac_f32_e32 v34, 0x3c971480, v20
	v_fma_f32 v34, v20, v34, v21
	v_rcp_f32_e32 v34, v34
	v_mov_b32_e32 v35, 0x3ec54587
	v_fmac_f32_e32 v35, 0xbc8cedd3, v20
	v_and_b32_e32 v18, 1, v18
	v_mul_f32_e32 v34, v35, v34
	v_mul_f32_e32 v20, v20, v34
	v_fma_f32 v34, v20, v1, v1
	v_rcp_f32_e32 v35, v34
	v_sub_f32_e32 v36, v34, v1
	v_fma_f32 v1, v20, v1, -v36
	v_cmp_eq_u32_e32 vcc, 0, v18
	v_fma_f32 v20, v34, -v35, 1.0
	v_fma_f32 v1, v1, -v35, v20
	v_add_f32_e64 v18, |v15|, s54
	v_fma_f32 v1, v1, -v35, -v35
	v_sub_f32_e64 v20, v18, |v15|
	v_cndmask_b32_e32 v1, v1, v34, vcc
	v_sub_f32_e32 v34, v20, v18
	v_add_f32_e64 v34, |v15|, v34
	v_add_f32_e32 v20, 0x3f317218, v20
	v_sub_f32_e32 v20, v34, v20
	v_add_f32_e32 v20, 0x3102e308, v20
	v_add_f32_e32 v34, v18, v20
	v_sub_f32_e32 v18, v18, v34
	v_add_f32_e32 v18, v20, v18
	v_mul_f32_e32 v20, 0x3fb8aa3b, v34
	v_rndne_f32_e32 v20, v20
	v_fmac_f32_e32 v34, 0xbf317200, v20
	v_add_f32_e32 v35, v18, v34
	v_sub_f32_e32 v34, v34, v35
	v_add_f32_e32 v18, v18, v34
	v_mul_f32_e32 v34, 0x35bfbc00, v20
	v_sub_f32_e32 v36, v35, v34
	v_sub_f32_e32 v35, v35, v36
	;; [unrolled: 1-line block ×3, first 2 shown]
	v_add_f32_e32 v18, v18, v34
	v_add_f32_e32 v34, v36, v18
	v_sub_f32_e32 v35, v36, v34
	v_add_f32_e32 v18, v18, v35
	v_mul_f32_e32 v35, 0x2ea39ef3, v20
	v_sub_f32_e32 v36, v34, v35
	v_sub_f32_e32 v34, v34, v36
	;; [unrolled: 1-line block ×3, first 2 shown]
	v_add_f32_e32 v18, v18, v34
	v_add_f32_e32 v34, v36, v18
	v_sub_f32_e32 v36, v36, v34
	v_mov_b32_e32 v35, 0x3c091de6
	v_add_f32_e32 v18, v18, v36
	v_mul_f32_e32 v37, v34, v34
	v_fmac_f32_e32 v35, 0x3ab42872, v34
	v_add_f32_e32 v36, v18, v18
	v_fma_f32 v38, v34, v34, -v37
	v_fma_f32 v35, v34, v35, v22
	v_fmac_f32_e32 v38, v34, v36
	v_fma_f32 v35, v34, v35, v23
	v_add_f32_e32 v36, v37, v38
	v_fma_f32 v35, v34, v35, v24
	v_sub_f32_e32 v37, v36, v37
	v_sub_f32_e32 v37, v38, v37
	v_mul_f32_e32 v38, v35, v36
	v_fma_f32 v36, v36, v35, -v38
	v_fmac_f32_e32 v36, v37, v35
	v_add_f32_e32 v35, v38, v36
	v_sub_f32_e32 v37, v35, v38
	v_sub_f32_e32 v36, v36, v37
	v_add_f32_e32 v37, v34, v35
	v_sub_f32_e32 v34, v37, v34
	v_sub_f32_e32 v34, v35, v34
	v_add_f32_e32 v18, v18, v36
	v_add_f32_e32 v18, v18, v34
	;; [unrolled: 1-line block ×3, first 2 shown]
	v_sub_f32_e32 v35, v34, v37
	v_sub_f32_e32 v18, v18, v35
	v_add_f32_e32 v35, 1.0, v34
	v_add_f32_e32 v36, -1.0, v35
	v_cvt_i32_f32_e32 v20, v20
	v_sub_f32_e32 v34, v34, v36
	v_add_f32_e32 v18, v18, v34
	v_add_f32_e32 v34, v35, v18
	v_ldexp_f32 v36, v34, v20
	v_rcp_f32_e32 v37, v36
	v_sub_f32_e32 v34, v34, v35
	v_sub_f32_e32 v18, v18, v34
	v_ldexp_f32 v18, v18, v20
	v_mul_f32_e32 v20, v36, v37
	v_fma_f32 v34, v37, v36, -v20
	v_fmac_f32_e32 v34, v37, v18
	v_add_f32_e32 v35, v20, v34
	v_sub_f32_e32 v38, 1.0, v35
	v_sub_f32_e32 v39, 1.0, v38
	v_sub_f32_e32 v20, v35, v20
	v_sub_f32_e32 v39, v39, v35
	;; [unrolled: 1-line block ×3, first 2 shown]
	v_add_f32_e32 v20, v20, v39
	v_add_f32_e32 v34, v38, v20
	v_mul_f32_e32 v35, v37, v34
	v_mul_f32_e32 v39, v36, v35
	v_fma_f32 v40, v35, v36, -v39
	v_fmac_f32_e32 v40, v35, v18
	v_sub_f32_e32 v38, v38, v34
	v_add_f32_e32 v20, v20, v38
	v_add_f32_e32 v38, v39, v40
	v_sub_f32_e32 v41, v34, v38
	v_sub_f32_e32 v34, v34, v41
	v_sub_f32_e32 v39, v38, v39
	v_sub_f32_e32 v34, v34, v38
	v_add_f32_e32 v20, v20, v34
	v_sub_f32_e32 v34, v39, v40
	v_add_f32_e32 v20, v34, v20
	v_add_f32_e32 v20, v41, v20
	;; [unrolled: 1-line block ×3, first 2 shown]
	v_mul_f32_e32 v20, v37, v20
	v_sub_f32_e32 v37, v34, v37
	v_sub_f32_e32 v35, v35, v37
	v_add_f32_e32 v20, v35, v20
	v_add_f32_e32 v35, v34, v20
	v_sub_f32_e32 v34, v35, v34
	v_sub_f32_e32 v20, v20, v34
	v_ldexp_f32 v34, v35, -2
	v_sub_f32_e32 v35, v36, v34
	v_sub_f32_e32 v36, v36, v35
	;; [unrolled: 1-line block ×3, first 2 shown]
	v_ldexp_f32 v20, v20, -2
	v_add_f32_e32 v18, v18, v34
	v_sub_f32_e32 v18, v18, v20
	v_add_f32_e32 v18, v35, v18
	v_cmp_ngt_f32_e64 vcc, |v15|, s55
	v_cndmask_b32_e32 v18, v31, v18, vcc
	v_cmp_lt_f32_e64 s[8:9], |v15|, s56
	v_cndmask_b32_e64 v18, v18, |v15|, s[8:9]
	v_xor_b32_e32 v15, 0x80000000, v15
	v_bfi_b32 v15, s39, v18, v15
	v_fma_f32 v18, v15, v15, 1.0
	v_mul_f32_e32 v20, 0x4f800000, v18
	v_cmp_gt_f32_e32 vcc, s57, v18
	v_cndmask_b32_e32 v18, v18, v20, vcc
	v_sqrt_f32_e32 v20, v18
	v_xor_b32_e32 v1, v17, v1
	v_xor_b32_e32 v1, v1, v14
	v_fma_f32 v14, v1, v1, 1.0
	v_add_u32_e32 v17, -1, v20
	v_fma_f32 v34, -v17, v20, v18
	v_cmp_ge_f32_e64 s[8:9], 0, v34
	v_add_u32_e32 v34, 1, v20
	v_cndmask_b32_e64 v17, v20, v17, s[8:9]
	v_fma_f32 v20, -v34, v20, v18
	v_cmp_lt_f32_e64 s[8:9], 0, v20
	v_cndmask_b32_e64 v17, v17, v34, s[8:9]
	v_mul_f32_e32 v20, 0x37800000, v17
	v_cndmask_b32_e32 v17, v17, v20, vcc
	v_cmp_class_f32_e32 vcc, v18, v25
	v_cndmask_b32_e32 v17, v17, v18, vcc
	v_mul_f32_e32 v18, v15, v14
	v_mul_f32_e32 v14, v17, v14
	v_fma_f32 v18, v15, v18, 1.0
	v_mul_f32_e32 v14, v15, v14
	v_div_scale_f32 v15, s[8:9], v18, v18, v14
	v_div_scale_f32 v17, vcc, v14, v18, v14
	v_div_scale_f32 v20, s[8:9], v18, v18, v1
	v_div_scale_f32 v34, s[8:9], v1, v18, v1
	v_rcp_f32_e32 v35, v15
	v_fma_f32 v36, -v15, v35, 1.0
	v_fmac_f32_e32 v35, v36, v35
	v_mul_f32_e32 v36, v17, v35
	v_fma_f32 v37, -v15, v36, v17
	v_fmac_f32_e32 v36, v37, v35
	v_rcp_f32_e32 v37, v20
	v_fma_f32 v15, -v15, v36, v17
	v_div_fmas_f32 v15, v15, v35, v36
	s_mov_b64 vcc, s[8:9]
	v_fma_f32 v17, -v20, v37, 1.0
	v_fmac_f32_e32 v37, v17, v37
	v_mul_f32_e32 v17, v34, v37
	v_fma_f32 v35, -v20, v17, v34
	v_fmac_f32_e32 v17, v35, v37
	v_fma_f32 v20, -v20, v17, v34
	v_div_fmas_f32 v17, v20, v37, v17
	v_div_fixup_f32 v20, v15, v18, v14
                                        ; implicit-def: $vgpr14
	v_div_fixup_f32 v18, v17, v18, v1
                                        ; implicit-def: $vgpr17
.LBB94_253:                             ;   in Loop: Header=BB94_161 Depth=1
	s_andn2_saveexec_b64 s[28:29], s[28:29]
	s_cbranch_execz .LBB94_263
; %bb.254:                              ;   in Loop: Header=BB94_161 Depth=1
	v_cmp_nlt_f32_e64 s[30:31], |v14|, s43
                                        ; implicit-def: $vgpr18
                                        ; implicit-def: $vgpr20
	s_and_saveexec_b64 s[8:9], s[30:31]
	s_xor_b64 s[34:35], exec, s[8:9]
	s_cbranch_execz .LBB94_256
; %bb.255:                              ;   in Loop: Header=BB94_161 Depth=1
	v_and_b32_e32 v1, 0x7fffff, v17
	v_or_b32_e32 v18, 0x800000, v1
	v_mad_u64_u32 v[34:35], s[8:9], v18, s44, 0
	v_mov_b32_e32 v1, v35
	v_mad_u64_u32 v[35:36], s[8:9], v18, s45, v[1:2]
	v_mov_b32_e32 v1, v36
	;; [unrolled: 2-line block ×3, first 2 shown]
	v_mad_u64_u32 v[37:38], s[8:9], v18, s47, v[1:2]
	v_lshrrev_b32_e32 v1, 23, v17
	v_add_u32_e32 v20, 0xffffff88, v1
	v_mov_b32_e32 v1, v38
	v_mad_u64_u32 v[38:39], s[8:9], v18, s48, v[1:2]
	v_cmp_lt_u32_e32 vcc, 63, v20
	v_cndmask_b32_e32 v1, 0, v29, vcc
	v_add_u32_e32 v20, v1, v20
	v_mov_b32_e32 v1, v39
	v_mad_u64_u32 v[39:40], s[8:9], v18, s49, v[1:2]
	v_cmp_lt_u32_e64 s[8:9], 31, v20
	v_cndmask_b32_e64 v1, 0, v30, s[8:9]
	v_add_u32_e32 v20, v1, v20
	v_mov_b32_e32 v1, v40
	v_mad_u64_u32 v[40:41], s[10:11], v18, s50, v[1:2]
	v_cmp_lt_u32_e64 s[10:11], 31, v20
	v_cndmask_b32_e64 v1, 0, v30, s[10:11]
	v_add_u32_e32 v1, v1, v20
	v_cndmask_b32_e32 v18, v39, v37, vcc
	v_cndmask_b32_e32 v20, v40, v38, vcc
	;; [unrolled: 1-line block ×4, first 2 shown]
	v_cndmask_b32_e64 v40, v20, v18, s[8:9]
	v_cndmask_b32_e64 v20, v39, v20, s[8:9]
	;; [unrolled: 1-line block ×5, first 2 shown]
	v_sub_u32_e32 v40, 32, v1
	v_alignbit_b32 v41, v20, v39, v40
	v_cmp_eq_u32_e64 s[12:13], 0, v1
	v_cndmask_b32_e64 v1, v41, v20, s[12:13]
	v_cndmask_b32_e32 v20, v37, v35, vcc
	v_cndmask_b32_e64 v35, v38, v20, s[8:9]
	v_cndmask_b32_e64 v18, v18, v35, s[10:11]
	v_alignbit_b32 v37, v39, v18, v40
	v_cndmask_b32_e32 v34, v36, v34, vcc
	v_cndmask_b32_e64 v37, v37, v39, s[12:13]
	v_bfe_u32 v41, v1, 29, 1
	v_cndmask_b32_e64 v20, v20, v34, s[8:9]
	v_alignbit_b32 v38, v1, v37, 30
	v_sub_u32_e32 v42, 0, v41
	v_cndmask_b32_e64 v20, v35, v20, s[10:11]
	v_xor_b32_e32 v38, v38, v42
	v_alignbit_b32 v34, v18, v20, v40
	v_cndmask_b32_e64 v18, v34, v18, s[12:13]
	v_ffbh_u32_e32 v35, v38
	v_alignbit_b32 v34, v37, v18, 30
	v_min_u32_e32 v35, 32, v35
	v_alignbit_b32 v18, v18, v20, 30
	v_xor_b32_e32 v34, v34, v42
	v_sub_u32_e32 v36, 31, v35
	v_xor_b32_e32 v18, v18, v42
	v_alignbit_b32 v37, v38, v34, v36
	v_alignbit_b32 v18, v34, v18, v36
	;; [unrolled: 1-line block ×3, first 2 shown]
	v_ffbh_u32_e32 v34, v20
	v_min_u32_e32 v34, 32, v34
	v_lshrrev_b32_e32 v39, 29, v1
	v_not_b32_e32 v36, v34
	v_alignbit_b32 v18, v20, v18, v36
	v_lshlrev_b32_e32 v20, 31, v39
	v_or_b32_e32 v36, 0x33000000, v20
	v_add_lshl_u32 v34, v34, v35, 23
	v_lshrrev_b32_e32 v18, 9, v18
	v_sub_u32_e32 v34, v36, v34
	v_or_b32_e32 v20, 0.5, v20
	v_lshlrev_b32_e32 v35, 23, v35
	v_or_b32_e32 v18, v34, v18
	v_lshrrev_b32_e32 v34, 9, v37
	v_sub_u32_e32 v20, v20, v35
	v_or_b32_e32 v20, v34, v20
	v_mul_f32_e32 v34, 0x3fc90fda, v20
	v_fma_f32 v35, v20, s51, -v34
	v_fmac_f32_e32 v35, 0x33a22168, v20
	v_fmac_f32_e32 v35, 0x3fc90fda, v18
	v_lshrrev_b32_e32 v1, 30, v1
	v_add_f32_e32 v20, v34, v35
	v_add_u32_e32 v18, v41, v1
	s_andn2_saveexec_b64 s[8:9], s[34:35]
	s_branch .LBB94_257
.LBB94_256:                             ;   in Loop: Header=BB94_161 Depth=1
	s_andn2_saveexec_b64 s[8:9], s[34:35]
.LBB94_257:                             ;   in Loop: Header=BB94_161 Depth=1
	v_mul_f32_e64 v1, |v14|, s52
	v_rndne_f32_e32 v1, v1
	v_cvt_i32_f32_e32 v18, v1
	v_fma_f32 v20, v1, s53, |v14|
	v_fmac_f32_e32 v20, 0xb3a22168, v1
	v_fmac_f32_e32 v20, 0xa7c234c4, v1
; %bb.258:                              ;   in Loop: Header=BB94_161 Depth=1
	s_or_b64 exec, exec, s[8:9]
                                        ; implicit-def: $vgpr1
                                        ; implicit-def: $vgpr34
	s_and_saveexec_b64 s[8:9], s[30:31]
	s_xor_b64 s[30:31], exec, s[8:9]
	s_cbranch_execz .LBB94_260
; %bb.259:                              ;   in Loop: Header=BB94_161 Depth=1
	v_and_b32_e32 v1, 0x7fffff, v17
	v_or_b32_e32 v41, 0x800000, v1
	v_mad_u64_u32 v[34:35], s[8:9], v41, s44, 0
	v_mov_b32_e32 v1, v35
	v_mad_u64_u32 v[35:36], s[8:9], v41, s45, v[1:2]
	v_mov_b32_e32 v1, v36
	;; [unrolled: 2-line block ×3, first 2 shown]
	v_mad_u64_u32 v[37:38], s[8:9], v41, s47, v[1:2]
	v_lshrrev_b32_e32 v1, 23, v17
	v_add_u32_e32 v40, 0xffffff88, v1
	v_mov_b32_e32 v1, v38
	v_mad_u64_u32 v[38:39], s[8:9], v41, s48, v[1:2]
	v_cmp_lt_u32_e32 vcc, 63, v40
	v_cndmask_b32_e32 v1, 0, v29, vcc
	v_add_u32_e32 v42, v1, v40
	v_mov_b32_e32 v1, v39
	v_mad_u64_u32 v[39:40], s[8:9], v41, s49, v[1:2]
	v_cmp_lt_u32_e64 s[8:9], 31, v42
	v_cndmask_b32_e64 v1, 0, v30, s[8:9]
	v_add_u32_e32 v42, v1, v42
	v_mov_b32_e32 v1, v40
	v_mad_u64_u32 v[40:41], s[10:11], v41, s50, v[1:2]
	v_cmp_lt_u32_e64 s[10:11], 31, v42
	v_cndmask_b32_e64 v1, 0, v30, s[10:11]
	v_add_u32_e32 v1, v1, v42
	v_cndmask_b32_e32 v42, v39, v37, vcc
	v_cndmask_b32_e32 v40, v40, v38, vcc
	v_cndmask_b32_e32 v39, v41, v39, vcc
	v_cndmask_b32_e32 v38, v38, v36, vcc
	v_cndmask_b32_e64 v41, v40, v42, s[8:9]
	v_cndmask_b32_e64 v39, v39, v40, s[8:9]
	;; [unrolled: 1-line block ×3, first 2 shown]
	v_cndmask_b32_e32 v35, v37, v35, vcc
	v_cndmask_b32_e64 v39, v39, v41, s[10:11]
	v_cndmask_b32_e64 v41, v41, v40, s[10:11]
	v_sub_u32_e32 v42, 32, v1
	v_cndmask_b32_e64 v37, v38, v35, s[8:9]
	v_alignbit_b32 v43, v39, v41, v42
	v_cmp_eq_u32_e64 s[12:13], 0, v1
	v_cndmask_b32_e64 v38, v40, v37, s[10:11]
	v_cndmask_b32_e64 v1, v43, v39, s[12:13]
	v_alignbit_b32 v39, v41, v38, v42
	v_cndmask_b32_e32 v34, v36, v34, vcc
	v_cndmask_b32_e64 v39, v39, v41, s[12:13]
	v_bfe_u32 v43, v1, 29, 1
	v_cndmask_b32_e64 v34, v35, v34, s[8:9]
	v_alignbit_b32 v40, v1, v39, 30
	v_sub_u32_e32 v44, 0, v43
	v_cndmask_b32_e64 v34, v37, v34, s[10:11]
	v_xor_b32_e32 v40, v40, v44
	v_alignbit_b32 v35, v38, v34, v42
	v_cndmask_b32_e64 v35, v35, v38, s[12:13]
	v_ffbh_u32_e32 v37, v40
	v_alignbit_b32 v36, v39, v35, 30
	v_min_u32_e32 v37, 32, v37
	v_alignbit_b32 v34, v35, v34, 30
	v_xor_b32_e32 v36, v36, v44
	v_sub_u32_e32 v38, 31, v37
	v_xor_b32_e32 v34, v34, v44
	v_alignbit_b32 v39, v40, v36, v38
	v_alignbit_b32 v34, v36, v34, v38
	v_alignbit_b32 v35, v39, v34, 9
	v_ffbh_u32_e32 v36, v35
	v_min_u32_e32 v36, 32, v36
	v_lshrrev_b32_e32 v41, 29, v1
	v_not_b32_e32 v38, v36
	v_alignbit_b32 v34, v35, v34, v38
	v_lshlrev_b32_e32 v35, 31, v41
	v_or_b32_e32 v38, 0x33000000, v35
	v_add_lshl_u32 v36, v36, v37, 23
	v_lshrrev_b32_e32 v34, 9, v34
	v_sub_u32_e32 v36, v38, v36
	v_or_b32_e32 v35, 0.5, v35
	v_lshlrev_b32_e32 v37, 23, v37
	v_or_b32_e32 v34, v36, v34
	v_lshrrev_b32_e32 v36, 9, v39
	v_sub_u32_e32 v35, v35, v37
	v_or_b32_e32 v35, v36, v35
	v_mul_f32_e32 v36, 0x3fc90fda, v35
	v_fma_f32 v37, v35, s51, -v36
	v_fmac_f32_e32 v37, 0x33a22168, v35
	v_fmac_f32_e32 v37, 0x3fc90fda, v34
	v_lshrrev_b32_e32 v1, 30, v1
	v_add_f32_e32 v34, v36, v37
	v_add_u32_e32 v1, v43, v1
	s_andn2_saveexec_b64 s[8:9], s[30:31]
	s_cbranch_execnz .LBB94_261
	s_branch .LBB94_262
.LBB94_260:                             ;   in Loop: Header=BB94_161 Depth=1
	s_andn2_saveexec_b64 s[8:9], s[30:31]
.LBB94_261:                             ;   in Loop: Header=BB94_161 Depth=1
	v_mul_f32_e64 v1, |v14|, s52
	v_rndne_f32_e32 v35, v1
	v_cvt_i32_f32_e32 v1, v35
	v_fma_f32 v34, v35, s53, |v14|
	v_fmac_f32_e32 v34, 0xb3a22168, v35
	v_fmac_f32_e32 v34, 0xa7c234c4, v35
.LBB94_262:                             ;   in Loop: Header=BB94_161 Depth=1
	s_or_b64 exec, exec, s[8:9]
	v_mul_f32_e32 v35, v20, v20
	v_mov_b32_e32 v36, 0x3c0881c4
	v_fmac_f32_e32 v36, 0xb94c1982, v35
	v_fma_f32 v36, v35, v36, v26
	v_mul_f32_e32 v36, v35, v36
	v_fmac_f32_e32 v20, v20, v36
	v_mov_b32_e32 v36, 0xbab64f3b
	v_fmac_f32_e32 v36, 0x37d75334, v35
	v_fma_f32 v36, v35, v36, v27
	v_fma_f32 v36, v35, v36, v28
	v_fma_f32 v35, v35, v36, 1.0
	v_and_b32_e32 v36, 1, v18
	v_lshlrev_b32_e32 v18, 30, v18
	v_and_b32_e32 v18, 0x80000000, v18
	v_cmp_eq_u32_e32 vcc, 0, v36
	v_xor_b32_e32 v17, v17, v18
	v_mul_f32_e64 v18, |v15|, s58
	v_cndmask_b32_e32 v20, v35, v20, vcc
	v_rndne_f32_e32 v35, v18
	v_sub_f32_e32 v36, v18, v35
	v_fma_f32 v18, |v15|, s58, -v18
	v_fma_f32 v18, |v15|, s59, v18
	v_add_f32_e32 v18, v36, v18
	v_exp_f32_e32 v18, v18
	v_cvt_i32_f32_e32 v35, v35
	v_xor_b32_e32 v17, v17, v20
	v_xor_b32_e32 v14, v17, v14
	v_cmp_ngt_f32_e64 vcc, |v15|, s60
	v_ldexp_f32 v17, v18, v35
	v_cndmask_b32_e32 v17, 0, v17, vcc
	v_cmp_nlt_f32_e64 vcc, |v15|, s61
	v_xor_b32_e32 v15, 0x80000000, v15
	v_bfi_b32 v20, s39, 1.0, v15
	v_mul_f32_e32 v15, v34, v34
	v_mov_b32_e32 v18, 0x3c0881c4
	v_fmac_f32_e32 v18, 0xb94c1982, v15
	v_fma_f32 v18, v15, v18, v26
	v_mul_f32_e32 v18, v15, v18
	v_fmac_f32_e32 v34, v34, v18
	v_mov_b32_e32 v18, 0xbab64f3b
	v_fmac_f32_e32 v18, 0x37d75334, v15
	v_fma_f32 v18, v15, v18, v27
	v_fma_f32 v18, v15, v18, v28
	v_fma_f32 v15, v15, v18, 1.0
	v_and_b32_e32 v18, 1, v1
	v_cndmask_b32_e32 v17, v31, v17, vcc
	v_cmp_eq_u32_e32 vcc, 0, v18
	v_lshlrev_b32_e32 v1, 30, v1
	v_cndmask_b32_e64 v15, -v34, v15, vcc
	v_and_b32_e32 v1, 0x80000000, v1
	v_mul_f32_e32 v14, 4.0, v14
	v_xor_b32_e32 v1, v1, v15
	v_mul_f32_e32 v1, v14, v1
	v_mul_f32_e32 v1, v17, v1
	;; [unrolled: 1-line block ×3, first 2 shown]
.LBB94_263:                             ;   in Loop: Header=BB94_161 Depth=1
	s_or_b64 exec, exec, s[28:29]
                                        ; implicit-def: $vgpr14
.LBB94_264:                             ;   in Loop: Header=BB94_161 Depth=1
	s_andn2_saveexec_b64 s[8:9], s[26:27]
; %bb.265:                              ;   in Loop: Header=BB94_161 Depth=1
	v_sub_f32_e32 v18, v14, v14
	v_mov_b32_e32 v20, v18
; %bb.266:                              ;   in Loop: Header=BB94_161 Depth=1
	s_or_b64 exec, exec, s[8:9]
                                        ; implicit-def: $vgpr15
.LBB94_267:                             ;   in Loop: Header=BB94_161 Depth=1
	s_andn2_saveexec_b64 s[24:25], s[24:25]
	s_cbranch_execz .LBB94_283
; %bb.268:                              ;   in Loop: Header=BB94_161 Depth=1
	v_xor_b32_e32 v20, 0x80000000, v15
	v_and_b32_e32 v1, 0x7fffff, v20
	v_cmp_ne_u32_e32 vcc, 0, v1
                                        ; implicit-def: $vgpr18
	s_and_saveexec_b64 s[8:9], vcc
	s_xor_b64 s[8:9], exec, s[8:9]
; %bb.269:                              ;   in Loop: Header=BB94_161 Depth=1
	v_mul_f32_e64 v1, v14, -v15
	v_cmp_eq_f32_e32 vcc, 0, v14
	v_cndmask_b32_e32 v18, v1, v14, vcc
                                        ; implicit-def: $vgpr14
; %bb.270:                              ;   in Loop: Header=BB94_161 Depth=1
	s_andn2_saveexec_b64 s[26:27], s[8:9]
	s_cbranch_execz .LBB94_282
; %bb.271:                              ;   in Loop: Header=BB94_161 Depth=1
	v_cmp_neq_f32_e64 s[8:9], |v14|, s40
	s_and_saveexec_b64 s[28:29], s[8:9]
	s_cbranch_execz .LBB94_281
; %bb.272:                              ;   in Loop: Header=BB94_161 Depth=1
	v_and_b32_e32 v15, 0x7fffffff, v14
	v_cmp_nlt_f32_e64 s[30:31], |v14|, s43
                                        ; implicit-def: $vgpr17
                                        ; implicit-def: $vgpr18
	s_and_saveexec_b64 s[8:9], s[30:31]
	s_xor_b64 s[34:35], exec, s[8:9]
	s_cbranch_execz .LBB94_274
; %bb.273:                              ;   in Loop: Header=BB94_161 Depth=1
	v_and_b32_e32 v1, 0x7fffff, v15
	v_or_b32_e32 v40, 0x800000, v1
	v_mad_u64_u32 v[17:18], s[8:9], v40, s44, 0
	v_mov_b32_e32 v1, v18
	v_mad_u64_u32 v[34:35], s[8:9], v40, s45, v[1:2]
	v_mov_b32_e32 v1, v35
	;; [unrolled: 2-line block ×3, first 2 shown]
	v_mad_u64_u32 v[36:37], s[8:9], v40, s47, v[1:2]
	v_lshrrev_b32_e32 v1, 23, v15
	v_add_u32_e32 v18, 0xffffff88, v1
	v_mov_b32_e32 v1, v37
	v_mad_u64_u32 v[37:38], s[8:9], v40, s48, v[1:2]
	v_cmp_lt_u32_e32 vcc, 63, v18
	v_cndmask_b32_e32 v1, 0, v29, vcc
	v_add_u32_e32 v18, v1, v18
	v_mov_b32_e32 v1, v38
	v_mad_u64_u32 v[38:39], s[8:9], v40, s49, v[1:2]
	v_cmp_lt_u32_e64 s[8:9], 31, v18
	v_cndmask_b32_e64 v1, 0, v30, s[8:9]
	v_add_u32_e32 v18, v1, v18
	v_mov_b32_e32 v1, v39
	v_mad_u64_u32 v[39:40], s[10:11], v40, s50, v[1:2]
	v_cmp_lt_u32_e64 s[10:11], 31, v18
	v_cndmask_b32_e64 v1, 0, v30, s[10:11]
	v_add_u32_e32 v1, v1, v18
	v_cndmask_b32_e32 v18, v38, v36, vcc
	v_cndmask_b32_e32 v39, v39, v37, vcc
	;; [unrolled: 1-line block ×4, first 2 shown]
	v_cndmask_b32_e64 v40, v39, v18, s[8:9]
	v_cndmask_b32_e64 v38, v38, v39, s[8:9]
	;; [unrolled: 1-line block ×3, first 2 shown]
	v_cndmask_b32_e32 v34, v36, v34, vcc
	v_cndmask_b32_e64 v38, v38, v40, s[10:11]
	v_cndmask_b32_e64 v39, v40, v18, s[10:11]
	v_sub_u32_e32 v40, 32, v1
	v_cndmask_b32_e64 v36, v37, v34, s[8:9]
	v_alignbit_b32 v41, v38, v39, v40
	v_cmp_eq_u32_e64 s[12:13], 0, v1
	v_cndmask_b32_e64 v18, v18, v36, s[10:11]
	v_cndmask_b32_e64 v1, v41, v38, s[12:13]
	v_alignbit_b32 v37, v39, v18, v40
	v_cndmask_b32_e32 v17, v35, v17, vcc
	v_cndmask_b32_e64 v37, v37, v39, s[12:13]
	v_bfe_u32 v41, v1, 29, 1
	v_cndmask_b32_e64 v17, v34, v17, s[8:9]
	v_alignbit_b32 v38, v1, v37, 30
	v_sub_u32_e32 v42, 0, v41
	v_cndmask_b32_e64 v17, v36, v17, s[10:11]
	v_xor_b32_e32 v38, v38, v42
	v_alignbit_b32 v34, v18, v17, v40
	v_cndmask_b32_e64 v18, v34, v18, s[12:13]
	v_ffbh_u32_e32 v35, v38
	v_alignbit_b32 v34, v37, v18, 30
	v_min_u32_e32 v35, 32, v35
	v_alignbit_b32 v17, v18, v17, 30
	v_xor_b32_e32 v34, v34, v42
	v_sub_u32_e32 v36, 31, v35
	v_xor_b32_e32 v17, v17, v42
	v_alignbit_b32 v37, v38, v34, v36
	v_alignbit_b32 v17, v34, v17, v36
	;; [unrolled: 1-line block ×3, first 2 shown]
	v_ffbh_u32_e32 v34, v18
	v_min_u32_e32 v34, 32, v34
	v_lshrrev_b32_e32 v39, 29, v1
	v_not_b32_e32 v36, v34
	v_alignbit_b32 v17, v18, v17, v36
	v_lshlrev_b32_e32 v18, 31, v39
	v_or_b32_e32 v36, 0x33000000, v18
	v_add_lshl_u32 v34, v34, v35, 23
	v_lshrrev_b32_e32 v17, 9, v17
	v_sub_u32_e32 v34, v36, v34
	v_or_b32_e32 v18, 0.5, v18
	v_lshlrev_b32_e32 v35, 23, v35
	v_or_b32_e32 v17, v34, v17
	v_lshrrev_b32_e32 v34, 9, v37
	v_sub_u32_e32 v18, v18, v35
	v_or_b32_e32 v18, v34, v18
	v_mul_f32_e32 v34, 0x3fc90fda, v18
	v_fma_f32 v35, v18, s51, -v34
	v_fmac_f32_e32 v35, 0x33a22168, v18
	v_fmac_f32_e32 v35, 0x3fc90fda, v17
	v_lshrrev_b32_e32 v1, 30, v1
	v_add_f32_e32 v18, v34, v35
	v_add_u32_e32 v17, v41, v1
	s_andn2_saveexec_b64 s[8:9], s[34:35]
	s_branch .LBB94_275
.LBB94_274:                             ;   in Loop: Header=BB94_161 Depth=1
	s_andn2_saveexec_b64 s[8:9], s[34:35]
.LBB94_275:                             ;   in Loop: Header=BB94_161 Depth=1
	v_mul_f32_e64 v1, |v14|, s52
	v_rndne_f32_e32 v1, v1
	v_cvt_i32_f32_e32 v17, v1
	v_fma_f32 v18, v1, s53, |v14|
	v_fmac_f32_e32 v18, 0xb3a22168, v1
	v_fmac_f32_e32 v18, 0xa7c234c4, v1
; %bb.276:                              ;   in Loop: Header=BB94_161 Depth=1
	s_or_b64 exec, exec, s[8:9]
                                        ; implicit-def: $vgpr1
                                        ; implicit-def: $vgpr34
	s_and_saveexec_b64 s[8:9], s[30:31]
	s_xor_b64 s[30:31], exec, s[8:9]
	s_cbranch_execz .LBB94_278
; %bb.277:                              ;   in Loop: Header=BB94_161 Depth=1
	v_and_b32_e32 v1, 0x7fffff, v15
	v_or_b32_e32 v41, 0x800000, v1
	v_mad_u64_u32 v[34:35], s[8:9], v41, s44, 0
	v_mov_b32_e32 v1, v35
	v_mad_u64_u32 v[35:36], s[8:9], v41, s45, v[1:2]
	v_mov_b32_e32 v1, v36
	;; [unrolled: 2-line block ×3, first 2 shown]
	v_mad_u64_u32 v[37:38], s[8:9], v41, s47, v[1:2]
	v_lshrrev_b32_e32 v1, 23, v15
	v_add_u32_e32 v40, 0xffffff88, v1
	v_mov_b32_e32 v1, v38
	v_mad_u64_u32 v[38:39], s[8:9], v41, s48, v[1:2]
	v_cmp_lt_u32_e32 vcc, 63, v40
	v_cndmask_b32_e32 v1, 0, v29, vcc
	v_add_u32_e32 v42, v1, v40
	v_mov_b32_e32 v1, v39
	v_mad_u64_u32 v[39:40], s[8:9], v41, s49, v[1:2]
	v_cmp_lt_u32_e64 s[8:9], 31, v42
	v_cndmask_b32_e64 v1, 0, v30, s[8:9]
	v_add_u32_e32 v42, v1, v42
	v_mov_b32_e32 v1, v40
	v_mad_u64_u32 v[40:41], s[10:11], v41, s50, v[1:2]
	v_cmp_lt_u32_e64 s[10:11], 31, v42
	v_cndmask_b32_e64 v1, 0, v30, s[10:11]
	v_add_u32_e32 v1, v1, v42
	v_cndmask_b32_e32 v42, v39, v37, vcc
	v_cndmask_b32_e32 v40, v40, v38, vcc
	;; [unrolled: 1-line block ×4, first 2 shown]
	v_cndmask_b32_e64 v41, v40, v42, s[8:9]
	v_cndmask_b32_e64 v39, v39, v40, s[8:9]
	;; [unrolled: 1-line block ×3, first 2 shown]
	v_cndmask_b32_e32 v35, v37, v35, vcc
	v_cndmask_b32_e64 v39, v39, v41, s[10:11]
	v_cndmask_b32_e64 v41, v41, v40, s[10:11]
	v_sub_u32_e32 v42, 32, v1
	v_cndmask_b32_e64 v37, v38, v35, s[8:9]
	v_alignbit_b32 v43, v39, v41, v42
	v_cmp_eq_u32_e64 s[12:13], 0, v1
	v_cndmask_b32_e64 v38, v40, v37, s[10:11]
	v_cndmask_b32_e64 v1, v43, v39, s[12:13]
	v_alignbit_b32 v39, v41, v38, v42
	v_cndmask_b32_e32 v34, v36, v34, vcc
	v_cndmask_b32_e64 v39, v39, v41, s[12:13]
	v_bfe_u32 v43, v1, 29, 1
	v_cndmask_b32_e64 v34, v35, v34, s[8:9]
	v_alignbit_b32 v40, v1, v39, 30
	v_sub_u32_e32 v44, 0, v43
	v_cndmask_b32_e64 v34, v37, v34, s[10:11]
	v_xor_b32_e32 v40, v40, v44
	v_alignbit_b32 v35, v38, v34, v42
	v_cndmask_b32_e64 v35, v35, v38, s[12:13]
	v_ffbh_u32_e32 v37, v40
	v_alignbit_b32 v36, v39, v35, 30
	v_min_u32_e32 v37, 32, v37
	v_alignbit_b32 v34, v35, v34, 30
	v_xor_b32_e32 v36, v36, v44
	v_sub_u32_e32 v38, 31, v37
	v_xor_b32_e32 v34, v34, v44
	v_alignbit_b32 v39, v40, v36, v38
	v_alignbit_b32 v34, v36, v34, v38
	;; [unrolled: 1-line block ×3, first 2 shown]
	v_ffbh_u32_e32 v36, v35
	v_min_u32_e32 v36, 32, v36
	v_lshrrev_b32_e32 v41, 29, v1
	v_not_b32_e32 v38, v36
	v_alignbit_b32 v34, v35, v34, v38
	v_lshlrev_b32_e32 v35, 31, v41
	v_or_b32_e32 v38, 0x33000000, v35
	v_add_lshl_u32 v36, v36, v37, 23
	v_lshrrev_b32_e32 v34, 9, v34
	v_sub_u32_e32 v36, v38, v36
	v_or_b32_e32 v35, 0.5, v35
	v_lshlrev_b32_e32 v37, 23, v37
	v_or_b32_e32 v34, v36, v34
	v_lshrrev_b32_e32 v36, 9, v39
	v_sub_u32_e32 v35, v35, v37
	v_or_b32_e32 v35, v36, v35
	v_mul_f32_e32 v36, 0x3fc90fda, v35
	v_fma_f32 v37, v35, s51, -v36
	v_fmac_f32_e32 v37, 0x33a22168, v35
	v_fmac_f32_e32 v37, 0x3fc90fda, v34
	v_lshrrev_b32_e32 v1, 30, v1
	v_add_f32_e32 v34, v36, v37
	v_add_u32_e32 v1, v43, v1
	s_andn2_saveexec_b64 s[8:9], s[30:31]
	s_cbranch_execnz .LBB94_279
	s_branch .LBB94_280
.LBB94_278:                             ;   in Loop: Header=BB94_161 Depth=1
	s_andn2_saveexec_b64 s[8:9], s[30:31]
.LBB94_279:                             ;   in Loop: Header=BB94_161 Depth=1
	v_mul_f32_e64 v1, |v14|, s52
	v_rndne_f32_e32 v35, v1
	v_cvt_i32_f32_e32 v1, v35
	v_fma_f32 v34, v35, s53, |v14|
	v_fmac_f32_e32 v34, 0xb3a22168, v35
	v_fmac_f32_e32 v34, 0xa7c234c4, v35
.LBB94_280:                             ;   in Loop: Header=BB94_161 Depth=1
	s_or_b64 exec, exec, s[8:9]
	v_mul_f32_e32 v35, v18, v18
	v_mov_b32_e32 v36, 0x3c0881c4
	v_fmac_f32_e32 v36, 0xb94c1982, v35
	v_fma_f32 v36, v35, v36, v26
	v_mul_f32_e32 v36, v35, v36
	v_fmac_f32_e32 v18, v18, v36
	v_mov_b32_e32 v36, 0xbab64f3b
	v_fmac_f32_e32 v36, 0x37d75334, v35
	v_fma_f32 v36, v35, v36, v27
	v_fma_f32 v36, v35, v36, v28
	v_fma_f32 v35, v35, v36, 1.0
	v_and_b32_e32 v36, 1, v17
	v_lshlrev_b32_e32 v17, 30, v17
	v_cmp_eq_u32_e32 vcc, 0, v36
	v_and_b32_e32 v17, 0x80000000, v17
	v_cndmask_b32_e32 v18, v35, v18, vcc
	v_xor_b32_e32 v15, v15, v17
	v_xor_b32_e32 v15, v15, v18
	v_mul_f32_e32 v17, v34, v34
	v_mov_b32_e32 v18, 0x3c0881c4
	v_fmac_f32_e32 v18, 0xb94c1982, v17
	v_fma_f32 v18, v17, v18, v26
	v_mul_f32_e32 v18, v17, v18
	v_fmac_f32_e32 v34, v34, v18
	v_mov_b32_e32 v18, 0xbab64f3b
	v_fmac_f32_e32 v18, 0x37d75334, v17
	v_fma_f32 v18, v17, v18, v27
	v_fma_f32 v18, v17, v18, v28
	v_fma_f32 v17, v17, v18, 1.0
	v_and_b32_e32 v18, 1, v1
	v_cmp_eq_u32_e32 vcc, 0, v18
	v_lshlrev_b32_e32 v1, 30, v1
	v_cndmask_b32_e64 v17, -v34, v17, vcc
	v_and_b32_e32 v1, 0x80000000, v1
	v_xor_b32_e32 v15, v15, v14
	v_xor_b32_e32 v1, v1, v17
	v_mul_f32_e32 v1, v15, v1
	v_cmp_class_f32_e64 vcc, v14, s41
	v_cndmask_b32_e32 v14, v32, v1, vcc
.LBB94_281:                             ;   in Loop: Header=BB94_161 Depth=1
	s_or_b64 exec, exec, s[28:29]
	v_add_u32_e32 v20, -2.0, v20
	v_bfi_b32 v18, s39, 0, v14
.LBB94_282:                             ;   in Loop: Header=BB94_161 Depth=1
	s_or_b64 exec, exec, s[26:27]
.LBB94_283:                             ;   in Loop: Header=BB94_161 Depth=1
	s_or_b64 exec, exec, s[24:25]
	v_and_b32_e32 v1, 0x7fffffff, v12
	v_cmp_gt_u32_e32 vcc, s40, v1
                                        ; implicit-def: $vgpr15
                                        ; implicit-def: $vgpr34
	s_and_saveexec_b64 s[8:9], vcc
	s_xor_b64 s[24:25], exec, s[8:9]
	s_cbranch_execz .LBB94_294
; %bb.284:                              ;   in Loop: Header=BB94_161 Depth=1
	v_cmp_class_f32_e64 s[8:9], v11, s41
                                        ; implicit-def: $vgpr15
                                        ; implicit-def: $vgpr34
	s_and_saveexec_b64 s[10:11], s[8:9]
	s_xor_b64 s[26:27], exec, s[10:11]
	s_cbranch_execz .LBB94_313
; %bb.285:                              ;   in Loop: Header=BB94_161 Depth=1
	v_and_b32_e32 v14, 0x7fffffff, v11
	v_cmp_gt_u32_e32 vcc, s42, v1
                                        ; implicit-def: $vgpr15
                                        ; implicit-def: $vgpr34
	s_and_saveexec_b64 s[8:9], vcc
	s_xor_b64 s[28:29], exec, s[8:9]
	s_cbranch_execz .LBB94_291
; %bb.286:                              ;   in Loop: Header=BB94_161 Depth=1
	v_cmp_nlt_f32_e64 s[8:9], |v11|, s43
                                        ; implicit-def: $vgpr15
                                        ; implicit-def: $vgpr1
	s_and_saveexec_b64 s[10:11], s[8:9]
	s_xor_b64 s[30:31], exec, s[10:11]
	s_cbranch_execz .LBB94_288
; %bb.287:                              ;   in Loop: Header=BB94_161 Depth=1
	v_and_b32_e32 v1, 0x7fffff, v14
	v_or_b32_e32 v15, 0x800000, v1
	v_mad_u64_u32 v[34:35], s[8:9], v15, s44, 0
	v_mov_b32_e32 v1, v35
	v_mad_u64_u32 v[35:36], s[8:9], v15, s45, v[1:2]
	v_mov_b32_e32 v1, v36
	;; [unrolled: 2-line block ×3, first 2 shown]
	v_mad_u64_u32 v[37:38], s[8:9], v15, s47, v[1:2]
	v_lshrrev_b32_e32 v1, 23, v14
	v_add_u32_e32 v17, 0xffffff88, v1
	v_mov_b32_e32 v1, v38
	v_mad_u64_u32 v[38:39], s[8:9], v15, s48, v[1:2]
	v_cmp_lt_u32_e32 vcc, 63, v17
	v_cndmask_b32_e32 v1, 0, v29, vcc
	v_add_u32_e32 v17, v1, v17
	v_mov_b32_e32 v1, v39
	v_mad_u64_u32 v[39:40], s[8:9], v15, s49, v[1:2]
	v_cmp_lt_u32_e64 s[8:9], 31, v17
	v_cndmask_b32_e64 v1, 0, v30, s[8:9]
	v_add_u32_e32 v17, v1, v17
	v_mov_b32_e32 v1, v40
	v_mad_u64_u32 v[40:41], s[10:11], v15, s50, v[1:2]
	v_cmp_lt_u32_e64 s[10:11], 31, v17
	v_cndmask_b32_e64 v1, 0, v30, s[10:11]
	v_add_u32_e32 v1, v1, v17
	v_cndmask_b32_e32 v15, v39, v37, vcc
	v_cndmask_b32_e32 v17, v40, v38, vcc
	;; [unrolled: 1-line block ×4, first 2 shown]
	v_cndmask_b32_e64 v40, v17, v15, s[8:9]
	v_cndmask_b32_e64 v17, v39, v17, s[8:9]
	;; [unrolled: 1-line block ×5, first 2 shown]
	v_sub_u32_e32 v40, 32, v1
	v_cmp_eq_u32_e64 s[12:13], 0, v1
	v_cndmask_b32_e32 v1, v37, v35, vcc
	v_cndmask_b32_e64 v35, v38, v1, s[8:9]
	v_alignbit_b32 v41, v17, v39, v40
	v_cndmask_b32_e64 v15, v15, v35, s[10:11]
	v_cndmask_b32_e64 v17, v41, v17, s[12:13]
	v_alignbit_b32 v37, v39, v15, v40
	v_cndmask_b32_e32 v34, v36, v34, vcc
	v_cndmask_b32_e64 v37, v37, v39, s[12:13]
	v_bfe_u32 v41, v17, 29, 1
	v_cndmask_b32_e64 v1, v1, v34, s[8:9]
	v_alignbit_b32 v38, v17, v37, 30
	v_sub_u32_e32 v42, 0, v41
	v_cndmask_b32_e64 v1, v35, v1, s[10:11]
	v_xor_b32_e32 v38, v38, v42
	v_alignbit_b32 v34, v15, v1, v40
	v_cndmask_b32_e64 v15, v34, v15, s[12:13]
	v_ffbh_u32_e32 v35, v38
	v_alignbit_b32 v34, v37, v15, 30
	v_min_u32_e32 v35, 32, v35
	v_alignbit_b32 v1, v15, v1, 30
	v_xor_b32_e32 v34, v34, v42
	v_sub_u32_e32 v36, 31, v35
	v_xor_b32_e32 v1, v1, v42
	v_alignbit_b32 v37, v38, v34, v36
	v_alignbit_b32 v1, v34, v1, v36
	;; [unrolled: 1-line block ×3, first 2 shown]
	v_ffbh_u32_e32 v34, v15
	v_min_u32_e32 v34, 32, v34
	v_lshrrev_b32_e32 v39, 29, v17
	v_not_b32_e32 v36, v34
	v_alignbit_b32 v1, v15, v1, v36
	v_lshlrev_b32_e32 v15, 31, v39
	v_or_b32_e32 v36, 0x33000000, v15
	v_add_lshl_u32 v34, v34, v35, 23
	v_lshrrev_b32_e32 v1, 9, v1
	v_sub_u32_e32 v34, v36, v34
	v_or_b32_e32 v15, 0.5, v15
	v_lshlrev_b32_e32 v35, 23, v35
	v_or_b32_e32 v1, v34, v1
	v_lshrrev_b32_e32 v34, 9, v37
	v_sub_u32_e32 v15, v15, v35
	v_or_b32_e32 v15, v34, v15
	v_mul_f32_e32 v34, 0x3fc90fda, v15
	v_fma_f32 v35, v15, s51, -v34
	v_fmac_f32_e32 v35, 0x33a22168, v15
	v_fmac_f32_e32 v35, 0x3fc90fda, v1
	v_lshrrev_b32_e32 v15, 30, v17
	v_add_f32_e32 v1, v34, v35
	v_add_u32_e32 v15, v41, v15
.LBB94_288:                             ;   in Loop: Header=BB94_161 Depth=1
	s_andn2_saveexec_b64 s[8:9], s[30:31]
; %bb.289:                              ;   in Loop: Header=BB94_161 Depth=1
	v_mul_f32_e64 v1, |v11|, s52
	v_rndne_f32_e32 v17, v1
	v_cvt_i32_f32_e32 v15, v17
	v_fma_f32 v1, v17, s53, |v11|
	v_fmac_f32_e32 v1, 0xb3a22168, v17
	v_fmac_f32_e32 v1, 0xa7c234c4, v17
; %bb.290:                              ;   in Loop: Header=BB94_161 Depth=1
	s_or_b64 exec, exec, s[8:9]
	v_mul_f32_e32 v17, v1, v1
	v_mov_b32_e32 v34, 0xbf039337
	v_fmac_f32_e32 v34, 0x3c971480, v17
	v_fma_f32 v34, v17, v34, v21
	v_rcp_f32_e32 v34, v34
	v_mov_b32_e32 v35, 0x3ec54587
	v_fmac_f32_e32 v35, 0xbc8cedd3, v17
	v_and_b32_e32 v15, 1, v15
	v_mul_f32_e32 v34, v35, v34
	v_mul_f32_e32 v17, v17, v34
	v_fma_f32 v34, v17, v1, v1
	v_rcp_f32_e32 v35, v34
	v_sub_f32_e32 v36, v34, v1
	v_fma_f32 v1, v17, v1, -v36
	v_cmp_eq_u32_e32 vcc, 0, v15
	v_fma_f32 v17, v34, -v35, 1.0
	v_fma_f32 v1, v1, -v35, v17
	v_add_f32_e64 v15, |v12|, s54
	v_fma_f32 v1, v1, -v35, -v35
	v_sub_f32_e64 v17, v15, |v12|
	v_cndmask_b32_e32 v1, v1, v34, vcc
	v_sub_f32_e32 v34, v17, v15
	v_add_f32_e64 v34, |v12|, v34
	v_add_f32_e32 v17, 0x3f317218, v17
	v_sub_f32_e32 v17, v34, v17
	v_add_f32_e32 v17, 0x3102e308, v17
	v_add_f32_e32 v34, v15, v17
	v_sub_f32_e32 v15, v15, v34
	v_add_f32_e32 v15, v17, v15
	v_mul_f32_e32 v17, 0x3fb8aa3b, v34
	v_rndne_f32_e32 v17, v17
	v_fmac_f32_e32 v34, 0xbf317200, v17
	v_add_f32_e32 v35, v15, v34
	v_sub_f32_e32 v34, v34, v35
	v_add_f32_e32 v15, v15, v34
	v_mul_f32_e32 v34, 0x35bfbc00, v17
	v_sub_f32_e32 v36, v35, v34
	v_sub_f32_e32 v35, v35, v36
	;; [unrolled: 1-line block ×3, first 2 shown]
	v_add_f32_e32 v15, v15, v34
	v_add_f32_e32 v34, v36, v15
	v_sub_f32_e32 v35, v36, v34
	v_add_f32_e32 v15, v15, v35
	v_mul_f32_e32 v35, 0x2ea39ef3, v17
	v_sub_f32_e32 v36, v34, v35
	v_sub_f32_e32 v34, v34, v36
	;; [unrolled: 1-line block ×3, first 2 shown]
	v_add_f32_e32 v15, v15, v34
	v_add_f32_e32 v34, v36, v15
	v_sub_f32_e32 v36, v36, v34
	v_mov_b32_e32 v35, 0x3c091de6
	v_add_f32_e32 v15, v15, v36
	v_mul_f32_e32 v37, v34, v34
	v_fmac_f32_e32 v35, 0x3ab42872, v34
	v_add_f32_e32 v36, v15, v15
	v_fma_f32 v38, v34, v34, -v37
	v_fma_f32 v35, v34, v35, v22
	v_fmac_f32_e32 v38, v34, v36
	v_fma_f32 v35, v34, v35, v23
	v_add_f32_e32 v36, v37, v38
	v_fma_f32 v35, v34, v35, v24
	v_sub_f32_e32 v37, v36, v37
	v_sub_f32_e32 v37, v38, v37
	v_mul_f32_e32 v38, v35, v36
	v_fma_f32 v36, v36, v35, -v38
	v_fmac_f32_e32 v36, v37, v35
	v_add_f32_e32 v35, v38, v36
	v_sub_f32_e32 v37, v35, v38
	v_sub_f32_e32 v36, v36, v37
	v_add_f32_e32 v37, v34, v35
	v_sub_f32_e32 v34, v37, v34
	v_sub_f32_e32 v34, v35, v34
	v_add_f32_e32 v15, v15, v36
	v_add_f32_e32 v15, v15, v34
	;; [unrolled: 1-line block ×3, first 2 shown]
	v_sub_f32_e32 v35, v34, v37
	v_sub_f32_e32 v15, v15, v35
	v_add_f32_e32 v35, 1.0, v34
	v_add_f32_e32 v36, -1.0, v35
	v_cvt_i32_f32_e32 v17, v17
	v_sub_f32_e32 v34, v34, v36
	v_add_f32_e32 v15, v15, v34
	v_add_f32_e32 v34, v35, v15
	v_ldexp_f32 v36, v34, v17
	v_rcp_f32_e32 v37, v36
	v_sub_f32_e32 v34, v34, v35
	v_sub_f32_e32 v15, v15, v34
	v_ldexp_f32 v15, v15, v17
	v_mul_f32_e32 v17, v36, v37
	v_fma_f32 v34, v37, v36, -v17
	v_fmac_f32_e32 v34, v37, v15
	v_add_f32_e32 v35, v17, v34
	v_sub_f32_e32 v38, 1.0, v35
	v_sub_f32_e32 v39, 1.0, v38
	v_sub_f32_e32 v17, v35, v17
	v_sub_f32_e32 v39, v39, v35
	;; [unrolled: 1-line block ×3, first 2 shown]
	v_add_f32_e32 v17, v17, v39
	v_add_f32_e32 v34, v38, v17
	v_mul_f32_e32 v35, v37, v34
	v_mul_f32_e32 v39, v36, v35
	v_fma_f32 v40, v35, v36, -v39
	v_fmac_f32_e32 v40, v35, v15
	v_sub_f32_e32 v38, v38, v34
	v_add_f32_e32 v17, v17, v38
	v_add_f32_e32 v38, v39, v40
	v_sub_f32_e32 v41, v34, v38
	v_sub_f32_e32 v34, v34, v41
	;; [unrolled: 1-line block ×4, first 2 shown]
	v_add_f32_e32 v17, v17, v34
	v_sub_f32_e32 v34, v39, v40
	v_add_f32_e32 v17, v34, v17
	v_add_f32_e32 v17, v41, v17
	;; [unrolled: 1-line block ×3, first 2 shown]
	v_mul_f32_e32 v17, v37, v17
	v_sub_f32_e32 v37, v34, v37
	v_sub_f32_e32 v35, v35, v37
	v_add_f32_e32 v17, v35, v17
	v_add_f32_e32 v35, v34, v17
	v_sub_f32_e32 v34, v35, v34
	v_sub_f32_e32 v17, v17, v34
	v_ldexp_f32 v34, v35, -2
	v_sub_f32_e32 v35, v36, v34
	v_sub_f32_e32 v36, v36, v35
	;; [unrolled: 1-line block ×3, first 2 shown]
	v_ldexp_f32 v17, v17, -2
	v_add_f32_e32 v15, v15, v34
	v_sub_f32_e32 v15, v15, v17
	v_add_f32_e32 v15, v35, v15
	v_cmp_ngt_f32_e64 vcc, |v12|, s55
	v_cndmask_b32_e32 v15, v31, v15, vcc
	v_cmp_lt_f32_e64 s[8:9], |v12|, s56
	v_cndmask_b32_e64 v15, v15, |v12|, s[8:9]
	v_xor_b32_e32 v12, 0x80000000, v12
	v_bfi_b32 v12, s39, v15, v12
	v_fma_f32 v15, v12, v12, 1.0
	v_mul_f32_e32 v17, 0x4f800000, v15
	v_cmp_gt_f32_e32 vcc, s57, v15
	v_cndmask_b32_e32 v15, v15, v17, vcc
	v_sqrt_f32_e32 v17, v15
	v_xor_b32_e32 v1, v14, v1
	v_xor_b32_e32 v1, v1, v11
	v_fma_f32 v11, v1, v1, 1.0
	v_add_u32_e32 v14, -1, v17
	v_fma_f32 v34, -v14, v17, v15
	v_cmp_ge_f32_e64 s[8:9], 0, v34
	v_add_u32_e32 v34, 1, v17
	v_cndmask_b32_e64 v14, v17, v14, s[8:9]
	v_fma_f32 v17, -v34, v17, v15
	v_cmp_lt_f32_e64 s[8:9], 0, v17
	v_cndmask_b32_e64 v14, v14, v34, s[8:9]
	v_mul_f32_e32 v17, 0x37800000, v14
	v_cndmask_b32_e32 v14, v14, v17, vcc
	v_cmp_class_f32_e32 vcc, v15, v25
	v_cndmask_b32_e32 v14, v14, v15, vcc
	v_mul_f32_e32 v15, v12, v11
	v_mul_f32_e32 v11, v14, v11
	v_fma_f32 v15, v12, v15, 1.0
	v_mul_f32_e32 v11, v12, v11
	v_div_scale_f32 v12, s[8:9], v15, v15, v11
	v_div_scale_f32 v14, vcc, v11, v15, v11
	v_div_scale_f32 v17, s[8:9], v15, v15, v1
	v_div_scale_f32 v34, s[8:9], v1, v15, v1
	v_rcp_f32_e32 v35, v12
	v_fma_f32 v36, -v12, v35, 1.0
	v_fmac_f32_e32 v35, v36, v35
	v_mul_f32_e32 v36, v14, v35
	v_fma_f32 v37, -v12, v36, v14
	v_fmac_f32_e32 v36, v37, v35
	v_rcp_f32_e32 v37, v17
	v_fma_f32 v12, -v12, v36, v14
	v_div_fmas_f32 v12, v12, v35, v36
	s_mov_b64 vcc, s[8:9]
	v_fma_f32 v14, -v17, v37, 1.0
	v_fmac_f32_e32 v37, v14, v37
	v_mul_f32_e32 v14, v34, v37
	v_fma_f32 v35, -v17, v14, v34
	v_fmac_f32_e32 v14, v35, v37
	v_fma_f32 v17, -v17, v14, v34
	v_div_fmas_f32 v14, v17, v37, v14
	v_div_fixup_f32 v34, v12, v15, v11
                                        ; implicit-def: $vgpr11
	v_div_fixup_f32 v15, v14, v15, v1
                                        ; implicit-def: $vgpr14
.LBB94_291:                             ;   in Loop: Header=BB94_161 Depth=1
	s_andn2_saveexec_b64 s[28:29], s[28:29]
	s_cbranch_execz .LBB94_312
; %bb.292:                              ;   in Loop: Header=BB94_161 Depth=1
	v_cmp_nlt_f32_e64 s[30:31], |v11|, s43
                                        ; implicit-def: $vgpr15
                                        ; implicit-def: $vgpr17
	s_and_saveexec_b64 s[8:9], s[30:31]
	s_xor_b64 s[34:35], exec, s[8:9]
	s_cbranch_execz .LBB94_301
; %bb.293:                              ;   in Loop: Header=BB94_161 Depth=1
	v_and_b32_e32 v1, 0x7fffff, v14
	v_or_b32_e32 v15, 0x800000, v1
	v_mad_u64_u32 v[34:35], s[8:9], v15, s44, 0
	v_mov_b32_e32 v1, v35
	v_mad_u64_u32 v[35:36], s[8:9], v15, s45, v[1:2]
	v_mov_b32_e32 v1, v36
	;; [unrolled: 2-line block ×3, first 2 shown]
	v_mad_u64_u32 v[37:38], s[8:9], v15, s47, v[1:2]
	v_lshrrev_b32_e32 v1, 23, v14
	v_add_u32_e32 v17, 0xffffff88, v1
	v_mov_b32_e32 v1, v38
	v_mad_u64_u32 v[38:39], s[8:9], v15, s48, v[1:2]
	v_cmp_lt_u32_e32 vcc, 63, v17
	v_cndmask_b32_e32 v1, 0, v29, vcc
	v_add_u32_e32 v17, v1, v17
	v_mov_b32_e32 v1, v39
	v_mad_u64_u32 v[39:40], s[8:9], v15, s49, v[1:2]
	v_cmp_lt_u32_e64 s[8:9], 31, v17
	v_cndmask_b32_e64 v1, 0, v30, s[8:9]
	v_add_u32_e32 v17, v1, v17
	v_mov_b32_e32 v1, v40
	v_mad_u64_u32 v[40:41], s[10:11], v15, s50, v[1:2]
	v_cmp_lt_u32_e64 s[10:11], 31, v17
	v_cndmask_b32_e64 v1, 0, v30, s[10:11]
	v_add_u32_e32 v1, v1, v17
	v_cndmask_b32_e32 v15, v39, v37, vcc
	v_cndmask_b32_e32 v17, v40, v38, vcc
	;; [unrolled: 1-line block ×4, first 2 shown]
	v_cndmask_b32_e64 v40, v17, v15, s[8:9]
	v_cndmask_b32_e64 v17, v39, v17, s[8:9]
	;; [unrolled: 1-line block ×5, first 2 shown]
	v_sub_u32_e32 v40, 32, v1
	v_alignbit_b32 v41, v17, v39, v40
	v_cmp_eq_u32_e64 s[12:13], 0, v1
	v_cndmask_b32_e64 v1, v41, v17, s[12:13]
	v_cndmask_b32_e32 v17, v37, v35, vcc
	v_cndmask_b32_e64 v35, v38, v17, s[8:9]
	v_cndmask_b32_e64 v15, v15, v35, s[10:11]
	v_alignbit_b32 v37, v39, v15, v40
	v_cndmask_b32_e32 v34, v36, v34, vcc
	v_cndmask_b32_e64 v37, v37, v39, s[12:13]
	v_bfe_u32 v41, v1, 29, 1
	v_cndmask_b32_e64 v17, v17, v34, s[8:9]
	v_alignbit_b32 v38, v1, v37, 30
	v_sub_u32_e32 v42, 0, v41
	v_cndmask_b32_e64 v17, v35, v17, s[10:11]
	v_xor_b32_e32 v38, v38, v42
	v_alignbit_b32 v34, v15, v17, v40
	v_cndmask_b32_e64 v15, v34, v15, s[12:13]
	v_ffbh_u32_e32 v35, v38
	v_alignbit_b32 v34, v37, v15, 30
	v_min_u32_e32 v35, 32, v35
	v_alignbit_b32 v15, v15, v17, 30
	v_xor_b32_e32 v34, v34, v42
	v_sub_u32_e32 v36, 31, v35
	v_xor_b32_e32 v15, v15, v42
	v_alignbit_b32 v37, v38, v34, v36
	v_alignbit_b32 v15, v34, v15, v36
	;; [unrolled: 1-line block ×3, first 2 shown]
	v_ffbh_u32_e32 v34, v17
	v_min_u32_e32 v34, 32, v34
	v_lshrrev_b32_e32 v39, 29, v1
	v_not_b32_e32 v36, v34
	v_alignbit_b32 v15, v17, v15, v36
	v_lshlrev_b32_e32 v17, 31, v39
	v_or_b32_e32 v36, 0x33000000, v17
	v_add_lshl_u32 v34, v34, v35, 23
	v_lshrrev_b32_e32 v15, 9, v15
	v_sub_u32_e32 v34, v36, v34
	v_or_b32_e32 v17, 0.5, v17
	v_lshlrev_b32_e32 v35, 23, v35
	v_or_b32_e32 v15, v34, v15
	v_lshrrev_b32_e32 v34, 9, v37
	v_sub_u32_e32 v17, v17, v35
	v_or_b32_e32 v17, v34, v17
	v_mul_f32_e32 v34, 0x3fc90fda, v17
	v_fma_f32 v35, v17, s51, -v34
	v_fmac_f32_e32 v35, 0x33a22168, v17
	v_fmac_f32_e32 v35, 0x3fc90fda, v15
	v_lshrrev_b32_e32 v1, 30, v1
	v_add_f32_e32 v17, v34, v35
	v_add_u32_e32 v15, v41, v1
	s_andn2_saveexec_b64 s[8:9], s[34:35]
	s_branch .LBB94_302
.LBB94_294:                             ;   in Loop: Header=BB94_161 Depth=1
	s_andn2_saveexec_b64 s[24:25], s[24:25]
	s_cbranch_execz .LBB94_316
.LBB94_295:                             ;   in Loop: Header=BB94_161 Depth=1
	v_xor_b32_e32 v34, 0x80000000, v12
	v_and_b32_e32 v1, 0x7fffff, v34
	v_cmp_ne_u32_e32 vcc, 0, v1
                                        ; implicit-def: $vgpr15
	s_and_saveexec_b64 s[8:9], vcc
	s_xor_b64 s[8:9], exec, s[8:9]
; %bb.296:                              ;   in Loop: Header=BB94_161 Depth=1
	v_mul_f32_e64 v1, v11, -v12
	v_cmp_eq_f32_e32 vcc, 0, v11
	v_cndmask_b32_e32 v15, v1, v11, vcc
                                        ; implicit-def: $vgpr11
; %bb.297:                              ;   in Loop: Header=BB94_161 Depth=1
	s_andn2_saveexec_b64 s[26:27], s[8:9]
	s_cbranch_execz .LBB94_324
; %bb.298:                              ;   in Loop: Header=BB94_161 Depth=1
	v_cmp_neq_f32_e64 s[8:9], |v11|, s40
	s_and_saveexec_b64 s[28:29], s[8:9]
	s_cbranch_execz .LBB94_323
; %bb.299:                              ;   in Loop: Header=BB94_161 Depth=1
	v_and_b32_e32 v12, 0x7fffffff, v11
	v_cmp_nlt_f32_e64 s[30:31], |v11|, s43
                                        ; implicit-def: $vgpr14
                                        ; implicit-def: $vgpr15
	s_and_saveexec_b64 s[8:9], s[30:31]
	s_xor_b64 s[34:35], exec, s[8:9]
	s_cbranch_execz .LBB94_305
; %bb.300:                              ;   in Loop: Header=BB94_161 Depth=1
	v_and_b32_e32 v1, 0x7fffff, v12
	v_or_b32_e32 v17, 0x800000, v1
	v_mad_u64_u32 v[14:15], s[8:9], v17, s44, 0
	v_mov_b32_e32 v1, v15
	v_mad_u64_u32 v[35:36], s[8:9], v17, s45, v[1:2]
	v_mov_b32_e32 v1, v36
	;; [unrolled: 2-line block ×3, first 2 shown]
	v_mad_u64_u32 v[37:38], s[8:9], v17, s47, v[1:2]
	v_lshrrev_b32_e32 v1, 23, v12
	v_add_u32_e32 v15, 0xffffff88, v1
	v_mov_b32_e32 v1, v38
	v_mad_u64_u32 v[38:39], s[8:9], v17, s48, v[1:2]
	v_cmp_lt_u32_e32 vcc, 63, v15
	v_cndmask_b32_e32 v1, 0, v29, vcc
	v_add_u32_e32 v15, v1, v15
	v_mov_b32_e32 v1, v39
	v_mad_u64_u32 v[39:40], s[8:9], v17, s49, v[1:2]
	v_cmp_lt_u32_e64 s[8:9], 31, v15
	v_cndmask_b32_e64 v1, 0, v30, s[8:9]
	v_add_u32_e32 v15, v1, v15
	v_mov_b32_e32 v1, v40
	v_mad_u64_u32 v[40:41], s[10:11], v17, s50, v[1:2]
	v_cmp_lt_u32_e64 s[10:11], 31, v15
	v_cndmask_b32_e64 v1, 0, v30, s[10:11]
	v_add_u32_e32 v1, v1, v15
	v_cndmask_b32_e32 v15, v39, v37, vcc
	v_cndmask_b32_e32 v17, v40, v38, vcc
	;; [unrolled: 1-line block ×4, first 2 shown]
	v_cndmask_b32_e64 v40, v17, v15, s[8:9]
	v_cndmask_b32_e64 v17, v39, v17, s[8:9]
	;; [unrolled: 1-line block ×5, first 2 shown]
	v_sub_u32_e32 v40, 32, v1
	v_alignbit_b32 v41, v17, v39, v40
	v_cmp_eq_u32_e64 s[12:13], 0, v1
	v_cndmask_b32_e64 v1, v41, v17, s[12:13]
	v_cndmask_b32_e32 v17, v37, v35, vcc
	v_cndmask_b32_e64 v35, v38, v17, s[8:9]
	v_cndmask_b32_e64 v15, v15, v35, s[10:11]
	v_alignbit_b32 v37, v39, v15, v40
	v_cndmask_b32_e32 v14, v36, v14, vcc
	v_cndmask_b32_e64 v37, v37, v39, s[12:13]
	v_bfe_u32 v41, v1, 29, 1
	v_cndmask_b32_e64 v14, v17, v14, s[8:9]
	v_alignbit_b32 v38, v1, v37, 30
	v_sub_u32_e32 v42, 0, v41
	v_cndmask_b32_e64 v14, v35, v14, s[10:11]
	v_xor_b32_e32 v38, v38, v42
	v_alignbit_b32 v17, v15, v14, v40
	v_cndmask_b32_e64 v15, v17, v15, s[12:13]
	v_ffbh_u32_e32 v35, v38
	v_alignbit_b32 v17, v37, v15, 30
	v_min_u32_e32 v35, 32, v35
	v_alignbit_b32 v14, v15, v14, 30
	v_xor_b32_e32 v17, v17, v42
	v_sub_u32_e32 v36, 31, v35
	v_xor_b32_e32 v14, v14, v42
	v_alignbit_b32 v37, v38, v17, v36
	v_alignbit_b32 v14, v17, v14, v36
	;; [unrolled: 1-line block ×3, first 2 shown]
	v_ffbh_u32_e32 v17, v15
	v_min_u32_e32 v17, 32, v17
	v_lshrrev_b32_e32 v39, 29, v1
	v_not_b32_e32 v36, v17
	v_alignbit_b32 v14, v15, v14, v36
	v_lshlrev_b32_e32 v15, 31, v39
	v_or_b32_e32 v36, 0x33000000, v15
	v_add_lshl_u32 v17, v17, v35, 23
	v_lshrrev_b32_e32 v14, 9, v14
	v_sub_u32_e32 v17, v36, v17
	v_or_b32_e32 v15, 0.5, v15
	v_lshlrev_b32_e32 v35, 23, v35
	v_or_b32_e32 v14, v17, v14
	v_lshrrev_b32_e32 v17, 9, v37
	v_sub_u32_e32 v15, v15, v35
	v_or_b32_e32 v15, v17, v15
	v_mul_f32_e32 v17, 0x3fc90fda, v15
	v_fma_f32 v35, v15, s51, -v17
	v_fmac_f32_e32 v35, 0x33a22168, v15
	v_fmac_f32_e32 v35, 0x3fc90fda, v14
	v_lshrrev_b32_e32 v1, 30, v1
	v_add_f32_e32 v15, v17, v35
	v_add_u32_e32 v14, v41, v1
	s_andn2_saveexec_b64 s[8:9], s[34:35]
	s_branch .LBB94_306
.LBB94_301:                             ;   in Loop: Header=BB94_161 Depth=1
	s_andn2_saveexec_b64 s[8:9], s[34:35]
.LBB94_302:                             ;   in Loop: Header=BB94_161 Depth=1
	v_mul_f32_e64 v1, |v11|, s52
	v_rndne_f32_e32 v1, v1
	v_cvt_i32_f32_e32 v15, v1
	v_fma_f32 v17, v1, s53, |v11|
	v_fmac_f32_e32 v17, 0xb3a22168, v1
	v_fmac_f32_e32 v17, 0xa7c234c4, v1
; %bb.303:                              ;   in Loop: Header=BB94_161 Depth=1
	s_or_b64 exec, exec, s[8:9]
                                        ; implicit-def: $vgpr1
                                        ; implicit-def: $vgpr35
	s_and_saveexec_b64 s[8:9], s[30:31]
	s_xor_b64 s[30:31], exec, s[8:9]
	s_cbranch_execz .LBB94_309
; %bb.304:                              ;   in Loop: Header=BB94_161 Depth=1
	v_and_b32_e32 v1, 0x7fffff, v14
	v_or_b32_e32 v41, 0x800000, v1
	v_mad_u64_u32 v[34:35], s[8:9], v41, s44, 0
	v_mov_b32_e32 v1, v35
	v_mad_u64_u32 v[35:36], s[8:9], v41, s45, v[1:2]
	v_mov_b32_e32 v1, v36
	;; [unrolled: 2-line block ×3, first 2 shown]
	v_mad_u64_u32 v[37:38], s[8:9], v41, s47, v[1:2]
	v_lshrrev_b32_e32 v1, 23, v14
	v_add_u32_e32 v40, 0xffffff88, v1
	v_mov_b32_e32 v1, v38
	v_mad_u64_u32 v[38:39], s[8:9], v41, s48, v[1:2]
	v_cmp_lt_u32_e32 vcc, 63, v40
	v_cndmask_b32_e32 v1, 0, v29, vcc
	v_add_u32_e32 v42, v1, v40
	v_mov_b32_e32 v1, v39
	v_mad_u64_u32 v[39:40], s[8:9], v41, s49, v[1:2]
	v_cmp_lt_u32_e64 s[8:9], 31, v42
	v_cndmask_b32_e64 v1, 0, v30, s[8:9]
	v_add_u32_e32 v42, v1, v42
	v_mov_b32_e32 v1, v40
	v_mad_u64_u32 v[40:41], s[10:11], v41, s50, v[1:2]
	v_cmp_lt_u32_e64 s[10:11], 31, v42
	v_cndmask_b32_e64 v1, 0, v30, s[10:11]
	v_add_u32_e32 v1, v1, v42
	v_cndmask_b32_e32 v42, v39, v37, vcc
	v_cndmask_b32_e32 v40, v40, v38, vcc
	v_cndmask_b32_e32 v39, v41, v39, vcc
	v_cndmask_b32_e32 v38, v38, v36, vcc
	v_cndmask_b32_e64 v41, v40, v42, s[8:9]
	v_cndmask_b32_e64 v39, v39, v40, s[8:9]
	;; [unrolled: 1-line block ×3, first 2 shown]
	v_cndmask_b32_e32 v35, v37, v35, vcc
	v_cndmask_b32_e64 v39, v39, v41, s[10:11]
	v_cndmask_b32_e64 v41, v41, v40, s[10:11]
	v_sub_u32_e32 v42, 32, v1
	v_cndmask_b32_e64 v37, v38, v35, s[8:9]
	v_alignbit_b32 v43, v39, v41, v42
	v_cmp_eq_u32_e64 s[12:13], 0, v1
	v_cndmask_b32_e64 v38, v40, v37, s[10:11]
	v_cndmask_b32_e64 v1, v43, v39, s[12:13]
	v_alignbit_b32 v39, v41, v38, v42
	v_cndmask_b32_e32 v34, v36, v34, vcc
	v_cndmask_b32_e64 v39, v39, v41, s[12:13]
	v_bfe_u32 v43, v1, 29, 1
	v_cndmask_b32_e64 v34, v35, v34, s[8:9]
	v_alignbit_b32 v40, v1, v39, 30
	v_sub_u32_e32 v44, 0, v43
	v_cndmask_b32_e64 v34, v37, v34, s[10:11]
	v_xor_b32_e32 v40, v40, v44
	v_alignbit_b32 v35, v38, v34, v42
	v_cndmask_b32_e64 v35, v35, v38, s[12:13]
	v_ffbh_u32_e32 v37, v40
	v_alignbit_b32 v36, v39, v35, 30
	v_min_u32_e32 v37, 32, v37
	v_alignbit_b32 v34, v35, v34, 30
	v_xor_b32_e32 v36, v36, v44
	v_sub_u32_e32 v38, 31, v37
	v_xor_b32_e32 v34, v34, v44
	v_alignbit_b32 v39, v40, v36, v38
	v_alignbit_b32 v34, v36, v34, v38
	;; [unrolled: 1-line block ×3, first 2 shown]
	v_ffbh_u32_e32 v36, v35
	v_min_u32_e32 v36, 32, v36
	v_lshrrev_b32_e32 v41, 29, v1
	v_not_b32_e32 v38, v36
	v_alignbit_b32 v34, v35, v34, v38
	v_lshlrev_b32_e32 v35, 31, v41
	v_or_b32_e32 v38, 0x33000000, v35
	v_add_lshl_u32 v36, v36, v37, 23
	v_lshrrev_b32_e32 v34, 9, v34
	v_sub_u32_e32 v36, v38, v36
	v_or_b32_e32 v35, 0.5, v35
	v_lshlrev_b32_e32 v37, 23, v37
	v_or_b32_e32 v34, v36, v34
	v_lshrrev_b32_e32 v36, 9, v39
	v_sub_u32_e32 v35, v35, v37
	v_or_b32_e32 v35, v36, v35
	v_mul_f32_e32 v36, 0x3fc90fda, v35
	v_fma_f32 v37, v35, s51, -v36
	v_fmac_f32_e32 v37, 0x33a22168, v35
	v_fmac_f32_e32 v37, 0x3fc90fda, v34
	v_lshrrev_b32_e32 v1, 30, v1
	v_add_f32_e32 v35, v36, v37
	v_add_u32_e32 v1, v43, v1
	s_andn2_saveexec_b64 s[8:9], s[30:31]
	s_cbranch_execnz .LBB94_310
	s_branch .LBB94_311
.LBB94_305:                             ;   in Loop: Header=BB94_161 Depth=1
	s_andn2_saveexec_b64 s[8:9], s[34:35]
.LBB94_306:                             ;   in Loop: Header=BB94_161 Depth=1
	v_mul_f32_e64 v1, |v11|, s52
	v_rndne_f32_e32 v1, v1
	v_cvt_i32_f32_e32 v14, v1
	v_fma_f32 v15, v1, s53, |v11|
	v_fmac_f32_e32 v15, 0xb3a22168, v1
	v_fmac_f32_e32 v15, 0xa7c234c4, v1
; %bb.307:                              ;   in Loop: Header=BB94_161 Depth=1
	s_or_b64 exec, exec, s[8:9]
                                        ; implicit-def: $vgpr1
                                        ; implicit-def: $vgpr17
	s_and_saveexec_b64 s[8:9], s[30:31]
	s_xor_b64 s[30:31], exec, s[8:9]
	s_cbranch_execz .LBB94_320
; %bb.308:                              ;   in Loop: Header=BB94_161 Depth=1
	v_and_b32_e32 v1, 0x7fffff, v12
	v_or_b32_e32 v17, 0x800000, v1
	v_mad_u64_u32 v[35:36], s[8:9], v17, s44, 0
	v_mov_b32_e32 v1, v36
	v_mad_u64_u32 v[36:37], s[8:9], v17, s45, v[1:2]
	v_mov_b32_e32 v1, v37
	;; [unrolled: 2-line block ×3, first 2 shown]
	v_mad_u64_u32 v[38:39], s[8:9], v17, s47, v[1:2]
	v_lshrrev_b32_e32 v1, 23, v12
	v_add_u32_e32 v41, 0xffffff88, v1
	v_mov_b32_e32 v1, v39
	v_mad_u64_u32 v[39:40], s[8:9], v17, s48, v[1:2]
	v_cmp_lt_u32_e32 vcc, 63, v41
	v_cndmask_b32_e32 v1, 0, v29, vcc
	v_add_u32_e32 v42, v1, v41
	v_mov_b32_e32 v1, v40
	v_mad_u64_u32 v[40:41], s[8:9], v17, s49, v[1:2]
	v_cmp_lt_u32_e64 s[8:9], 31, v42
	v_cndmask_b32_e64 v1, 0, v30, s[8:9]
	v_add_u32_e32 v43, v1, v42
	v_mov_b32_e32 v1, v41
	v_mad_u64_u32 v[41:42], s[10:11], v17, s50, v[1:2]
	v_cmp_lt_u32_e64 s[10:11], 31, v43
	v_cndmask_b32_e64 v1, 0, v30, s[10:11]
	v_cndmask_b32_e32 v17, v40, v38, vcc
	v_cndmask_b32_e32 v41, v41, v39, vcc
	;; [unrolled: 1-line block ×4, first 2 shown]
	v_add_u32_e32 v1, v1, v43
	v_cndmask_b32_e64 v42, v41, v17, s[8:9]
	v_cndmask_b32_e64 v40, v40, v41, s[8:9]
	;; [unrolled: 1-line block ×3, first 2 shown]
	v_cndmask_b32_e32 v36, v38, v36, vcc
	v_cndmask_b32_e64 v40, v40, v42, s[10:11]
	v_cndmask_b32_e64 v41, v42, v17, s[10:11]
	v_sub_u32_e32 v42, 32, v1
	v_cndmask_b32_e64 v38, v39, v36, s[8:9]
	v_alignbit_b32 v43, v40, v41, v42
	v_cmp_eq_u32_e64 s[12:13], 0, v1
	v_cndmask_b32_e64 v17, v17, v38, s[10:11]
	v_cndmask_b32_e64 v1, v43, v40, s[12:13]
	v_alignbit_b32 v39, v41, v17, v42
	v_cndmask_b32_e32 v35, v37, v35, vcc
	v_cndmask_b32_e64 v39, v39, v41, s[12:13]
	v_bfe_u32 v43, v1, 29, 1
	v_cndmask_b32_e64 v35, v36, v35, s[8:9]
	v_alignbit_b32 v40, v1, v39, 30
	v_sub_u32_e32 v44, 0, v43
	v_cndmask_b32_e64 v35, v38, v35, s[10:11]
	v_xor_b32_e32 v40, v40, v44
	v_alignbit_b32 v36, v17, v35, v42
	v_cndmask_b32_e64 v17, v36, v17, s[12:13]
	v_ffbh_u32_e32 v37, v40
	v_alignbit_b32 v36, v39, v17, 30
	v_min_u32_e32 v37, 32, v37
	v_alignbit_b32 v17, v17, v35, 30
	v_xor_b32_e32 v36, v36, v44
	v_sub_u32_e32 v38, 31, v37
	v_xor_b32_e32 v17, v17, v44
	v_alignbit_b32 v39, v40, v36, v38
	v_alignbit_b32 v17, v36, v17, v38
	v_alignbit_b32 v35, v39, v17, 9
	v_ffbh_u32_e32 v36, v35
	v_min_u32_e32 v36, 32, v36
	v_lshrrev_b32_e32 v41, 29, v1
	v_not_b32_e32 v38, v36
	v_alignbit_b32 v17, v35, v17, v38
	v_lshlrev_b32_e32 v35, 31, v41
	v_or_b32_e32 v38, 0x33000000, v35
	v_add_lshl_u32 v36, v36, v37, 23
	v_lshrrev_b32_e32 v17, 9, v17
	v_sub_u32_e32 v36, v38, v36
	v_or_b32_e32 v35, 0.5, v35
	v_lshlrev_b32_e32 v37, 23, v37
	v_or_b32_e32 v17, v36, v17
	v_lshrrev_b32_e32 v36, 9, v39
	v_sub_u32_e32 v35, v35, v37
	v_or_b32_e32 v35, v36, v35
	v_mul_f32_e32 v36, 0x3fc90fda, v35
	v_fma_f32 v37, v35, s51, -v36
	v_fmac_f32_e32 v37, 0x33a22168, v35
	v_fmac_f32_e32 v37, 0x3fc90fda, v17
	v_lshrrev_b32_e32 v1, 30, v1
	v_add_f32_e32 v17, v36, v37
	v_add_u32_e32 v1, v43, v1
	s_andn2_saveexec_b64 s[8:9], s[30:31]
	s_cbranch_execnz .LBB94_321
	s_branch .LBB94_322
.LBB94_309:                             ;   in Loop: Header=BB94_161 Depth=1
	s_andn2_saveexec_b64 s[8:9], s[30:31]
.LBB94_310:                             ;   in Loop: Header=BB94_161 Depth=1
	v_mul_f32_e64 v1, |v11|, s52
	v_rndne_f32_e32 v34, v1
	v_cvt_i32_f32_e32 v1, v34
	v_fma_f32 v35, v34, s53, |v11|
	v_fmac_f32_e32 v35, 0xb3a22168, v34
	v_fmac_f32_e32 v35, 0xa7c234c4, v34
.LBB94_311:                             ;   in Loop: Header=BB94_161 Depth=1
	s_or_b64 exec, exec, s[8:9]
	v_mul_f32_e32 v34, v17, v17
	v_mov_b32_e32 v36, 0x3c0881c4
	v_fmac_f32_e32 v36, 0xb94c1982, v34
	v_fma_f32 v36, v34, v36, v26
	v_mul_f32_e32 v36, v34, v36
	v_fmac_f32_e32 v17, v17, v36
	v_mov_b32_e32 v36, 0xbab64f3b
	v_fmac_f32_e32 v36, 0x37d75334, v34
	v_fma_f32 v36, v34, v36, v27
	v_fma_f32 v36, v34, v36, v28
	v_fma_f32 v34, v34, v36, 1.0
	v_and_b32_e32 v36, 1, v15
	v_lshlrev_b32_e32 v15, 30, v15
	v_and_b32_e32 v15, 0x80000000, v15
	v_cmp_eq_u32_e32 vcc, 0, v36
	v_xor_b32_e32 v14, v14, v15
	v_mul_f32_e64 v15, |v12|, s58
	v_cndmask_b32_e32 v17, v34, v17, vcc
	v_rndne_f32_e32 v34, v15
	v_sub_f32_e32 v36, v15, v34
	v_fma_f32 v15, |v12|, s58, -v15
	v_fma_f32 v15, |v12|, s59, v15
	v_add_f32_e32 v15, v36, v15
	v_exp_f32_e32 v15, v15
	v_cvt_i32_f32_e32 v34, v34
	v_xor_b32_e32 v14, v14, v17
	v_xor_b32_e32 v11, v14, v11
	v_cmp_ngt_f32_e64 vcc, |v12|, s60
	v_ldexp_f32 v14, v15, v34
	v_cndmask_b32_e32 v14, 0, v14, vcc
	v_cmp_nlt_f32_e64 vcc, |v12|, s61
	v_xor_b32_e32 v12, 0x80000000, v12
	v_bfi_b32 v34, s39, 1.0, v12
	v_mul_f32_e32 v12, v35, v35
	v_mov_b32_e32 v15, 0x3c0881c4
	v_fmac_f32_e32 v15, 0xb94c1982, v12
	v_fma_f32 v15, v12, v15, v26
	v_mul_f32_e32 v15, v12, v15
	v_fmac_f32_e32 v35, v35, v15
	v_mov_b32_e32 v15, 0xbab64f3b
	v_fmac_f32_e32 v15, 0x37d75334, v12
	v_fma_f32 v15, v12, v15, v27
	v_fma_f32 v15, v12, v15, v28
	v_fma_f32 v12, v12, v15, 1.0
	v_and_b32_e32 v15, 1, v1
	v_cndmask_b32_e32 v14, v31, v14, vcc
	v_cmp_eq_u32_e32 vcc, 0, v15
	v_lshlrev_b32_e32 v1, 30, v1
	v_cndmask_b32_e64 v12, -v35, v12, vcc
	v_and_b32_e32 v1, 0x80000000, v1
	v_mul_f32_e32 v11, 4.0, v11
	v_xor_b32_e32 v1, v1, v12
	v_mul_f32_e32 v1, v11, v1
	v_mul_f32_e32 v1, v14, v1
	;; [unrolled: 1-line block ×3, first 2 shown]
.LBB94_312:                             ;   in Loop: Header=BB94_161 Depth=1
	s_or_b64 exec, exec, s[28:29]
                                        ; implicit-def: $vgpr11
.LBB94_313:                             ;   in Loop: Header=BB94_161 Depth=1
	s_andn2_saveexec_b64 s[8:9], s[26:27]
; %bb.314:                              ;   in Loop: Header=BB94_161 Depth=1
	v_sub_f32_e32 v15, v11, v11
	v_mov_b32_e32 v34, v15
; %bb.315:                              ;   in Loop: Header=BB94_161 Depth=1
	s_or_b64 exec, exec, s[8:9]
                                        ; implicit-def: $vgpr12
	s_andn2_saveexec_b64 s[24:25], s[24:25]
	s_cbranch_execnz .LBB94_295
.LBB94_316:                             ;   in Loop: Header=BB94_161 Depth=1
	s_or_b64 exec, exec, s[24:25]
	s_and_saveexec_b64 s[8:9], s[0:1]
	s_xor_b64 s[0:1], exec, s[8:9]
	s_cbranch_execz .LBB94_325
.LBB94_317:                             ;   in Loop: Header=BB94_161 Depth=1
	v_lshlrev_b64 v[3:4], 3, v[3:4]
	v_mov_b32_e32 v1, s17
	v_add_co_u32_e32 v3, vcc, s16, v3
	v_xor_b32_e32 v14, 0x80000000, v33
	v_addc_co_u32_e32 v4, vcc, v1, v4, vcc
	global_store_dwordx2 v[3:4], v[13:14], off
	s_or_b64 exec, exec, s[0:1]
	s_and_saveexec_b64 s[0:1], s[2:3]
	s_cbranch_execnz .LBB94_326
.LBB94_318:                             ;   in Loop: Header=BB94_161 Depth=1
	s_or_b64 exec, exec, s[0:1]
	s_and_saveexec_b64 s[0:1], s[4:5]
	s_cbranch_execz .LBB94_327
.LBB94_319:                             ;   in Loop: Header=BB94_161 Depth=1
	v_lshlrev_b64 v[3:4], 3, v[7:8]
	v_mov_b32_e32 v1, s17
	v_add_co_u32_e32 v3, vcc, s16, v3
	v_xor_b32_e32 v19, 0x80000000, v20
	v_addc_co_u32_e32 v4, vcc, v1, v4, vcc
	global_store_dwordx2 v[3:4], v[18:19], off
	s_or_b64 exec, exec, s[0:1]
	s_and_saveexec_b64 s[0:1], s[6:7]
	s_cbranch_execz .LBB94_160
	s_branch .LBB94_328
.LBB94_320:                             ;   in Loop: Header=BB94_161 Depth=1
	s_andn2_saveexec_b64 s[8:9], s[30:31]
.LBB94_321:                             ;   in Loop: Header=BB94_161 Depth=1
	v_mul_f32_e64 v1, |v11|, s52
	v_rndne_f32_e32 v35, v1
	v_cvt_i32_f32_e32 v1, v35
	v_fma_f32 v17, v35, s53, |v11|
	v_fmac_f32_e32 v17, 0xb3a22168, v35
	v_fmac_f32_e32 v17, 0xa7c234c4, v35
.LBB94_322:                             ;   in Loop: Header=BB94_161 Depth=1
	s_or_b64 exec, exec, s[8:9]
	v_mul_f32_e32 v35, v15, v15
	v_mov_b32_e32 v36, 0x3c0881c4
	v_fmac_f32_e32 v36, 0xb94c1982, v35
	v_fma_f32 v36, v35, v36, v26
	v_mul_f32_e32 v36, v35, v36
	v_fmac_f32_e32 v15, v15, v36
	v_mov_b32_e32 v36, 0xbab64f3b
	v_fmac_f32_e32 v36, 0x37d75334, v35
	v_fma_f32 v36, v35, v36, v27
	v_fma_f32 v36, v35, v36, v28
	v_fma_f32 v35, v35, v36, 1.0
	v_and_b32_e32 v36, 1, v14
	v_lshlrev_b32_e32 v14, 30, v14
	v_cmp_eq_u32_e32 vcc, 0, v36
	v_and_b32_e32 v14, 0x80000000, v14
	v_cndmask_b32_e32 v15, v35, v15, vcc
	v_xor_b32_e32 v12, v12, v14
	v_xor_b32_e32 v12, v12, v15
	v_mul_f32_e32 v14, v17, v17
	v_mov_b32_e32 v15, 0x3c0881c4
	v_fmac_f32_e32 v15, 0xb94c1982, v14
	v_fma_f32 v15, v14, v15, v26
	v_mul_f32_e32 v15, v14, v15
	v_fmac_f32_e32 v17, v17, v15
	v_mov_b32_e32 v15, 0xbab64f3b
	v_fmac_f32_e32 v15, 0x37d75334, v14
	v_fma_f32 v15, v14, v15, v27
	v_fma_f32 v15, v14, v15, v28
	v_fma_f32 v14, v14, v15, 1.0
	v_and_b32_e32 v15, 1, v1
	v_cmp_eq_u32_e32 vcc, 0, v15
	v_lshlrev_b32_e32 v1, 30, v1
	v_cndmask_b32_e64 v14, -v17, v14, vcc
	v_and_b32_e32 v1, 0x80000000, v1
	v_xor_b32_e32 v12, v12, v11
	v_xor_b32_e32 v1, v1, v14
	v_mul_f32_e32 v1, v12, v1
	v_cmp_class_f32_e64 vcc, v11, s41
	v_cndmask_b32_e32 v11, v32, v1, vcc
.LBB94_323:                             ;   in Loop: Header=BB94_161 Depth=1
	s_or_b64 exec, exec, s[28:29]
	v_add_u32_e32 v34, -2.0, v34
	v_bfi_b32 v15, s39, 0, v11
.LBB94_324:                             ;   in Loop: Header=BB94_161 Depth=1
	s_or_b64 exec, exec, s[26:27]
	s_or_b64 exec, exec, s[24:25]
	s_and_saveexec_b64 s[8:9], s[0:1]
	s_xor_b64 s[0:1], exec, s[8:9]
	s_cbranch_execnz .LBB94_317
.LBB94_325:                             ;   in Loop: Header=BB94_161 Depth=1
	s_or_b64 exec, exec, s[0:1]
	s_and_saveexec_b64 s[0:1], s[2:3]
	s_cbranch_execz .LBB94_318
.LBB94_326:                             ;   in Loop: Header=BB94_161 Depth=1
	v_lshlrev_b64 v[3:4], 3, v[5:6]
	v_mov_b32_e32 v1, s17
	v_add_co_u32_e32 v3, vcc, s16, v3
	v_xor_b32_e32 v17, 0x80000000, v19
	v_addc_co_u32_e32 v4, vcc, v1, v4, vcc
	global_store_dwordx2 v[3:4], v[16:17], off
	s_or_b64 exec, exec, s[0:1]
	s_and_saveexec_b64 s[0:1], s[4:5]
	s_cbranch_execnz .LBB94_319
.LBB94_327:                             ;   in Loop: Header=BB94_161 Depth=1
	s_or_b64 exec, exec, s[0:1]
	s_and_saveexec_b64 s[0:1], s[6:7]
	s_cbranch_execz .LBB94_160
.LBB94_328:                             ;   in Loop: Header=BB94_161 Depth=1
	v_lshlrev_b64 v[3:4], 3, v[9:10]
	v_mov_b32_e32 v1, s17
	v_add_co_u32_e32 v3, vcc, s16, v3
	v_xor_b32_e32 v16, 0x80000000, v34
	v_addc_co_u32_e32 v4, vcc, v1, v4, vcc
	global_store_dwordx2 v[3:4], v[15:16], off
	s_branch .LBB94_160
.LBB94_329:
	s_endpgm
	.section	.rodata,"a",@progbits
	.p2align	6, 0x0
	.amdhsa_kernel _ZN2at6native12_GLOBAL__N_125multi_tensor_apply_kernelINS1_18TensorListMetadataILi2EEENS1_14UnaryOpFunctorIN3c107complexIfEELi2ELi1ELi1EEEJNS0_3TanIS8_EEEEEvT_T0_DpT1_
		.amdhsa_group_segment_fixed_size 0
		.amdhsa_private_segment_fixed_size 0
		.amdhsa_kernarg_size 3408
		.amdhsa_user_sgpr_count 6
		.amdhsa_user_sgpr_private_segment_buffer 1
		.amdhsa_user_sgpr_dispatch_ptr 0
		.amdhsa_user_sgpr_queue_ptr 0
		.amdhsa_user_sgpr_kernarg_segment_ptr 1
		.amdhsa_user_sgpr_dispatch_id 0
		.amdhsa_user_sgpr_flat_scratch_init 0
		.amdhsa_user_sgpr_private_segment_size 0
		.amdhsa_uses_dynamic_stack 0
		.amdhsa_system_sgpr_private_segment_wavefront_offset 0
		.amdhsa_system_sgpr_workgroup_id_x 1
		.amdhsa_system_sgpr_workgroup_id_y 0
		.amdhsa_system_sgpr_workgroup_id_z 0
		.amdhsa_system_sgpr_workgroup_info 0
		.amdhsa_system_vgpr_workitem_id 0
		.amdhsa_next_free_vgpr 45
		.amdhsa_next_free_sgpr 62
		.amdhsa_reserve_vcc 1
		.amdhsa_reserve_flat_scratch 0
		.amdhsa_float_round_mode_32 0
		.amdhsa_float_round_mode_16_64 0
		.amdhsa_float_denorm_mode_32 3
		.amdhsa_float_denorm_mode_16_64 3
		.amdhsa_dx10_clamp 1
		.amdhsa_ieee_mode 1
		.amdhsa_fp16_overflow 0
		.amdhsa_exception_fp_ieee_invalid_op 0
		.amdhsa_exception_fp_denorm_src 0
		.amdhsa_exception_fp_ieee_div_zero 0
		.amdhsa_exception_fp_ieee_overflow 0
		.amdhsa_exception_fp_ieee_underflow 0
		.amdhsa_exception_fp_ieee_inexact 0
		.amdhsa_exception_int_div_zero 0
	.end_amdhsa_kernel
	.section	.text._ZN2at6native12_GLOBAL__N_125multi_tensor_apply_kernelINS1_18TensorListMetadataILi2EEENS1_14UnaryOpFunctorIN3c107complexIfEELi2ELi1ELi1EEEJNS0_3TanIS8_EEEEEvT_T0_DpT1_,"axG",@progbits,_ZN2at6native12_GLOBAL__N_125multi_tensor_apply_kernelINS1_18TensorListMetadataILi2EEENS1_14UnaryOpFunctorIN3c107complexIfEELi2ELi1ELi1EEEJNS0_3TanIS8_EEEEEvT_T0_DpT1_,comdat
.Lfunc_end94:
	.size	_ZN2at6native12_GLOBAL__N_125multi_tensor_apply_kernelINS1_18TensorListMetadataILi2EEENS1_14UnaryOpFunctorIN3c107complexIfEELi2ELi1ELi1EEEJNS0_3TanIS8_EEEEEvT_T0_DpT1_, .Lfunc_end94-_ZN2at6native12_GLOBAL__N_125multi_tensor_apply_kernelINS1_18TensorListMetadataILi2EEENS1_14UnaryOpFunctorIN3c107complexIfEELi2ELi1ELi1EEEJNS0_3TanIS8_EEEEEvT_T0_DpT1_
                                        ; -- End function
	.set _ZN2at6native12_GLOBAL__N_125multi_tensor_apply_kernelINS1_18TensorListMetadataILi2EEENS1_14UnaryOpFunctorIN3c107complexIfEELi2ELi1ELi1EEEJNS0_3TanIS8_EEEEEvT_T0_DpT1_.num_vgpr, 45
	.set _ZN2at6native12_GLOBAL__N_125multi_tensor_apply_kernelINS1_18TensorListMetadataILi2EEENS1_14UnaryOpFunctorIN3c107complexIfEELi2ELi1ELi1EEEJNS0_3TanIS8_EEEEEvT_T0_DpT1_.num_agpr, 0
	.set _ZN2at6native12_GLOBAL__N_125multi_tensor_apply_kernelINS1_18TensorListMetadataILi2EEENS1_14UnaryOpFunctorIN3c107complexIfEELi2ELi1ELi1EEEJNS0_3TanIS8_EEEEEvT_T0_DpT1_.numbered_sgpr, 62
	.set _ZN2at6native12_GLOBAL__N_125multi_tensor_apply_kernelINS1_18TensorListMetadataILi2EEENS1_14UnaryOpFunctorIN3c107complexIfEELi2ELi1ELi1EEEJNS0_3TanIS8_EEEEEvT_T0_DpT1_.num_named_barrier, 0
	.set _ZN2at6native12_GLOBAL__N_125multi_tensor_apply_kernelINS1_18TensorListMetadataILi2EEENS1_14UnaryOpFunctorIN3c107complexIfEELi2ELi1ELi1EEEJNS0_3TanIS8_EEEEEvT_T0_DpT1_.private_seg_size, 0
	.set _ZN2at6native12_GLOBAL__N_125multi_tensor_apply_kernelINS1_18TensorListMetadataILi2EEENS1_14UnaryOpFunctorIN3c107complexIfEELi2ELi1ELi1EEEJNS0_3TanIS8_EEEEEvT_T0_DpT1_.uses_vcc, 1
	.set _ZN2at6native12_GLOBAL__N_125multi_tensor_apply_kernelINS1_18TensorListMetadataILi2EEENS1_14UnaryOpFunctorIN3c107complexIfEELi2ELi1ELi1EEEJNS0_3TanIS8_EEEEEvT_T0_DpT1_.uses_flat_scratch, 0
	.set _ZN2at6native12_GLOBAL__N_125multi_tensor_apply_kernelINS1_18TensorListMetadataILi2EEENS1_14UnaryOpFunctorIN3c107complexIfEELi2ELi1ELi1EEEJNS0_3TanIS8_EEEEEvT_T0_DpT1_.has_dyn_sized_stack, 0
	.set _ZN2at6native12_GLOBAL__N_125multi_tensor_apply_kernelINS1_18TensorListMetadataILi2EEENS1_14UnaryOpFunctorIN3c107complexIfEELi2ELi1ELi1EEEJNS0_3TanIS8_EEEEEvT_T0_DpT1_.has_recursion, 0
	.set _ZN2at6native12_GLOBAL__N_125multi_tensor_apply_kernelINS1_18TensorListMetadataILi2EEENS1_14UnaryOpFunctorIN3c107complexIfEELi2ELi1ELi1EEEJNS0_3TanIS8_EEEEEvT_T0_DpT1_.has_indirect_call, 0
	.section	.AMDGPU.csdata,"",@progbits
; Kernel info:
; codeLenInByte = 39044
; TotalNumSgprs: 66
; NumVgprs: 45
; ScratchSize: 0
; MemoryBound: 0
; FloatMode: 240
; IeeeMode: 1
; LDSByteSize: 0 bytes/workgroup (compile time only)
; SGPRBlocks: 8
; VGPRBlocks: 11
; NumSGPRsForWavesPerEU: 66
; NumVGPRsForWavesPerEU: 45
; Occupancy: 5
; WaveLimiterHint : 0
; COMPUTE_PGM_RSRC2:SCRATCH_EN: 0
; COMPUTE_PGM_RSRC2:USER_SGPR: 6
; COMPUTE_PGM_RSRC2:TRAP_HANDLER: 0
; COMPUTE_PGM_RSRC2:TGID_X_EN: 1
; COMPUTE_PGM_RSRC2:TGID_Y_EN: 0
; COMPUTE_PGM_RSRC2:TGID_Z_EN: 0
; COMPUTE_PGM_RSRC2:TIDIG_COMP_CNT: 0
	.section	.text._ZN2at6native12_GLOBAL__N_125multi_tensor_apply_kernelINS1_18TensorListMetadataILi2EEENS1_14UnaryOpFunctorIN3c104HalfELi2ELi1ELi1EEEJNS0_3TanIfEEEEEvT_T0_DpT1_,"axG",@progbits,_ZN2at6native12_GLOBAL__N_125multi_tensor_apply_kernelINS1_18TensorListMetadataILi2EEENS1_14UnaryOpFunctorIN3c104HalfELi2ELi1ELi1EEEJNS0_3TanIfEEEEEvT_T0_DpT1_,comdat
	.globl	_ZN2at6native12_GLOBAL__N_125multi_tensor_apply_kernelINS1_18TensorListMetadataILi2EEENS1_14UnaryOpFunctorIN3c104HalfELi2ELi1ELi1EEEJNS0_3TanIfEEEEEvT_T0_DpT1_ ; -- Begin function _ZN2at6native12_GLOBAL__N_125multi_tensor_apply_kernelINS1_18TensorListMetadataILi2EEENS1_14UnaryOpFunctorIN3c104HalfELi2ELi1ELi1EEEJNS0_3TanIfEEEEEvT_T0_DpT1_
	.p2align	8
	.type	_ZN2at6native12_GLOBAL__N_125multi_tensor_apply_kernelINS1_18TensorListMetadataILi2EEENS1_14UnaryOpFunctorIN3c104HalfELi2ELi1ELi1EEEJNS0_3TanIfEEEEEvT_T0_DpT1_,@function
_ZN2at6native12_GLOBAL__N_125multi_tensor_apply_kernelINS1_18TensorListMetadataILi2EEENS1_14UnaryOpFunctorIN3c104HalfELi2ELi1ELi1EEEJNS0_3TanIfEEEEEvT_T0_DpT1_: ; @_ZN2at6native12_GLOBAL__N_125multi_tensor_apply_kernelINS1_18TensorListMetadataILi2EEENS1_14UnaryOpFunctorIN3c104HalfELi2ELi1ELi1EEEJNS0_3TanIfEEEEEvT_T0_DpT1_
; %bb.0:
	v_mov_b32_e32 v1, s6
	global_load_ubyte v1, v1, s[4:5] offset:1536
	s_add_u32 s0, s4, s6
	s_mul_hi_u32 s2, s6, 3
	s_mul_i32 s6, s6, 3
	s_addc_u32 s7, s5, 0
	s_add_u32 s6, s0, s6
	s_addc_u32 s7, s7, s2
	s_load_dword s6, s[6:7], 0x740
	s_mov_b32 s1, 0
	s_mov_b32 s3, s1
	s_waitcnt lgkmcnt(0)
	s_ashr_i32 s7, s6, 31
	s_lshl_b64 s[14:15], s[6:7], 17
	s_lshl_b64 s[6:7], s[6:7], 16
	s_waitcnt vmcnt(0)
	v_readfirstlane_b32 s0, v1
	s_lshl_b32 s0, s0, 3
	s_load_dwordx2 s[16:17], s[4:5], s0 offset:0x400
	s_load_dwordx2 s[10:11], s[4:5], s0 offset:0x0
	;; [unrolled: 1-line block ×3, first 2 shown]
	s_waitcnt lgkmcnt(0)
	s_add_u32 s0, s10, s14
	s_and_b32 s2, s8, 7
	s_and_b32 s0, s0, 7
	s_sub_u32 s12, s16, s6
	s_subb_u32 s13, s17, s7
	s_and_b32 s6, s16, 3
	s_mov_b32 s7, s1
	s_or_b64 s[2:3], s[2:3], s[6:7]
	s_or_b64 s[0:1], s[2:3], s[0:1]
	s_cmp_eq_u64 s[0:1], 0
	s_mov_b64 s[0:1], -1
	s_cbranch_scc0 .LBB95_21
; %bb.1:
	v_mov_b32_e32 v1, 0x10000
	v_mov_b32_e32 v2, 0
	v_cmp_lt_i64_e32 vcc, s[12:13], v[1:2]
	v_mov_b32_e32 v2, 0
	s_and_b64 s[0:1], vcc, exec
	s_cselect_b32 s17, s13, 0
	s_cselect_b32 s16, s12, 0x10000
	v_lshlrev_b32_e32 v1, 2, v0
	v_cmp_gt_i64_e32 vcc, s[16:17], v[1:2]
	s_and_saveexec_b64 s[18:19], vcc
	s_cbranch_execz .LBB95_20
; %bb.2:
	s_load_dword s0, s[4:5], 0xc5c
	v_lshlrev_b32_e32 v3, 3, v0
	v_mov_b32_e32 v1, v2
	v_mov_b32_e32 v4, s15
	v_add_co_u32_e32 v7, vcc, s14, v3
	s_waitcnt lgkmcnt(0)
	s_and_b32 s24, s0, 0xffff
	v_addc_co_u32_e32 v8, vcc, 0, v4, vcc
	v_mov_b32_e32 v4, v1
	s_lshl_b32 s25, s24, 3
	s_mov_b64 s[20:21], 0
	v_mov_b32_e32 v9, s11
	s_brev_b32 s26, 18
	s_mov_b32 s27, 0xfe5163ab
	s_mov_b32 s28, 0x3c439041
	;; [unrolled: 1-line block ×10, first 2 shown]
	v_mov_b32_e32 v10, 0x3f93f425
	s_movk_i32 s38, 0x1f8
	v_not_b32_e32 v11, 63
	v_not_b32_e32 v12, 31
	v_mov_b32_e32 v13, 0x7fc00000
	v_mov_b32_e32 v3, v0
	s_branch .LBB95_4
.LBB95_3:                               ;   in Loop: Header=BB95_4 Depth=1
	s_or_b64 exec, exec, s[0:1]
	v_mul_f32_e32 v27, v24, v24
	v_mov_b32_e32 v28, 0xbf039337
	v_fmac_f32_e32 v28, 0x3c971480, v27
	v_fma_f32 v28, v27, v28, v10
	v_rcp_f32_e32 v28, v28
	v_mov_b32_e32 v29, 0x3ec54587
	v_fmac_f32_e32 v29, 0xbc8cedd3, v27
	v_and_b32_e32 v25, 1, v25
	v_mul_f32_e32 v28, v29, v28
	v_mul_f32_e32 v27, v27, v28
	v_fma_f32 v28, v27, v24, v24
	v_rcp_f32_e32 v29, v28
	v_sub_f32_e32 v30, v28, v24
	v_fma_f32 v24, v27, v24, -v30
	v_cmp_eq_u32_e32 vcc, 0, v25
	v_fma_f32 v27, v28, -v29, 1.0
	v_fma_f32 v24, v24, -v29, v27
	v_fma_f32 v24, v24, -v29, -v29
	v_cndmask_b32_e32 v24, v24, v28, vcc
	v_xor_b32_e32 v22, v22, v21
	v_xor_b32_e32 v22, v22, v24
	v_cmp_class_f32_e64 vcc, v21, s38
	v_cndmask_b32_e32 v21, v13, v22, vcc
	v_mul_f32_e32 v22, v19, v19
	v_mov_b32_e32 v24, 0xbf039337
	v_fmac_f32_e32 v24, 0x3c971480, v22
	v_fma_f32 v24, v22, v24, v10
	v_rcp_f32_e32 v24, v24
	v_mov_b32_e32 v25, 0x3ec54587
	v_fmac_f32_e32 v25, 0xbc8cedd3, v22
	v_and_b32_e32 v20, 1, v20
	v_mul_f32_e32 v24, v25, v24
	v_mul_f32_e32 v22, v22, v24
	v_fma_f32 v24, v22, v19, v19
	v_rcp_f32_e32 v25, v24
	v_sub_f32_e32 v27, v24, v19
	v_fma_f32 v19, v22, v19, -v27
	v_cmp_eq_u32_e32 vcc, 0, v20
	v_fma_f32 v22, v24, -v25, 1.0
	v_fma_f32 v19, v19, -v25, v22
	v_fma_f32 v19, v19, -v25, -v25
	v_cndmask_b32_e32 v19, v19, v24, vcc
	v_xor_b32_e32 v18, v18, v5
	v_xor_b32_e32 v18, v18, v19
	v_cmp_class_f32_e64 vcc, v5, s38
	v_cndmask_b32_e32 v5, v13, v18, vcc
	v_mul_f32_e32 v18, v16, v16
	v_mov_b32_e32 v19, 0xbf039337
	v_fmac_f32_e32 v19, 0x3c971480, v18
	v_fma_f32 v19, v18, v19, v10
	v_rcp_f32_e32 v19, v19
	v_cvt_f16_f32_e32 v20, v5
	v_mov_b32_e32 v5, 0x3ec54587
	v_fmac_f32_e32 v5, 0xbc8cedd3, v18
	v_mul_f32_e32 v5, v5, v19
	v_mul_f32_e32 v5, v18, v5
	v_fma_f32 v18, v5, v16, v16
	v_rcp_f32_e32 v19, v18
	v_sub_f32_e32 v22, v18, v16
	v_fma_f32 v5, v5, v16, -v22
	v_and_b32_e32 v17, 1, v17
	v_fma_f32 v16, v18, -v19, 1.0
	v_fma_f32 v5, v5, -v19, v16
	v_fma_f32 v5, v5, -v19, -v19
	v_cmp_eq_u32_e32 vcc, 0, v17
	v_cndmask_b32_e32 v5, v5, v18, vcc
	v_xor_b32_e32 v15, v15, v14
	v_xor_b32_e32 v5, v15, v5
	v_cmp_class_f32_e64 vcc, v14, s38
	v_mul_f32_e32 v14, v1, v1
	v_mov_b32_e32 v15, 0xbf039337
	v_fmac_f32_e32 v15, 0x3c971480, v14
	v_fma_f32 v15, v14, v15, v10
	v_rcp_f32_e32 v15, v15
	v_cndmask_b32_e32 v5, v13, v5, vcc
	v_cvt_f16_f32_e32 v18, v5
	v_mov_b32_e32 v5, 0x3ec54587
	v_fmac_f32_e32 v5, 0xbc8cedd3, v14
	v_mul_f32_e32 v5, v5, v15
	v_mul_f32_e32 v5, v14, v5
	v_fma_f32 v14, v5, v1, v1
	v_rcp_f32_e32 v15, v14
	v_sub_f32_e32 v17, v14, v1
	v_fma_f32 v1, v5, v1, -v17
	v_and_b32_e32 v16, 1, v26
	v_fma_f32 v5, v14, -v15, 1.0
	v_fma_f32 v1, v1, -v15, v5
	v_fma_f32 v1, v1, -v15, -v15
	v_cmp_eq_u32_e32 vcc, 0, v16
	v_cndmask_b32_e32 v1, v1, v14, vcc
	v_xor_b32_e32 v5, v23, v6
	v_xor_b32_e32 v1, v5, v1
	v_cmp_class_f32_e64 vcc, v6, s38
	v_cndmask_b32_e32 v1, v13, v1, vcc
	v_mov_b32_e32 v6, s9
	v_add_co_u32_e32 v5, vcc, s8, v7
	v_addc_co_u32_e32 v6, vcc, v6, v8, vcc
	v_add_co_u32_e32 v3, vcc, s24, v3
	v_addc_co_u32_e32 v4, vcc, 0, v4, vcc
	v_lshlrev_b64 v[16:17], 2, v[3:4]
	v_cvt_f16_f32_e32 v21, v21
	v_cvt_f16_f32_e32 v1, v1
	v_cmp_le_i64_e32 vcc, s[16:17], v[16:17]
	v_pack_b32_f16 v14, v18, v20
	s_or_b64 s[20:21], vcc, s[20:21]
	v_add_co_u32_e32 v7, vcc, s25, v7
	v_pack_b32_f16 v15, v21, v1
	v_addc_co_u32_e32 v8, vcc, 0, v8, vcc
	global_store_dwordx2 v[5:6], v[14:15], off
	s_andn2_b64 exec, exec, s[20:21]
	s_cbranch_execz .LBB95_20
.LBB95_4:                               ; =>This Inner Loop Header: Depth=1
	v_add_co_u32_e32 v5, vcc, s10, v7
	v_addc_co_u32_e32 v6, vcc, v9, v8, vcc
	global_load_dwordx2 v[5:6], v[5:6], off
                                        ; implicit-def: $vgpr17
                                        ; implicit-def: $vgpr16
	s_waitcnt vmcnt(0)
	v_cvt_f32_f16_e32 v14, v5
	v_and_b32_e32 v15, 0x7fffffff, v14
	v_cmp_nlt_f32_e64 s[0:1], |v14|, s26
	s_and_saveexec_b64 s[2:3], s[0:1]
	s_xor_b64 s[22:23], exec, s[2:3]
	s_cbranch_execz .LBB95_6
; %bb.5:                                ;   in Loop: Header=BB95_4 Depth=1
	v_and_b32_e32 v1, 0x7fffff, v15
	v_or_b32_e32 v23, 0x800000, v1
	v_mad_u64_u32 v[16:17], s[0:1], v23, s27, 0
	v_mov_b32_e32 v1, v17
	v_mad_u64_u32 v[17:18], s[0:1], v23, s28, v[1:2]
	v_mov_b32_e32 v1, v18
	;; [unrolled: 2-line block ×3, first 2 shown]
	v_mad_u64_u32 v[19:20], s[0:1], v23, s30, v[1:2]
	v_lshrrev_b32_e32 v1, 23, v15
	v_add_u32_e32 v22, 0xffffff88, v1
	v_mov_b32_e32 v1, v20
	v_mad_u64_u32 v[20:21], s[0:1], v23, s31, v[1:2]
	v_cmp_lt_u32_e32 vcc, 63, v22
	v_cndmask_b32_e32 v1, 0, v11, vcc
	v_add_u32_e32 v24, v1, v22
	v_mov_b32_e32 v1, v21
	v_mad_u64_u32 v[21:22], s[0:1], v23, s33, v[1:2]
	v_cmp_lt_u32_e64 s[0:1], 31, v24
	v_cndmask_b32_e64 v1, 0, v12, s[0:1]
	v_add_u32_e32 v24, v1, v24
	v_mov_b32_e32 v1, v22
	v_mad_u64_u32 v[22:23], s[2:3], v23, s34, v[1:2]
	v_cmp_lt_u32_e64 s[2:3], 31, v24
	v_cndmask_b32_e64 v1, 0, v12, s[2:3]
	v_add_u32_e32 v1, v1, v24
	v_cndmask_b32_e32 v24, v21, v19, vcc
	v_cndmask_b32_e32 v22, v22, v20, vcc
	;; [unrolled: 1-line block ×4, first 2 shown]
	v_cndmask_b32_e64 v23, v22, v24, s[0:1]
	v_cndmask_b32_e64 v21, v21, v22, s[0:1]
	v_cndmask_b32_e64 v22, v24, v20, s[0:1]
	v_cndmask_b32_e32 v17, v19, v17, vcc
	v_cndmask_b32_e64 v21, v21, v23, s[2:3]
	v_cndmask_b32_e64 v23, v23, v22, s[2:3]
	v_sub_u32_e32 v24, 32, v1
	v_cndmask_b32_e64 v19, v20, v17, s[0:1]
	v_alignbit_b32 v25, v21, v23, v24
	v_cmp_eq_u32_e64 s[6:7], 0, v1
	v_cndmask_b32_e64 v20, v22, v19, s[2:3]
	v_cndmask_b32_e64 v1, v25, v21, s[6:7]
	v_alignbit_b32 v21, v23, v20, v24
	v_cndmask_b32_e32 v16, v18, v16, vcc
	v_cndmask_b32_e64 v21, v21, v23, s[6:7]
	v_bfe_u32 v25, v1, 29, 1
	v_cndmask_b32_e64 v16, v17, v16, s[0:1]
	v_alignbit_b32 v22, v1, v21, 30
	v_sub_u32_e32 v26, 0, v25
	v_cndmask_b32_e64 v16, v19, v16, s[2:3]
	v_xor_b32_e32 v22, v22, v26
	v_alignbit_b32 v17, v20, v16, v24
	v_cndmask_b32_e64 v17, v17, v20, s[6:7]
	v_ffbh_u32_e32 v19, v22
	v_alignbit_b32 v18, v21, v17, 30
	v_min_u32_e32 v19, 32, v19
	v_alignbit_b32 v16, v17, v16, 30
	v_xor_b32_e32 v18, v18, v26
	v_sub_u32_e32 v20, 31, v19
	v_xor_b32_e32 v16, v16, v26
	v_alignbit_b32 v21, v22, v18, v20
	v_alignbit_b32 v16, v18, v16, v20
	;; [unrolled: 1-line block ×3, first 2 shown]
	v_ffbh_u32_e32 v18, v17
	v_min_u32_e32 v18, 32, v18
	v_lshrrev_b32_e32 v23, 29, v1
	v_not_b32_e32 v20, v18
	v_alignbit_b32 v16, v17, v16, v20
	v_lshlrev_b32_e32 v17, 31, v23
	v_or_b32_e32 v20, 0x33000000, v17
	v_add_lshl_u32 v18, v18, v19, 23
	v_lshrrev_b32_e32 v16, 9, v16
	v_sub_u32_e32 v18, v20, v18
	v_or_b32_e32 v17, 0.5, v17
	v_lshlrev_b32_e32 v19, 23, v19
	v_or_b32_e32 v16, v18, v16
	v_lshrrev_b32_e32 v18, 9, v21
	v_sub_u32_e32 v17, v17, v19
	v_or_b32_e32 v17, v18, v17
	v_mul_f32_e32 v18, 0x3fc90fda, v17
	v_fma_f32 v19, v17, s35, -v18
	v_fmac_f32_e32 v19, 0x33a22168, v17
	v_fmac_f32_e32 v19, 0x3fc90fda, v16
	v_lshrrev_b32_e32 v1, 30, v1
	v_add_f32_e32 v16, v18, v19
	v_add_u32_e32 v17, v25, v1
.LBB95_6:                               ;   in Loop: Header=BB95_4 Depth=1
	s_andn2_saveexec_b64 s[0:1], s[22:23]
; %bb.7:                                ;   in Loop: Header=BB95_4 Depth=1
	v_mul_f32_e64 v1, |v14|, s36
	v_rndne_f32_e32 v1, v1
	v_cvt_i32_f32_e32 v17, v1
	v_fma_f32 v16, v1, s37, |v14|
	v_fmac_f32_e32 v16, 0xb3a22168, v1
	v_fmac_f32_e32 v16, 0xa7c234c4, v1
; %bb.8:                                ;   in Loop: Header=BB95_4 Depth=1
	s_or_b64 exec, exec, s[0:1]
	v_cvt_f32_f16_sdwa v5, v5 dst_sel:DWORD dst_unused:UNUSED_PAD src0_sel:WORD_1
                                        ; implicit-def: $vgpr20
                                        ; implicit-def: $vgpr19
	v_and_b32_e32 v18, 0x7fffffff, v5
	v_cmp_nlt_f32_e64 s[0:1], |v5|, s26
	s_and_saveexec_b64 s[2:3], s[0:1]
	s_xor_b64 s[22:23], exec, s[2:3]
	s_cbranch_execz .LBB95_10
; %bb.9:                                ;   in Loop: Header=BB95_4 Depth=1
	v_and_b32_e32 v1, 0x7fffff, v18
	v_or_b32_e32 v26, 0x800000, v1
	v_mad_u64_u32 v[19:20], s[0:1], v26, s27, 0
	v_mov_b32_e32 v1, v20
	v_mad_u64_u32 v[20:21], s[0:1], v26, s28, v[1:2]
	v_mov_b32_e32 v1, v21
	;; [unrolled: 2-line block ×3, first 2 shown]
	v_mad_u64_u32 v[22:23], s[0:1], v26, s30, v[1:2]
	v_lshrrev_b32_e32 v1, 23, v18
	v_add_u32_e32 v25, 0xffffff88, v1
	v_mov_b32_e32 v1, v23
	v_mad_u64_u32 v[23:24], s[0:1], v26, s31, v[1:2]
	v_cmp_lt_u32_e32 vcc, 63, v25
	v_cndmask_b32_e32 v1, 0, v11, vcc
	v_add_u32_e32 v27, v1, v25
	v_mov_b32_e32 v1, v24
	v_mad_u64_u32 v[24:25], s[0:1], v26, s33, v[1:2]
	v_cmp_lt_u32_e64 s[0:1], 31, v27
	v_cndmask_b32_e64 v1, 0, v12, s[0:1]
	v_add_u32_e32 v27, v1, v27
	v_mov_b32_e32 v1, v25
	v_mad_u64_u32 v[25:26], s[2:3], v26, s34, v[1:2]
	v_cmp_lt_u32_e64 s[2:3], 31, v27
	v_cndmask_b32_e64 v1, 0, v12, s[2:3]
	v_add_u32_e32 v1, v1, v27
	v_cndmask_b32_e32 v27, v24, v22, vcc
	v_cndmask_b32_e32 v25, v25, v23, vcc
	;; [unrolled: 1-line block ×4, first 2 shown]
	v_cndmask_b32_e64 v26, v25, v27, s[0:1]
	v_cndmask_b32_e64 v24, v24, v25, s[0:1]
	;; [unrolled: 1-line block ×3, first 2 shown]
	v_cndmask_b32_e32 v20, v22, v20, vcc
	v_cndmask_b32_e64 v24, v24, v26, s[2:3]
	v_cndmask_b32_e64 v26, v26, v25, s[2:3]
	v_sub_u32_e32 v27, 32, v1
	v_cndmask_b32_e64 v22, v23, v20, s[0:1]
	v_alignbit_b32 v28, v24, v26, v27
	v_cmp_eq_u32_e64 s[6:7], 0, v1
	v_cndmask_b32_e64 v23, v25, v22, s[2:3]
	v_cndmask_b32_e64 v1, v28, v24, s[6:7]
	v_alignbit_b32 v24, v26, v23, v27
	v_cndmask_b32_e32 v19, v21, v19, vcc
	v_cndmask_b32_e64 v24, v24, v26, s[6:7]
	v_bfe_u32 v28, v1, 29, 1
	v_cndmask_b32_e64 v19, v20, v19, s[0:1]
	v_alignbit_b32 v25, v1, v24, 30
	v_sub_u32_e32 v29, 0, v28
	v_cndmask_b32_e64 v19, v22, v19, s[2:3]
	v_xor_b32_e32 v25, v25, v29
	v_alignbit_b32 v20, v23, v19, v27
	v_cndmask_b32_e64 v20, v20, v23, s[6:7]
	v_ffbh_u32_e32 v22, v25
	v_alignbit_b32 v21, v24, v20, 30
	v_min_u32_e32 v22, 32, v22
	v_alignbit_b32 v19, v20, v19, 30
	v_xor_b32_e32 v21, v21, v29
	v_sub_u32_e32 v23, 31, v22
	v_xor_b32_e32 v19, v19, v29
	v_alignbit_b32 v24, v25, v21, v23
	v_alignbit_b32 v19, v21, v19, v23
	;; [unrolled: 1-line block ×3, first 2 shown]
	v_ffbh_u32_e32 v21, v20
	v_min_u32_e32 v21, 32, v21
	v_lshrrev_b32_e32 v26, 29, v1
	v_not_b32_e32 v23, v21
	v_alignbit_b32 v19, v20, v19, v23
	v_lshlrev_b32_e32 v20, 31, v26
	v_or_b32_e32 v23, 0x33000000, v20
	v_add_lshl_u32 v21, v21, v22, 23
	v_lshrrev_b32_e32 v19, 9, v19
	v_sub_u32_e32 v21, v23, v21
	v_or_b32_e32 v20, 0.5, v20
	v_lshlrev_b32_e32 v22, 23, v22
	v_or_b32_e32 v19, v21, v19
	v_lshrrev_b32_e32 v21, 9, v24
	v_sub_u32_e32 v20, v20, v22
	v_or_b32_e32 v20, v21, v20
	v_mul_f32_e32 v21, 0x3fc90fda, v20
	v_fma_f32 v22, v20, s35, -v21
	v_fmac_f32_e32 v22, 0x33a22168, v20
	v_fmac_f32_e32 v22, 0x3fc90fda, v19
	v_lshrrev_b32_e32 v1, 30, v1
	v_add_f32_e32 v19, v21, v22
	v_add_u32_e32 v20, v28, v1
.LBB95_10:                              ;   in Loop: Header=BB95_4 Depth=1
	s_andn2_saveexec_b64 s[0:1], s[22:23]
; %bb.11:                               ;   in Loop: Header=BB95_4 Depth=1
	v_mul_f32_e64 v1, |v5|, s36
	v_rndne_f32_e32 v1, v1
	v_cvt_i32_f32_e32 v20, v1
	v_fma_f32 v19, v1, s37, |v5|
	v_fmac_f32_e32 v19, 0xb3a22168, v1
	v_fmac_f32_e32 v19, 0xa7c234c4, v1
; %bb.12:                               ;   in Loop: Header=BB95_4 Depth=1
	s_or_b64 exec, exec, s[0:1]
	v_cvt_f32_f16_e32 v21, v6
                                        ; implicit-def: $vgpr25
                                        ; implicit-def: $vgpr24
	v_and_b32_e32 v22, 0x7fffffff, v21
	v_cmp_nlt_f32_e64 s[0:1], |v21|, s26
	s_and_saveexec_b64 s[2:3], s[0:1]
	s_xor_b64 s[22:23], exec, s[2:3]
	s_cbranch_execz .LBB95_14
; %bb.13:                               ;   in Loop: Header=BB95_4 Depth=1
	v_and_b32_e32 v1, 0x7fffff, v22
	v_or_b32_e32 v30, 0x800000, v1
	v_mad_u64_u32 v[23:24], s[0:1], v30, s27, 0
	v_mov_b32_e32 v1, v24
	v_mad_u64_u32 v[24:25], s[0:1], v30, s28, v[1:2]
	v_mov_b32_e32 v1, v25
	;; [unrolled: 2-line block ×3, first 2 shown]
	v_mad_u64_u32 v[26:27], s[0:1], v30, s30, v[1:2]
	v_lshrrev_b32_e32 v1, 23, v22
	v_add_u32_e32 v29, 0xffffff88, v1
	v_mov_b32_e32 v1, v27
	v_mad_u64_u32 v[27:28], s[0:1], v30, s31, v[1:2]
	v_cmp_lt_u32_e32 vcc, 63, v29
	v_cndmask_b32_e32 v1, 0, v11, vcc
	v_add_u32_e32 v31, v1, v29
	v_mov_b32_e32 v1, v28
	v_mad_u64_u32 v[28:29], s[0:1], v30, s33, v[1:2]
	v_cmp_lt_u32_e64 s[0:1], 31, v31
	v_cndmask_b32_e64 v1, 0, v12, s[0:1]
	v_add_u32_e32 v31, v1, v31
	v_mov_b32_e32 v1, v29
	v_mad_u64_u32 v[29:30], s[2:3], v30, s34, v[1:2]
	v_cmp_lt_u32_e64 s[2:3], 31, v31
	v_cndmask_b32_e64 v1, 0, v12, s[2:3]
	v_add_u32_e32 v1, v1, v31
	v_cndmask_b32_e32 v31, v28, v26, vcc
	v_cndmask_b32_e32 v29, v29, v27, vcc
	;; [unrolled: 1-line block ×4, first 2 shown]
	v_cndmask_b32_e64 v30, v29, v31, s[0:1]
	v_cndmask_b32_e64 v28, v28, v29, s[0:1]
	;; [unrolled: 1-line block ×3, first 2 shown]
	v_cndmask_b32_e32 v24, v26, v24, vcc
	v_cndmask_b32_e64 v28, v28, v30, s[2:3]
	v_cndmask_b32_e64 v30, v30, v29, s[2:3]
	v_sub_u32_e32 v31, 32, v1
	v_cndmask_b32_e64 v26, v27, v24, s[0:1]
	v_alignbit_b32 v32, v28, v30, v31
	v_cmp_eq_u32_e64 s[6:7], 0, v1
	v_cndmask_b32_e64 v27, v29, v26, s[2:3]
	v_cndmask_b32_e64 v1, v32, v28, s[6:7]
	v_alignbit_b32 v28, v30, v27, v31
	v_cndmask_b32_e32 v23, v25, v23, vcc
	v_cndmask_b32_e64 v28, v28, v30, s[6:7]
	v_bfe_u32 v32, v1, 29, 1
	v_cndmask_b32_e64 v23, v24, v23, s[0:1]
	v_alignbit_b32 v29, v1, v28, 30
	v_sub_u32_e32 v33, 0, v32
	v_cndmask_b32_e64 v23, v26, v23, s[2:3]
	v_xor_b32_e32 v29, v29, v33
	v_alignbit_b32 v24, v27, v23, v31
	v_cndmask_b32_e64 v24, v24, v27, s[6:7]
	v_ffbh_u32_e32 v26, v29
	v_alignbit_b32 v25, v28, v24, 30
	v_min_u32_e32 v26, 32, v26
	v_alignbit_b32 v23, v24, v23, 30
	v_xor_b32_e32 v25, v25, v33
	v_sub_u32_e32 v27, 31, v26
	v_xor_b32_e32 v23, v23, v33
	v_alignbit_b32 v28, v29, v25, v27
	v_alignbit_b32 v23, v25, v23, v27
	;; [unrolled: 1-line block ×3, first 2 shown]
	v_ffbh_u32_e32 v25, v24
	v_min_u32_e32 v25, 32, v25
	v_lshrrev_b32_e32 v30, 29, v1
	v_not_b32_e32 v27, v25
	v_alignbit_b32 v23, v24, v23, v27
	v_lshlrev_b32_e32 v24, 31, v30
	v_or_b32_e32 v27, 0x33000000, v24
	v_add_lshl_u32 v25, v25, v26, 23
	v_lshrrev_b32_e32 v23, 9, v23
	v_sub_u32_e32 v25, v27, v25
	v_or_b32_e32 v24, 0.5, v24
	v_lshlrev_b32_e32 v26, 23, v26
	v_or_b32_e32 v23, v25, v23
	v_lshrrev_b32_e32 v25, 9, v28
	v_sub_u32_e32 v24, v24, v26
	v_or_b32_e32 v24, v25, v24
	v_mul_f32_e32 v25, 0x3fc90fda, v24
	v_fma_f32 v26, v24, s35, -v25
	v_fmac_f32_e32 v26, 0x33a22168, v24
	v_fmac_f32_e32 v26, 0x3fc90fda, v23
	v_lshrrev_b32_e32 v1, 30, v1
	v_add_f32_e32 v24, v25, v26
	v_add_u32_e32 v25, v32, v1
.LBB95_14:                              ;   in Loop: Header=BB95_4 Depth=1
	s_andn2_saveexec_b64 s[0:1], s[22:23]
; %bb.15:                               ;   in Loop: Header=BB95_4 Depth=1
	v_mul_f32_e64 v1, |v21|, s36
	v_rndne_f32_e32 v1, v1
	v_cvt_i32_f32_e32 v25, v1
	v_fma_f32 v24, v1, s37, |v21|
	v_fmac_f32_e32 v24, 0xb3a22168, v1
	v_fmac_f32_e32 v24, 0xa7c234c4, v1
; %bb.16:                               ;   in Loop: Header=BB95_4 Depth=1
	s_or_b64 exec, exec, s[0:1]
	v_cvt_f32_f16_sdwa v6, v6 dst_sel:DWORD dst_unused:UNUSED_PAD src0_sel:WORD_1
                                        ; implicit-def: $vgpr26
                                        ; implicit-def: $vgpr1
	v_and_b32_e32 v23, 0x7fffffff, v6
	v_cmp_nlt_f32_e64 s[0:1], |v6|, s26
	s_and_saveexec_b64 s[2:3], s[0:1]
	s_xor_b64 s[22:23], exec, s[2:3]
	s_cbranch_execz .LBB95_18
; %bb.17:                               ;   in Loop: Header=BB95_4 Depth=1
	v_and_b32_e32 v1, 0x7fffff, v23
	v_or_b32_e32 v33, 0x800000, v1
	v_mad_u64_u32 v[26:27], s[0:1], v33, s27, 0
	v_mov_b32_e32 v1, v27
	v_mad_u64_u32 v[27:28], s[0:1], v33, s28, v[1:2]
	v_mov_b32_e32 v1, v28
	;; [unrolled: 2-line block ×3, first 2 shown]
	v_mad_u64_u32 v[29:30], s[0:1], v33, s30, v[1:2]
	v_lshrrev_b32_e32 v1, 23, v23
	v_add_u32_e32 v32, 0xffffff88, v1
	v_mov_b32_e32 v1, v30
	v_mad_u64_u32 v[30:31], s[0:1], v33, s31, v[1:2]
	v_cmp_lt_u32_e32 vcc, 63, v32
	v_cndmask_b32_e32 v1, 0, v11, vcc
	v_add_u32_e32 v34, v1, v32
	v_mov_b32_e32 v1, v31
	v_mad_u64_u32 v[31:32], s[0:1], v33, s33, v[1:2]
	v_cmp_lt_u32_e64 s[0:1], 31, v34
	v_cndmask_b32_e64 v1, 0, v12, s[0:1]
	v_add_u32_e32 v34, v1, v34
	v_mov_b32_e32 v1, v32
	v_mad_u64_u32 v[32:33], s[2:3], v33, s34, v[1:2]
	v_cmp_lt_u32_e64 s[2:3], 31, v34
	v_cndmask_b32_e64 v1, 0, v12, s[2:3]
	v_add_u32_e32 v1, v1, v34
	v_cndmask_b32_e32 v34, v31, v29, vcc
	v_cndmask_b32_e32 v32, v32, v30, vcc
	v_cndmask_b32_e32 v31, v33, v31, vcc
	v_cndmask_b32_e32 v30, v30, v28, vcc
	v_cndmask_b32_e64 v33, v32, v34, s[0:1]
	v_cndmask_b32_e64 v31, v31, v32, s[0:1]
	v_cndmask_b32_e64 v32, v34, v30, s[0:1]
	v_sub_u32_e32 v34, 32, v1
	v_cmp_eq_u32_e64 s[6:7], 0, v1
	v_cndmask_b32_e32 v1, v29, v27, vcc
	v_cndmask_b32_e64 v31, v31, v33, s[2:3]
	v_cndmask_b32_e64 v33, v33, v32, s[2:3]
	;; [unrolled: 1-line block ×3, first 2 shown]
	v_alignbit_b32 v35, v31, v33, v34
	v_cndmask_b32_e64 v29, v32, v27, s[2:3]
	v_cndmask_b32_e64 v31, v35, v31, s[6:7]
	v_alignbit_b32 v30, v33, v29, v34
	v_cndmask_b32_e32 v26, v28, v26, vcc
	v_cndmask_b32_e64 v30, v30, v33, s[6:7]
	v_bfe_u32 v35, v31, 29, 1
	v_cndmask_b32_e64 v1, v1, v26, s[0:1]
	v_alignbit_b32 v32, v31, v30, 30
	v_sub_u32_e32 v36, 0, v35
	v_cndmask_b32_e64 v1, v27, v1, s[2:3]
	v_xor_b32_e32 v32, v32, v36
	v_alignbit_b32 v26, v29, v1, v34
	v_cndmask_b32_e64 v26, v26, v29, s[6:7]
	v_ffbh_u32_e32 v28, v32
	v_alignbit_b32 v27, v30, v26, 30
	v_min_u32_e32 v28, 32, v28
	v_alignbit_b32 v1, v26, v1, 30
	v_xor_b32_e32 v27, v27, v36
	v_sub_u32_e32 v29, 31, v28
	v_xor_b32_e32 v1, v1, v36
	v_alignbit_b32 v30, v32, v27, v29
	v_alignbit_b32 v1, v27, v1, v29
	;; [unrolled: 1-line block ×3, first 2 shown]
	v_ffbh_u32_e32 v27, v26
	v_min_u32_e32 v27, 32, v27
	v_lshrrev_b32_e32 v33, 29, v31
	v_not_b32_e32 v29, v27
	v_alignbit_b32 v1, v26, v1, v29
	v_lshlrev_b32_e32 v26, 31, v33
	v_or_b32_e32 v29, 0x33000000, v26
	v_add_lshl_u32 v27, v27, v28, 23
	v_lshrrev_b32_e32 v1, 9, v1
	v_sub_u32_e32 v27, v29, v27
	v_or_b32_e32 v26, 0.5, v26
	v_lshlrev_b32_e32 v28, 23, v28
	v_or_b32_e32 v1, v27, v1
	v_lshrrev_b32_e32 v27, 9, v30
	v_sub_u32_e32 v26, v26, v28
	v_or_b32_e32 v26, v27, v26
	v_mul_f32_e32 v27, 0x3fc90fda, v26
	v_fma_f32 v28, v26, s35, -v27
	v_fmac_f32_e32 v28, 0x33a22168, v26
	v_fmac_f32_e32 v28, 0x3fc90fda, v1
	v_lshrrev_b32_e32 v26, 30, v31
	v_add_f32_e32 v1, v27, v28
	v_add_u32_e32 v26, v35, v26
.LBB95_18:                              ;   in Loop: Header=BB95_4 Depth=1
	s_andn2_saveexec_b64 s[0:1], s[22:23]
	s_cbranch_execz .LBB95_3
; %bb.19:                               ;   in Loop: Header=BB95_4 Depth=1
	v_mul_f32_e64 v1, |v6|, s36
	v_rndne_f32_e32 v27, v1
	v_cvt_i32_f32_e32 v26, v27
	v_fma_f32 v1, v27, s37, |v6|
	v_fmac_f32_e32 v1, 0xb3a22168, v27
	v_fmac_f32_e32 v1, 0xa7c234c4, v27
	s_branch .LBB95_3
.LBB95_20:
	s_or_b64 exec, exec, s[18:19]
	s_mov_b64 s[0:1], 0
.LBB95_21:
	s_andn2_b64 vcc, exec, s[0:1]
	s_cbranch_vccnz .LBB95_57
; %bb.22:
	v_cmp_lt_i64_e64 s[0:1], s[12:13], 1
	s_and_b64 vcc, exec, s[0:1]
	s_cbranch_vccnz .LBB95_57
; %bb.23:
	v_mov_b32_e32 v3, 0x10000
	s_load_dword s2, s[4:5], 0xc5c
	v_mov_b32_e32 v4, 0
	v_cmp_lt_i64_e32 vcc, s[12:13], v[3:4]
	v_mov_b32_e32 v2, 0
	s_and_b64 s[0:1], vcc, exec
	v_cmp_lt_u64_e32 vcc, s[12:13], v[3:4]
	s_cselect_b32 s17, s13, 0
	s_cselect_b32 s16, s12, 0x10000
	s_waitcnt lgkmcnt(0)
	s_and_b32 s2, s2, 0xffff
	v_lshlrev_b32_e32 v1, 1, v0
	s_and_b64 s[0:1], vcc, exec
	v_mov_b32_e32 v4, s11
	v_add_co_u32_e32 v3, vcc, s10, v1
	v_mad_u64_u32 v[9:10], s[0:1], s2, 6, v[1:2]
	v_addc_co_u32_e32 v4, vcc, 0, v4, vcc
	v_mov_b32_e32 v6, s9
	v_add_co_u32_e32 v5, vcc, s8, v1
	v_addc_co_u32_e32 v6, vcc, 0, v6, vcc
	v_mov_b32_e32 v8, s11
	v_add_co_u32_e32 v7, vcc, s10, v9
	;; [unrolled: 3-line block ×3, first 2 shown]
	s_cselect_b32 s19, s13, 0
	s_cselect_b32 s18, s12, 0x10000
	s_lshl_b32 s24, s2, 2
	v_addc_co_u32_e32 v10, vcc, v11, v10, vcc
	v_add_co_u32_e32 v1, vcc, s24, v1
	v_addc_co_u32_e64 v14, s[0:1], 0, 0, vcc
	v_mov_b32_e32 v12, s11
	v_add_co_u32_e32 v11, vcc, s10, v1
	v_addc_co_u32_e32 v12, vcc, v12, v14, vcc
	v_mov_b32_e32 v15, s9
	v_add_co_u32_e32 v13, vcc, s8, v1
	v_addc_co_u32_e32 v14, vcc, v15, v14, vcc
	v_add_co_u32_e32 v15, vcc, s2, v0
	v_lshlrev_b32_e32 v1, 1, v15
	v_addc_co_u32_e64 v16, s[0:1], 0, 0, vcc
	v_mov_b32_e32 v18, s11
	v_add_co_u32_e32 v17, vcc, s10, v1
	v_addc_co_u32_e32 v18, vcc, 0, v18, vcc
	v_mov_b32_e32 v20, s9
	v_add_co_u32_e32 v19, vcc, s8, v1
	s_mul_i32 s4, s2, 3
	v_addc_co_u32_e32 v20, vcc, 0, v20, vcc
	s_lshl_b32 s3, s2, 1
	v_add_co_u32_e32 v21, vcc, s4, v0
	v_addc_co_u32_e64 v22, s[0:1], 0, 0, vcc
	v_add_co_u32_e32 v23, vcc, s3, v0
	s_lshl_b32 s25, s2, 3
	s_mov_b64 s[20:21], 0
	s_brev_b32 s26, 18
	s_mov_b32 s27, 0xfe5163ab
	s_mov_b32 s28, 0x3c439041
	;; [unrolled: 1-line block ×10, first 2 shown]
	s_movk_i32 s38, 0x1f8
	v_addc_co_u32_e64 v24, s[0:1], 0, 0, vcc
	v_mov_b32_e32 v25, 0x3f93f425
	v_not_b32_e32 v26, 63
	v_not_b32_e32 v27, 31
	v_mov_b32_e32 v28, 0x7fc00000
	s_branch .LBB95_25
.LBB95_24:                              ;   in Loop: Header=BB95_25 Depth=1
	s_or_b64 exec, exec, s[0:1]
	v_add_co_u32_e32 v3, vcc, s25, v3
	v_addc_co_u32_e32 v4, vcc, 0, v4, vcc
	v_add_co_u32_e32 v5, vcc, s25, v5
	v_addc_co_u32_e32 v6, vcc, 0, v6, vcc
	;; [unrolled: 2-line block ×6, first 2 shown]
	s_add_u32 s20, s20, s24
	v_add_co_u32_e32 v17, vcc, s25, v17
	v_mov_b32_e32 v30, s17
	s_addc_u32 s21, s21, 0
	v_addc_co_u32_e32 v18, vcc, 0, v18, vcc
	v_mov_b32_e32 v29, s16
	v_cmp_ge_i64_e32 vcc, s[20:21], v[29:30]
	v_add_co_u32_e64 v19, s[0:1], s25, v19
	v_addc_co_u32_e64 v20, s[0:1], 0, v20, s[0:1]
	s_cbranch_vccnz .LBB95_57
.LBB95_25:                              ; =>This Inner Loop Header: Depth=1
	v_mov_b32_e32 v1, s21
	v_add_co_u32_e32 v29, vcc, s20, v0
	v_addc_co_u32_e32 v30, vcc, 0, v1, vcc
	v_cmp_gt_u64_e64 s[4:5], s[18:19], v[29:30]
	v_mov_b32_e32 v32, 0
	s_and_saveexec_b64 s[0:1], s[4:5]
	s_cbranch_execz .LBB95_27
; %bb.26:                               ;   in Loop: Header=BB95_25 Depth=1
	v_mov_b32_e32 v1, s15
	v_add_co_u32_e32 v29, vcc, s14, v3
	v_addc_co_u32_e32 v30, vcc, v4, v1, vcc
	global_load_ushort v1, v[29:30], off
	s_waitcnt vmcnt(0)
	v_cvt_f32_f16_e32 v32, v1
.LBB95_27:                              ;   in Loop: Header=BB95_25 Depth=1
	s_or_b64 exec, exec, s[0:1]
	v_mov_b32_e32 v1, s21
	v_add_co_u32_e32 v29, vcc, s20, v15
	v_addc_co_u32_e32 v30, vcc, v16, v1, vcc
	v_cmp_gt_u64_e64 s[2:3], s[18:19], v[29:30]
	v_mov_b32_e32 v29, 0
	v_mov_b32_e32 v31, 0
	s_and_saveexec_b64 s[0:1], s[2:3]
	s_cbranch_execz .LBB95_29
; %bb.28:                               ;   in Loop: Header=BB95_25 Depth=1
	v_mov_b32_e32 v1, s15
	v_add_co_u32_e32 v30, vcc, s14, v17
	v_addc_co_u32_e32 v31, vcc, v18, v1, vcc
	global_load_ushort v1, v[30:31], off
	s_waitcnt vmcnt(0)
	v_cvt_f32_f16_e32 v31, v1
.LBB95_29:                              ;   in Loop: Header=BB95_25 Depth=1
	s_or_b64 exec, exec, s[0:1]
	v_mov_b32_e32 v1, s21
	v_add_co_u32_e32 v33, vcc, s20, v23
	v_addc_co_u32_e32 v34, vcc, v24, v1, vcc
	v_cmp_gt_u64_e64 s[0:1], s[18:19], v[33:34]
	s_and_saveexec_b64 s[6:7], s[0:1]
	s_cbranch_execz .LBB95_31
; %bb.30:                               ;   in Loop: Header=BB95_25 Depth=1
	v_mov_b32_e32 v1, s15
	v_add_co_u32_e32 v29, vcc, s14, v11
	v_addc_co_u32_e32 v30, vcc, v12, v1, vcc
	global_load_ushort v1, v[29:30], off
	s_waitcnt vmcnt(0)
	v_cvt_f32_f16_e32 v29, v1
.LBB95_31:                              ;   in Loop: Header=BB95_25 Depth=1
	s_or_b64 exec, exec, s[6:7]
	v_mov_b32_e32 v1, s21
	v_add_co_u32_e32 v33, vcc, s20, v21
	v_addc_co_u32_e32 v34, vcc, v22, v1, vcc
	v_cmp_gt_u64_e32 vcc, s[18:19], v[33:34]
	v_mov_b32_e32 v30, 0
	s_and_saveexec_b64 s[8:9], vcc
	s_cbranch_execz .LBB95_33
; %bb.32:                               ;   in Loop: Header=BB95_25 Depth=1
	v_mov_b32_e32 v1, s15
	v_add_co_u32_e64 v33, s[6:7], s14, v7
	v_addc_co_u32_e64 v34, s[6:7], v8, v1, s[6:7]
	global_load_ushort v1, v[33:34], off
	s_waitcnt vmcnt(0)
	v_cvt_f32_f16_e32 v30, v1
.LBB95_33:                              ;   in Loop: Header=BB95_25 Depth=1
	s_or_b64 exec, exec, s[8:9]
	v_and_b32_e32 v33, 0x7fffffff, v32
	v_cmp_nlt_f32_e64 s[6:7], |v32|, s26
                                        ; implicit-def: $vgpr36
                                        ; implicit-def: $vgpr35
	s_and_saveexec_b64 s[8:9], s[6:7]
	s_xor_b64 s[22:23], exec, s[8:9]
	s_cbranch_execz .LBB95_35
; %bb.34:                               ;   in Loop: Header=BB95_25 Depth=1
	v_and_b32_e32 v1, 0x7fffff, v33
	v_or_b32_e32 v41, 0x800000, v1
	v_mad_u64_u32 v[34:35], s[6:7], v41, s27, 0
	v_mov_b32_e32 v1, v35
	v_mad_u64_u32 v[35:36], s[6:7], v41, s28, v[1:2]
	v_mov_b32_e32 v1, v36
	;; [unrolled: 2-line block ×3, first 2 shown]
	v_mad_u64_u32 v[37:38], s[6:7], v41, s30, v[1:2]
	v_lshrrev_b32_e32 v1, 23, v33
	v_add_u32_e32 v40, 0xffffff88, v1
	v_mov_b32_e32 v1, v38
	v_mad_u64_u32 v[38:39], s[6:7], v41, s31, v[1:2]
	v_cmp_lt_u32_e64 s[6:7], 63, v40
	v_cndmask_b32_e64 v1, 0, v26, s[6:7]
	v_add_u32_e32 v42, v1, v40
	v_mov_b32_e32 v1, v39
	v_mad_u64_u32 v[39:40], s[8:9], v41, s33, v[1:2]
	v_cmp_lt_u32_e64 s[8:9], 31, v42
	v_cndmask_b32_e64 v1, 0, v27, s[8:9]
	;; [unrolled: 5-line block ×3, first 2 shown]
	v_add_u32_e32 v1, v1, v42
	v_cndmask_b32_e64 v42, v39, v37, s[6:7]
	v_cndmask_b32_e64 v40, v40, v38, s[6:7]
	;; [unrolled: 1-line block ×10, first 2 shown]
	v_sub_u32_e32 v42, 32, v1
	v_cndmask_b32_e64 v37, v38, v35, s[8:9]
	v_alignbit_b32 v43, v39, v41, v42
	v_cmp_eq_u32_e64 s[12:13], 0, v1
	v_cndmask_b32_e64 v38, v40, v37, s[10:11]
	v_cndmask_b32_e64 v1, v43, v39, s[12:13]
	v_alignbit_b32 v39, v41, v38, v42
	v_cndmask_b32_e64 v34, v36, v34, s[6:7]
	v_cndmask_b32_e64 v39, v39, v41, s[12:13]
	v_bfe_u32 v43, v1, 29, 1
	v_cndmask_b32_e64 v34, v35, v34, s[8:9]
	v_alignbit_b32 v40, v1, v39, 30
	v_sub_u32_e32 v44, 0, v43
	v_cndmask_b32_e64 v34, v37, v34, s[10:11]
	v_xor_b32_e32 v40, v40, v44
	v_alignbit_b32 v35, v38, v34, v42
	v_cndmask_b32_e64 v35, v35, v38, s[12:13]
	v_ffbh_u32_e32 v37, v40
	v_alignbit_b32 v36, v39, v35, 30
	v_min_u32_e32 v37, 32, v37
	v_alignbit_b32 v34, v35, v34, 30
	v_xor_b32_e32 v36, v36, v44
	v_sub_u32_e32 v38, 31, v37
	v_xor_b32_e32 v34, v34, v44
	v_alignbit_b32 v39, v40, v36, v38
	v_alignbit_b32 v34, v36, v34, v38
	;; [unrolled: 1-line block ×3, first 2 shown]
	v_ffbh_u32_e32 v36, v35
	v_min_u32_e32 v36, 32, v36
	v_lshrrev_b32_e32 v41, 29, v1
	v_not_b32_e32 v38, v36
	v_alignbit_b32 v34, v35, v34, v38
	v_lshlrev_b32_e32 v35, 31, v41
	v_or_b32_e32 v38, 0x33000000, v35
	v_add_lshl_u32 v36, v36, v37, 23
	v_lshrrev_b32_e32 v34, 9, v34
	v_sub_u32_e32 v36, v38, v36
	v_or_b32_e32 v35, 0.5, v35
	v_lshlrev_b32_e32 v37, 23, v37
	v_or_b32_e32 v34, v36, v34
	v_lshrrev_b32_e32 v36, 9, v39
	v_sub_u32_e32 v35, v35, v37
	v_or_b32_e32 v35, v36, v35
	v_mul_f32_e32 v36, 0x3fc90fda, v35
	v_fma_f32 v37, v35, s35, -v36
	v_fmac_f32_e32 v37, 0x33a22168, v35
	v_fmac_f32_e32 v37, 0x3fc90fda, v34
	v_lshrrev_b32_e32 v1, 30, v1
	v_add_f32_e32 v35, v36, v37
	v_add_u32_e32 v36, v43, v1
.LBB95_35:                              ;   in Loop: Header=BB95_25 Depth=1
	s_andn2_saveexec_b64 s[6:7], s[22:23]
; %bb.36:                               ;   in Loop: Header=BB95_25 Depth=1
	v_mul_f32_e64 v1, |v32|, s36
	v_rndne_f32_e32 v1, v1
	v_cvt_i32_f32_e32 v36, v1
	v_fma_f32 v35, v1, s37, |v32|
	v_fmac_f32_e32 v35, 0xb3a22168, v1
	v_fmac_f32_e32 v35, 0xa7c234c4, v1
; %bb.37:                               ;   in Loop: Header=BB95_25 Depth=1
	s_or_b64 exec, exec, s[6:7]
	v_and_b32_e32 v34, 0x7fffffff, v31
	v_cmp_nlt_f32_e64 s[6:7], |v31|, s26
                                        ; implicit-def: $vgpr39
                                        ; implicit-def: $vgpr38
	s_and_saveexec_b64 s[8:9], s[6:7]
	s_xor_b64 s[22:23], exec, s[8:9]
	s_cbranch_execz .LBB95_39
; %bb.38:                               ;   in Loop: Header=BB95_25 Depth=1
	v_and_b32_e32 v1, 0x7fffff, v34
	v_or_b32_e32 v44, 0x800000, v1
	v_mad_u64_u32 v[37:38], s[6:7], v44, s27, 0
	v_mov_b32_e32 v1, v38
	v_mad_u64_u32 v[38:39], s[6:7], v44, s28, v[1:2]
	v_mov_b32_e32 v1, v39
	;; [unrolled: 2-line block ×3, first 2 shown]
	v_mad_u64_u32 v[40:41], s[6:7], v44, s30, v[1:2]
	v_lshrrev_b32_e32 v1, 23, v34
	v_add_u32_e32 v43, 0xffffff88, v1
	v_mov_b32_e32 v1, v41
	v_mad_u64_u32 v[41:42], s[8:9], v44, s31, v[1:2]
	v_cmp_lt_u32_e64 s[6:7], 63, v43
	v_cndmask_b32_e64 v1, 0, v26, s[6:7]
	v_add_u32_e32 v45, v1, v43
	v_mov_b32_e32 v1, v42
	v_mad_u64_u32 v[42:43], s[10:11], v44, s33, v[1:2]
	v_cmp_lt_u32_e64 s[8:9], 31, v45
	v_cndmask_b32_e64 v1, 0, v27, s[8:9]
	;; [unrolled: 5-line block ×3, first 2 shown]
	v_add_u32_e32 v1, v1, v45
	v_cndmask_b32_e64 v45, v42, v40, s[6:7]
	v_cndmask_b32_e64 v43, v43, v41, s[6:7]
	;; [unrolled: 1-line block ×10, first 2 shown]
	v_sub_u32_e32 v45, 32, v1
	v_cndmask_b32_e64 v40, v41, v38, s[8:9]
	v_alignbit_b32 v46, v42, v44, v45
	v_cmp_eq_u32_e64 s[12:13], 0, v1
	v_cndmask_b32_e64 v41, v43, v40, s[10:11]
	v_cndmask_b32_e64 v1, v46, v42, s[12:13]
	v_alignbit_b32 v42, v44, v41, v45
	v_cndmask_b32_e64 v37, v39, v37, s[6:7]
	v_cndmask_b32_e64 v42, v42, v44, s[12:13]
	v_bfe_u32 v46, v1, 29, 1
	v_cndmask_b32_e64 v37, v38, v37, s[8:9]
	v_alignbit_b32 v43, v1, v42, 30
	v_sub_u32_e32 v47, 0, v46
	v_cndmask_b32_e64 v37, v40, v37, s[10:11]
	v_xor_b32_e32 v43, v43, v47
	v_alignbit_b32 v38, v41, v37, v45
	v_cndmask_b32_e64 v38, v38, v41, s[12:13]
	v_ffbh_u32_e32 v40, v43
	v_alignbit_b32 v39, v42, v38, 30
	v_min_u32_e32 v40, 32, v40
	v_alignbit_b32 v37, v38, v37, 30
	v_xor_b32_e32 v39, v39, v47
	v_sub_u32_e32 v41, 31, v40
	v_xor_b32_e32 v37, v37, v47
	v_alignbit_b32 v42, v43, v39, v41
	v_alignbit_b32 v37, v39, v37, v41
	;; [unrolled: 1-line block ×3, first 2 shown]
	v_ffbh_u32_e32 v39, v38
	v_min_u32_e32 v39, 32, v39
	v_lshrrev_b32_e32 v44, 29, v1
	v_not_b32_e32 v41, v39
	v_alignbit_b32 v37, v38, v37, v41
	v_lshlrev_b32_e32 v38, 31, v44
	v_or_b32_e32 v41, 0x33000000, v38
	v_add_lshl_u32 v39, v39, v40, 23
	v_lshrrev_b32_e32 v37, 9, v37
	v_sub_u32_e32 v39, v41, v39
	v_or_b32_e32 v38, 0.5, v38
	v_lshlrev_b32_e32 v40, 23, v40
	v_or_b32_e32 v37, v39, v37
	v_lshrrev_b32_e32 v39, 9, v42
	v_sub_u32_e32 v38, v38, v40
	v_or_b32_e32 v38, v39, v38
	v_mul_f32_e32 v39, 0x3fc90fda, v38
	v_fma_f32 v40, v38, s35, -v39
	v_fmac_f32_e32 v40, 0x33a22168, v38
	v_fmac_f32_e32 v40, 0x3fc90fda, v37
	v_lshrrev_b32_e32 v1, 30, v1
	v_add_f32_e32 v38, v39, v40
	v_add_u32_e32 v39, v46, v1
.LBB95_39:                              ;   in Loop: Header=BB95_25 Depth=1
	s_andn2_saveexec_b64 s[6:7], s[22:23]
; %bb.40:                               ;   in Loop: Header=BB95_25 Depth=1
	v_mul_f32_e64 v1, |v31|, s36
	v_rndne_f32_e32 v1, v1
	v_cvt_i32_f32_e32 v39, v1
	v_fma_f32 v38, v1, s37, |v31|
	v_fmac_f32_e32 v38, 0xb3a22168, v1
	v_fmac_f32_e32 v38, 0xa7c234c4, v1
; %bb.41:                               ;   in Loop: Header=BB95_25 Depth=1
	s_or_b64 exec, exec, s[6:7]
	v_and_b32_e32 v37, 0x7fffffff, v29
	v_cmp_nlt_f32_e64 s[6:7], |v29|, s26
                                        ; implicit-def: $vgpr42
                                        ; implicit-def: $vgpr41
	s_and_saveexec_b64 s[8:9], s[6:7]
	s_xor_b64 s[22:23], exec, s[8:9]
	s_cbranch_execz .LBB95_43
; %bb.42:                               ;   in Loop: Header=BB95_25 Depth=1
	v_and_b32_e32 v1, 0x7fffff, v37
	v_or_b32_e32 v47, 0x800000, v1
	v_mad_u64_u32 v[40:41], s[6:7], v47, s27, 0
	v_mov_b32_e32 v1, v41
	v_mad_u64_u32 v[41:42], s[6:7], v47, s28, v[1:2]
	v_mov_b32_e32 v1, v42
	;; [unrolled: 2-line block ×3, first 2 shown]
	v_mad_u64_u32 v[43:44], s[6:7], v47, s30, v[1:2]
	v_lshrrev_b32_e32 v1, 23, v37
	v_add_u32_e32 v46, 0xffffff88, v1
	v_mov_b32_e32 v1, v44
	v_mad_u64_u32 v[44:45], s[6:7], v47, s31, v[1:2]
	v_cmp_lt_u32_e64 s[6:7], 63, v46
	v_cndmask_b32_e64 v1, 0, v26, s[6:7]
	v_add_u32_e32 v48, v1, v46
	v_mov_b32_e32 v1, v45
	v_mad_u64_u32 v[45:46], s[8:9], v47, s33, v[1:2]
	v_cmp_lt_u32_e64 s[8:9], 31, v48
	v_cndmask_b32_e64 v1, 0, v27, s[8:9]
	;; [unrolled: 5-line block ×3, first 2 shown]
	v_add_u32_e32 v1, v1, v48
	v_cndmask_b32_e64 v48, v45, v43, s[6:7]
	v_cndmask_b32_e64 v46, v46, v44, s[6:7]
	;; [unrolled: 1-line block ×10, first 2 shown]
	v_sub_u32_e32 v48, 32, v1
	v_cndmask_b32_e64 v43, v44, v41, s[8:9]
	v_alignbit_b32 v49, v45, v47, v48
	v_cmp_eq_u32_e64 s[12:13], 0, v1
	v_cndmask_b32_e64 v44, v46, v43, s[10:11]
	v_cndmask_b32_e64 v1, v49, v45, s[12:13]
	v_alignbit_b32 v45, v47, v44, v48
	v_cndmask_b32_e64 v40, v42, v40, s[6:7]
	v_cndmask_b32_e64 v45, v45, v47, s[12:13]
	v_bfe_u32 v49, v1, 29, 1
	v_cndmask_b32_e64 v40, v41, v40, s[8:9]
	v_alignbit_b32 v46, v1, v45, 30
	v_sub_u32_e32 v50, 0, v49
	v_cndmask_b32_e64 v40, v43, v40, s[10:11]
	v_xor_b32_e32 v46, v46, v50
	v_alignbit_b32 v41, v44, v40, v48
	v_cndmask_b32_e64 v41, v41, v44, s[12:13]
	v_ffbh_u32_e32 v43, v46
	v_alignbit_b32 v42, v45, v41, 30
	v_min_u32_e32 v43, 32, v43
	v_alignbit_b32 v40, v41, v40, 30
	v_xor_b32_e32 v42, v42, v50
	v_sub_u32_e32 v44, 31, v43
	v_xor_b32_e32 v40, v40, v50
	v_alignbit_b32 v45, v46, v42, v44
	v_alignbit_b32 v40, v42, v40, v44
	;; [unrolled: 1-line block ×3, first 2 shown]
	v_ffbh_u32_e32 v42, v41
	v_min_u32_e32 v42, 32, v42
	v_lshrrev_b32_e32 v47, 29, v1
	v_not_b32_e32 v44, v42
	v_alignbit_b32 v40, v41, v40, v44
	v_lshlrev_b32_e32 v41, 31, v47
	v_or_b32_e32 v44, 0x33000000, v41
	v_add_lshl_u32 v42, v42, v43, 23
	v_lshrrev_b32_e32 v40, 9, v40
	v_sub_u32_e32 v42, v44, v42
	v_or_b32_e32 v41, 0.5, v41
	v_lshlrev_b32_e32 v43, 23, v43
	v_or_b32_e32 v40, v42, v40
	v_lshrrev_b32_e32 v42, 9, v45
	v_sub_u32_e32 v41, v41, v43
	v_or_b32_e32 v41, v42, v41
	v_mul_f32_e32 v42, 0x3fc90fda, v41
	v_fma_f32 v43, v41, s35, -v42
	v_fmac_f32_e32 v43, 0x33a22168, v41
	v_fmac_f32_e32 v43, 0x3fc90fda, v40
	v_lshrrev_b32_e32 v1, 30, v1
	v_add_f32_e32 v41, v42, v43
	v_add_u32_e32 v42, v49, v1
.LBB95_43:                              ;   in Loop: Header=BB95_25 Depth=1
	s_andn2_saveexec_b64 s[6:7], s[22:23]
; %bb.44:                               ;   in Loop: Header=BB95_25 Depth=1
	v_mul_f32_e64 v1, |v29|, s36
	v_rndne_f32_e32 v1, v1
	v_cvt_i32_f32_e32 v42, v1
	v_fma_f32 v41, v1, s37, |v29|
	v_fmac_f32_e32 v41, 0xb3a22168, v1
	v_fmac_f32_e32 v41, 0xa7c234c4, v1
; %bb.45:                               ;   in Loop: Header=BB95_25 Depth=1
	s_or_b64 exec, exec, s[6:7]
	v_and_b32_e32 v40, 0x7fffffff, v30
	v_cmp_nlt_f32_e64 s[6:7], |v30|, s26
                                        ; implicit-def: $vgpr43
                                        ; implicit-def: $vgpr1
	s_and_saveexec_b64 s[8:9], s[6:7]
	s_xor_b64 s[22:23], exec, s[8:9]
	s_cbranch_execnz .LBB95_51
; %bb.46:                               ;   in Loop: Header=BB95_25 Depth=1
	s_andn2_saveexec_b64 s[6:7], s[22:23]
	s_cbranch_execnz .LBB95_52
.LBB95_47:                              ;   in Loop: Header=BB95_25 Depth=1
	s_or_b64 exec, exec, s[6:7]
	s_and_saveexec_b64 s[6:7], s[4:5]
	s_xor_b64 s[6:7], exec, s[6:7]
	s_cbranch_execnz .LBB95_53
.LBB95_48:                              ;   in Loop: Header=BB95_25 Depth=1
	s_or_b64 exec, exec, s[6:7]
	s_and_saveexec_b64 s[4:5], s[2:3]
	s_cbranch_execnz .LBB95_54
.LBB95_49:                              ;   in Loop: Header=BB95_25 Depth=1
	s_or_b64 exec, exec, s[4:5]
	s_and_saveexec_b64 s[2:3], s[0:1]
	s_cbranch_execnz .LBB95_55
.LBB95_50:                              ;   in Loop: Header=BB95_25 Depth=1
	s_or_b64 exec, exec, s[2:3]
	s_and_saveexec_b64 s[0:1], vcc
	s_cbranch_execz .LBB95_24
	s_branch .LBB95_56
.LBB95_51:                              ;   in Loop: Header=BB95_25 Depth=1
	v_and_b32_e32 v1, 0x7fffff, v40
	v_or_b32_e32 v50, 0x800000, v1
	v_mad_u64_u32 v[43:44], s[6:7], v50, s27, 0
	v_mov_b32_e32 v1, v44
	v_mad_u64_u32 v[44:45], s[6:7], v50, s28, v[1:2]
	v_mov_b32_e32 v1, v45
	;; [unrolled: 2-line block ×3, first 2 shown]
	v_mad_u64_u32 v[46:47], s[6:7], v50, s30, v[1:2]
	v_lshrrev_b32_e32 v1, 23, v40
	v_add_u32_e32 v49, 0xffffff88, v1
	v_mov_b32_e32 v1, v47
	v_mad_u64_u32 v[47:48], s[6:7], v50, s31, v[1:2]
	v_cmp_lt_u32_e64 s[6:7], 63, v49
	v_cndmask_b32_e64 v1, 0, v26, s[6:7]
	v_add_u32_e32 v51, v1, v49
	v_mov_b32_e32 v1, v48
	v_mad_u64_u32 v[48:49], s[8:9], v50, s33, v[1:2]
	v_cmp_lt_u32_e64 s[8:9], 31, v51
	v_cndmask_b32_e64 v1, 0, v27, s[8:9]
	;; [unrolled: 5-line block ×3, first 2 shown]
	v_add_u32_e32 v1, v1, v51
	v_cndmask_b32_e64 v51, v48, v46, s[6:7]
	v_cndmask_b32_e64 v49, v49, v47, s[6:7]
	;; [unrolled: 1-line block ×7, first 2 shown]
	v_sub_u32_e32 v51, 32, v1
	v_cmp_eq_u32_e64 s[12:13], 0, v1
	v_cndmask_b32_e64 v1, v46, v44, s[6:7]
	v_cndmask_b32_e64 v48, v48, v50, s[10:11]
	;; [unrolled: 1-line block ×4, first 2 shown]
	v_alignbit_b32 v52, v48, v50, v51
	v_cndmask_b32_e64 v46, v49, v44, s[10:11]
	v_cndmask_b32_e64 v48, v52, v48, s[12:13]
	v_alignbit_b32 v47, v50, v46, v51
	v_cndmask_b32_e64 v43, v45, v43, s[6:7]
	v_cndmask_b32_e64 v47, v47, v50, s[12:13]
	v_bfe_u32 v52, v48, 29, 1
	v_cndmask_b32_e64 v1, v1, v43, s[8:9]
	v_alignbit_b32 v49, v48, v47, 30
	v_sub_u32_e32 v53, 0, v52
	v_cndmask_b32_e64 v1, v44, v1, s[10:11]
	v_xor_b32_e32 v49, v49, v53
	v_alignbit_b32 v43, v46, v1, v51
	v_cndmask_b32_e64 v43, v43, v46, s[12:13]
	v_ffbh_u32_e32 v45, v49
	v_alignbit_b32 v44, v47, v43, 30
	v_min_u32_e32 v45, 32, v45
	v_alignbit_b32 v1, v43, v1, 30
	v_xor_b32_e32 v44, v44, v53
	v_sub_u32_e32 v46, 31, v45
	v_xor_b32_e32 v1, v1, v53
	v_alignbit_b32 v47, v49, v44, v46
	v_alignbit_b32 v1, v44, v1, v46
	;; [unrolled: 1-line block ×3, first 2 shown]
	v_ffbh_u32_e32 v44, v43
	v_min_u32_e32 v44, 32, v44
	v_lshrrev_b32_e32 v50, 29, v48
	v_not_b32_e32 v46, v44
	v_alignbit_b32 v1, v43, v1, v46
	v_lshlrev_b32_e32 v43, 31, v50
	v_or_b32_e32 v46, 0x33000000, v43
	v_add_lshl_u32 v44, v44, v45, 23
	v_lshrrev_b32_e32 v1, 9, v1
	v_sub_u32_e32 v44, v46, v44
	v_or_b32_e32 v43, 0.5, v43
	v_lshlrev_b32_e32 v45, 23, v45
	v_or_b32_e32 v1, v44, v1
	v_lshrrev_b32_e32 v44, 9, v47
	v_sub_u32_e32 v43, v43, v45
	v_or_b32_e32 v43, v44, v43
	v_mul_f32_e32 v44, 0x3fc90fda, v43
	v_fma_f32 v45, v43, s35, -v44
	v_fmac_f32_e32 v45, 0x33a22168, v43
	v_fmac_f32_e32 v45, 0x3fc90fda, v1
	v_lshrrev_b32_e32 v43, 30, v48
	v_add_f32_e32 v1, v44, v45
	v_add_u32_e32 v43, v52, v43
	s_andn2_saveexec_b64 s[6:7], s[22:23]
	s_cbranch_execz .LBB95_47
.LBB95_52:                              ;   in Loop: Header=BB95_25 Depth=1
	v_mul_f32_e64 v1, |v30|, s36
	v_rndne_f32_e32 v44, v1
	v_cvt_i32_f32_e32 v43, v44
	v_fma_f32 v1, v44, s37, |v30|
	v_fmac_f32_e32 v1, 0xb3a22168, v44
	v_fmac_f32_e32 v1, 0xa7c234c4, v44
	s_or_b64 exec, exec, s[6:7]
	s_and_saveexec_b64 s[6:7], s[4:5]
	s_xor_b64 s[6:7], exec, s[6:7]
	s_cbranch_execz .LBB95_48
.LBB95_53:                              ;   in Loop: Header=BB95_25 Depth=1
	v_mul_f32_e32 v44, v35, v35
	v_mov_b32_e32 v46, 0xbf039337
	v_fmac_f32_e32 v46, 0x3c971480, v44
	v_fma_f32 v46, v44, v46, v25
	v_rcp_f32_e32 v46, v46
	v_mov_b32_e32 v45, 0x3ec54587
	v_fmac_f32_e32 v45, 0xbc8cedd3, v44
	v_and_b32_e32 v36, 1, v36
	v_mul_f32_e32 v45, v45, v46
	v_mul_f32_e32 v44, v44, v45
	v_fma_f32 v45, v44, v35, v35
	v_sub_f32_e32 v46, v45, v35
	v_fma_f32 v35, v44, v35, -v46
	v_rcp_f32_e32 v44, v45
	v_cmp_eq_u32_e64 s[4:5], 0, v36
	v_xor_b32_e32 v33, v33, v32
	v_fma_f32 v46, v45, -v44, 1.0
	v_fma_f32 v35, v35, -v44, v46
	v_fma_f32 v35, v35, -v44, -v44
	v_cndmask_b32_e64 v35, v35, v45, s[4:5]
	v_xor_b32_e32 v33, v33, v35
	v_cmp_class_f32_e64 s[4:5], v32, s38
	v_cndmask_b32_e64 v32, v28, v33, s[4:5]
	v_cvt_f16_f32_e32 v35, v32
	v_add_co_u32_e64 v32, s[4:5], s14, v5
	v_mov_b32_e32 v33, s15
	v_addc_co_u32_e64 v33, s[4:5], v6, v33, s[4:5]
	global_store_short v[32:33], v35, off
	s_or_b64 exec, exec, s[6:7]
	s_and_saveexec_b64 s[4:5], s[2:3]
	s_cbranch_execz .LBB95_49
.LBB95_54:                              ;   in Loop: Header=BB95_25 Depth=1
	v_mul_f32_e32 v32, v38, v38
	v_mov_b32_e32 v33, 0xbf039337
	v_fmac_f32_e32 v33, 0x3c971480, v32
	v_fma_f32 v33, v32, v33, v25
	v_rcp_f32_e32 v33, v33
	v_mov_b32_e32 v35, 0x3ec54587
	v_fmac_f32_e32 v35, 0xbc8cedd3, v32
	v_and_b32_e32 v36, 1, v39
	v_mul_f32_e32 v33, v35, v33
	v_mul_f32_e32 v32, v32, v33
	v_fma_f32 v33, v32, v38, v38
	v_rcp_f32_e32 v35, v33
	v_sub_f32_e32 v39, v33, v38
	v_fma_f32 v32, v32, v38, -v39
	v_cmp_eq_u32_e64 s[2:3], 0, v36
	v_fma_f32 v38, v33, -v35, 1.0
	v_fma_f32 v32, v32, -v35, v38
	v_fma_f32 v32, v32, -v35, -v35
	v_cndmask_b32_e64 v32, v32, v33, s[2:3]
	v_xor_b32_e32 v33, v34, v31
	v_xor_b32_e32 v32, v33, v32
	v_cmp_class_f32_e64 s[2:3], v31, s38
	v_cndmask_b32_e64 v31, v28, v32, s[2:3]
	v_cvt_f16_f32_e32 v33, v31
	v_mov_b32_e32 v32, s15
	v_add_co_u32_e64 v31, s[2:3], s14, v19
	v_addc_co_u32_e64 v32, s[2:3], v20, v32, s[2:3]
	global_store_short v[31:32], v33, off
	s_or_b64 exec, exec, s[4:5]
	s_and_saveexec_b64 s[2:3], s[0:1]
	s_cbranch_execz .LBB95_50
.LBB95_55:                              ;   in Loop: Header=BB95_25 Depth=1
	v_mul_f32_e32 v31, v41, v41
	v_mov_b32_e32 v32, 0xbf039337
	v_fmac_f32_e32 v32, 0x3c971480, v31
	v_fma_f32 v32, v31, v32, v25
	v_rcp_f32_e32 v32, v32
	v_mov_b32_e32 v33, 0x3ec54587
	v_fmac_f32_e32 v33, 0xbc8cedd3, v31
	v_and_b32_e32 v34, 1, v42
	v_mul_f32_e32 v32, v33, v32
	v_mul_f32_e32 v31, v31, v32
	v_fma_f32 v32, v31, v41, v41
	v_rcp_f32_e32 v33, v32
	v_sub_f32_e32 v35, v32, v41
	v_fma_f32 v31, v31, v41, -v35
	v_cmp_eq_u32_e64 s[0:1], 0, v34
	v_fma_f32 v35, v32, -v33, 1.0
	v_fma_f32 v31, v31, -v33, v35
	v_fma_f32 v31, v31, -v33, -v33
	v_cndmask_b32_e64 v31, v31, v32, s[0:1]
	v_xor_b32_e32 v32, v37, v29
	v_xor_b32_e32 v31, v32, v31
	v_cmp_class_f32_e64 s[0:1], v29, s38
	v_cndmask_b32_e64 v29, v28, v31, s[0:1]
	v_cvt_f16_f32_e32 v29, v29
	v_mov_b32_e32 v32, s15
	v_add_co_u32_e64 v31, s[0:1], s14, v13
	v_addc_co_u32_e64 v32, s[0:1], v14, v32, s[0:1]
	global_store_short v[31:32], v29, off
	s_or_b64 exec, exec, s[2:3]
	s_and_saveexec_b64 s[0:1], vcc
	s_cbranch_execz .LBB95_24
.LBB95_56:                              ;   in Loop: Header=BB95_25 Depth=1
	v_mul_f32_e32 v29, v1, v1
	v_mov_b32_e32 v31, 0xbf039337
	v_fmac_f32_e32 v31, 0x3c971480, v29
	v_fma_f32 v31, v29, v31, v25
	v_rcp_f32_e32 v31, v31
	v_mov_b32_e32 v32, 0x3ec54587
	v_fmac_f32_e32 v32, 0xbc8cedd3, v29
	v_and_b32_e32 v33, 1, v43
	v_mul_f32_e32 v31, v32, v31
	v_mul_f32_e32 v29, v29, v31
	v_fma_f32 v31, v29, v1, v1
	v_rcp_f32_e32 v32, v31
	v_sub_f32_e32 v34, v31, v1
	v_fma_f32 v1, v29, v1, -v34
	v_cmp_eq_u32_e32 vcc, 0, v33
	v_fma_f32 v29, v31, -v32, 1.0
	v_fma_f32 v1, v1, -v32, v29
	v_fma_f32 v1, v1, -v32, -v32
	v_cndmask_b32_e32 v1, v1, v31, vcc
	v_xor_b32_e32 v29, v40, v30
	v_xor_b32_e32 v1, v29, v1
	v_cmp_class_f32_e64 vcc, v30, s38
	v_cndmask_b32_e32 v1, v28, v1, vcc
	v_cvt_f16_f32_e32 v1, v1
	v_mov_b32_e32 v30, s15
	v_add_co_u32_e32 v29, vcc, s14, v9
	v_addc_co_u32_e32 v30, vcc, v10, v30, vcc
	global_store_short v[29:30], v1, off
	s_branch .LBB95_24
.LBB95_57:
	s_endpgm
	.section	.rodata,"a",@progbits
	.p2align	6, 0x0
	.amdhsa_kernel _ZN2at6native12_GLOBAL__N_125multi_tensor_apply_kernelINS1_18TensorListMetadataILi2EEENS1_14UnaryOpFunctorIN3c104HalfELi2ELi1ELi1EEEJNS0_3TanIfEEEEEvT_T0_DpT1_
		.amdhsa_group_segment_fixed_size 0
		.amdhsa_private_segment_fixed_size 0
		.amdhsa_kernarg_size 3408
		.amdhsa_user_sgpr_count 6
		.amdhsa_user_sgpr_private_segment_buffer 1
		.amdhsa_user_sgpr_dispatch_ptr 0
		.amdhsa_user_sgpr_queue_ptr 0
		.amdhsa_user_sgpr_kernarg_segment_ptr 1
		.amdhsa_user_sgpr_dispatch_id 0
		.amdhsa_user_sgpr_flat_scratch_init 0
		.amdhsa_user_sgpr_private_segment_size 0
		.amdhsa_uses_dynamic_stack 0
		.amdhsa_system_sgpr_private_segment_wavefront_offset 0
		.amdhsa_system_sgpr_workgroup_id_x 1
		.amdhsa_system_sgpr_workgroup_id_y 0
		.amdhsa_system_sgpr_workgroup_id_z 0
		.amdhsa_system_sgpr_workgroup_info 0
		.amdhsa_system_vgpr_workitem_id 0
		.amdhsa_next_free_vgpr 54
		.amdhsa_next_free_sgpr 39
		.amdhsa_reserve_vcc 1
		.amdhsa_reserve_flat_scratch 0
		.amdhsa_float_round_mode_32 0
		.amdhsa_float_round_mode_16_64 0
		.amdhsa_float_denorm_mode_32 3
		.amdhsa_float_denorm_mode_16_64 3
		.amdhsa_dx10_clamp 1
		.amdhsa_ieee_mode 1
		.amdhsa_fp16_overflow 0
		.amdhsa_exception_fp_ieee_invalid_op 0
		.amdhsa_exception_fp_denorm_src 0
		.amdhsa_exception_fp_ieee_div_zero 0
		.amdhsa_exception_fp_ieee_overflow 0
		.amdhsa_exception_fp_ieee_underflow 0
		.amdhsa_exception_fp_ieee_inexact 0
		.amdhsa_exception_int_div_zero 0
	.end_amdhsa_kernel
	.section	.text._ZN2at6native12_GLOBAL__N_125multi_tensor_apply_kernelINS1_18TensorListMetadataILi2EEENS1_14UnaryOpFunctorIN3c104HalfELi2ELi1ELi1EEEJNS0_3TanIfEEEEEvT_T0_DpT1_,"axG",@progbits,_ZN2at6native12_GLOBAL__N_125multi_tensor_apply_kernelINS1_18TensorListMetadataILi2EEENS1_14UnaryOpFunctorIN3c104HalfELi2ELi1ELi1EEEJNS0_3TanIfEEEEEvT_T0_DpT1_,comdat
.Lfunc_end95:
	.size	_ZN2at6native12_GLOBAL__N_125multi_tensor_apply_kernelINS1_18TensorListMetadataILi2EEENS1_14UnaryOpFunctorIN3c104HalfELi2ELi1ELi1EEEJNS0_3TanIfEEEEEvT_T0_DpT1_, .Lfunc_end95-_ZN2at6native12_GLOBAL__N_125multi_tensor_apply_kernelINS1_18TensorListMetadataILi2EEENS1_14UnaryOpFunctorIN3c104HalfELi2ELi1ELi1EEEJNS0_3TanIfEEEEEvT_T0_DpT1_
                                        ; -- End function
	.set _ZN2at6native12_GLOBAL__N_125multi_tensor_apply_kernelINS1_18TensorListMetadataILi2EEENS1_14UnaryOpFunctorIN3c104HalfELi2ELi1ELi1EEEJNS0_3TanIfEEEEEvT_T0_DpT1_.num_vgpr, 54
	.set _ZN2at6native12_GLOBAL__N_125multi_tensor_apply_kernelINS1_18TensorListMetadataILi2EEENS1_14UnaryOpFunctorIN3c104HalfELi2ELi1ELi1EEEJNS0_3TanIfEEEEEvT_T0_DpT1_.num_agpr, 0
	.set _ZN2at6native12_GLOBAL__N_125multi_tensor_apply_kernelINS1_18TensorListMetadataILi2EEENS1_14UnaryOpFunctorIN3c104HalfELi2ELi1ELi1EEEJNS0_3TanIfEEEEEvT_T0_DpT1_.numbered_sgpr, 39
	.set _ZN2at6native12_GLOBAL__N_125multi_tensor_apply_kernelINS1_18TensorListMetadataILi2EEENS1_14UnaryOpFunctorIN3c104HalfELi2ELi1ELi1EEEJNS0_3TanIfEEEEEvT_T0_DpT1_.num_named_barrier, 0
	.set _ZN2at6native12_GLOBAL__N_125multi_tensor_apply_kernelINS1_18TensorListMetadataILi2EEENS1_14UnaryOpFunctorIN3c104HalfELi2ELi1ELi1EEEJNS0_3TanIfEEEEEvT_T0_DpT1_.private_seg_size, 0
	.set _ZN2at6native12_GLOBAL__N_125multi_tensor_apply_kernelINS1_18TensorListMetadataILi2EEENS1_14UnaryOpFunctorIN3c104HalfELi2ELi1ELi1EEEJNS0_3TanIfEEEEEvT_T0_DpT1_.uses_vcc, 1
	.set _ZN2at6native12_GLOBAL__N_125multi_tensor_apply_kernelINS1_18TensorListMetadataILi2EEENS1_14UnaryOpFunctorIN3c104HalfELi2ELi1ELi1EEEJNS0_3TanIfEEEEEvT_T0_DpT1_.uses_flat_scratch, 0
	.set _ZN2at6native12_GLOBAL__N_125multi_tensor_apply_kernelINS1_18TensorListMetadataILi2EEENS1_14UnaryOpFunctorIN3c104HalfELi2ELi1ELi1EEEJNS0_3TanIfEEEEEvT_T0_DpT1_.has_dyn_sized_stack, 0
	.set _ZN2at6native12_GLOBAL__N_125multi_tensor_apply_kernelINS1_18TensorListMetadataILi2EEENS1_14UnaryOpFunctorIN3c104HalfELi2ELi1ELi1EEEJNS0_3TanIfEEEEEvT_T0_DpT1_.has_recursion, 0
	.set _ZN2at6native12_GLOBAL__N_125multi_tensor_apply_kernelINS1_18TensorListMetadataILi2EEENS1_14UnaryOpFunctorIN3c104HalfELi2ELi1ELi1EEEJNS0_3TanIfEEEEEvT_T0_DpT1_.has_indirect_call, 0
	.section	.AMDGPU.csdata,"",@progbits
; Kernel info:
; codeLenInByte = 7556
; TotalNumSgprs: 43
; NumVgprs: 54
; ScratchSize: 0
; MemoryBound: 0
; FloatMode: 240
; IeeeMode: 1
; LDSByteSize: 0 bytes/workgroup (compile time only)
; SGPRBlocks: 5
; VGPRBlocks: 13
; NumSGPRsForWavesPerEU: 43
; NumVGPRsForWavesPerEU: 54
; Occupancy: 4
; WaveLimiterHint : 0
; COMPUTE_PGM_RSRC2:SCRATCH_EN: 0
; COMPUTE_PGM_RSRC2:USER_SGPR: 6
; COMPUTE_PGM_RSRC2:TRAP_HANDLER: 0
; COMPUTE_PGM_RSRC2:TGID_X_EN: 1
; COMPUTE_PGM_RSRC2:TGID_Y_EN: 0
; COMPUTE_PGM_RSRC2:TGID_Z_EN: 0
; COMPUTE_PGM_RSRC2:TIDIG_COMP_CNT: 0
	.section	.text._ZN2at6native12_GLOBAL__N_125multi_tensor_apply_kernelINS1_18TensorListMetadataILi2EEENS1_14UnaryOpFunctorIN3c108BFloat16ELi2ELi1ELi1EEEJNS0_3TanIfEEEEEvT_T0_DpT1_,"axG",@progbits,_ZN2at6native12_GLOBAL__N_125multi_tensor_apply_kernelINS1_18TensorListMetadataILi2EEENS1_14UnaryOpFunctorIN3c108BFloat16ELi2ELi1ELi1EEEJNS0_3TanIfEEEEEvT_T0_DpT1_,comdat
	.globl	_ZN2at6native12_GLOBAL__N_125multi_tensor_apply_kernelINS1_18TensorListMetadataILi2EEENS1_14UnaryOpFunctorIN3c108BFloat16ELi2ELi1ELi1EEEJNS0_3TanIfEEEEEvT_T0_DpT1_ ; -- Begin function _ZN2at6native12_GLOBAL__N_125multi_tensor_apply_kernelINS1_18TensorListMetadataILi2EEENS1_14UnaryOpFunctorIN3c108BFloat16ELi2ELi1ELi1EEEJNS0_3TanIfEEEEEvT_T0_DpT1_
	.p2align	8
	.type	_ZN2at6native12_GLOBAL__N_125multi_tensor_apply_kernelINS1_18TensorListMetadataILi2EEENS1_14UnaryOpFunctorIN3c108BFloat16ELi2ELi1ELi1EEEJNS0_3TanIfEEEEEvT_T0_DpT1_,@function
_ZN2at6native12_GLOBAL__N_125multi_tensor_apply_kernelINS1_18TensorListMetadataILi2EEENS1_14UnaryOpFunctorIN3c108BFloat16ELi2ELi1ELi1EEEJNS0_3TanIfEEEEEvT_T0_DpT1_: ; @_ZN2at6native12_GLOBAL__N_125multi_tensor_apply_kernelINS1_18TensorListMetadataILi2EEENS1_14UnaryOpFunctorIN3c108BFloat16ELi2ELi1ELi1EEEJNS0_3TanIfEEEEEvT_T0_DpT1_
; %bb.0:
	v_mov_b32_e32 v1, s6
	global_load_ubyte v1, v1, s[4:5] offset:1536
	s_add_u32 s0, s4, s6
	s_mul_hi_u32 s2, s6, 3
	s_mul_i32 s6, s6, 3
	s_addc_u32 s7, s5, 0
	s_add_u32 s6, s0, s6
	s_addc_u32 s7, s7, s2
	s_load_dword s6, s[6:7], 0x740
	s_mov_b32 s1, 0
	s_mov_b32 s3, s1
	s_waitcnt lgkmcnt(0)
	s_ashr_i32 s7, s6, 31
	s_lshl_b64 s[14:15], s[6:7], 17
	s_lshl_b64 s[6:7], s[6:7], 16
	s_waitcnt vmcnt(0)
	v_readfirstlane_b32 s0, v1
	s_lshl_b32 s0, s0, 3
	s_load_dwordx2 s[16:17], s[4:5], s0 offset:0x400
	s_load_dwordx2 s[10:11], s[4:5], s0 offset:0x0
	;; [unrolled: 1-line block ×3, first 2 shown]
	s_waitcnt lgkmcnt(0)
	s_add_u32 s0, s10, s14
	s_and_b32 s2, s8, 7
	s_and_b32 s0, s0, 7
	s_sub_u32 s12, s16, s6
	s_subb_u32 s13, s17, s7
	s_and_b32 s6, s16, 3
	s_mov_b32 s7, s1
	s_or_b64 s[2:3], s[2:3], s[6:7]
	s_or_b64 s[0:1], s[2:3], s[0:1]
	s_cmp_eq_u64 s[0:1], 0
	s_mov_b64 s[0:1], -1
	s_cbranch_scc0 .LBB96_21
; %bb.1:
	v_mov_b32_e32 v1, 0x10000
	v_mov_b32_e32 v2, 0
	v_cmp_lt_i64_e32 vcc, s[12:13], v[1:2]
	v_mov_b32_e32 v2, 0
	s_and_b64 s[0:1], vcc, exec
	s_cselect_b32 s17, s13, 0
	s_cselect_b32 s16, s12, 0x10000
	v_lshlrev_b32_e32 v1, 2, v0
	v_cmp_gt_i64_e32 vcc, s[16:17], v[1:2]
	s_and_saveexec_b64 s[18:19], vcc
	s_cbranch_execz .LBB96_20
; %bb.2:
	s_load_dword s0, s[4:5], 0xc5c
	v_lshlrev_b32_e32 v3, 3, v0
	v_mov_b32_e32 v1, v2
	v_mov_b32_e32 v4, s15
	v_add_co_u32_e32 v7, vcc, s14, v3
	s_waitcnt lgkmcnt(0)
	s_and_b32 s24, s0, 0xffff
	v_addc_co_u32_e32 v8, vcc, 0, v4, vcc
	v_mov_b32_e32 v4, v1
	s_lshl_b32 s25, s24, 3
	s_mov_b64 s[20:21], 0
	v_mov_b32_e32 v9, s11
	s_brev_b32 s26, 18
	s_mov_b32 s27, 0xfe5163ab
	s_mov_b32 s28, 0x3c439041
	;; [unrolled: 1-line block ×10, first 2 shown]
	v_mov_b32_e32 v10, 0x3f93f425
	s_movk_i32 s38, 0x1f8
	s_movk_i32 s39, 0x7fff
	v_not_b32_e32 v11, 63
	v_not_b32_e32 v12, 31
	v_mov_b32_e32 v13, 0x7fc00000
	v_mov_b32_e32 v14, 0x7fc0
	;; [unrolled: 1-line block ×3, first 2 shown]
	s_branch .LBB96_4
.LBB96_3:                               ;   in Loop: Header=BB96_4 Depth=1
	s_or_b64 exec, exec, s[0:1]
	v_mul_f32_e32 v28, v25, v25
	v_mov_b32_e32 v29, 0xbf039337
	v_fmac_f32_e32 v29, 0x3c971480, v28
	v_fma_f32 v29, v28, v29, v10
	v_rcp_f32_e32 v29, v29
	v_mov_b32_e32 v30, 0x3ec54587
	v_fmac_f32_e32 v30, 0xbc8cedd3, v28
	v_and_b32_e32 v26, 1, v26
	v_mul_f32_e32 v29, v30, v29
	v_mul_f32_e32 v28, v28, v29
	v_fma_f32 v29, v28, v25, v25
	v_rcp_f32_e32 v30, v29
	v_sub_f32_e32 v31, v29, v25
	v_fma_f32 v25, v28, v25, -v31
	v_cmp_eq_u32_e32 vcc, 0, v26
	v_fma_f32 v28, v29, -v30, 1.0
	v_fma_f32 v25, v25, -v30, v28
	v_fma_f32 v25, v25, -v30, -v30
	v_cndmask_b32_e32 v25, v25, v29, vcc
	v_xor_b32_e32 v23, v23, v25
	v_mul_f32_e32 v25, v21, v21
	v_mov_b32_e32 v26, 0xbf039337
	v_xor_b32_e32 v23, v23, v5
	v_cmp_class_f32_e64 vcc, v5, s38
	v_fmac_f32_e32 v26, 0x3c971480, v25
	v_cndmask_b32_e32 v23, v13, v23, vcc
	v_fma_f32 v26, v25, v26, v10
	v_bfe_u32 v5, v23, 16, 1
	v_rcp_f32_e32 v26, v26
	v_add3_u32 v5, v23, v5, s39
	v_lshrrev_b32_e32 v28, 16, v5
	v_mov_b32_e32 v5, 0x3ec54587
	v_fmac_f32_e32 v5, 0xbc8cedd3, v25
	v_mul_f32_e32 v5, v5, v26
	v_mul_f32_e32 v5, v25, v5
	v_fma_f32 v25, v5, v21, v21
	v_rcp_f32_e32 v26, v25
	v_sub_f32_e32 v29, v25, v21
	v_fma_f32 v5, v5, v21, -v29
	v_and_b32_e32 v22, 1, v22
	v_fma_f32 v21, v25, -v26, 1.0
	v_fma_f32 v5, v5, -v26, v21
	v_fma_f32 v5, v5, -v26, -v26
	v_cmp_eq_u32_e32 vcc, 0, v22
	v_cndmask_b32_e32 v5, v5, v25, vcc
	v_xor_b32_e32 v5, v20, v5
	v_mul_f32_e32 v20, v17, v17
	v_mov_b32_e32 v21, 0xbf039337
	v_xor_b32_e32 v5, v5, v19
	v_cmp_class_f32_e64 vcc, v19, s38
	v_fmac_f32_e32 v21, 0x3c971480, v20
	v_cndmask_b32_e32 v19, v13, v5, vcc
	v_fma_f32 v21, v20, v21, v10
	v_bfe_u32 v5, v19, 16, 1
	v_rcp_f32_e32 v21, v21
	v_add3_u32 v5, v19, v5, s39
	v_and_b32_e32 v22, 0xffff0000, v5
	v_mov_b32_e32 v5, 0x3ec54587
	v_fmac_f32_e32 v5, 0xbc8cedd3, v20
	v_mul_f32_e32 v5, v5, v21
	v_mul_f32_e32 v5, v20, v5
	v_fma_f32 v20, v5, v17, v17
	v_rcp_f32_e32 v21, v20
	v_sub_f32_e32 v25, v20, v17
	v_fma_f32 v5, v5, v17, -v25
	v_and_b32_e32 v18, 1, v18
	v_fma_f32 v17, v20, -v21, 1.0
	v_fma_f32 v5, v5, -v21, v17
	v_fma_f32 v5, v5, -v21, -v21
	v_cmp_eq_u32_e32 vcc, 0, v18
	v_cndmask_b32_e32 v5, v5, v20, vcc
	v_xor_b32_e32 v5, v16, v5
	v_mul_f32_e32 v16, v1, v1
	v_mov_b32_e32 v17, 0xbf039337
	v_xor_b32_e32 v5, v5, v15
	v_cmp_class_f32_e64 vcc, v15, s38
	v_fmac_f32_e32 v17, 0x3c971480, v16
	v_cndmask_b32_e32 v15, v13, v5, vcc
	v_fma_f32 v17, v16, v17, v10
	v_bfe_u32 v5, v15, 16, 1
	v_rcp_f32_e32 v17, v17
	v_add3_u32 v5, v15, v5, s39
	v_lshrrev_b32_e32 v18, 16, v5
	v_mov_b32_e32 v5, 0x3ec54587
	v_fmac_f32_e32 v5, 0xbc8cedd3, v16
	v_mul_f32_e32 v5, v5, v17
	v_mul_f32_e32 v5, v16, v5
	v_fma_f32 v16, v5, v1, v1
	v_rcp_f32_e32 v17, v16
	v_sub_f32_e32 v21, v16, v1
	v_fma_f32 v1, v5, v1, -v21
	v_and_b32_e32 v20, 1, v27
	v_fma_f32 v5, v16, -v17, 1.0
	v_fma_f32 v1, v1, -v17, v5
	v_fma_f32 v1, v1, -v17, -v17
	v_cmp_eq_u32_e32 vcc, 0, v20
	v_cndmask_b32_e32 v1, v1, v16, vcc
	v_xor_b32_e32 v1, v24, v1
	v_xor_b32_e32 v1, v1, v6
	v_cmp_class_f32_e64 vcc, v6, s38
	v_cndmask_b32_e32 v1, v13, v1, vcc
	v_bfe_u32 v5, v1, 16, 1
	v_add3_u32 v16, v1, v5, s39
	v_mov_b32_e32 v6, s9
	v_add_co_u32_e32 v5, vcc, s8, v7
	v_addc_co_u32_e32 v6, vcc, v6, v8, vcc
	v_and_b32_e32 v16, 0xffff0000, v16
	v_cmp_o_f32_e32 vcc, v1, v1
	v_cndmask_b32_e32 v1, v13, v16, vcc
	v_cmp_o_f32_e32 vcc, v23, v23
	v_cndmask_b32_e32 v16, v14, v28, vcc
	;; [unrolled: 2-line block ×4, first 2 shown]
	v_add_co_u32_e32 v3, vcc, s24, v3
	v_addc_co_u32_e32 v4, vcc, 0, v4, vcc
	v_or_b32_e32 v15, v17, v15
	v_lshlrev_b64 v[17:18], 2, v[3:4]
	v_or3_b32 v16, 0, v16, v1
	v_cmp_le_i64_e32 vcc, s[16:17], v[17:18]
	v_or3_b32 v15, v15, 0, 0
	s_or_b64 s[20:21], vcc, s[20:21]
	v_add_co_u32_e32 v7, vcc, s25, v7
	v_addc_co_u32_e32 v8, vcc, 0, v8, vcc
	global_store_dwordx2 v[5:6], v[15:16], off
	s_andn2_b64 exec, exec, s[20:21]
	s_cbranch_execz .LBB96_20
.LBB96_4:                               ; =>This Inner Loop Header: Depth=1
	v_add_co_u32_e32 v5, vcc, s10, v7
	v_addc_co_u32_e32 v6, vcc, v9, v8, vcc
	global_load_dwordx2 v[5:6], v[5:6], off
                                        ; implicit-def: $vgpr18
                                        ; implicit-def: $vgpr17
	s_waitcnt vmcnt(0)
	v_lshlrev_b32_e32 v15, 16, v5
	v_and_b32_e32 v16, 0x7fffffff, v15
	v_cmp_nlt_f32_e64 s[0:1], |v15|, s26
	s_and_saveexec_b64 s[2:3], s[0:1]
	s_xor_b64 s[22:23], exec, s[2:3]
	s_cbranch_execz .LBB96_6
; %bb.5:                                ;   in Loop: Header=BB96_4 Depth=1
	v_and_b32_e32 v1, 0x7fffff, v16
	v_or_b32_e32 v24, 0x800000, v1
	v_mad_u64_u32 v[17:18], s[0:1], v24, s27, 0
	v_mov_b32_e32 v1, v18
	v_mad_u64_u32 v[18:19], s[0:1], v24, s28, v[1:2]
	v_mov_b32_e32 v1, v19
	;; [unrolled: 2-line block ×3, first 2 shown]
	v_mad_u64_u32 v[20:21], s[0:1], v24, s30, v[1:2]
	v_lshrrev_b32_e32 v1, 23, v16
	v_add_u32_e32 v23, 0xffffff88, v1
	v_mov_b32_e32 v1, v21
	v_mad_u64_u32 v[21:22], s[0:1], v24, s31, v[1:2]
	v_cmp_lt_u32_e32 vcc, 63, v23
	v_cndmask_b32_e32 v1, 0, v11, vcc
	v_add_u32_e32 v25, v1, v23
	v_mov_b32_e32 v1, v22
	v_mad_u64_u32 v[22:23], s[0:1], v24, s33, v[1:2]
	v_cmp_lt_u32_e64 s[0:1], 31, v25
	v_cndmask_b32_e64 v1, 0, v12, s[0:1]
	v_add_u32_e32 v25, v1, v25
	v_mov_b32_e32 v1, v23
	v_mad_u64_u32 v[23:24], s[2:3], v24, s34, v[1:2]
	v_cmp_lt_u32_e64 s[2:3], 31, v25
	v_cndmask_b32_e64 v1, 0, v12, s[2:3]
	v_add_u32_e32 v1, v1, v25
	v_cndmask_b32_e32 v25, v22, v20, vcc
	v_cndmask_b32_e32 v23, v23, v21, vcc
	;; [unrolled: 1-line block ×4, first 2 shown]
	v_cndmask_b32_e64 v24, v23, v25, s[0:1]
	v_cndmask_b32_e64 v22, v22, v23, s[0:1]
	v_cndmask_b32_e64 v23, v25, v21, s[0:1]
	v_cndmask_b32_e32 v18, v20, v18, vcc
	v_cndmask_b32_e64 v22, v22, v24, s[2:3]
	v_cndmask_b32_e64 v24, v24, v23, s[2:3]
	v_sub_u32_e32 v25, 32, v1
	v_cndmask_b32_e64 v20, v21, v18, s[0:1]
	v_alignbit_b32 v26, v22, v24, v25
	v_cmp_eq_u32_e64 s[6:7], 0, v1
	v_cndmask_b32_e64 v21, v23, v20, s[2:3]
	v_cndmask_b32_e64 v1, v26, v22, s[6:7]
	v_alignbit_b32 v22, v24, v21, v25
	v_cndmask_b32_e32 v17, v19, v17, vcc
	v_cndmask_b32_e64 v22, v22, v24, s[6:7]
	v_bfe_u32 v26, v1, 29, 1
	v_cndmask_b32_e64 v17, v18, v17, s[0:1]
	v_alignbit_b32 v23, v1, v22, 30
	v_sub_u32_e32 v27, 0, v26
	v_cndmask_b32_e64 v17, v20, v17, s[2:3]
	v_xor_b32_e32 v23, v23, v27
	v_alignbit_b32 v18, v21, v17, v25
	v_cndmask_b32_e64 v18, v18, v21, s[6:7]
	v_ffbh_u32_e32 v20, v23
	v_alignbit_b32 v19, v22, v18, 30
	v_min_u32_e32 v20, 32, v20
	v_alignbit_b32 v17, v18, v17, 30
	v_xor_b32_e32 v19, v19, v27
	v_sub_u32_e32 v21, 31, v20
	v_xor_b32_e32 v17, v17, v27
	v_alignbit_b32 v22, v23, v19, v21
	v_alignbit_b32 v17, v19, v17, v21
	;; [unrolled: 1-line block ×3, first 2 shown]
	v_ffbh_u32_e32 v19, v18
	v_min_u32_e32 v19, 32, v19
	v_lshrrev_b32_e32 v24, 29, v1
	v_not_b32_e32 v21, v19
	v_alignbit_b32 v17, v18, v17, v21
	v_lshlrev_b32_e32 v18, 31, v24
	v_or_b32_e32 v21, 0x33000000, v18
	v_add_lshl_u32 v19, v19, v20, 23
	v_lshrrev_b32_e32 v17, 9, v17
	v_sub_u32_e32 v19, v21, v19
	v_or_b32_e32 v18, 0.5, v18
	v_lshlrev_b32_e32 v20, 23, v20
	v_or_b32_e32 v17, v19, v17
	v_lshrrev_b32_e32 v19, 9, v22
	v_sub_u32_e32 v18, v18, v20
	v_or_b32_e32 v18, v19, v18
	v_mul_f32_e32 v19, 0x3fc90fda, v18
	v_fma_f32 v20, v18, s35, -v19
	v_fmac_f32_e32 v20, 0x33a22168, v18
	v_fmac_f32_e32 v20, 0x3fc90fda, v17
	v_lshrrev_b32_e32 v1, 30, v1
	v_add_f32_e32 v17, v19, v20
	v_add_u32_e32 v18, v26, v1
.LBB96_6:                               ;   in Loop: Header=BB96_4 Depth=1
	s_andn2_saveexec_b64 s[0:1], s[22:23]
; %bb.7:                                ;   in Loop: Header=BB96_4 Depth=1
	v_mul_f32_e64 v1, |v15|, s36
	v_rndne_f32_e32 v1, v1
	v_cvt_i32_f32_e32 v18, v1
	v_fma_f32 v17, v1, s37, |v15|
	v_fmac_f32_e32 v17, 0xb3a22168, v1
	v_fmac_f32_e32 v17, 0xa7c234c4, v1
; %bb.8:                                ;   in Loop: Header=BB96_4 Depth=1
	s_or_b64 exec, exec, s[0:1]
	v_and_b32_e32 v19, 0xffff0000, v5
	v_and_b32_e32 v20, 0x7fffffff, v19
	v_cmp_nlt_f32_e64 s[0:1], |v19|, s26
                                        ; implicit-def: $vgpr22
                                        ; implicit-def: $vgpr21
	s_and_saveexec_b64 s[2:3], s[0:1]
	s_xor_b64 s[22:23], exec, s[2:3]
	s_cbranch_execz .LBB96_10
; %bb.9:                                ;   in Loop: Header=BB96_4 Depth=1
	v_and_b32_e32 v1, 0x7fffff, v20
	v_or_b32_e32 v28, 0x800000, v1
	v_mad_u64_u32 v[21:22], s[0:1], v28, s27, 0
	v_mov_b32_e32 v1, v22
	v_mad_u64_u32 v[22:23], s[0:1], v28, s28, v[1:2]
	v_mov_b32_e32 v1, v23
	;; [unrolled: 2-line block ×3, first 2 shown]
	v_mad_u64_u32 v[24:25], s[0:1], v28, s30, v[1:2]
	v_lshrrev_b32_e32 v1, 23, v20
	v_add_u32_e32 v27, 0xffffff88, v1
	v_mov_b32_e32 v1, v25
	v_mad_u64_u32 v[25:26], s[0:1], v28, s31, v[1:2]
	v_cmp_lt_u32_e32 vcc, 63, v27
	v_cndmask_b32_e32 v1, 0, v11, vcc
	v_add_u32_e32 v29, v1, v27
	v_mov_b32_e32 v1, v26
	v_mad_u64_u32 v[26:27], s[0:1], v28, s33, v[1:2]
	v_cmp_lt_u32_e64 s[0:1], 31, v29
	v_cndmask_b32_e64 v1, 0, v12, s[0:1]
	v_add_u32_e32 v29, v1, v29
	v_mov_b32_e32 v1, v27
	v_mad_u64_u32 v[27:28], s[2:3], v28, s34, v[1:2]
	v_cmp_lt_u32_e64 s[2:3], 31, v29
	v_cndmask_b32_e64 v1, 0, v12, s[2:3]
	v_add_u32_e32 v1, v1, v29
	v_cndmask_b32_e32 v29, v26, v24, vcc
	v_cndmask_b32_e32 v27, v27, v25, vcc
	;; [unrolled: 1-line block ×4, first 2 shown]
	v_cndmask_b32_e64 v28, v27, v29, s[0:1]
	v_cndmask_b32_e64 v26, v26, v27, s[0:1]
	v_cndmask_b32_e64 v27, v29, v25, s[0:1]
	v_cndmask_b32_e32 v22, v24, v22, vcc
	v_cndmask_b32_e64 v26, v26, v28, s[2:3]
	v_cndmask_b32_e64 v28, v28, v27, s[2:3]
	v_sub_u32_e32 v29, 32, v1
	v_cndmask_b32_e64 v24, v25, v22, s[0:1]
	v_alignbit_b32 v30, v26, v28, v29
	v_cmp_eq_u32_e64 s[6:7], 0, v1
	v_cndmask_b32_e64 v25, v27, v24, s[2:3]
	v_cndmask_b32_e64 v1, v30, v26, s[6:7]
	v_alignbit_b32 v26, v28, v25, v29
	v_cndmask_b32_e32 v21, v23, v21, vcc
	v_cndmask_b32_e64 v26, v26, v28, s[6:7]
	v_bfe_u32 v30, v1, 29, 1
	v_cndmask_b32_e64 v21, v22, v21, s[0:1]
	v_alignbit_b32 v27, v1, v26, 30
	v_sub_u32_e32 v31, 0, v30
	v_cndmask_b32_e64 v21, v24, v21, s[2:3]
	v_xor_b32_e32 v27, v27, v31
	v_alignbit_b32 v22, v25, v21, v29
	v_cndmask_b32_e64 v22, v22, v25, s[6:7]
	v_ffbh_u32_e32 v24, v27
	v_alignbit_b32 v23, v26, v22, 30
	v_min_u32_e32 v24, 32, v24
	v_alignbit_b32 v21, v22, v21, 30
	v_xor_b32_e32 v23, v23, v31
	v_sub_u32_e32 v25, 31, v24
	v_xor_b32_e32 v21, v21, v31
	v_alignbit_b32 v26, v27, v23, v25
	v_alignbit_b32 v21, v23, v21, v25
	v_alignbit_b32 v22, v26, v21, 9
	v_ffbh_u32_e32 v23, v22
	v_min_u32_e32 v23, 32, v23
	v_lshrrev_b32_e32 v28, 29, v1
	v_not_b32_e32 v25, v23
	v_alignbit_b32 v21, v22, v21, v25
	v_lshlrev_b32_e32 v22, 31, v28
	v_or_b32_e32 v25, 0x33000000, v22
	v_add_lshl_u32 v23, v23, v24, 23
	v_lshrrev_b32_e32 v21, 9, v21
	v_sub_u32_e32 v23, v25, v23
	v_or_b32_e32 v22, 0.5, v22
	v_lshlrev_b32_e32 v24, 23, v24
	v_or_b32_e32 v21, v23, v21
	v_lshrrev_b32_e32 v23, 9, v26
	v_sub_u32_e32 v22, v22, v24
	v_or_b32_e32 v22, v23, v22
	v_mul_f32_e32 v23, 0x3fc90fda, v22
	v_fma_f32 v24, v22, s35, -v23
	v_fmac_f32_e32 v24, 0x33a22168, v22
	v_fmac_f32_e32 v24, 0x3fc90fda, v21
	v_lshrrev_b32_e32 v1, 30, v1
	v_add_f32_e32 v21, v23, v24
	v_add_u32_e32 v22, v30, v1
.LBB96_10:                              ;   in Loop: Header=BB96_4 Depth=1
	s_andn2_saveexec_b64 s[0:1], s[22:23]
; %bb.11:                               ;   in Loop: Header=BB96_4 Depth=1
	v_mul_f32_e64 v1, |v19|, s36
	v_rndne_f32_e32 v1, v1
	v_cvt_i32_f32_e32 v22, v1
	v_fma_f32 v21, v1, s37, |v19|
	v_fmac_f32_e32 v21, 0xb3a22168, v1
	v_fmac_f32_e32 v21, 0xa7c234c4, v1
; %bb.12:                               ;   in Loop: Header=BB96_4 Depth=1
	s_or_b64 exec, exec, s[0:1]
	v_alignbit_b32 v1, v6, v5, 16
	v_and_b32_e32 v5, 0xffff0000, v1
	v_and_b32_e32 v23, 0x7fffffff, v5
	v_cmp_nlt_f32_e64 s[0:1], |v5|, s26
                                        ; implicit-def: $vgpr26
                                        ; implicit-def: $vgpr25
	s_and_saveexec_b64 s[2:3], s[0:1]
	s_xor_b64 s[22:23], exec, s[2:3]
	s_cbranch_execz .LBB96_14
; %bb.13:                               ;   in Loop: Header=BB96_4 Depth=1
	v_and_b32_e32 v1, 0x7fffff, v23
	v_or_b32_e32 v31, 0x800000, v1
	v_mad_u64_u32 v[24:25], s[0:1], v31, s27, 0
	v_mov_b32_e32 v1, v25
	v_mad_u64_u32 v[25:26], s[0:1], v31, s28, v[1:2]
	v_mov_b32_e32 v1, v26
	;; [unrolled: 2-line block ×3, first 2 shown]
	v_mad_u64_u32 v[27:28], s[0:1], v31, s30, v[1:2]
	v_lshrrev_b32_e32 v1, 23, v23
	v_add_u32_e32 v30, 0xffffff88, v1
	v_mov_b32_e32 v1, v28
	v_mad_u64_u32 v[28:29], s[0:1], v31, s31, v[1:2]
	v_cmp_lt_u32_e32 vcc, 63, v30
	v_cndmask_b32_e32 v1, 0, v11, vcc
	v_add_u32_e32 v32, v1, v30
	v_mov_b32_e32 v1, v29
	v_mad_u64_u32 v[29:30], s[0:1], v31, s33, v[1:2]
	v_cmp_lt_u32_e64 s[0:1], 31, v32
	v_cndmask_b32_e64 v1, 0, v12, s[0:1]
	v_add_u32_e32 v32, v1, v32
	v_mov_b32_e32 v1, v30
	v_mad_u64_u32 v[30:31], s[2:3], v31, s34, v[1:2]
	v_cmp_lt_u32_e64 s[2:3], 31, v32
	v_cndmask_b32_e64 v1, 0, v12, s[2:3]
	v_add_u32_e32 v1, v1, v32
	v_cndmask_b32_e32 v32, v29, v27, vcc
	v_cndmask_b32_e32 v30, v30, v28, vcc
	v_cndmask_b32_e32 v29, v31, v29, vcc
	v_cndmask_b32_e32 v28, v28, v26, vcc
	v_cndmask_b32_e64 v31, v30, v32, s[0:1]
	v_cndmask_b32_e64 v29, v29, v30, s[0:1]
	;; [unrolled: 1-line block ×3, first 2 shown]
	v_cndmask_b32_e32 v25, v27, v25, vcc
	v_cndmask_b32_e64 v29, v29, v31, s[2:3]
	v_cndmask_b32_e64 v31, v31, v30, s[2:3]
	v_sub_u32_e32 v32, 32, v1
	v_cndmask_b32_e64 v27, v28, v25, s[0:1]
	v_alignbit_b32 v33, v29, v31, v32
	v_cmp_eq_u32_e64 s[6:7], 0, v1
	v_cndmask_b32_e64 v28, v30, v27, s[2:3]
	v_cndmask_b32_e64 v1, v33, v29, s[6:7]
	v_alignbit_b32 v29, v31, v28, v32
	v_cndmask_b32_e32 v24, v26, v24, vcc
	v_cndmask_b32_e64 v29, v29, v31, s[6:7]
	v_bfe_u32 v33, v1, 29, 1
	v_cndmask_b32_e64 v24, v25, v24, s[0:1]
	v_alignbit_b32 v30, v1, v29, 30
	v_sub_u32_e32 v34, 0, v33
	v_cndmask_b32_e64 v24, v27, v24, s[2:3]
	v_xor_b32_e32 v30, v30, v34
	v_alignbit_b32 v25, v28, v24, v32
	v_cndmask_b32_e64 v25, v25, v28, s[6:7]
	v_ffbh_u32_e32 v27, v30
	v_alignbit_b32 v26, v29, v25, 30
	v_min_u32_e32 v27, 32, v27
	v_alignbit_b32 v24, v25, v24, 30
	v_xor_b32_e32 v26, v26, v34
	v_sub_u32_e32 v28, 31, v27
	v_xor_b32_e32 v24, v24, v34
	v_alignbit_b32 v29, v30, v26, v28
	v_alignbit_b32 v24, v26, v24, v28
	v_alignbit_b32 v25, v29, v24, 9
	v_ffbh_u32_e32 v26, v25
	v_min_u32_e32 v26, 32, v26
	v_lshrrev_b32_e32 v31, 29, v1
	v_not_b32_e32 v28, v26
	v_alignbit_b32 v24, v25, v24, v28
	v_lshlrev_b32_e32 v25, 31, v31
	v_or_b32_e32 v28, 0x33000000, v25
	v_add_lshl_u32 v26, v26, v27, 23
	v_lshrrev_b32_e32 v24, 9, v24
	v_sub_u32_e32 v26, v28, v26
	v_or_b32_e32 v25, 0.5, v25
	v_lshlrev_b32_e32 v27, 23, v27
	v_or_b32_e32 v24, v26, v24
	v_lshrrev_b32_e32 v26, 9, v29
	v_sub_u32_e32 v25, v25, v27
	v_or_b32_e32 v25, v26, v25
	v_mul_f32_e32 v26, 0x3fc90fda, v25
	v_fma_f32 v27, v25, s35, -v26
	v_fmac_f32_e32 v27, 0x33a22168, v25
	v_fmac_f32_e32 v27, 0x3fc90fda, v24
	v_lshrrev_b32_e32 v1, 30, v1
	v_add_f32_e32 v25, v26, v27
	v_add_u32_e32 v26, v33, v1
.LBB96_14:                              ;   in Loop: Header=BB96_4 Depth=1
	s_andn2_saveexec_b64 s[0:1], s[22:23]
; %bb.15:                               ;   in Loop: Header=BB96_4 Depth=1
	v_mul_f32_e64 v1, |v5|, s36
	v_rndne_f32_e32 v1, v1
	v_cvt_i32_f32_e32 v26, v1
	v_fma_f32 v25, v1, s37, |v5|
	v_fmac_f32_e32 v25, 0xb3a22168, v1
	v_fmac_f32_e32 v25, 0xa7c234c4, v1
; %bb.16:                               ;   in Loop: Header=BB96_4 Depth=1
	s_or_b64 exec, exec, s[0:1]
	v_and_b32_e32 v6, 0xffff0000, v6
	v_and_b32_e32 v24, 0x7fffffff, v6
	v_cmp_nlt_f32_e64 s[0:1], |v6|, s26
                                        ; implicit-def: $vgpr27
                                        ; implicit-def: $vgpr1
	s_and_saveexec_b64 s[2:3], s[0:1]
	s_xor_b64 s[22:23], exec, s[2:3]
	s_cbranch_execz .LBB96_18
; %bb.17:                               ;   in Loop: Header=BB96_4 Depth=1
	v_and_b32_e32 v1, 0x7fffff, v24
	v_or_b32_e32 v34, 0x800000, v1
	v_mad_u64_u32 v[27:28], s[0:1], v34, s27, 0
	v_mov_b32_e32 v1, v28
	v_mad_u64_u32 v[28:29], s[0:1], v34, s28, v[1:2]
	v_mov_b32_e32 v1, v29
	;; [unrolled: 2-line block ×3, first 2 shown]
	v_mad_u64_u32 v[30:31], s[0:1], v34, s30, v[1:2]
	v_lshrrev_b32_e32 v1, 23, v24
	v_add_u32_e32 v33, 0xffffff88, v1
	v_mov_b32_e32 v1, v31
	v_mad_u64_u32 v[31:32], s[0:1], v34, s31, v[1:2]
	v_cmp_lt_u32_e32 vcc, 63, v33
	v_cndmask_b32_e32 v1, 0, v11, vcc
	v_add_u32_e32 v35, v1, v33
	v_mov_b32_e32 v1, v32
	v_mad_u64_u32 v[32:33], s[0:1], v34, s33, v[1:2]
	v_cmp_lt_u32_e64 s[0:1], 31, v35
	v_cndmask_b32_e64 v1, 0, v12, s[0:1]
	v_add_u32_e32 v35, v1, v35
	v_mov_b32_e32 v1, v33
	v_mad_u64_u32 v[33:34], s[2:3], v34, s34, v[1:2]
	v_cmp_lt_u32_e64 s[2:3], 31, v35
	v_cndmask_b32_e64 v1, 0, v12, s[2:3]
	v_add_u32_e32 v1, v1, v35
	v_cndmask_b32_e32 v35, v32, v30, vcc
	v_cndmask_b32_e32 v33, v33, v31, vcc
	;; [unrolled: 1-line block ×4, first 2 shown]
	v_cndmask_b32_e64 v34, v33, v35, s[0:1]
	v_cndmask_b32_e64 v32, v32, v33, s[0:1]
	;; [unrolled: 1-line block ×3, first 2 shown]
	v_sub_u32_e32 v35, 32, v1
	v_cmp_eq_u32_e64 s[6:7], 0, v1
	v_cndmask_b32_e32 v1, v30, v28, vcc
	v_cndmask_b32_e64 v32, v32, v34, s[2:3]
	v_cndmask_b32_e64 v34, v34, v33, s[2:3]
	;; [unrolled: 1-line block ×3, first 2 shown]
	v_alignbit_b32 v36, v32, v34, v35
	v_cndmask_b32_e64 v30, v33, v28, s[2:3]
	v_cndmask_b32_e64 v32, v36, v32, s[6:7]
	v_alignbit_b32 v31, v34, v30, v35
	v_cndmask_b32_e32 v27, v29, v27, vcc
	v_cndmask_b32_e64 v31, v31, v34, s[6:7]
	v_bfe_u32 v36, v32, 29, 1
	v_cndmask_b32_e64 v1, v1, v27, s[0:1]
	v_alignbit_b32 v33, v32, v31, 30
	v_sub_u32_e32 v37, 0, v36
	v_cndmask_b32_e64 v1, v28, v1, s[2:3]
	v_xor_b32_e32 v33, v33, v37
	v_alignbit_b32 v27, v30, v1, v35
	v_cndmask_b32_e64 v27, v27, v30, s[6:7]
	v_ffbh_u32_e32 v29, v33
	v_alignbit_b32 v28, v31, v27, 30
	v_min_u32_e32 v29, 32, v29
	v_alignbit_b32 v1, v27, v1, 30
	v_xor_b32_e32 v28, v28, v37
	v_sub_u32_e32 v30, 31, v29
	v_xor_b32_e32 v1, v1, v37
	v_alignbit_b32 v31, v33, v28, v30
	v_alignbit_b32 v1, v28, v1, v30
	;; [unrolled: 1-line block ×3, first 2 shown]
	v_ffbh_u32_e32 v28, v27
	v_min_u32_e32 v28, 32, v28
	v_lshrrev_b32_e32 v34, 29, v32
	v_not_b32_e32 v30, v28
	v_alignbit_b32 v1, v27, v1, v30
	v_lshlrev_b32_e32 v27, 31, v34
	v_or_b32_e32 v30, 0x33000000, v27
	v_add_lshl_u32 v28, v28, v29, 23
	v_lshrrev_b32_e32 v1, 9, v1
	v_sub_u32_e32 v28, v30, v28
	v_or_b32_e32 v27, 0.5, v27
	v_lshlrev_b32_e32 v29, 23, v29
	v_or_b32_e32 v1, v28, v1
	v_lshrrev_b32_e32 v28, 9, v31
	v_sub_u32_e32 v27, v27, v29
	v_or_b32_e32 v27, v28, v27
	v_mul_f32_e32 v28, 0x3fc90fda, v27
	v_fma_f32 v29, v27, s35, -v28
	v_fmac_f32_e32 v29, 0x33a22168, v27
	v_fmac_f32_e32 v29, 0x3fc90fda, v1
	v_lshrrev_b32_e32 v27, 30, v32
	v_add_f32_e32 v1, v28, v29
	v_add_u32_e32 v27, v36, v27
.LBB96_18:                              ;   in Loop: Header=BB96_4 Depth=1
	s_andn2_saveexec_b64 s[0:1], s[22:23]
	s_cbranch_execz .LBB96_3
; %bb.19:                               ;   in Loop: Header=BB96_4 Depth=1
	v_mul_f32_e64 v1, |v6|, s36
	v_rndne_f32_e32 v28, v1
	v_cvt_i32_f32_e32 v27, v28
	v_fma_f32 v1, v28, s37, |v6|
	v_fmac_f32_e32 v1, 0xb3a22168, v28
	v_fmac_f32_e32 v1, 0xa7c234c4, v28
	s_branch .LBB96_3
.LBB96_20:
	s_or_b64 exec, exec, s[18:19]
	s_mov_b64 s[0:1], 0
.LBB96_21:
	s_andn2_b64 vcc, exec, s[0:1]
	s_cbranch_vccnz .LBB96_57
; %bb.22:
	v_cmp_lt_i64_e64 s[0:1], s[12:13], 1
	s_and_b64 vcc, exec, s[0:1]
	s_cbranch_vccnz .LBB96_57
; %bb.23:
	v_mov_b32_e32 v3, 0x10000
	s_load_dword s2, s[4:5], 0xc5c
	v_mov_b32_e32 v4, 0
	v_cmp_lt_i64_e32 vcc, s[12:13], v[3:4]
	v_mov_b32_e32 v2, 0
	s_and_b64 s[0:1], vcc, exec
	v_cmp_lt_u64_e32 vcc, s[12:13], v[3:4]
	s_cselect_b32 s17, s13, 0
	s_cselect_b32 s16, s12, 0x10000
	s_waitcnt lgkmcnt(0)
	s_and_b32 s2, s2, 0xffff
	v_lshlrev_b32_e32 v1, 1, v0
	s_and_b64 s[0:1], vcc, exec
	v_mov_b32_e32 v4, s11
	v_add_co_u32_e32 v3, vcc, s10, v1
	v_mad_u64_u32 v[9:10], s[0:1], s2, 6, v[1:2]
	v_addc_co_u32_e32 v4, vcc, 0, v4, vcc
	v_mov_b32_e32 v6, s9
	v_add_co_u32_e32 v5, vcc, s8, v1
	v_addc_co_u32_e32 v6, vcc, 0, v6, vcc
	v_mov_b32_e32 v8, s11
	v_add_co_u32_e32 v7, vcc, s10, v9
	;; [unrolled: 3-line block ×3, first 2 shown]
	s_cselect_b32 s19, s13, 0
	s_cselect_b32 s18, s12, 0x10000
	s_lshl_b32 s24, s2, 2
	v_addc_co_u32_e32 v10, vcc, v11, v10, vcc
	v_add_co_u32_e32 v1, vcc, s24, v1
	v_addc_co_u32_e64 v14, s[0:1], 0, 0, vcc
	v_mov_b32_e32 v12, s11
	v_add_co_u32_e32 v11, vcc, s10, v1
	v_addc_co_u32_e32 v12, vcc, v12, v14, vcc
	v_mov_b32_e32 v15, s9
	v_add_co_u32_e32 v13, vcc, s8, v1
	v_addc_co_u32_e32 v14, vcc, v15, v14, vcc
	v_add_co_u32_e32 v15, vcc, s2, v0
	v_lshlrev_b32_e32 v1, 1, v15
	v_addc_co_u32_e64 v16, s[0:1], 0, 0, vcc
	v_mov_b32_e32 v18, s11
	v_add_co_u32_e32 v17, vcc, s10, v1
	v_addc_co_u32_e32 v18, vcc, 0, v18, vcc
	v_mov_b32_e32 v20, s9
	v_add_co_u32_e32 v19, vcc, s8, v1
	s_mul_i32 s4, s2, 3
	v_addc_co_u32_e32 v20, vcc, 0, v20, vcc
	s_lshl_b32 s3, s2, 1
	v_add_co_u32_e32 v21, vcc, s4, v0
	v_addc_co_u32_e64 v22, s[0:1], 0, 0, vcc
	v_add_co_u32_e32 v23, vcc, s3, v0
	s_lshl_b32 s25, s2, 3
	s_mov_b64 s[20:21], 0
	s_brev_b32 s26, 18
	s_mov_b32 s27, 0xfe5163ab
	s_mov_b32 s28, 0x3c439041
	;; [unrolled: 1-line block ×10, first 2 shown]
	s_movk_i32 s38, 0x1f8
	s_movk_i32 s39, 0x7fff
	v_addc_co_u32_e64 v24, s[0:1], 0, 0, vcc
	v_mov_b32_e32 v25, 0x3f93f425
	v_not_b32_e32 v26, 63
	v_not_b32_e32 v27, 31
	v_mov_b32_e32 v28, 0x7fc00000
	v_mov_b32_e32 v29, 0x7fc0
	s_branch .LBB96_25
.LBB96_24:                              ;   in Loop: Header=BB96_25 Depth=1
	s_or_b64 exec, exec, s[2:3]
	v_add_co_u32_e32 v3, vcc, s25, v3
	v_addc_co_u32_e32 v4, vcc, 0, v4, vcc
	v_add_co_u32_e32 v5, vcc, s25, v5
	v_addc_co_u32_e32 v6, vcc, 0, v6, vcc
	;; [unrolled: 2-line block ×6, first 2 shown]
	s_add_u32 s20, s20, s24
	v_add_co_u32_e32 v17, vcc, s25, v17
	v_mov_b32_e32 v31, s17
	s_addc_u32 s21, s21, 0
	v_addc_co_u32_e32 v18, vcc, 0, v18, vcc
	v_mov_b32_e32 v30, s16
	v_cmp_ge_i64_e32 vcc, s[20:21], v[30:31]
	v_add_co_u32_e64 v19, s[0:1], s25, v19
	v_addc_co_u32_e64 v20, s[0:1], 0, v20, s[0:1]
	s_cbranch_vccnz .LBB96_57
.LBB96_25:                              ; =>This Inner Loop Header: Depth=1
	v_mov_b32_e32 v1, s21
	v_add_co_u32_e32 v30, vcc, s20, v0
	v_addc_co_u32_e32 v31, vcc, 0, v1, vcc
	v_cmp_gt_u64_e32 vcc, s[18:19], v[30:31]
	v_mov_b32_e32 v33, 0
	s_and_saveexec_b64 s[2:3], vcc
	s_cbranch_execz .LBB96_27
; %bb.26:                               ;   in Loop: Header=BB96_25 Depth=1
	v_mov_b32_e32 v1, s15
	v_add_co_u32_e64 v30, s[0:1], s14, v3
	v_addc_co_u32_e64 v31, s[0:1], v4, v1, s[0:1]
	global_load_ushort v1, v[30:31], off
	s_waitcnt vmcnt(0)
	v_lshlrev_b32_e32 v33, 16, v1
.LBB96_27:                              ;   in Loop: Header=BB96_25 Depth=1
	s_or_b64 exec, exec, s[2:3]
	v_mov_b32_e32 v1, s21
	v_add_co_u32_e64 v30, s[0:1], s20, v15
	v_addc_co_u32_e64 v31, s[0:1], v16, v1, s[0:1]
	v_cmp_gt_u64_e64 s[4:5], s[18:19], v[30:31]
	v_mov_b32_e32 v30, 0
	v_mov_b32_e32 v32, 0
	s_and_saveexec_b64 s[2:3], s[4:5]
	s_cbranch_execz .LBB96_29
; %bb.28:                               ;   in Loop: Header=BB96_25 Depth=1
	v_mov_b32_e32 v1, s15
	v_add_co_u32_e64 v31, s[0:1], s14, v17
	v_addc_co_u32_e64 v32, s[0:1], v18, v1, s[0:1]
	global_load_ushort v1, v[31:32], off
	s_waitcnt vmcnt(0)
	v_lshlrev_b32_e32 v32, 16, v1
.LBB96_29:                              ;   in Loop: Header=BB96_25 Depth=1
	s_or_b64 exec, exec, s[2:3]
	v_mov_b32_e32 v1, s21
	v_add_co_u32_e64 v34, s[0:1], s20, v23
	v_addc_co_u32_e64 v35, s[0:1], v24, v1, s[0:1]
	v_cmp_gt_u64_e64 s[2:3], s[18:19], v[34:35]
	s_and_saveexec_b64 s[6:7], s[2:3]
	s_cbranch_execz .LBB96_31
; %bb.30:                               ;   in Loop: Header=BB96_25 Depth=1
	v_mov_b32_e32 v1, s15
	v_add_co_u32_e64 v30, s[0:1], s14, v11
	v_addc_co_u32_e64 v31, s[0:1], v12, v1, s[0:1]
	global_load_ushort v1, v[30:31], off
	s_waitcnt vmcnt(0)
	v_lshlrev_b32_e32 v30, 16, v1
.LBB96_31:                              ;   in Loop: Header=BB96_25 Depth=1
	s_or_b64 exec, exec, s[6:7]
	v_mov_b32_e32 v1, s21
	v_add_co_u32_e64 v34, s[0:1], s20, v21
	v_addc_co_u32_e64 v35, s[0:1], v22, v1, s[0:1]
	v_cmp_gt_u64_e64 s[0:1], s[18:19], v[34:35]
	v_mov_b32_e32 v31, 0
	s_and_saveexec_b64 s[8:9], s[0:1]
	s_cbranch_execz .LBB96_33
; %bb.32:                               ;   in Loop: Header=BB96_25 Depth=1
	v_mov_b32_e32 v1, s15
	v_add_co_u32_e64 v34, s[6:7], s14, v7
	v_addc_co_u32_e64 v35, s[6:7], v8, v1, s[6:7]
	global_load_ushort v1, v[34:35], off
	s_waitcnt vmcnt(0)
	v_lshlrev_b32_e32 v31, 16, v1
.LBB96_33:                              ;   in Loop: Header=BB96_25 Depth=1
	s_or_b64 exec, exec, s[8:9]
	v_and_b32_e32 v34, 0x7fffffff, v33
	v_cmp_nlt_f32_e64 s[6:7], |v33|, s26
                                        ; implicit-def: $vgpr37
                                        ; implicit-def: $vgpr36
	s_and_saveexec_b64 s[8:9], s[6:7]
	s_xor_b64 s[22:23], exec, s[8:9]
	s_cbranch_execz .LBB96_35
; %bb.34:                               ;   in Loop: Header=BB96_25 Depth=1
	v_and_b32_e32 v1, 0x7fffff, v34
	v_or_b32_e32 v42, 0x800000, v1
	v_mad_u64_u32 v[35:36], s[6:7], v42, s27, 0
	v_mov_b32_e32 v1, v36
	v_mad_u64_u32 v[36:37], s[6:7], v42, s28, v[1:2]
	v_mov_b32_e32 v1, v37
	;; [unrolled: 2-line block ×3, first 2 shown]
	v_mad_u64_u32 v[38:39], s[6:7], v42, s30, v[1:2]
	v_lshrrev_b32_e32 v1, 23, v34
	v_add_u32_e32 v41, 0xffffff88, v1
	v_mov_b32_e32 v1, v39
	v_mad_u64_u32 v[39:40], s[6:7], v42, s31, v[1:2]
	v_cmp_lt_u32_e64 s[6:7], 63, v41
	v_cndmask_b32_e64 v1, 0, v26, s[6:7]
	v_add_u32_e32 v43, v1, v41
	v_mov_b32_e32 v1, v40
	v_mad_u64_u32 v[40:41], s[8:9], v42, s33, v[1:2]
	v_cmp_lt_u32_e64 s[8:9], 31, v43
	v_cndmask_b32_e64 v1, 0, v27, s[8:9]
	;; [unrolled: 5-line block ×3, first 2 shown]
	v_add_u32_e32 v1, v1, v43
	v_cndmask_b32_e64 v43, v40, v38, s[6:7]
	v_cndmask_b32_e64 v41, v41, v39, s[6:7]
	;; [unrolled: 1-line block ×10, first 2 shown]
	v_sub_u32_e32 v43, 32, v1
	v_cndmask_b32_e64 v38, v39, v36, s[8:9]
	v_alignbit_b32 v44, v40, v42, v43
	v_cmp_eq_u32_e64 s[12:13], 0, v1
	v_cndmask_b32_e64 v39, v41, v38, s[10:11]
	v_cndmask_b32_e64 v1, v44, v40, s[12:13]
	v_alignbit_b32 v40, v42, v39, v43
	v_cndmask_b32_e64 v35, v37, v35, s[6:7]
	v_cndmask_b32_e64 v40, v40, v42, s[12:13]
	v_bfe_u32 v44, v1, 29, 1
	v_cndmask_b32_e64 v35, v36, v35, s[8:9]
	v_alignbit_b32 v41, v1, v40, 30
	v_sub_u32_e32 v45, 0, v44
	v_cndmask_b32_e64 v35, v38, v35, s[10:11]
	v_xor_b32_e32 v41, v41, v45
	v_alignbit_b32 v36, v39, v35, v43
	v_cndmask_b32_e64 v36, v36, v39, s[12:13]
	v_ffbh_u32_e32 v38, v41
	v_alignbit_b32 v37, v40, v36, 30
	v_min_u32_e32 v38, 32, v38
	v_alignbit_b32 v35, v36, v35, 30
	v_xor_b32_e32 v37, v37, v45
	v_sub_u32_e32 v39, 31, v38
	v_xor_b32_e32 v35, v35, v45
	v_alignbit_b32 v40, v41, v37, v39
	v_alignbit_b32 v35, v37, v35, v39
	;; [unrolled: 1-line block ×3, first 2 shown]
	v_ffbh_u32_e32 v37, v36
	v_min_u32_e32 v37, 32, v37
	v_lshrrev_b32_e32 v42, 29, v1
	v_not_b32_e32 v39, v37
	v_alignbit_b32 v35, v36, v35, v39
	v_lshlrev_b32_e32 v36, 31, v42
	v_or_b32_e32 v39, 0x33000000, v36
	v_add_lshl_u32 v37, v37, v38, 23
	v_lshrrev_b32_e32 v35, 9, v35
	v_sub_u32_e32 v37, v39, v37
	v_or_b32_e32 v36, 0.5, v36
	v_lshlrev_b32_e32 v38, 23, v38
	v_or_b32_e32 v35, v37, v35
	v_lshrrev_b32_e32 v37, 9, v40
	v_sub_u32_e32 v36, v36, v38
	v_or_b32_e32 v36, v37, v36
	v_mul_f32_e32 v37, 0x3fc90fda, v36
	v_fma_f32 v38, v36, s35, -v37
	v_fmac_f32_e32 v38, 0x33a22168, v36
	v_fmac_f32_e32 v38, 0x3fc90fda, v35
	v_lshrrev_b32_e32 v1, 30, v1
	v_add_f32_e32 v36, v37, v38
	v_add_u32_e32 v37, v44, v1
.LBB96_35:                              ;   in Loop: Header=BB96_25 Depth=1
	s_andn2_saveexec_b64 s[6:7], s[22:23]
; %bb.36:                               ;   in Loop: Header=BB96_25 Depth=1
	v_mul_f32_e64 v1, |v33|, s36
	v_rndne_f32_e32 v1, v1
	v_cvt_i32_f32_e32 v37, v1
	v_fma_f32 v36, v1, s37, |v33|
	v_fmac_f32_e32 v36, 0xb3a22168, v1
	v_fmac_f32_e32 v36, 0xa7c234c4, v1
; %bb.37:                               ;   in Loop: Header=BB96_25 Depth=1
	s_or_b64 exec, exec, s[6:7]
	v_and_b32_e32 v35, 0x7fffffff, v32
	v_cmp_nlt_f32_e64 s[6:7], |v32|, s26
                                        ; implicit-def: $vgpr40
                                        ; implicit-def: $vgpr39
	s_and_saveexec_b64 s[8:9], s[6:7]
	s_xor_b64 s[22:23], exec, s[8:9]
	s_cbranch_execz .LBB96_39
; %bb.38:                               ;   in Loop: Header=BB96_25 Depth=1
	v_and_b32_e32 v1, 0x7fffff, v35
	v_or_b32_e32 v45, 0x800000, v1
	v_mad_u64_u32 v[38:39], s[6:7], v45, s27, 0
	v_mov_b32_e32 v1, v39
	v_mad_u64_u32 v[39:40], s[6:7], v45, s28, v[1:2]
	v_mov_b32_e32 v1, v40
	;; [unrolled: 2-line block ×3, first 2 shown]
	v_mad_u64_u32 v[41:42], s[6:7], v45, s30, v[1:2]
	v_lshrrev_b32_e32 v1, 23, v35
	v_add_u32_e32 v44, 0xffffff88, v1
	v_mov_b32_e32 v1, v42
	v_mad_u64_u32 v[42:43], s[6:7], v45, s31, v[1:2]
	v_cmp_lt_u32_e64 s[6:7], 63, v44
	v_cndmask_b32_e64 v1, 0, v26, s[6:7]
	v_add_u32_e32 v46, v1, v44
	v_mov_b32_e32 v1, v43
	v_mad_u64_u32 v[43:44], s[8:9], v45, s33, v[1:2]
	v_cmp_lt_u32_e64 s[8:9], 31, v46
	v_cndmask_b32_e64 v1, 0, v27, s[8:9]
	;; [unrolled: 5-line block ×3, first 2 shown]
	v_add_u32_e32 v1, v1, v46
	v_cndmask_b32_e64 v46, v43, v41, s[6:7]
	v_cndmask_b32_e64 v44, v44, v42, s[6:7]
	;; [unrolled: 1-line block ×10, first 2 shown]
	v_sub_u32_e32 v46, 32, v1
	v_cndmask_b32_e64 v41, v42, v39, s[8:9]
	v_alignbit_b32 v47, v43, v45, v46
	v_cmp_eq_u32_e64 s[12:13], 0, v1
	v_cndmask_b32_e64 v42, v44, v41, s[10:11]
	v_cndmask_b32_e64 v1, v47, v43, s[12:13]
	v_alignbit_b32 v43, v45, v42, v46
	v_cndmask_b32_e64 v38, v40, v38, s[6:7]
	v_cndmask_b32_e64 v43, v43, v45, s[12:13]
	v_bfe_u32 v47, v1, 29, 1
	v_cndmask_b32_e64 v38, v39, v38, s[8:9]
	v_alignbit_b32 v44, v1, v43, 30
	v_sub_u32_e32 v48, 0, v47
	v_cndmask_b32_e64 v38, v41, v38, s[10:11]
	v_xor_b32_e32 v44, v44, v48
	v_alignbit_b32 v39, v42, v38, v46
	v_cndmask_b32_e64 v39, v39, v42, s[12:13]
	v_ffbh_u32_e32 v41, v44
	v_alignbit_b32 v40, v43, v39, 30
	v_min_u32_e32 v41, 32, v41
	v_alignbit_b32 v38, v39, v38, 30
	v_xor_b32_e32 v40, v40, v48
	v_sub_u32_e32 v42, 31, v41
	v_xor_b32_e32 v38, v38, v48
	v_alignbit_b32 v43, v44, v40, v42
	v_alignbit_b32 v38, v40, v38, v42
	;; [unrolled: 1-line block ×3, first 2 shown]
	v_ffbh_u32_e32 v40, v39
	v_min_u32_e32 v40, 32, v40
	v_lshrrev_b32_e32 v45, 29, v1
	v_not_b32_e32 v42, v40
	v_alignbit_b32 v38, v39, v38, v42
	v_lshlrev_b32_e32 v39, 31, v45
	v_or_b32_e32 v42, 0x33000000, v39
	v_add_lshl_u32 v40, v40, v41, 23
	v_lshrrev_b32_e32 v38, 9, v38
	v_sub_u32_e32 v40, v42, v40
	v_or_b32_e32 v39, 0.5, v39
	v_lshlrev_b32_e32 v41, 23, v41
	v_or_b32_e32 v38, v40, v38
	v_lshrrev_b32_e32 v40, 9, v43
	v_sub_u32_e32 v39, v39, v41
	v_or_b32_e32 v39, v40, v39
	v_mul_f32_e32 v40, 0x3fc90fda, v39
	v_fma_f32 v41, v39, s35, -v40
	v_fmac_f32_e32 v41, 0x33a22168, v39
	v_fmac_f32_e32 v41, 0x3fc90fda, v38
	v_lshrrev_b32_e32 v1, 30, v1
	v_add_f32_e32 v39, v40, v41
	v_add_u32_e32 v40, v47, v1
.LBB96_39:                              ;   in Loop: Header=BB96_25 Depth=1
	s_andn2_saveexec_b64 s[6:7], s[22:23]
; %bb.40:                               ;   in Loop: Header=BB96_25 Depth=1
	v_mul_f32_e64 v1, |v32|, s36
	v_rndne_f32_e32 v1, v1
	v_cvt_i32_f32_e32 v40, v1
	v_fma_f32 v39, v1, s37, |v32|
	v_fmac_f32_e32 v39, 0xb3a22168, v1
	v_fmac_f32_e32 v39, 0xa7c234c4, v1
; %bb.41:                               ;   in Loop: Header=BB96_25 Depth=1
	s_or_b64 exec, exec, s[6:7]
	v_and_b32_e32 v38, 0x7fffffff, v30
	v_cmp_nlt_f32_e64 s[6:7], |v30|, s26
                                        ; implicit-def: $vgpr43
                                        ; implicit-def: $vgpr42
	s_and_saveexec_b64 s[8:9], s[6:7]
	s_xor_b64 s[22:23], exec, s[8:9]
	s_cbranch_execz .LBB96_43
; %bb.42:                               ;   in Loop: Header=BB96_25 Depth=1
	v_and_b32_e32 v1, 0x7fffff, v38
	v_or_b32_e32 v48, 0x800000, v1
	v_mad_u64_u32 v[41:42], s[6:7], v48, s27, 0
	v_mov_b32_e32 v1, v42
	v_mad_u64_u32 v[42:43], s[6:7], v48, s28, v[1:2]
	v_mov_b32_e32 v1, v43
	;; [unrolled: 2-line block ×3, first 2 shown]
	v_mad_u64_u32 v[44:45], s[6:7], v48, s30, v[1:2]
	v_lshrrev_b32_e32 v1, 23, v38
	v_add_u32_e32 v47, 0xffffff88, v1
	v_mov_b32_e32 v1, v45
	v_mad_u64_u32 v[45:46], s[6:7], v48, s31, v[1:2]
	v_cmp_lt_u32_e64 s[6:7], 63, v47
	v_cndmask_b32_e64 v1, 0, v26, s[6:7]
	v_add_u32_e32 v49, v1, v47
	v_mov_b32_e32 v1, v46
	v_mad_u64_u32 v[46:47], s[8:9], v48, s33, v[1:2]
	v_cmp_lt_u32_e64 s[8:9], 31, v49
	v_cndmask_b32_e64 v1, 0, v27, s[8:9]
	;; [unrolled: 5-line block ×3, first 2 shown]
	v_add_u32_e32 v1, v1, v49
	v_cndmask_b32_e64 v49, v46, v44, s[6:7]
	v_cndmask_b32_e64 v47, v47, v45, s[6:7]
	v_cndmask_b32_e64 v46, v48, v46, s[6:7]
	v_cndmask_b32_e64 v45, v45, v43, s[6:7]
	v_cndmask_b32_e64 v48, v47, v49, s[8:9]
	v_cndmask_b32_e64 v46, v46, v47, s[8:9]
	v_cndmask_b32_e64 v47, v49, v45, s[8:9]
	v_cndmask_b32_e64 v42, v44, v42, s[6:7]
	v_cndmask_b32_e64 v46, v46, v48, s[10:11]
	v_cndmask_b32_e64 v48, v48, v47, s[10:11]
	v_sub_u32_e32 v49, 32, v1
	v_cndmask_b32_e64 v44, v45, v42, s[8:9]
	v_alignbit_b32 v50, v46, v48, v49
	v_cmp_eq_u32_e64 s[12:13], 0, v1
	v_cndmask_b32_e64 v45, v47, v44, s[10:11]
	v_cndmask_b32_e64 v1, v50, v46, s[12:13]
	v_alignbit_b32 v46, v48, v45, v49
	v_cndmask_b32_e64 v41, v43, v41, s[6:7]
	v_cndmask_b32_e64 v46, v46, v48, s[12:13]
	v_bfe_u32 v50, v1, 29, 1
	v_cndmask_b32_e64 v41, v42, v41, s[8:9]
	v_alignbit_b32 v47, v1, v46, 30
	v_sub_u32_e32 v51, 0, v50
	v_cndmask_b32_e64 v41, v44, v41, s[10:11]
	v_xor_b32_e32 v47, v47, v51
	v_alignbit_b32 v42, v45, v41, v49
	v_cndmask_b32_e64 v42, v42, v45, s[12:13]
	v_ffbh_u32_e32 v44, v47
	v_alignbit_b32 v43, v46, v42, 30
	v_min_u32_e32 v44, 32, v44
	v_alignbit_b32 v41, v42, v41, 30
	v_xor_b32_e32 v43, v43, v51
	v_sub_u32_e32 v45, 31, v44
	v_xor_b32_e32 v41, v41, v51
	v_alignbit_b32 v46, v47, v43, v45
	v_alignbit_b32 v41, v43, v41, v45
	;; [unrolled: 1-line block ×3, first 2 shown]
	v_ffbh_u32_e32 v43, v42
	v_min_u32_e32 v43, 32, v43
	v_lshrrev_b32_e32 v48, 29, v1
	v_not_b32_e32 v45, v43
	v_alignbit_b32 v41, v42, v41, v45
	v_lshlrev_b32_e32 v42, 31, v48
	v_or_b32_e32 v45, 0x33000000, v42
	v_add_lshl_u32 v43, v43, v44, 23
	v_lshrrev_b32_e32 v41, 9, v41
	v_sub_u32_e32 v43, v45, v43
	v_or_b32_e32 v42, 0.5, v42
	v_lshlrev_b32_e32 v44, 23, v44
	v_or_b32_e32 v41, v43, v41
	v_lshrrev_b32_e32 v43, 9, v46
	v_sub_u32_e32 v42, v42, v44
	v_or_b32_e32 v42, v43, v42
	v_mul_f32_e32 v43, 0x3fc90fda, v42
	v_fma_f32 v44, v42, s35, -v43
	v_fmac_f32_e32 v44, 0x33a22168, v42
	v_fmac_f32_e32 v44, 0x3fc90fda, v41
	v_lshrrev_b32_e32 v1, 30, v1
	v_add_f32_e32 v42, v43, v44
	v_add_u32_e32 v43, v50, v1
.LBB96_43:                              ;   in Loop: Header=BB96_25 Depth=1
	s_andn2_saveexec_b64 s[6:7], s[22:23]
; %bb.44:                               ;   in Loop: Header=BB96_25 Depth=1
	v_mul_f32_e64 v1, |v30|, s36
	v_rndne_f32_e32 v1, v1
	v_cvt_i32_f32_e32 v43, v1
	v_fma_f32 v42, v1, s37, |v30|
	v_fmac_f32_e32 v42, 0xb3a22168, v1
	v_fmac_f32_e32 v42, 0xa7c234c4, v1
; %bb.45:                               ;   in Loop: Header=BB96_25 Depth=1
	s_or_b64 exec, exec, s[6:7]
	v_and_b32_e32 v41, 0x7fffffff, v31
	v_cmp_nlt_f32_e64 s[6:7], |v31|, s26
                                        ; implicit-def: $vgpr44
                                        ; implicit-def: $vgpr1
	s_and_saveexec_b64 s[8:9], s[6:7]
	s_xor_b64 s[22:23], exec, s[8:9]
	s_cbranch_execnz .LBB96_51
; %bb.46:                               ;   in Loop: Header=BB96_25 Depth=1
	s_andn2_saveexec_b64 s[6:7], s[22:23]
	s_cbranch_execnz .LBB96_52
.LBB96_47:                              ;   in Loop: Header=BB96_25 Depth=1
	s_or_b64 exec, exec, s[6:7]
	s_and_saveexec_b64 s[6:7], vcc
	s_xor_b64 s[6:7], exec, s[6:7]
	s_cbranch_execnz .LBB96_53
.LBB96_48:                              ;   in Loop: Header=BB96_25 Depth=1
	s_or_b64 exec, exec, s[6:7]
	s_and_saveexec_b64 s[6:7], s[4:5]
	s_cbranch_execnz .LBB96_54
.LBB96_49:                              ;   in Loop: Header=BB96_25 Depth=1
	s_or_b64 exec, exec, s[6:7]
	s_and_saveexec_b64 s[4:5], s[2:3]
	s_cbranch_execnz .LBB96_55
.LBB96_50:                              ;   in Loop: Header=BB96_25 Depth=1
	s_or_b64 exec, exec, s[4:5]
	s_and_saveexec_b64 s[2:3], s[0:1]
	s_cbranch_execz .LBB96_24
	s_branch .LBB96_56
.LBB96_51:                              ;   in Loop: Header=BB96_25 Depth=1
	v_and_b32_e32 v1, 0x7fffff, v41
	v_or_b32_e32 v51, 0x800000, v1
	v_mad_u64_u32 v[44:45], s[6:7], v51, s27, 0
	v_mov_b32_e32 v1, v45
	v_mad_u64_u32 v[45:46], s[6:7], v51, s28, v[1:2]
	v_mov_b32_e32 v1, v46
	;; [unrolled: 2-line block ×3, first 2 shown]
	v_mad_u64_u32 v[47:48], s[6:7], v51, s30, v[1:2]
	v_lshrrev_b32_e32 v1, 23, v41
	v_add_u32_e32 v50, 0xffffff88, v1
	v_mov_b32_e32 v1, v48
	v_mad_u64_u32 v[48:49], s[6:7], v51, s31, v[1:2]
	v_cmp_lt_u32_e64 s[6:7], 63, v50
	v_cndmask_b32_e64 v1, 0, v26, s[6:7]
	v_add_u32_e32 v52, v1, v50
	v_mov_b32_e32 v1, v49
	v_mad_u64_u32 v[49:50], s[8:9], v51, s33, v[1:2]
	v_cmp_lt_u32_e64 s[8:9], 31, v52
	v_cndmask_b32_e64 v1, 0, v27, s[8:9]
	;; [unrolled: 5-line block ×3, first 2 shown]
	v_add_u32_e32 v1, v1, v52
	v_cndmask_b32_e64 v52, v49, v47, s[6:7]
	v_cndmask_b32_e64 v50, v50, v48, s[6:7]
	;; [unrolled: 1-line block ×7, first 2 shown]
	v_sub_u32_e32 v52, 32, v1
	v_cmp_eq_u32_e64 s[12:13], 0, v1
	v_cndmask_b32_e64 v1, v47, v45, s[6:7]
	v_cndmask_b32_e64 v49, v49, v51, s[10:11]
	;; [unrolled: 1-line block ×4, first 2 shown]
	v_alignbit_b32 v53, v49, v51, v52
	v_cndmask_b32_e64 v47, v50, v45, s[10:11]
	v_cndmask_b32_e64 v49, v53, v49, s[12:13]
	v_alignbit_b32 v48, v51, v47, v52
	v_cndmask_b32_e64 v44, v46, v44, s[6:7]
	v_cndmask_b32_e64 v48, v48, v51, s[12:13]
	v_bfe_u32 v53, v49, 29, 1
	v_cndmask_b32_e64 v1, v1, v44, s[8:9]
	v_alignbit_b32 v50, v49, v48, 30
	v_sub_u32_e32 v54, 0, v53
	v_cndmask_b32_e64 v1, v45, v1, s[10:11]
	v_xor_b32_e32 v50, v50, v54
	v_alignbit_b32 v44, v47, v1, v52
	v_cndmask_b32_e64 v44, v44, v47, s[12:13]
	v_ffbh_u32_e32 v46, v50
	v_alignbit_b32 v45, v48, v44, 30
	v_min_u32_e32 v46, 32, v46
	v_alignbit_b32 v1, v44, v1, 30
	v_xor_b32_e32 v45, v45, v54
	v_sub_u32_e32 v47, 31, v46
	v_xor_b32_e32 v1, v1, v54
	v_alignbit_b32 v48, v50, v45, v47
	v_alignbit_b32 v1, v45, v1, v47
	;; [unrolled: 1-line block ×3, first 2 shown]
	v_ffbh_u32_e32 v45, v44
	v_min_u32_e32 v45, 32, v45
	v_lshrrev_b32_e32 v51, 29, v49
	v_not_b32_e32 v47, v45
	v_alignbit_b32 v1, v44, v1, v47
	v_lshlrev_b32_e32 v44, 31, v51
	v_or_b32_e32 v47, 0x33000000, v44
	v_add_lshl_u32 v45, v45, v46, 23
	v_lshrrev_b32_e32 v1, 9, v1
	v_sub_u32_e32 v45, v47, v45
	v_or_b32_e32 v44, 0.5, v44
	v_lshlrev_b32_e32 v46, 23, v46
	v_or_b32_e32 v1, v45, v1
	v_lshrrev_b32_e32 v45, 9, v48
	v_sub_u32_e32 v44, v44, v46
	v_or_b32_e32 v44, v45, v44
	v_mul_f32_e32 v45, 0x3fc90fda, v44
	v_fma_f32 v46, v44, s35, -v45
	v_fmac_f32_e32 v46, 0x33a22168, v44
	v_fmac_f32_e32 v46, 0x3fc90fda, v1
	v_lshrrev_b32_e32 v44, 30, v49
	v_add_f32_e32 v1, v45, v46
	v_add_u32_e32 v44, v53, v44
	s_andn2_saveexec_b64 s[6:7], s[22:23]
	s_cbranch_execz .LBB96_47
.LBB96_52:                              ;   in Loop: Header=BB96_25 Depth=1
	v_mul_f32_e64 v1, |v31|, s36
	v_rndne_f32_e32 v45, v1
	v_cvt_i32_f32_e32 v44, v45
	v_fma_f32 v1, v45, s37, |v31|
	v_fmac_f32_e32 v1, 0xb3a22168, v45
	v_fmac_f32_e32 v1, 0xa7c234c4, v45
	s_or_b64 exec, exec, s[6:7]
	s_and_saveexec_b64 s[6:7], vcc
	s_xor_b64 s[6:7], exec, s[6:7]
	s_cbranch_execz .LBB96_48
.LBB96_53:                              ;   in Loop: Header=BB96_25 Depth=1
	v_mul_f32_e32 v45, v36, v36
	v_mov_b32_e32 v46, 0xbf039337
	v_fmac_f32_e32 v46, 0x3c971480, v45
	v_fma_f32 v46, v45, v46, v25
	v_rcp_f32_e32 v46, v46
	v_mov_b32_e32 v47, 0x3ec54587
	v_fmac_f32_e32 v47, 0xbc8cedd3, v45
	v_and_b32_e32 v37, 1, v37
	v_mul_f32_e32 v46, v47, v46
	v_mul_f32_e32 v45, v45, v46
	v_fma_f32 v46, v45, v36, v36
	v_rcp_f32_e32 v47, v46
	v_sub_f32_e32 v48, v46, v36
	v_fma_f32 v36, v45, v36, -v48
	v_cmp_eq_u32_e32 vcc, 0, v37
	v_fma_f32 v45, v46, -v47, 1.0
	v_fma_f32 v36, v36, -v47, v45
	v_fma_f32 v36, v36, -v47, -v47
	v_cndmask_b32_e32 v36, v36, v46, vcc
	v_xor_b32_e32 v34, v34, v36
	v_xor_b32_e32 v34, v34, v33
	v_cmp_class_f32_e64 vcc, v33, s38
	v_cndmask_b32_e32 v33, v28, v34, vcc
	v_bfe_u32 v34, v33, 16, 1
	v_add3_u32 v34, v33, v34, s39
	v_cmp_o_f32_e32 vcc, v33, v33
	v_cndmask_b32_sdwa v36, v29, v34, vcc dst_sel:DWORD dst_unused:UNUSED_PAD src0_sel:DWORD src1_sel:WORD_1
	v_mov_b32_e32 v34, s15
	v_add_co_u32_e32 v33, vcc, s14, v5
	v_addc_co_u32_e32 v34, vcc, v6, v34, vcc
	global_store_short v[33:34], v36, off
	s_or_b64 exec, exec, s[6:7]
	s_and_saveexec_b64 s[6:7], s[4:5]
	s_cbranch_execz .LBB96_49
.LBB96_54:                              ;   in Loop: Header=BB96_25 Depth=1
	v_mul_f32_e32 v33, v39, v39
	v_mov_b32_e32 v34, 0xbf039337
	v_fmac_f32_e32 v34, 0x3c971480, v33
	v_fma_f32 v34, v33, v34, v25
	v_rcp_f32_e32 v34, v34
	v_mov_b32_e32 v36, 0x3ec54587
	v_fmac_f32_e32 v36, 0xbc8cedd3, v33
	v_and_b32_e32 v37, 1, v40
	v_mul_f32_e32 v34, v36, v34
	v_mul_f32_e32 v33, v33, v34
	v_fma_f32 v34, v33, v39, v39
	v_rcp_f32_e32 v36, v34
	v_sub_f32_e32 v40, v34, v39
	v_fma_f32 v33, v33, v39, -v40
	v_cmp_eq_u32_e32 vcc, 0, v37
	v_fma_f32 v39, v34, -v36, 1.0
	v_fma_f32 v33, v33, -v36, v39
	v_fma_f32 v33, v33, -v36, -v36
	v_cndmask_b32_e32 v33, v33, v34, vcc
	v_xor_b32_e32 v33, v35, v33
	v_xor_b32_e32 v33, v33, v32
	v_cmp_class_f32_e64 vcc, v32, s38
	v_cndmask_b32_e32 v32, v28, v33, vcc
	v_bfe_u32 v33, v32, 16, 1
	v_add3_u32 v33, v32, v33, s39
	v_cmp_o_f32_e32 vcc, v32, v32
	v_cndmask_b32_sdwa v34, v29, v33, vcc dst_sel:DWORD dst_unused:UNUSED_PAD src0_sel:DWORD src1_sel:WORD_1
	v_mov_b32_e32 v33, s15
	v_add_co_u32_e32 v32, vcc, s14, v19
	v_addc_co_u32_e32 v33, vcc, v20, v33, vcc
	global_store_short v[32:33], v34, off
	s_or_b64 exec, exec, s[6:7]
	s_and_saveexec_b64 s[4:5], s[2:3]
	s_cbranch_execz .LBB96_50
.LBB96_55:                              ;   in Loop: Header=BB96_25 Depth=1
	v_mul_f32_e32 v32, v42, v42
	v_mov_b32_e32 v33, 0xbf039337
	v_fmac_f32_e32 v33, 0x3c971480, v32
	v_fma_f32 v33, v32, v33, v25
	v_rcp_f32_e32 v33, v33
	v_mov_b32_e32 v34, 0x3ec54587
	v_fmac_f32_e32 v34, 0xbc8cedd3, v32
	v_and_b32_e32 v35, 1, v43
	v_mul_f32_e32 v33, v34, v33
	v_mul_f32_e32 v32, v32, v33
	v_fma_f32 v33, v32, v42, v42
	v_rcp_f32_e32 v34, v33
	v_sub_f32_e32 v36, v33, v42
	v_fma_f32 v32, v32, v42, -v36
	v_cmp_eq_u32_e32 vcc, 0, v35
	v_fma_f32 v36, v33, -v34, 1.0
	v_fma_f32 v32, v32, -v34, v36
	v_fma_f32 v32, v32, -v34, -v34
	v_cndmask_b32_e32 v32, v32, v33, vcc
	v_xor_b32_e32 v32, v38, v32
	v_xor_b32_e32 v32, v32, v30
	v_cmp_class_f32_e64 vcc, v30, s38
	v_cndmask_b32_e32 v30, v28, v32, vcc
	v_bfe_u32 v32, v30, 16, 1
	v_add3_u32 v32, v30, v32, s39
	v_cmp_o_f32_e32 vcc, v30, v30
	v_cndmask_b32_sdwa v30, v29, v32, vcc dst_sel:DWORD dst_unused:UNUSED_PAD src0_sel:DWORD src1_sel:WORD_1
	v_mov_b32_e32 v33, s15
	v_add_co_u32_e32 v32, vcc, s14, v13
	v_addc_co_u32_e32 v33, vcc, v14, v33, vcc
	global_store_short v[32:33], v30, off
	s_or_b64 exec, exec, s[4:5]
	s_and_saveexec_b64 s[2:3], s[0:1]
	s_cbranch_execz .LBB96_24
.LBB96_56:                              ;   in Loop: Header=BB96_25 Depth=1
	v_mul_f32_e32 v30, v1, v1
	v_mov_b32_e32 v32, 0xbf039337
	v_fmac_f32_e32 v32, 0x3c971480, v30
	v_fma_f32 v32, v30, v32, v25
	v_rcp_f32_e32 v32, v32
	v_mov_b32_e32 v33, 0x3ec54587
	v_fmac_f32_e32 v33, 0xbc8cedd3, v30
	v_and_b32_e32 v34, 1, v44
	v_mul_f32_e32 v32, v33, v32
	v_mul_f32_e32 v30, v30, v32
	v_fma_f32 v32, v30, v1, v1
	v_rcp_f32_e32 v33, v32
	v_sub_f32_e32 v35, v32, v1
	v_fma_f32 v1, v30, v1, -v35
	v_cmp_eq_u32_e32 vcc, 0, v34
	v_fma_f32 v30, v32, -v33, 1.0
	v_fma_f32 v1, v1, -v33, v30
	v_fma_f32 v1, v1, -v33, -v33
	v_cndmask_b32_e32 v1, v1, v32, vcc
	v_xor_b32_e32 v1, v41, v1
	v_xor_b32_e32 v1, v1, v31
	v_cmp_class_f32_e64 vcc, v31, s38
	v_cndmask_b32_e32 v1, v28, v1, vcc
	v_bfe_u32 v30, v1, 16, 1
	v_add3_u32 v30, v1, v30, s39
	v_cmp_o_f32_e32 vcc, v1, v1
	v_cndmask_b32_sdwa v1, v29, v30, vcc dst_sel:DWORD dst_unused:UNUSED_PAD src0_sel:DWORD src1_sel:WORD_1
	v_mov_b32_e32 v31, s15
	v_add_co_u32_e32 v30, vcc, s14, v9
	v_addc_co_u32_e32 v31, vcc, v10, v31, vcc
	global_store_short v[30:31], v1, off
	s_branch .LBB96_24
.LBB96_57:
	s_endpgm
	.section	.rodata,"a",@progbits
	.p2align	6, 0x0
	.amdhsa_kernel _ZN2at6native12_GLOBAL__N_125multi_tensor_apply_kernelINS1_18TensorListMetadataILi2EEENS1_14UnaryOpFunctorIN3c108BFloat16ELi2ELi1ELi1EEEJNS0_3TanIfEEEEEvT_T0_DpT1_
		.amdhsa_group_segment_fixed_size 0
		.amdhsa_private_segment_fixed_size 0
		.amdhsa_kernarg_size 3408
		.amdhsa_user_sgpr_count 6
		.amdhsa_user_sgpr_private_segment_buffer 1
		.amdhsa_user_sgpr_dispatch_ptr 0
		.amdhsa_user_sgpr_queue_ptr 0
		.amdhsa_user_sgpr_kernarg_segment_ptr 1
		.amdhsa_user_sgpr_dispatch_id 0
		.amdhsa_user_sgpr_flat_scratch_init 0
		.amdhsa_user_sgpr_private_segment_size 0
		.amdhsa_uses_dynamic_stack 0
		.amdhsa_system_sgpr_private_segment_wavefront_offset 0
		.amdhsa_system_sgpr_workgroup_id_x 1
		.amdhsa_system_sgpr_workgroup_id_y 0
		.amdhsa_system_sgpr_workgroup_id_z 0
		.amdhsa_system_sgpr_workgroup_info 0
		.amdhsa_system_vgpr_workitem_id 0
		.amdhsa_next_free_vgpr 55
		.amdhsa_next_free_sgpr 40
		.amdhsa_reserve_vcc 1
		.amdhsa_reserve_flat_scratch 0
		.amdhsa_float_round_mode_32 0
		.amdhsa_float_round_mode_16_64 0
		.amdhsa_float_denorm_mode_32 3
		.amdhsa_float_denorm_mode_16_64 3
		.amdhsa_dx10_clamp 1
		.amdhsa_ieee_mode 1
		.amdhsa_fp16_overflow 0
		.amdhsa_exception_fp_ieee_invalid_op 0
		.amdhsa_exception_fp_denorm_src 0
		.amdhsa_exception_fp_ieee_div_zero 0
		.amdhsa_exception_fp_ieee_overflow 0
		.amdhsa_exception_fp_ieee_underflow 0
		.amdhsa_exception_fp_ieee_inexact 0
		.amdhsa_exception_int_div_zero 0
	.end_amdhsa_kernel
	.section	.text._ZN2at6native12_GLOBAL__N_125multi_tensor_apply_kernelINS1_18TensorListMetadataILi2EEENS1_14UnaryOpFunctorIN3c108BFloat16ELi2ELi1ELi1EEEJNS0_3TanIfEEEEEvT_T0_DpT1_,"axG",@progbits,_ZN2at6native12_GLOBAL__N_125multi_tensor_apply_kernelINS1_18TensorListMetadataILi2EEENS1_14UnaryOpFunctorIN3c108BFloat16ELi2ELi1ELi1EEEJNS0_3TanIfEEEEEvT_T0_DpT1_,comdat
.Lfunc_end96:
	.size	_ZN2at6native12_GLOBAL__N_125multi_tensor_apply_kernelINS1_18TensorListMetadataILi2EEENS1_14UnaryOpFunctorIN3c108BFloat16ELi2ELi1ELi1EEEJNS0_3TanIfEEEEEvT_T0_DpT1_, .Lfunc_end96-_ZN2at6native12_GLOBAL__N_125multi_tensor_apply_kernelINS1_18TensorListMetadataILi2EEENS1_14UnaryOpFunctorIN3c108BFloat16ELi2ELi1ELi1EEEJNS0_3TanIfEEEEEvT_T0_DpT1_
                                        ; -- End function
	.set _ZN2at6native12_GLOBAL__N_125multi_tensor_apply_kernelINS1_18TensorListMetadataILi2EEENS1_14UnaryOpFunctorIN3c108BFloat16ELi2ELi1ELi1EEEJNS0_3TanIfEEEEEvT_T0_DpT1_.num_vgpr, 55
	.set _ZN2at6native12_GLOBAL__N_125multi_tensor_apply_kernelINS1_18TensorListMetadataILi2EEENS1_14UnaryOpFunctorIN3c108BFloat16ELi2ELi1ELi1EEEJNS0_3TanIfEEEEEvT_T0_DpT1_.num_agpr, 0
	.set _ZN2at6native12_GLOBAL__N_125multi_tensor_apply_kernelINS1_18TensorListMetadataILi2EEENS1_14UnaryOpFunctorIN3c108BFloat16ELi2ELi1ELi1EEEJNS0_3TanIfEEEEEvT_T0_DpT1_.numbered_sgpr, 40
	.set _ZN2at6native12_GLOBAL__N_125multi_tensor_apply_kernelINS1_18TensorListMetadataILi2EEENS1_14UnaryOpFunctorIN3c108BFloat16ELi2ELi1ELi1EEEJNS0_3TanIfEEEEEvT_T0_DpT1_.num_named_barrier, 0
	.set _ZN2at6native12_GLOBAL__N_125multi_tensor_apply_kernelINS1_18TensorListMetadataILi2EEENS1_14UnaryOpFunctorIN3c108BFloat16ELi2ELi1ELi1EEEJNS0_3TanIfEEEEEvT_T0_DpT1_.private_seg_size, 0
	.set _ZN2at6native12_GLOBAL__N_125multi_tensor_apply_kernelINS1_18TensorListMetadataILi2EEENS1_14UnaryOpFunctorIN3c108BFloat16ELi2ELi1ELi1EEEJNS0_3TanIfEEEEEvT_T0_DpT1_.uses_vcc, 1
	.set _ZN2at6native12_GLOBAL__N_125multi_tensor_apply_kernelINS1_18TensorListMetadataILi2EEENS1_14UnaryOpFunctorIN3c108BFloat16ELi2ELi1ELi1EEEJNS0_3TanIfEEEEEvT_T0_DpT1_.uses_flat_scratch, 0
	.set _ZN2at6native12_GLOBAL__N_125multi_tensor_apply_kernelINS1_18TensorListMetadataILi2EEENS1_14UnaryOpFunctorIN3c108BFloat16ELi2ELi1ELi1EEEJNS0_3TanIfEEEEEvT_T0_DpT1_.has_dyn_sized_stack, 0
	.set _ZN2at6native12_GLOBAL__N_125multi_tensor_apply_kernelINS1_18TensorListMetadataILi2EEENS1_14UnaryOpFunctorIN3c108BFloat16ELi2ELi1ELi1EEEJNS0_3TanIfEEEEEvT_T0_DpT1_.has_recursion, 0
	.set _ZN2at6native12_GLOBAL__N_125multi_tensor_apply_kernelINS1_18TensorListMetadataILi2EEENS1_14UnaryOpFunctorIN3c108BFloat16ELi2ELi1ELi1EEEJNS0_3TanIfEEEEEvT_T0_DpT1_.has_indirect_call, 0
	.section	.AMDGPU.csdata,"",@progbits
; Kernel info:
; codeLenInByte = 7784
; TotalNumSgprs: 44
; NumVgprs: 55
; ScratchSize: 0
; MemoryBound: 0
; FloatMode: 240
; IeeeMode: 1
; LDSByteSize: 0 bytes/workgroup (compile time only)
; SGPRBlocks: 5
; VGPRBlocks: 13
; NumSGPRsForWavesPerEU: 44
; NumVGPRsForWavesPerEU: 55
; Occupancy: 4
; WaveLimiterHint : 0
; COMPUTE_PGM_RSRC2:SCRATCH_EN: 0
; COMPUTE_PGM_RSRC2:USER_SGPR: 6
; COMPUTE_PGM_RSRC2:TRAP_HANDLER: 0
; COMPUTE_PGM_RSRC2:TGID_X_EN: 1
; COMPUTE_PGM_RSRC2:TGID_Y_EN: 0
; COMPUTE_PGM_RSRC2:TGID_Z_EN: 0
; COMPUTE_PGM_RSRC2:TIDIG_COMP_CNT: 0
	.section	.text._ZN2at6native12_GLOBAL__N_125multi_tensor_apply_kernelINS1_18TensorListMetadataILi1EEENS1_14UnaryOpFunctorIdLi1ELi1ELi0EEEJNS0_3TanIdEEEEEvT_T0_DpT1_,"axG",@progbits,_ZN2at6native12_GLOBAL__N_125multi_tensor_apply_kernelINS1_18TensorListMetadataILi1EEENS1_14UnaryOpFunctorIdLi1ELi1ELi0EEEJNS0_3TanIdEEEEEvT_T0_DpT1_,comdat
	.globl	_ZN2at6native12_GLOBAL__N_125multi_tensor_apply_kernelINS1_18TensorListMetadataILi1EEENS1_14UnaryOpFunctorIdLi1ELi1ELi0EEEJNS0_3TanIdEEEEEvT_T0_DpT1_ ; -- Begin function _ZN2at6native12_GLOBAL__N_125multi_tensor_apply_kernelINS1_18TensorListMetadataILi1EEENS1_14UnaryOpFunctorIdLi1ELi1ELi0EEEJNS0_3TanIdEEEEEvT_T0_DpT1_
	.p2align	8
	.type	_ZN2at6native12_GLOBAL__N_125multi_tensor_apply_kernelINS1_18TensorListMetadataILi1EEENS1_14UnaryOpFunctorIdLi1ELi1ELi0EEEJNS0_3TanIdEEEEEvT_T0_DpT1_,@function
_ZN2at6native12_GLOBAL__N_125multi_tensor_apply_kernelINS1_18TensorListMetadataILi1EEENS1_14UnaryOpFunctorIdLi1ELi1ELi0EEEJNS0_3TanIdEEEEEvT_T0_DpT1_: ; @_ZN2at6native12_GLOBAL__N_125multi_tensor_apply_kernelINS1_18TensorListMetadataILi1EEENS1_14UnaryOpFunctorIdLi1ELi1ELi0EEEJNS0_3TanIdEEEEEvT_T0_DpT1_
; %bb.0:
	v_mov_b32_e32 v1, s6
	global_load_ubyte v1, v1, s[4:5] offset:1760
	s_add_u32 s0, s4, s6
	s_mul_hi_u32 s1, s6, 3
	s_mul_i32 s6, s6, 3
	s_addc_u32 s2, s5, 0
	s_add_u32 s0, s0, s6
	s_addc_u32 s1, s2, s1
	s_load_dword s0, s[0:1], 0x820
	s_mov_b32 s7, 0
	s_waitcnt vmcnt(0)
	v_readfirstlane_b32 s1, v1
	s_lshl_b32 s1, s1, 3
	s_load_dwordx2 s[2:3], s[4:5], s1 offset:0x370
	s_load_dwordx2 s[12:13], s[4:5], s1 offset:0x0
	s_waitcnt lgkmcnt(0)
	s_ashr_i32 s1, s0, 31
	s_lshl_b64 s[14:15], s[0:1], 19
	s_lshl_b64 s[0:1], s[0:1], 16
	s_and_b32 s6, s12, 31
	s_sub_u32 s16, s2, s0
	s_subb_u32 s17, s3, s1
	s_and_b32 s0, s2, 3
	s_mov_b32 s1, s7
	s_or_b64 s[0:1], s[6:7], s[0:1]
	s_cmp_eq_u64 s[0:1], 0
	s_cbranch_scc1 .LBB97_37
; %bb.1:
	v_cmp_lt_i64_e64 s[0:1], s[16:17], 1
	s_and_b64 vcc, exec, s[0:1]
	s_cbranch_vccnz .LBB97_36
; %bb.2:
	v_mov_b32_e32 v2, 0x10000
	s_load_dword s2, s[4:5], 0xd3c
	v_mov_b32_e32 v3, 0
	v_cmp_lt_i64_e32 vcc, s[16:17], v[2:3]
	s_mov_b32 s24, 0
	s_and_b64 s[0:1], vcc, exec
	v_cmp_lt_u64_e32 vcc, s[16:17], v[2:3]
	s_cselect_b32 s19, s17, 0
	s_cselect_b32 s18, s16, 0x10000
	s_waitcnt lgkmcnt(0)
	s_and_b32 s2, s2, 0xffff
	s_and_b64 s[0:1], vcc, exec
	s_cselect_b32 s21, s17, 0
	s_cselect_b32 s20, s16, 0x10000
	s_lshl_b32 s3, s2, 1
	s_lshl_b32 s33, s2, 2
	s_add_u32 s6, s12, s14
	v_lshlrev_b32_e32 v2, 3, v0
	s_addc_u32 s7, s13, s15
	v_mov_b32_e32 v4, s7
	v_add_co_u32_e32 v3, vcc, s6, v2
	s_mul_i32 s0, s2, 3
	v_addc_co_u32_e32 v4, vcc, 0, v4, vcc
	v_add_co_u32_e32 v33, vcc, s0, v0
	v_addc_co_u32_e64 v34, s[0:1], 0, 0, vcc
	v_add_co_u32_e32 v35, vcc, s3, v0
	v_addc_co_u32_e64 v36, s[0:1], 0, 0, vcc
	v_add_co_u32_e32 v37, vcc, s2, v0
	v_lshlrev_b32_e32 v2, 3, v37
	v_addc_co_u32_e64 v38, s[0:1], 0, 0, vcc
	v_mov_b32_e32 v6, s7
	v_add_co_u32_e32 v5, vcc, s6, v2
	s_mov_b32 s26, 0
	s_mov_b32 s28, 0
	;; [unrolled: 1-line block ×19, first 2 shown]
	v_mov_b32_e32 v1, 0
	s_lshl_b32 s74, s2, 5
	s_mul_i32 s75, s2, 24
	s_lshl_b32 s76, s2, 4
	v_addc_co_u32_e32 v6, vcc, 0, v6, vcc
	s_mov_b64 s[22:23], 0
	s_mov_b32 s25, 0x41d00000
	s_mov_b32 s27, 0x7b000000
	s_movk_i32 s77, 0xff80
	s_mov_b32 s29, 0x7ff00000
	s_mov_b32 s31, 0xbff921fb
	;; [unrolled: 1-line block ×18, first 2 shown]
	s_movk_i32 s78, 0x1f8
	v_mov_b32_e32 v39, 0x40100000
	v_mov_b32_e32 v40, 0x3ff00000
	;; [unrolled: 1-line block ×5, first 2 shown]
	s_mov_b32 s67, 0x3ff921fb
	s_mov_b32 s69, 0x3c91a626
	;; [unrolled: 1-line block ×3, first 2 shown]
	s_branch .LBB97_4
.LBB97_3:                               ;   in Loop: Header=BB97_4 Depth=1
	s_or_b64 exec, exec, s[2:3]
	s_add_u32 s22, s22, s33
	v_add_co_u32_e32 v3, vcc, s74, v3
	v_mov_b32_e32 v9, s18
	s_addc_u32 s23, s23, 0
	v_addc_co_u32_e32 v4, vcc, 0, v4, vcc
	v_mov_b32_e32 v10, s19
	v_cmp_ge_i64_e32 vcc, s[22:23], v[9:10]
	v_add_co_u32_e64 v5, s[0:1], s74, v5
	v_addc_co_u32_e64 v6, s[0:1], 0, v6, s[0:1]
	s_cbranch_vccnz .LBB97_36
.LBB97_4:                               ; =>This Inner Loop Header: Depth=1
	v_mov_b32_e32 v2, s23
	v_add_co_u32_e32 v9, vcc, s22, v0
	v_addc_co_u32_e32 v10, vcc, 0, v2, vcc
	v_cmp_gt_u64_e64 s[6:7], s[20:21], v[9:10]
	v_mov_b32_e32 v15, 0
	v_mov_b32_e32 v16, 0
	s_and_saveexec_b64 s[0:1], s[6:7]
	s_cbranch_execz .LBB97_6
; %bb.5:                                ;   in Loop: Header=BB97_4 Depth=1
	global_load_dwordx2 v[15:16], v[3:4], off
.LBB97_6:                               ;   in Loop: Header=BB97_4 Depth=1
	s_or_b64 exec, exec, s[0:1]
	v_mov_b32_e32 v2, s23
	v_add_co_u32_e32 v9, vcc, s22, v37
	v_addc_co_u32_e32 v10, vcc, v38, v2, vcc
	v_cmp_gt_u64_e64 s[2:3], s[20:21], v[9:10]
	v_mov_b32_e32 v11, 0
	v_mov_b32_e32 v13, 0
	;; [unrolled: 1-line block ×3, first 2 shown]
	s_and_saveexec_b64 s[0:1], s[2:3]
	s_cbranch_execz .LBB97_8
; %bb.7:                                ;   in Loop: Header=BB97_4 Depth=1
	global_load_dwordx2 v[13:14], v[5:6], off
.LBB97_8:                               ;   in Loop: Header=BB97_4 Depth=1
	s_or_b64 exec, exec, s[0:1]
	v_mov_b32_e32 v2, s23
	v_add_co_u32_e32 v9, vcc, s22, v35
	v_addc_co_u32_e32 v10, vcc, v36, v2, vcc
	v_cmp_gt_u64_e64 s[0:1], s[20:21], v[9:10]
	v_mov_b32_e32 v12, 0
	s_and_saveexec_b64 s[8:9], s[0:1]
	s_cbranch_execz .LBB97_10
; %bb.9:                                ;   in Loop: Header=BB97_4 Depth=1
	v_add_co_u32_e32 v9, vcc, s76, v3
	v_addc_co_u32_e32 v10, vcc, 0, v4, vcc
	global_load_dwordx2 v[11:12], v[9:10], off
.LBB97_10:                              ;   in Loop: Header=BB97_4 Depth=1
	s_or_b64 exec, exec, s[8:9]
	v_mov_b32_e32 v2, s23
	v_add_co_u32_e32 v9, vcc, s22, v33
	v_addc_co_u32_e32 v10, vcc, v34, v2, vcc
	v_cmp_gt_u64_e32 vcc, s[20:21], v[9:10]
	v_mov_b32_e32 v9, 0
	v_mov_b32_e32 v10, 0
	s_and_saveexec_b64 s[10:11], vcc
	s_cbranch_execz .LBB97_12
; %bb.11:                               ;   in Loop: Header=BB97_4 Depth=1
	v_add_co_u32_e64 v9, s[8:9], s75, v3
	v_addc_co_u32_e64 v10, s[8:9], 0, v4, s[8:9]
	global_load_dwordx2 v[9:10], v[9:10], off
.LBB97_12:                              ;   in Loop: Header=BB97_4 Depth=1
	s_or_b64 exec, exec, s[10:11]
	s_waitcnt vmcnt(0)
	v_cmp_nlt_f64_e64 s[8:9], |v[15:16]|, s[24:25]
                                        ; implicit-def: $vgpr42
                                        ; implicit-def: $vgpr17_vgpr18
                                        ; implicit-def: $vgpr19_vgpr20
	s_and_saveexec_b64 s[10:11], s[8:9]
	s_xor_b64 s[72:73], exec, s[10:11]
	s_cbranch_execz .LBB97_14
; %bb.13:                               ;   in Loop: Header=BB97_4 Depth=1
	v_trig_preop_f64 v[17:18], |v[15:16]|, 0
	v_ldexp_f64 v[21:22], |v[15:16]|, s77
	v_cmp_ge_f64_e64 s[8:9], |v[15:16]|, s[26:27]
	v_trig_preop_f64 v[19:20], |v[15:16]|, 1
	v_and_b32_e32 v2, 0x7fffffff, v16
	v_trig_preop_f64 v[29:30], |v[15:16]|, 2
	s_mov_b32 s66, s30
	s_mov_b32 s71, s69
	v_cndmask_b32_e64 v22, v2, v22, s[8:9]
	v_cndmask_b32_e64 v21, v15, v21, s[8:9]
	v_mul_f64 v[23:24], v[17:18], v[21:22]
	v_mul_f64 v[25:26], v[19:20], v[21:22]
	;; [unrolled: 1-line block ×3, first 2 shown]
	v_fma_f64 v[17:18], v[17:18], v[21:22], -v[23:24]
	v_fma_f64 v[19:20], v[19:20], v[21:22], -v[25:26]
	;; [unrolled: 1-line block ×3, first 2 shown]
	v_add_f64 v[27:28], v[25:26], v[17:18]
	v_add_f64 v[31:32], v[27:28], -v[25:26]
	v_add_f64 v[46:47], v[23:24], v[27:28]
	v_add_f64 v[42:43], v[27:28], -v[31:32]
	v_add_f64 v[17:18], v[17:18], -v[31:32]
	v_add_f64 v[31:32], v[44:45], v[19:20]
	v_add_f64 v[23:24], v[46:47], -v[23:24]
	v_add_f64 v[25:26], v[25:26], -v[42:43]
	v_ldexp_f64 v[42:43], v[46:47], -2
	v_add_f64 v[48:49], v[31:32], -v[44:45]
	v_add_f64 v[23:24], v[27:28], -v[23:24]
	v_add_f64 v[17:18], v[17:18], v[25:26]
	v_fract_f64_e32 v[25:26], v[42:43]
	v_cmp_neq_f64_e64 s[8:9], |v[42:43]|, s[28:29]
	v_add_f64 v[19:20], v[19:20], -v[48:49]
	v_add_f64 v[27:28], v[31:32], v[17:18]
	v_ldexp_f64 v[25:26], v[25:26], 2
	v_add_f64 v[42:43], v[23:24], v[27:28]
	v_cndmask_b32_e64 v26, 0, v26, s[8:9]
	v_cndmask_b32_e64 v25, 0, v25, s[8:9]
	v_add_f64 v[50:51], v[27:28], -v[31:32]
	v_add_f64 v[46:47], v[42:43], v[25:26]
	v_add_f64 v[23:24], v[42:43], -v[23:24]
	v_add_f64 v[52:53], v[27:28], -v[50:51]
	v_add_f64 v[17:18], v[17:18], -v[50:51]
	v_cmp_gt_f64_e64 s[8:9], 0, v[46:47]
	v_add_f64 v[46:47], v[31:32], -v[48:49]
	v_add_f64 v[23:24], v[27:28], -v[23:24]
	;; [unrolled: 1-line block ×3, first 2 shown]
	v_cndmask_b32_e64 v2, 0, v39, s[8:9]
	v_add_f64 v[25:26], v[25:26], v[1:2]
	v_add_f64 v[46:47], v[44:45], -v[46:47]
	v_add_f64 v[17:18], v[17:18], v[31:32]
	v_add_f64 v[54:55], v[42:43], v[25:26]
	;; [unrolled: 1-line block ×3, first 2 shown]
	v_cvt_i32_f64_e32 v2, v[54:55]
	v_add_f64 v[17:18], v[19:20], v[17:18]
	v_cvt_f64_i32_e32 v[48:49], v2
	v_add_f64 v[25:26], v[25:26], -v[48:49]
	v_add_f64 v[17:18], v[21:22], v[17:18]
	v_add_f64 v[19:20], v[42:43], v[25:26]
	;; [unrolled: 1-line block ×3, first 2 shown]
	v_add_f64 v[21:22], v[19:20], -v[25:26]
	v_cmp_le_f64_e64 s[8:9], 0.5, v[19:20]
	v_add_f64 v[21:22], v[42:43], -v[21:22]
	v_addc_co_u32_e64 v42, s[10:11], 0, v2, s[8:9]
	v_cndmask_b32_e64 v2, 0, v40, s[8:9]
	v_add_f64 v[19:20], v[19:20], -v[1:2]
	v_add_f64 v[17:18], v[17:18], v[21:22]
	v_add_f64 v[21:22], v[19:20], v[17:18]
	v_mul_f64 v[23:24], v[21:22], s[66:67]
	v_add_f64 v[19:20], v[21:22], -v[19:20]
	v_fma_f64 v[25:26], v[21:22], s[66:67], -v[23:24]
	v_add_f64 v[17:18], v[17:18], -v[19:20]
	v_fma_f64 v[19:20], v[21:22], s[70:71], v[25:26]
	v_fma_f64 v[19:20], v[17:18], s[66:67], v[19:20]
	v_add_f64 v[17:18], v[23:24], v[19:20]
	v_add_f64 v[21:22], v[17:18], -v[23:24]
	v_add_f64 v[19:20], v[19:20], -v[21:22]
.LBB97_14:                              ;   in Loop: Header=BB97_4 Depth=1
	s_andn2_saveexec_b64 s[8:9], s[72:73]
	s_cbranch_execz .LBB97_16
; %bb.15:                               ;   in Loop: Header=BB97_4 Depth=1
	v_mul_f64 v[17:18], |v[15:16]|, s[34:35]
	s_mov_b32 s68, s36
	v_rndne_f64_e32 v[21:22], v[17:18]
	v_fma_f64 v[17:18], v[21:22], s[30:31], |v[15:16]|
	v_mul_f64 v[19:20], v[21:22], s[36:37]
	v_cvt_i32_f64_e32 v42, v[21:22]
	v_fma_f64 v[27:28], v[21:22], s[36:37], v[17:18]
	v_add_f64 v[23:24], v[17:18], v[19:20]
	v_add_f64 v[25:26], v[17:18], -v[23:24]
	v_add_f64 v[23:24], v[23:24], -v[27:28]
	v_add_f64 v[17:18], v[25:26], v[19:20]
	v_fma_f64 v[19:20], v[21:22], s[68:69], v[19:20]
	v_add_f64 v[17:18], v[23:24], v[17:18]
	v_add_f64 v[17:18], v[17:18], -v[19:20]
	v_fma_f64 v[19:20], v[21:22], s[38:39], v[17:18]
	v_add_f64 v[17:18], v[27:28], v[19:20]
	v_add_f64 v[23:24], v[17:18], -v[27:28]
	v_add_f64 v[19:20], v[19:20], -v[23:24]
.LBB97_16:                              ;   in Loop: Header=BB97_4 Depth=1
	s_or_b64 exec, exec, s[8:9]
	v_cmp_nlt_f64_e64 s[8:9], |v[13:14]|, s[24:25]
                                        ; implicit-def: $vgpr43
                                        ; implicit-def: $vgpr21_vgpr22
                                        ; implicit-def: $vgpr23_vgpr24
	s_and_saveexec_b64 s[10:11], s[8:9]
	s_xor_b64 s[72:73], exec, s[10:11]
	s_cbranch_execz .LBB97_18
; %bb.17:                               ;   in Loop: Header=BB97_4 Depth=1
	v_trig_preop_f64 v[21:22], |v[13:14]|, 0
	v_ldexp_f64 v[25:26], |v[13:14]|, s77
	v_cmp_ge_f64_e64 s[8:9], |v[13:14]|, s[26:27]
	v_trig_preop_f64 v[23:24], |v[13:14]|, 1
	v_and_b32_e32 v2, 0x7fffffff, v14
	v_trig_preop_f64 v[43:44], |v[13:14]|, 2
	s_mov_b32 s66, s30
	s_mov_b32 s71, s69
	v_cndmask_b32_e64 v26, v2, v26, s[8:9]
	v_cndmask_b32_e64 v25, v13, v25, s[8:9]
	v_mul_f64 v[27:28], v[21:22], v[25:26]
	v_mul_f64 v[29:30], v[23:24], v[25:26]
	;; [unrolled: 1-line block ×3, first 2 shown]
	v_fma_f64 v[21:22], v[21:22], v[25:26], -v[27:28]
	v_fma_f64 v[23:24], v[23:24], v[25:26], -v[29:30]
	;; [unrolled: 1-line block ×3, first 2 shown]
	v_add_f64 v[31:32], v[29:30], v[21:22]
	v_add_f64 v[45:46], v[31:32], -v[29:30]
	v_add_f64 v[51:52], v[27:28], v[31:32]
	v_add_f64 v[47:48], v[31:32], -v[45:46]
	v_add_f64 v[21:22], v[21:22], -v[45:46]
	v_add_f64 v[45:46], v[49:50], v[23:24]
	v_add_f64 v[27:28], v[51:52], -v[27:28]
	v_add_f64 v[29:30], v[29:30], -v[47:48]
	v_ldexp_f64 v[47:48], v[51:52], -2
	v_add_f64 v[53:54], v[45:46], -v[49:50]
	v_add_f64 v[27:28], v[31:32], -v[27:28]
	v_add_f64 v[21:22], v[21:22], v[29:30]
	v_fract_f64_e32 v[29:30], v[47:48]
	v_cmp_neq_f64_e64 s[8:9], |v[47:48]|, s[28:29]
	v_add_f64 v[23:24], v[23:24], -v[53:54]
	v_add_f64 v[31:32], v[45:46], v[21:22]
	v_ldexp_f64 v[29:30], v[29:30], 2
	v_add_f64 v[47:48], v[27:28], v[31:32]
	v_cndmask_b32_e64 v30, 0, v30, s[8:9]
	v_cndmask_b32_e64 v29, 0, v29, s[8:9]
	v_add_f64 v[55:56], v[31:32], -v[45:46]
	v_add_f64 v[51:52], v[47:48], v[29:30]
	v_add_f64 v[27:28], v[47:48], -v[27:28]
	v_add_f64 v[57:58], v[31:32], -v[55:56]
	;; [unrolled: 1-line block ×3, first 2 shown]
	v_cmp_gt_f64_e64 s[8:9], 0, v[51:52]
	v_add_f64 v[51:52], v[45:46], -v[53:54]
	v_add_f64 v[27:28], v[31:32], -v[27:28]
	;; [unrolled: 1-line block ×3, first 2 shown]
	v_cndmask_b32_e64 v2, 0, v39, s[8:9]
	v_add_f64 v[29:30], v[29:30], v[1:2]
	v_add_f64 v[51:52], v[49:50], -v[51:52]
	v_add_f64 v[21:22], v[21:22], v[45:46]
	v_add_f64 v[59:60], v[47:48], v[29:30]
	;; [unrolled: 1-line block ×3, first 2 shown]
	v_cvt_i32_f64_e32 v2, v[59:60]
	v_add_f64 v[21:22], v[23:24], v[21:22]
	v_cvt_f64_i32_e32 v[53:54], v2
	v_add_f64 v[29:30], v[29:30], -v[53:54]
	v_add_f64 v[21:22], v[25:26], v[21:22]
	v_add_f64 v[23:24], v[47:48], v[29:30]
	;; [unrolled: 1-line block ×3, first 2 shown]
	v_add_f64 v[25:26], v[23:24], -v[29:30]
	v_cmp_le_f64_e64 s[8:9], 0.5, v[23:24]
	v_add_f64 v[25:26], v[47:48], -v[25:26]
	v_addc_co_u32_e64 v43, s[10:11], 0, v2, s[8:9]
	v_cndmask_b32_e64 v2, 0, v40, s[8:9]
	v_add_f64 v[23:24], v[23:24], -v[1:2]
	v_add_f64 v[21:22], v[21:22], v[25:26]
	v_add_f64 v[25:26], v[23:24], v[21:22]
	v_mul_f64 v[27:28], v[25:26], s[66:67]
	v_add_f64 v[23:24], v[25:26], -v[23:24]
	v_fma_f64 v[29:30], v[25:26], s[66:67], -v[27:28]
	v_add_f64 v[21:22], v[21:22], -v[23:24]
	v_fma_f64 v[23:24], v[25:26], s[70:71], v[29:30]
	v_fma_f64 v[23:24], v[21:22], s[66:67], v[23:24]
	v_add_f64 v[21:22], v[27:28], v[23:24]
	v_add_f64 v[25:26], v[21:22], -v[27:28]
	v_add_f64 v[23:24], v[23:24], -v[25:26]
.LBB97_18:                              ;   in Loop: Header=BB97_4 Depth=1
	s_andn2_saveexec_b64 s[8:9], s[72:73]
	s_cbranch_execz .LBB97_20
; %bb.19:                               ;   in Loop: Header=BB97_4 Depth=1
	v_mul_f64 v[21:22], |v[13:14]|, s[34:35]
	s_mov_b32 s68, s36
	v_rndne_f64_e32 v[25:26], v[21:22]
	v_fma_f64 v[21:22], v[25:26], s[30:31], |v[13:14]|
	v_mul_f64 v[23:24], v[25:26], s[36:37]
	v_cvt_i32_f64_e32 v43, v[25:26]
	v_fma_f64 v[31:32], v[25:26], s[36:37], v[21:22]
	v_add_f64 v[27:28], v[21:22], v[23:24]
	v_add_f64 v[29:30], v[21:22], -v[27:28]
	v_add_f64 v[27:28], v[27:28], -v[31:32]
	v_add_f64 v[21:22], v[29:30], v[23:24]
	v_fma_f64 v[23:24], v[25:26], s[68:69], v[23:24]
	v_add_f64 v[21:22], v[27:28], v[21:22]
	v_add_f64 v[21:22], v[21:22], -v[23:24]
	v_fma_f64 v[23:24], v[25:26], s[38:39], v[21:22]
	v_add_f64 v[21:22], v[31:32], v[23:24]
	v_add_f64 v[27:28], v[21:22], -v[31:32]
	v_add_f64 v[23:24], v[23:24], -v[27:28]
.LBB97_20:                              ;   in Loop: Header=BB97_4 Depth=1
	s_or_b64 exec, exec, s[8:9]
	v_cmp_nlt_f64_e64 s[8:9], |v[11:12]|, s[24:25]
                                        ; implicit-def: $vgpr44
                                        ; implicit-def: $vgpr25_vgpr26
                                        ; implicit-def: $vgpr27_vgpr28
	s_and_saveexec_b64 s[10:11], s[8:9]
	s_xor_b64 s[72:73], exec, s[10:11]
	s_cbranch_execz .LBB97_22
; %bb.21:                               ;   in Loop: Header=BB97_4 Depth=1
	v_trig_preop_f64 v[25:26], |v[11:12]|, 0
	v_cmp_ge_f64_e64 s[8:9], |v[11:12]|, s[26:27]
	v_ldexp_f64 v[29:30], |v[11:12]|, s77
	v_trig_preop_f64 v[27:28], |v[11:12]|, 1
	v_and_b32_e32 v2, 0x7fffffff, v12
	s_mov_b32 s66, s30
	s_mov_b32 s71, s69
	v_cndmask_b32_e64 v30, v2, v30, s[8:9]
	v_cndmask_b32_e64 v29, v11, v29, s[8:9]
	v_mul_f64 v[44:45], v[25:26], v[29:30]
	v_mul_f64 v[31:32], v[27:28], v[29:30]
	v_fma_f64 v[25:26], v[25:26], v[29:30], -v[44:45]
	v_fma_f64 v[27:28], v[27:28], v[29:30], -v[31:32]
	v_add_f64 v[46:47], v[31:32], v[25:26]
	v_add_f64 v[54:55], v[46:47], -v[31:32]
	v_add_f64 v[48:49], v[44:45], v[46:47]
	v_add_f64 v[25:26], v[25:26], -v[54:55]
	v_add_f64 v[54:55], v[46:47], -v[54:55]
	v_ldexp_f64 v[50:51], v[48:49], -2
	v_add_f64 v[44:45], v[48:49], -v[44:45]
	v_add_f64 v[54:55], v[31:32], -v[54:55]
	v_trig_preop_f64 v[31:32], |v[11:12]|, 2
	v_fract_f64_e32 v[52:53], v[50:51]
	v_add_f64 v[44:45], v[46:47], -v[44:45]
	v_cmp_neq_f64_e64 s[8:9], |v[50:51]|, s[28:29]
	v_add_f64 v[25:26], v[25:26], v[54:55]
	v_mul_f64 v[54:55], v[31:32], v[29:30]
	v_add_f64 v[56:57], v[54:55], v[27:28]
	v_add_f64 v[58:59], v[56:57], v[25:26]
	v_add_f64 v[48:49], v[58:59], -v[56:57]
	v_add_f64 v[46:47], v[44:45], v[58:59]
	v_add_f64 v[25:26], v[25:26], -v[48:49]
	v_add_f64 v[48:49], v[58:59], -v[48:49]
	;; [unrolled: 1-line block ×5, first 2 shown]
	v_add_f64 v[25:26], v[25:26], v[48:49]
	v_add_f64 v[48:49], v[56:57], -v[54:55]
	v_add_f64 v[27:28], v[27:28], -v[48:49]
	;; [unrolled: 1-line block ×4, first 2 shown]
	v_add_f64 v[27:28], v[27:28], v[48:49]
	v_add_f64 v[25:26], v[27:28], v[25:26]
	v_fma_f64 v[27:28], v[31:32], v[29:30], -v[54:55]
	v_add_f64 v[25:26], v[27:28], v[25:26]
	v_ldexp_f64 v[27:28], v[52:53], 2
	v_add_f64 v[25:26], v[44:45], v[25:26]
	v_cndmask_b32_e64 v28, 0, v28, s[8:9]
	v_cndmask_b32_e64 v27, 0, v27, s[8:9]
	v_add_f64 v[29:30], v[46:47], v[27:28]
	v_cmp_gt_f64_e64 s[8:9], 0, v[29:30]
	v_cndmask_b32_e64 v2, 0, v39, s[8:9]
	v_add_f64 v[27:28], v[27:28], v[1:2]
	v_add_f64 v[29:30], v[46:47], v[27:28]
	v_cvt_i32_f64_e32 v2, v[29:30]
	v_cvt_f64_i32_e32 v[29:30], v2
	v_add_f64 v[27:28], v[27:28], -v[29:30]
	v_add_f64 v[29:30], v[46:47], v[27:28]
	v_add_f64 v[27:28], v[29:30], -v[27:28]
	v_cmp_le_f64_e64 s[8:9], 0.5, v[29:30]
	v_add_f64 v[27:28], v[46:47], -v[27:28]
	v_addc_co_u32_e64 v44, s[10:11], 0, v2, s[8:9]
	v_cndmask_b32_e64 v2, 0, v40, s[8:9]
	v_add_f64 v[25:26], v[25:26], v[27:28]
	v_add_f64 v[27:28], v[29:30], -v[1:2]
	v_add_f64 v[29:30], v[27:28], v[25:26]
	v_add_f64 v[27:28], v[29:30], -v[27:28]
	v_add_f64 v[25:26], v[25:26], -v[27:28]
	v_mul_f64 v[27:28], v[29:30], s[66:67]
	v_fma_f64 v[31:32], v[29:30], s[66:67], -v[27:28]
	v_fma_f64 v[29:30], v[29:30], s[70:71], v[31:32]
	v_fma_f64 v[29:30], v[25:26], s[66:67], v[29:30]
	v_add_f64 v[25:26], v[27:28], v[29:30]
	v_add_f64 v[27:28], v[25:26], -v[27:28]
	v_add_f64 v[27:28], v[29:30], -v[27:28]
.LBB97_22:                              ;   in Loop: Header=BB97_4 Depth=1
	s_andn2_saveexec_b64 s[8:9], s[72:73]
	s_cbranch_execz .LBB97_24
; %bb.23:                               ;   in Loop: Header=BB97_4 Depth=1
	v_mul_f64 v[25:26], |v[11:12]|, s[34:35]
	s_mov_b32 s68, s36
	v_rndne_f64_e32 v[29:30], v[25:26]
	v_fma_f64 v[25:26], v[29:30], s[30:31], |v[11:12]|
	v_mul_f64 v[27:28], v[29:30], s[36:37]
	v_fma_f64 v[46:47], v[29:30], s[36:37], v[25:26]
	v_add_f64 v[31:32], v[25:26], v[27:28]
	v_add_f64 v[44:45], v[25:26], -v[31:32]
	v_add_f64 v[31:32], v[31:32], -v[46:47]
	v_add_f64 v[25:26], v[44:45], v[27:28]
	v_fma_f64 v[27:28], v[29:30], s[68:69], v[27:28]
	v_cvt_i32_f64_e32 v44, v[29:30]
	v_add_f64 v[25:26], v[31:32], v[25:26]
	v_add_f64 v[25:26], v[25:26], -v[27:28]
	v_fma_f64 v[27:28], v[29:30], s[38:39], v[25:26]
	v_add_f64 v[25:26], v[46:47], v[27:28]
	v_add_f64 v[31:32], v[25:26], -v[46:47]
	v_add_f64 v[27:28], v[27:28], -v[31:32]
.LBB97_24:                              ;   in Loop: Header=BB97_4 Depth=1
	s_or_b64 exec, exec, s[8:9]
	v_cmp_nlt_f64_e64 s[8:9], |v[9:10]|, s[24:25]
                                        ; implicit-def: $vgpr2
                                        ; implicit-def: $vgpr29_vgpr30
                                        ; implicit-def: $vgpr31_vgpr32
	s_and_saveexec_b64 s[10:11], s[8:9]
	s_xor_b64 s[10:11], exec, s[10:11]
	s_cbranch_execnz .LBB97_30
; %bb.25:                               ;   in Loop: Header=BB97_4 Depth=1
	s_andn2_saveexec_b64 s[8:9], s[10:11]
	s_cbranch_execnz .LBB97_31
.LBB97_26:                              ;   in Loop: Header=BB97_4 Depth=1
	s_or_b64 exec, exec, s[8:9]
	s_and_saveexec_b64 s[8:9], s[6:7]
	s_xor_b64 s[10:11], exec, s[8:9]
	s_cbranch_execnz .LBB97_32
.LBB97_27:                              ;   in Loop: Header=BB97_4 Depth=1
	s_or_b64 exec, exec, s[10:11]
	s_and_saveexec_b64 s[8:9], s[2:3]
	s_cbranch_execnz .LBB97_33
.LBB97_28:                              ;   in Loop: Header=BB97_4 Depth=1
	s_or_b64 exec, exec, s[8:9]
	s_and_saveexec_b64 s[6:7], s[0:1]
	s_cbranch_execnz .LBB97_34
.LBB97_29:                              ;   in Loop: Header=BB97_4 Depth=1
	s_or_b64 exec, exec, s[6:7]
	s_and_saveexec_b64 s[2:3], vcc
	s_cbranch_execz .LBB97_3
	s_branch .LBB97_35
.LBB97_30:                              ;   in Loop: Header=BB97_4 Depth=1
	v_trig_preop_f64 v[29:30], |v[9:10]|, 0
	v_ldexp_f64 v[31:32], |v[9:10]|, s77
	v_cmp_ge_f64_e64 s[8:9], |v[9:10]|, s[26:27]
	v_trig_preop_f64 v[45:46], |v[9:10]|, 1
	v_and_b32_e32 v2, 0x7fffffff, v10
	v_trig_preop_f64 v[53:54], |v[9:10]|, 2
	s_mov_b32 s66, s30
	s_mov_b32 s71, s69
	v_cndmask_b32_e64 v32, v2, v32, s[8:9]
	v_cndmask_b32_e64 v31, v9, v31, s[8:9]
	v_mul_f64 v[47:48], v[29:30], v[31:32]
	v_mul_f64 v[49:50], v[45:46], v[31:32]
	v_mul_f64 v[59:60], v[53:54], v[31:32]
	v_fma_f64 v[29:30], v[29:30], v[31:32], -v[47:48]
	v_fma_f64 v[45:46], v[45:46], v[31:32], -v[49:50]
	;; [unrolled: 1-line block ×3, first 2 shown]
	v_add_f64 v[51:52], v[49:50], v[29:30]
	v_add_f64 v[55:56], v[51:52], -v[49:50]
	v_add_f64 v[61:62], v[47:48], v[51:52]
	v_add_f64 v[57:58], v[51:52], -v[55:56]
	v_add_f64 v[29:30], v[29:30], -v[55:56]
	v_add_f64 v[55:56], v[59:60], v[45:46]
	v_add_f64 v[47:48], v[61:62], -v[47:48]
	v_add_f64 v[49:50], v[49:50], -v[57:58]
	v_ldexp_f64 v[57:58], v[61:62], -2
	v_add_f64 v[47:48], v[51:52], -v[47:48]
	v_add_f64 v[29:30], v[29:30], v[49:50]
	v_fract_f64_e32 v[49:50], v[57:58]
	v_cmp_neq_f64_e64 s[8:9], |v[57:58]|, s[28:29]
	v_add_f64 v[51:52], v[55:56], v[29:30]
	v_ldexp_f64 v[49:50], v[49:50], 2
	v_add_f64 v[57:58], v[47:48], v[51:52]
	v_cndmask_b32_e64 v50, 0, v50, s[8:9]
	v_cndmask_b32_e64 v49, 0, v49, s[8:9]
	v_add_f64 v[63:64], v[51:52], -v[55:56]
	v_add_f64 v[61:62], v[57:58], v[49:50]
	v_add_f64 v[47:48], v[57:58], -v[47:48]
	v_add_f64 v[67:68], v[51:52], -v[63:64]
	;; [unrolled: 1-line block ×3, first 2 shown]
	v_cmp_gt_f64_e64 s[8:9], 0, v[61:62]
	v_add_f64 v[61:62], v[55:56], -v[59:60]
	v_add_f64 v[47:48], v[51:52], -v[47:48]
	v_cndmask_b32_e64 v2, 0, v39, s[8:9]
	v_add_f64 v[49:50], v[49:50], v[1:2]
	v_add_f64 v[65:66], v[55:56], -v[61:62]
	v_add_f64 v[45:46], v[45:46], -v[61:62]
	;; [unrolled: 1-line block ×3, first 2 shown]
	v_add_f64 v[69:70], v[57:58], v[49:50]
	v_add_f64 v[61:62], v[59:60], -v[65:66]
	v_add_f64 v[29:30], v[29:30], v[55:56]
	v_cvt_i32_f64_e32 v65, v[69:70]
	v_add_f64 v[45:46], v[45:46], v[61:62]
	v_cvt_f64_i32_e32 v[63:64], v65
	v_add_f64 v[49:50], v[49:50], -v[63:64]
	v_add_f64 v[29:30], v[45:46], v[29:30]
	v_add_f64 v[45:46], v[57:58], v[49:50]
	;; [unrolled: 1-line block ×3, first 2 shown]
	v_add_f64 v[31:32], v[45:46], -v[49:50]
	v_cmp_le_f64_e64 s[8:9], 0.5, v[45:46]
	v_add_f64 v[29:30], v[47:48], v[29:30]
	v_add_f64 v[31:32], v[57:58], -v[31:32]
	v_cndmask_b32_e64 v2, 0, v40, s[8:9]
	v_add_f64 v[29:30], v[29:30], v[31:32]
	v_add_f64 v[31:32], v[45:46], -v[1:2]
	v_addc_co_u32_e64 v2, s[8:9], 0, v65, s[8:9]
	v_add_f64 v[45:46], v[31:32], v[29:30]
	v_mul_f64 v[47:48], v[45:46], s[66:67]
	v_add_f64 v[31:32], v[45:46], -v[31:32]
	v_fma_f64 v[49:50], v[45:46], s[66:67], -v[47:48]
	v_add_f64 v[29:30], v[29:30], -v[31:32]
	v_fma_f64 v[31:32], v[45:46], s[70:71], v[49:50]
	v_fma_f64 v[31:32], v[29:30], s[66:67], v[31:32]
	v_add_f64 v[29:30], v[47:48], v[31:32]
	v_add_f64 v[45:46], v[29:30], -v[47:48]
	v_add_f64 v[31:32], v[31:32], -v[45:46]
	s_andn2_saveexec_b64 s[8:9], s[10:11]
	s_cbranch_execz .LBB97_26
.LBB97_31:                              ;   in Loop: Header=BB97_4 Depth=1
	v_mul_f64 v[29:30], |v[9:10]|, s[34:35]
	s_mov_b32 s68, s36
	v_rndne_f64_e32 v[45:46], v[29:30]
	v_fma_f64 v[29:30], v[45:46], s[30:31], |v[9:10]|
	v_mul_f64 v[31:32], v[45:46], s[36:37]
	v_cvt_i32_f64_e32 v2, v[45:46]
	v_fma_f64 v[51:52], v[45:46], s[36:37], v[29:30]
	v_add_f64 v[47:48], v[29:30], v[31:32]
	v_add_f64 v[49:50], v[29:30], -v[47:48]
	v_add_f64 v[47:48], v[47:48], -v[51:52]
	v_add_f64 v[29:30], v[49:50], v[31:32]
	v_fma_f64 v[31:32], v[45:46], s[68:69], v[31:32]
	v_add_f64 v[29:30], v[47:48], v[29:30]
	v_add_f64 v[29:30], v[29:30], -v[31:32]
	v_fma_f64 v[31:32], v[45:46], s[38:39], v[29:30]
	v_add_f64 v[29:30], v[51:52], v[31:32]
	v_add_f64 v[47:48], v[29:30], -v[51:52]
	v_add_f64 v[31:32], v[31:32], -v[47:48]
	s_or_b64 exec, exec, s[8:9]
	s_and_saveexec_b64 s[8:9], s[6:7]
	s_xor_b64 s[10:11], exec, s[8:9]
	s_cbranch_execz .LBB97_27
.LBB97_32:                              ;   in Loop: Header=BB97_4 Depth=1
	v_mul_f64 v[45:46], v[17:18], v[17:18]
	v_add_f64 v[47:48], v[19:20], v[19:20]
	v_cmp_class_f64_e64 s[8:9], v[15:16], s78
	v_and_b32_e32 v42, 1, v42
	v_cmp_eq_u32_e64 s[6:7], 0, v42
	v_and_b32_e32 v16, 0x80000000, v16
	v_fma_f64 v[49:50], v[17:18], v[17:18], -v[45:46]
	v_fma_f64 v[47:48], v[17:18], v[47:48], v[49:50]
	v_add_f64 v[45:46], v[45:46], v[47:48]
	v_fma_f64 v[47:48], v[45:46], s[40:41], v[7:8]
	v_fma_f64 v[47:48], v[45:46], v[47:48], s[42:43]
	;; [unrolled: 1-line block ×13, first 2 shown]
	v_mul_f64 v[45:46], v[45:46], v[47:48]
	v_mul_f64 v[47:48], v[17:18], v[45:46]
	v_add_f64 v[49:50], v[17:18], v[47:48]
	v_fma_f64 v[45:46], v[17:18], v[45:46], -v[47:48]
	v_add_f64 v[17:18], v[49:50], -v[17:18]
	v_add_f64 v[19:20], v[19:20], v[45:46]
	v_add_f64 v[17:18], v[47:48], -v[17:18]
	v_add_f64 v[17:18], v[19:20], v[17:18]
	v_add_f64 v[19:20], v[49:50], v[17:18]
	v_rcp_f64_e32 v[45:46], v[19:20]
	v_fma_f64 v[47:48], -v[19:20], v[45:46], 1.0
	v_fma_f64 v[45:46], v[47:48], v[45:46], v[45:46]
	v_fma_f64 v[47:48], -v[19:20], v[45:46], 1.0
	v_fma_f64 v[45:46], v[47:48], v[45:46], v[45:46]
	v_add_f64 v[47:48], v[19:20], -v[49:50]
	v_mul_f64 v[49:50], v[19:20], v[45:46]
	v_add_f64 v[17:18], v[17:18], -v[47:48]
	v_fma_f64 v[47:48], v[45:46], v[19:20], -v[49:50]
	v_fma_f64 v[17:18], v[45:46], v[17:18], v[47:48]
	v_add_f64 v[47:48], v[49:50], v[17:18]
	v_add_f64 v[51:52], -v[47:48], 1.0
	v_add_f64 v[49:50], v[47:48], -v[49:50]
	v_add_f64 v[53:54], -v[51:52], 1.0
	v_add_f64 v[17:18], v[49:50], -v[17:18]
	v_add_f64 v[47:48], v[53:54], -v[47:48]
	v_add_f64 v[17:18], v[17:18], v[47:48]
	v_add_f64 v[17:18], v[51:52], v[17:18]
	v_mul_f64 v[17:18], v[45:46], v[17:18]
	v_add_f64 v[17:18], v[45:46], v[17:18]
	v_xor_b32_e32 v15, 0x80000000, v18
	v_cndmask_b32_e64 v15, v15, v20, s[6:7]
	v_cndmask_b32_e64 v17, v17, v19, s[6:7]
	v_xor_b32_e32 v16, v15, v16
	v_cndmask_b32_e64 v15, 0, v17, s[8:9]
	v_cndmask_b32_e64 v16, v41, v16, s[8:9]
	global_store_dwordx2 v[3:4], v[15:16], off
	s_or_b64 exec, exec, s[10:11]
	s_and_saveexec_b64 s[8:9], s[2:3]
	s_cbranch_execz .LBB97_28
.LBB97_33:                              ;   in Loop: Header=BB97_4 Depth=1
	v_mul_f64 v[15:16], v[21:22], v[21:22]
	v_add_f64 v[17:18], v[23:24], v[23:24]
	v_cmp_class_f64_e64 s[6:7], v[13:14], s78
	v_and_b32_e32 v14, 0x80000000, v14
	v_fma_f64 v[19:20], v[21:22], v[21:22], -v[15:16]
	v_fma_f64 v[17:18], v[21:22], v[17:18], v[19:20]
	v_add_f64 v[15:16], v[15:16], v[17:18]
	v_fma_f64 v[17:18], v[15:16], s[40:41], v[7:8]
	v_fma_f64 v[17:18], v[15:16], v[17:18], s[42:43]
	;; [unrolled: 1-line block ×13, first 2 shown]
	v_mul_f64 v[15:16], v[15:16], v[17:18]
	v_mul_f64 v[17:18], v[21:22], v[15:16]
	v_add_f64 v[19:20], v[21:22], v[17:18]
	v_fma_f64 v[15:16], v[21:22], v[15:16], -v[17:18]
	v_add_f64 v[21:22], v[19:20], -v[21:22]
	v_add_f64 v[15:16], v[23:24], v[15:16]
	v_add_f64 v[17:18], v[17:18], -v[21:22]
	v_add_f64 v[15:16], v[15:16], v[17:18]
	v_add_f64 v[17:18], v[19:20], v[15:16]
	v_rcp_f64_e32 v[21:22], v[17:18]
	v_add_f64 v[19:20], v[17:18], -v[19:20]
	v_add_f64 v[15:16], v[15:16], -v[19:20]
	v_fma_f64 v[23:24], -v[17:18], v[21:22], 1.0
	v_fma_f64 v[21:22], v[23:24], v[21:22], v[21:22]
	v_fma_f64 v[23:24], -v[17:18], v[21:22], 1.0
	v_fma_f64 v[21:22], v[23:24], v[21:22], v[21:22]
	v_mul_f64 v[23:24], v[17:18], v[21:22]
	v_fma_f64 v[19:20], v[21:22], v[17:18], -v[23:24]
	v_fma_f64 v[15:16], v[21:22], v[15:16], v[19:20]
	v_add_f64 v[19:20], v[23:24], v[15:16]
	v_add_f64 v[45:46], -v[19:20], 1.0
	v_add_f64 v[23:24], v[19:20], -v[23:24]
	v_add_f64 v[47:48], -v[45:46], 1.0
	v_add_f64 v[15:16], v[23:24], -v[15:16]
	v_add_f64 v[19:20], v[47:48], -v[19:20]
	v_add_f64 v[15:16], v[15:16], v[19:20]
	v_and_b32_e32 v19, 1, v43
	v_cmp_eq_u32_e64 s[2:3], 0, v19
	v_add_f64 v[15:16], v[45:46], v[15:16]
	v_mul_f64 v[15:16], v[21:22], v[15:16]
	v_add_f64 v[15:16], v[21:22], v[15:16]
	v_xor_b32_e32 v13, 0x80000000, v16
	v_cndmask_b32_e64 v13, v13, v18, s[2:3]
	v_cndmask_b32_e64 v15, v15, v17, s[2:3]
	v_xor_b32_e32 v14, v13, v14
	v_cndmask_b32_e64 v13, 0, v15, s[6:7]
	v_cndmask_b32_e64 v14, v41, v14, s[6:7]
	global_store_dwordx2 v[5:6], v[13:14], off
	s_or_b64 exec, exec, s[8:9]
	s_and_saveexec_b64 s[6:7], s[0:1]
	s_cbranch_execz .LBB97_29
.LBB97_34:                              ;   in Loop: Header=BB97_4 Depth=1
	v_mul_f64 v[13:14], v[25:26], v[25:26]
	v_add_f64 v[15:16], v[27:28], v[27:28]
	v_cmp_class_f64_e64 s[2:3], v[11:12], s78
	v_and_b32_e32 v12, 0x80000000, v12
	v_fma_f64 v[17:18], v[25:26], v[25:26], -v[13:14]
	v_fma_f64 v[15:16], v[25:26], v[15:16], v[17:18]
	v_add_f64 v[13:14], v[13:14], v[15:16]
	v_fma_f64 v[15:16], v[13:14], s[40:41], v[7:8]
	v_fma_f64 v[15:16], v[13:14], v[15:16], s[42:43]
	;; [unrolled: 1-line block ×13, first 2 shown]
	v_mul_f64 v[13:14], v[13:14], v[15:16]
	v_mul_f64 v[15:16], v[25:26], v[13:14]
	v_add_f64 v[17:18], v[25:26], v[15:16]
	v_fma_f64 v[13:14], v[25:26], v[13:14], -v[15:16]
	v_add_f64 v[19:20], v[17:18], -v[25:26]
	v_add_f64 v[13:14], v[27:28], v[13:14]
	v_add_f64 v[15:16], v[15:16], -v[19:20]
	v_add_f64 v[13:14], v[13:14], v[15:16]
	v_add_f64 v[15:16], v[17:18], v[13:14]
	v_rcp_f64_e32 v[19:20], v[15:16]
	v_add_f64 v[17:18], v[15:16], -v[17:18]
	v_add_f64 v[13:14], v[13:14], -v[17:18]
	v_fma_f64 v[21:22], -v[15:16], v[19:20], 1.0
	v_fma_f64 v[19:20], v[21:22], v[19:20], v[19:20]
	v_fma_f64 v[21:22], -v[15:16], v[19:20], 1.0
	v_fma_f64 v[19:20], v[21:22], v[19:20], v[19:20]
	v_mul_f64 v[21:22], v[15:16], v[19:20]
	v_fma_f64 v[17:18], v[19:20], v[15:16], -v[21:22]
	v_fma_f64 v[13:14], v[19:20], v[13:14], v[17:18]
	v_add_f64 v[17:18], v[21:22], v[13:14]
	v_add_f64 v[23:24], -v[17:18], 1.0
	v_add_f64 v[21:22], v[17:18], -v[21:22]
	v_add_f64 v[25:26], -v[23:24], 1.0
	v_add_f64 v[13:14], v[21:22], -v[13:14]
	v_add_f64 v[17:18], v[25:26], -v[17:18]
	v_add_f64 v[13:14], v[13:14], v[17:18]
	v_and_b32_e32 v17, 1, v44
	v_cmp_eq_u32_e64 s[0:1], 0, v17
	v_add_f64 v[13:14], v[23:24], v[13:14]
	v_mul_f64 v[13:14], v[19:20], v[13:14]
	v_add_f64 v[13:14], v[19:20], v[13:14]
	v_xor_b32_e32 v11, 0x80000000, v14
	v_cndmask_b32_e64 v13, v13, v15, s[0:1]
	v_cndmask_b32_e64 v14, v11, v16, s[0:1]
	v_cndmask_b32_e64 v11, 0, v13, s[2:3]
	v_xor_b32_e32 v12, v14, v12
	v_add_co_u32_e64 v13, s[0:1], s76, v3
	v_cndmask_b32_e64 v12, v41, v12, s[2:3]
	v_addc_co_u32_e64 v14, s[0:1], 0, v4, s[0:1]
	global_store_dwordx2 v[13:14], v[11:12], off
	s_or_b64 exec, exec, s[6:7]
	s_and_saveexec_b64 s[2:3], vcc
	s_cbranch_execz .LBB97_3
.LBB97_35:                              ;   in Loop: Header=BB97_4 Depth=1
	v_mul_f64 v[11:12], v[29:30], v[29:30]
	v_add_f64 v[13:14], v[31:32], v[31:32]
	v_cmp_class_f64_e64 s[0:1], v[9:10], s78
	v_and_b32_e32 v2, 1, v2
	v_cmp_eq_u32_e32 vcc, 0, v2
	v_and_b32_e32 v10, 0x80000000, v10
	v_fma_f64 v[15:16], v[29:30], v[29:30], -v[11:12]
	v_fma_f64 v[13:14], v[29:30], v[13:14], v[15:16]
	v_add_f64 v[11:12], v[11:12], v[13:14]
	v_fma_f64 v[13:14], v[11:12], s[40:41], v[7:8]
	v_fma_f64 v[13:14], v[11:12], v[13:14], s[42:43]
	;; [unrolled: 1-line block ×13, first 2 shown]
	v_mul_f64 v[11:12], v[11:12], v[13:14]
	v_mul_f64 v[13:14], v[29:30], v[11:12]
	v_add_f64 v[15:16], v[29:30], v[13:14]
	v_fma_f64 v[11:12], v[29:30], v[11:12], -v[13:14]
	v_add_f64 v[17:18], v[15:16], -v[29:30]
	v_add_f64 v[11:12], v[31:32], v[11:12]
	v_add_f64 v[13:14], v[13:14], -v[17:18]
	v_add_f64 v[11:12], v[11:12], v[13:14]
	v_add_f64 v[13:14], v[15:16], v[11:12]
	v_rcp_f64_e32 v[17:18], v[13:14]
	v_add_f64 v[15:16], v[13:14], -v[15:16]
	v_add_f64 v[11:12], v[11:12], -v[15:16]
	v_fma_f64 v[19:20], -v[13:14], v[17:18], 1.0
	v_fma_f64 v[17:18], v[19:20], v[17:18], v[17:18]
	v_fma_f64 v[19:20], -v[13:14], v[17:18], 1.0
	v_fma_f64 v[17:18], v[19:20], v[17:18], v[17:18]
	v_mul_f64 v[19:20], v[13:14], v[17:18]
	v_fma_f64 v[15:16], v[17:18], v[13:14], -v[19:20]
	v_fma_f64 v[11:12], v[17:18], v[11:12], v[15:16]
	v_add_f64 v[15:16], v[19:20], v[11:12]
	v_add_f64 v[21:22], -v[15:16], 1.0
	v_add_f64 v[19:20], v[15:16], -v[19:20]
	v_add_f64 v[23:24], -v[21:22], 1.0
	v_add_f64 v[11:12], v[19:20], -v[11:12]
	v_add_f64 v[15:16], v[23:24], -v[15:16]
	v_add_f64 v[11:12], v[11:12], v[15:16]
	v_add_f64 v[11:12], v[21:22], v[11:12]
	v_mul_f64 v[11:12], v[17:18], v[11:12]
	v_add_f64 v[11:12], v[17:18], v[11:12]
	v_xor_b32_e32 v9, 0x80000000, v12
	v_cndmask_b32_e32 v2, v11, v13, vcc
	v_cndmask_b32_e32 v11, v9, v14, vcc
	v_cndmask_b32_e64 v9, 0, v2, s[0:1]
	v_xor_b32_e32 v2, v11, v10
	v_add_co_u32_e32 v11, vcc, s75, v3
	v_cndmask_b32_e64 v10, v41, v2, s[0:1]
	v_addc_co_u32_e32 v12, vcc, 0, v4, vcc
	global_store_dwordx2 v[11:12], v[9:10], off
	s_branch .LBB97_3
.LBB97_36:
	s_cbranch_execz .LBB97_38
	s_branch .LBB97_57
.LBB97_37:
.LBB97_38:
	v_mov_b32_e32 v1, 0x10000
	v_mov_b32_e32 v2, 0
	v_cmp_lt_i64_e32 vcc, s[16:17], v[1:2]
	v_mov_b32_e32 v10, 0
	s_and_b64 s[0:1], vcc, exec
	s_cselect_b32 s7, s17, 0
	s_cselect_b32 s6, s16, 0x10000
	v_lshlrev_b32_e32 v1, 2, v0
	v_mov_b32_e32 v2, v10
	v_cmp_gt_i64_e32 vcc, s[6:7], v[1:2]
	s_and_saveexec_b64 s[0:1], vcc
	s_cbranch_execz .LBB97_57
; %bb.39:
	s_load_dword s0, s[4:5], 0xd3c
	v_lshlrev_b32_e32 v2, 5, v0
	s_mov_b32 s10, 0
	s_mov_b32 s18, 0x54442d18
	;; [unrolled: 1-line block ×3, first 2 shown]
	s_waitcnt lgkmcnt(0)
	s_and_b32 s33, s0, 0xffff
	s_add_u32 s0, s12, s14
	s_addc_u32 s1, s13, s15
	v_mov_b32_e32 v3, s1
	v_add_co_u32_e32 v2, vcc, s0, v2
	v_addc_co_u32_e32 v3, vcc, 0, v3, vcc
	v_add_co_u32_e32 v12, vcc, 16, v2
	s_mov_b32 s12, 0
	s_mov_b32 s14, 0
	;; [unrolled: 1-line block ×18, first 2 shown]
	v_mov_b32_e32 v1, v10
	v_addc_co_u32_e32 v13, vcc, 0, v3, vcc
	s_lshl_b32 s60, s33, 5
	s_mov_b64 s[8:9], 0
	s_mov_b32 s11, 0x41d00000
	s_mov_b32 s13, 0x7b000000
	s_movk_i32 s61, 0xff80
	s_mov_b32 s15, 0x7ff00000
	s_mov_b32 s17, 0x3ff921fb
	;; [unrolled: 1-line block ×22, first 2 shown]
	s_movk_i32 s62, 0x1f8
	v_mov_b32_e32 v30, 0x40100000
	v_mov_b32_e32 v31, 0x3ff00000
	;; [unrolled: 1-line block ×3, first 2 shown]
	s_branch .LBB97_41
.LBB97_40:                              ;   in Loop: Header=BB97_41 Depth=1
	s_or_b64 exec, exec, s[0:1]
	v_mul_f64 v[37:38], v[24:25], v[24:25]
	v_mul_f64 v[39:40], v[20:21], v[20:21]
	;; [unrolled: 1-line block ×4, first 2 shown]
	v_add_f64 v[41:42], v[22:23], v[22:23]
	v_add_f64 v[47:48], v[18:19], v[18:19]
	;; [unrolled: 1-line block ×4, first 2 shown]
	v_fma_f64 v[49:50], v[24:25], v[24:25], -v[37:38]
	v_fma_f64 v[51:52], v[20:21], v[20:21], -v[39:40]
	;; [unrolled: 1-line block ×4, first 2 shown]
	v_add_co_u32_e32 v0, vcc, s33, v0
	v_addc_co_u32_e32 v1, vcc, 0, v1, vcc
	v_fma_f64 v[41:42], v[24:25], v[41:42], v[49:50]
	v_fma_f64 v[47:48], v[20:21], v[47:48], v[51:52]
	v_fma_f64 v[49:50], v[16:17], v[53:54], v[57:58]
	v_fma_f64 v[51:52], v[28:29], v[55:56], v[59:60]
	v_and_b32_e32 v11, 1, v35
	v_and_b32_e32 v35, 0x80000000, v3
	v_and_b32_e32 v36, 1, v36
	v_cmp_eq_u32_e64 s[4:5], 0, v36
	v_add_f64 v[37:38], v[37:38], v[41:42]
	v_add_f64 v[39:40], v[39:40], v[47:48]
	;; [unrolled: 1-line block ×4, first 2 shown]
	v_mov_b32_e32 v46, s31
	v_mov_b32_e32 v45, s30
	v_fma_f64 v[47:48], v[37:38], s[34:35], v[45:46]
	v_fma_f64 v[49:50], v[39:40], s[34:35], v[45:46]
	;; [unrolled: 1-line block ×52, first 2 shown]
	v_mul_f64 v[37:38], v[37:38], v[47:48]
	v_mul_f64 v[39:40], v[39:40], v[49:50]
	;; [unrolled: 1-line block ×8, first 2 shown]
	v_add_f64 v[53:54], v[24:25], v[45:46]
	v_add_f64 v[55:56], v[20:21], v[47:48]
	;; [unrolled: 1-line block ×4, first 2 shown]
	v_fma_f64 v[37:38], v[24:25], v[37:38], -v[45:46]
	v_fma_f64 v[39:40], v[20:21], v[39:40], -v[47:48]
	;; [unrolled: 1-line block ×4, first 2 shown]
	v_add_f64 v[24:25], v[53:54], -v[24:25]
	v_add_f64 v[20:21], v[55:56], -v[20:21]
	;; [unrolled: 1-line block ×4, first 2 shown]
	v_add_f64 v[22:23], v[22:23], v[37:38]
	v_add_f64 v[18:19], v[18:19], v[39:40]
	;; [unrolled: 1-line block ×4, first 2 shown]
	v_add_f64 v[24:25], v[45:46], -v[24:25]
	v_add_f64 v[20:21], v[47:48], -v[20:21]
	;; [unrolled: 1-line block ×4, first 2 shown]
	v_add_f64 v[22:23], v[22:23], v[24:25]
	v_add_f64 v[18:19], v[18:19], v[20:21]
	;; [unrolled: 1-line block ×8, first 2 shown]
	v_rcp_f64_e32 v[37:38], v[20:21]
	v_rcp_f64_e32 v[39:40], v[24:25]
	v_rcp_f64_e32 v[41:42], v[26:27]
	v_rcp_f64_e32 v[43:44], v[28:29]
	v_fma_f64 v[45:46], -v[20:21], v[37:38], 1.0
	v_fma_f64 v[47:48], -v[24:25], v[39:40], 1.0
	;; [unrolled: 1-line block ×4, first 2 shown]
	v_fma_f64 v[37:38], v[45:46], v[37:38], v[37:38]
	v_fma_f64 v[39:40], v[47:48], v[39:40], v[39:40]
	;; [unrolled: 1-line block ×4, first 2 shown]
	v_fma_f64 v[45:46], -v[20:21], v[37:38], 1.0
	v_fma_f64 v[47:48], -v[24:25], v[39:40], 1.0
	;; [unrolled: 1-line block ×4, first 2 shown]
	v_fma_f64 v[37:38], v[45:46], v[37:38], v[37:38]
	v_fma_f64 v[39:40], v[47:48], v[39:40], v[39:40]
	v_add_f64 v[45:46], v[20:21], -v[53:54]
	v_fma_f64 v[41:42], v[49:50], v[41:42], v[41:42]
	v_add_f64 v[47:48], v[24:25], -v[55:56]
	;; [unrolled: 2-line block ×3, first 2 shown]
	v_add_f64 v[55:56], v[28:29], -v[59:60]
	v_mul_f64 v[49:50], v[20:21], v[37:38]
	v_mul_f64 v[51:52], v[24:25], v[39:40]
	v_add_f64 v[22:23], v[22:23], -v[45:46]
	v_mul_f64 v[45:46], v[26:27], v[41:42]
	v_add_f64 v[18:19], v[18:19], -v[47:48]
	;; [unrolled: 2-line block ×3, first 2 shown]
	v_add_f64 v[16:17], v[16:17], -v[55:56]
	v_fma_f64 v[57:58], v[37:38], v[20:21], -v[49:50]
	v_fma_f64 v[59:60], v[39:40], v[24:25], -v[51:52]
	;; [unrolled: 1-line block ×4, first 2 shown]
	v_fma_f64 v[22:23], v[37:38], v[22:23], v[57:58]
	v_fma_f64 v[18:19], v[39:40], v[18:19], v[59:60]
	;; [unrolled: 1-line block ×4, first 2 shown]
	v_add_f64 v[53:54], v[49:50], v[22:23]
	v_add_f64 v[55:56], v[51:52], v[18:19]
	;; [unrolled: 1-line block ×4, first 2 shown]
	v_add_f64 v[61:62], -v[53:54], 1.0
	v_add_f64 v[63:64], -v[55:56], 1.0
	v_add_f64 v[49:50], v[53:54], -v[49:50]
	v_add_f64 v[65:66], -v[57:58], 1.0
	v_add_f64 v[51:52], v[55:56], -v[51:52]
	;; [unrolled: 2-line block ×3, first 2 shown]
	v_add_f64 v[47:48], v[59:60], -v[47:48]
	v_add_f64 v[69:70], -v[61:62], 1.0
	v_add_f64 v[71:72], -v[63:64], 1.0
	v_add_f64 v[22:23], v[49:50], -v[22:23]
	v_add_f64 v[49:50], -v[65:66], 1.0
	v_add_f64 v[18:19], v[51:52], -v[18:19]
	;; [unrolled: 2-line block ×3, first 2 shown]
	v_add_f64 v[16:17], v[47:48], -v[16:17]
	v_add_f64 v[53:54], v[69:70], -v[53:54]
	;; [unrolled: 1-line block ×5, first 2 shown]
	v_add_f64 v[22:23], v[22:23], v[53:54]
	v_add_f64 v[18:19], v[18:19], v[55:56]
	;; [unrolled: 1-line block ×3, first 2 shown]
	v_and_b32_e32 v45, 1, v34
	v_add_f64 v[16:17], v[16:17], v[47:48]
	v_and_b32_e32 v47, 1, v33
	v_lshlrev_b64 v[33:34], 2, v[0:1]
	v_add_f64 v[22:23], v[61:62], v[22:23]
	v_add_f64 v[18:19], v[63:64], v[18:19]
	v_cmp_le_i64_e32 vcc, s[6:7], v[33:34]
	v_add_f64 v[14:15], v[65:66], v[14:15]
	s_or_b64 s[8:9], vcc, s[8:9]
	v_add_f64 v[16:17], v[67:68], v[16:17]
	v_cmp_eq_u32_e32 vcc, 0, v11
	v_cmp_eq_u32_e64 s[0:1], 0, v45
	v_mul_f64 v[22:23], v[37:38], v[22:23]
	v_mul_f64 v[18:19], v[39:40], v[18:19]
	v_cmp_eq_u32_e64 s[2:3], 0, v47
	v_mul_f64 v[14:15], v[41:42], v[14:15]
	v_and_b32_e32 v46, 0x80000000, v9
	v_mul_f64 v[16:17], v[43:44], v[16:17]
	v_and_b32_e32 v48, 0x80000000, v7
	v_and_b32_e32 v33, 0x80000000, v5
	v_add_f64 v[22:23], v[37:38], v[22:23]
	v_add_f64 v[18:19], v[39:40], v[18:19]
	;; [unrolled: 1-line block ×4, first 2 shown]
	v_xor_b32_e32 v23, 0x80000000, v23
	v_xor_b32_e32 v19, 0x80000000, v19
	v_cndmask_b32_e32 v11, v22, v20, vcc
	v_xor_b32_e32 v15, 0x80000000, v15
	v_cndmask_b32_e64 v18, v18, v24, s[0:1]
	v_cndmask_b32_e64 v14, v14, v26, s[2:3]
	v_cndmask_b32_e32 v20, v23, v21, vcc
	v_cmp_class_f64_e64 vcc, v[2:3], s62
	v_cndmask_b32_e64 v3, v19, v25, s[0:1]
	v_cmp_class_f64_e64 s[0:1], v[8:9], s62
	v_cndmask_b32_e64 v9, v15, v27, s[2:3]
	v_cmp_class_f64_e64 s[2:3], v[6:7], s62
	v_xor_b32_e32 v17, 0x80000000, v17
	v_cndmask_b32_e64 v16, v16, v28, s[4:5]
	v_cndmask_b32_e64 v7, v17, v29, s[4:5]
	v_cmp_class_f64_e64 s[4:5], v[4:5], s62
	v_cndmask_b32_e32 v2, 0, v11, vcc
	v_xor_b32_e32 v11, v3, v46
	v_cndmask_b32_e64 v8, 0, v18, s[0:1]
	v_cndmask_b32_e64 v6, 0, v14, s[2:3]
	v_xor_b32_e32 v14, v9, v48
	v_xor_b32_e32 v5, v20, v35
	;; [unrolled: 1-line block ×3, first 2 shown]
	v_cndmask_b32_e64 v9, v32, v11, s[0:1]
	v_cndmask_b32_e64 v7, v32, v14, s[2:3]
	;; [unrolled: 1-line block ×3, first 2 shown]
	v_cndmask_b32_e32 v3, v32, v5, vcc
	v_cndmask_b32_e64 v5, v32, v15, s[4:5]
	global_store_dwordx4 v[12:13], v[6:9], off offset:-16
	global_store_dwordx4 v[12:13], v[2:5], off
	v_add_co_u32_e32 v12, vcc, s60, v12
	v_addc_co_u32_e32 v13, vcc, 0, v13, vcc
	s_andn2_b64 exec, exec, s[8:9]
	s_cbranch_execz .LBB97_57
.LBB97_41:                              ; =>This Inner Loop Header: Depth=1
	global_load_dwordx4 v[6:9], v[12:13], off offset:-16
	global_load_dwordx4 v[2:5], v[12:13], off
                                        ; implicit-def: $vgpr33
                                        ; implicit-def: $vgpr16_vgpr17
                                        ; implicit-def: $vgpr14_vgpr15
	s_waitcnt vmcnt(1)
	v_cmp_nlt_f64_e64 s[0:1], |v[6:7]|, s[10:11]
	s_and_saveexec_b64 s[2:3], s[0:1]
	s_xor_b64 s[2:3], exec, s[2:3]
	s_cbranch_execz .LBB97_43
; %bb.42:                               ;   in Loop: Header=BB97_41 Depth=1
	v_trig_preop_f64 v[14:15], |v[6:7]|, 0
	v_ldexp_f64 v[18:19], |v[6:7]|, s61
	v_cmp_ge_f64_e64 vcc, |v[6:7]|, s[12:13]
	v_trig_preop_f64 v[16:17], |v[6:7]|, 1
	v_and_b32_e32 v11, 0x7fffffff, v7
	v_trig_preop_f64 v[26:27], |v[6:7]|, 2
	s_mov_b32 s16, s18
	s_mov_b32 s23, s21
	v_cndmask_b32_e32 v19, v11, v19, vcc
	v_cndmask_b32_e32 v18, v6, v18, vcc
	v_mul_f64 v[20:21], v[14:15], v[18:19]
	v_mul_f64 v[22:23], v[16:17], v[18:19]
	;; [unrolled: 1-line block ×3, first 2 shown]
	v_fma_f64 v[14:15], v[14:15], v[18:19], -v[20:21]
	v_fma_f64 v[16:17], v[16:17], v[18:19], -v[22:23]
	;; [unrolled: 1-line block ×3, first 2 shown]
	v_add_f64 v[24:25], v[22:23], v[14:15]
	v_add_f64 v[28:29], v[24:25], -v[22:23]
	v_add_f64 v[37:38], v[20:21], v[24:25]
	v_add_f64 v[33:34], v[24:25], -v[28:29]
	v_add_f64 v[14:15], v[14:15], -v[28:29]
	v_add_f64 v[28:29], v[35:36], v[16:17]
	v_add_f64 v[20:21], v[37:38], -v[20:21]
	v_add_f64 v[22:23], v[22:23], -v[33:34]
	v_ldexp_f64 v[33:34], v[37:38], -2
	v_add_f64 v[39:40], v[28:29], -v[35:36]
	v_add_f64 v[20:21], v[24:25], -v[20:21]
	v_add_f64 v[14:15], v[14:15], v[22:23]
	v_fract_f64_e32 v[22:23], v[33:34]
	v_cmp_neq_f64_e64 vcc, |v[33:34]|, s[14:15]
	v_add_f64 v[16:17], v[16:17], -v[39:40]
	v_add_f64 v[24:25], v[28:29], v[14:15]
	v_ldexp_f64 v[22:23], v[22:23], 2
	v_add_f64 v[33:34], v[20:21], v[24:25]
	v_cndmask_b32_e32 v23, 0, v23, vcc
	v_cndmask_b32_e32 v22, 0, v22, vcc
	v_add_f64 v[41:42], v[24:25], -v[28:29]
	v_add_f64 v[37:38], v[33:34], v[22:23]
	v_add_f64 v[20:21], v[33:34], -v[20:21]
	v_add_f64 v[43:44], v[24:25], -v[41:42]
	;; [unrolled: 1-line block ×3, first 2 shown]
	v_cmp_gt_f64_e32 vcc, 0, v[37:38]
	v_add_f64 v[37:38], v[28:29], -v[39:40]
	v_add_f64 v[20:21], v[24:25], -v[20:21]
	;; [unrolled: 1-line block ×3, first 2 shown]
	v_cndmask_b32_e32 v11, 0, v30, vcc
	v_add_f64 v[22:23], v[22:23], v[10:11]
	v_add_f64 v[37:38], v[35:36], -v[37:38]
	v_add_f64 v[14:15], v[14:15], v[28:29]
	v_add_f64 v[45:46], v[33:34], v[22:23]
	;; [unrolled: 1-line block ×3, first 2 shown]
	v_cvt_i32_f64_e32 v11, v[45:46]
	v_add_f64 v[14:15], v[16:17], v[14:15]
	v_cvt_f64_i32_e32 v[39:40], v11
	v_add_f64 v[22:23], v[22:23], -v[39:40]
	v_add_f64 v[14:15], v[18:19], v[14:15]
	v_add_f64 v[16:17], v[33:34], v[22:23]
	;; [unrolled: 1-line block ×3, first 2 shown]
	v_add_f64 v[18:19], v[16:17], -v[22:23]
	v_cmp_le_f64_e32 vcc, 0.5, v[16:17]
	v_add_f64 v[18:19], v[33:34], -v[18:19]
	v_addc_co_u32_e64 v33, s[0:1], 0, v11, vcc
	v_cndmask_b32_e32 v11, 0, v31, vcc
	v_add_f64 v[16:17], v[16:17], -v[10:11]
	v_add_f64 v[14:15], v[14:15], v[18:19]
	v_add_f64 v[18:19], v[16:17], v[14:15]
	v_mul_f64 v[20:21], v[18:19], s[16:17]
	v_add_f64 v[16:17], v[18:19], -v[16:17]
	v_fma_f64 v[22:23], v[18:19], s[16:17], -v[20:21]
	v_add_f64 v[14:15], v[14:15], -v[16:17]
	v_fma_f64 v[16:17], v[18:19], s[22:23], v[22:23]
	v_fma_f64 v[14:15], v[14:15], s[16:17], v[16:17]
	v_add_f64 v[16:17], v[20:21], v[14:15]
	v_add_f64 v[18:19], v[16:17], -v[20:21]
	v_add_f64 v[14:15], v[14:15], -v[18:19]
.LBB97_43:                              ;   in Loop: Header=BB97_41 Depth=1
	s_andn2_saveexec_b64 s[0:1], s[2:3]
	s_cbranch_execz .LBB97_45
; %bb.44:                               ;   in Loop: Header=BB97_41 Depth=1
	v_mul_f64 v[14:15], |v[6:7]|, s[24:25]
	s_mov_b32 s20, s26
	v_rndne_f64_e32 v[18:19], v[14:15]
	v_fma_f64 v[14:15], v[18:19], s[18:19], |v[6:7]|
	v_mul_f64 v[16:17], v[18:19], s[26:27]
	v_cvt_i32_f64_e32 v33, v[18:19]
	v_add_f64 v[20:21], v[14:15], v[16:17]
	v_add_f64 v[22:23], v[14:15], -v[20:21]
	v_fma_f64 v[14:15], v[18:19], s[26:27], v[14:15]
	v_add_f64 v[22:23], v[22:23], v[16:17]
	v_add_f64 v[20:21], v[20:21], -v[14:15]
	v_fma_f64 v[16:17], v[18:19], s[20:21], v[16:17]
	;; [unrolled: 3-line block ×3, first 2 shown]
	v_add_f64 v[16:17], v[14:15], v[20:21]
	v_add_f64 v[14:15], v[16:17], -v[14:15]
	v_add_f64 v[14:15], v[20:21], -v[14:15]
.LBB97_45:                              ;   in Loop: Header=BB97_41 Depth=1
	s_or_b64 exec, exec, s[0:1]
	v_cmp_nlt_f64_e64 s[0:1], |v[8:9]|, s[10:11]
                                        ; implicit-def: $vgpr34
                                        ; implicit-def: $vgpr20_vgpr21
                                        ; implicit-def: $vgpr18_vgpr19
	s_and_saveexec_b64 s[2:3], s[0:1]
	s_xor_b64 s[2:3], exec, s[2:3]
	s_cbranch_execz .LBB97_47
; %bb.46:                               ;   in Loop: Header=BB97_41 Depth=1
	v_trig_preop_f64 v[18:19], |v[8:9]|, 0
	v_ldexp_f64 v[22:23], |v[8:9]|, s61
	v_cmp_ge_f64_e64 vcc, |v[8:9]|, s[12:13]
	v_trig_preop_f64 v[20:21], |v[8:9]|, 1
	v_and_b32_e32 v11, 0x7fffffff, v9
	v_trig_preop_f64 v[34:35], |v[8:9]|, 2
	s_mov_b32 s16, s18
	s_mov_b32 s23, s21
	v_cndmask_b32_e32 v23, v11, v23, vcc
	v_cndmask_b32_e32 v22, v8, v22, vcc
	v_mul_f64 v[24:25], v[18:19], v[22:23]
	v_mul_f64 v[26:27], v[20:21], v[22:23]
	;; [unrolled: 1-line block ×3, first 2 shown]
	v_fma_f64 v[18:19], v[18:19], v[22:23], -v[24:25]
	v_fma_f64 v[20:21], v[20:21], v[22:23], -v[26:27]
	;; [unrolled: 1-line block ×3, first 2 shown]
	v_add_f64 v[28:29], v[26:27], v[18:19]
	v_add_f64 v[36:37], v[28:29], -v[26:27]
	v_add_f64 v[42:43], v[24:25], v[28:29]
	v_add_f64 v[38:39], v[28:29], -v[36:37]
	v_add_f64 v[18:19], v[18:19], -v[36:37]
	v_add_f64 v[36:37], v[40:41], v[20:21]
	v_add_f64 v[24:25], v[42:43], -v[24:25]
	v_add_f64 v[26:27], v[26:27], -v[38:39]
	v_ldexp_f64 v[38:39], v[42:43], -2
	v_add_f64 v[44:45], v[36:37], -v[40:41]
	v_add_f64 v[24:25], v[28:29], -v[24:25]
	v_add_f64 v[18:19], v[18:19], v[26:27]
	v_fract_f64_e32 v[26:27], v[38:39]
	v_cmp_neq_f64_e64 vcc, |v[38:39]|, s[14:15]
	v_add_f64 v[20:21], v[20:21], -v[44:45]
	v_add_f64 v[28:29], v[36:37], v[18:19]
	v_ldexp_f64 v[26:27], v[26:27], 2
	v_add_f64 v[38:39], v[24:25], v[28:29]
	v_cndmask_b32_e32 v27, 0, v27, vcc
	v_cndmask_b32_e32 v26, 0, v26, vcc
	v_add_f64 v[46:47], v[28:29], -v[36:37]
	v_add_f64 v[42:43], v[38:39], v[26:27]
	v_add_f64 v[24:25], v[38:39], -v[24:25]
	v_add_f64 v[48:49], v[28:29], -v[46:47]
	;; [unrolled: 1-line block ×3, first 2 shown]
	v_cmp_gt_f64_e32 vcc, 0, v[42:43]
	v_add_f64 v[42:43], v[36:37], -v[44:45]
	v_add_f64 v[24:25], v[28:29], -v[24:25]
	;; [unrolled: 1-line block ×3, first 2 shown]
	v_cndmask_b32_e32 v11, 0, v30, vcc
	v_add_f64 v[26:27], v[26:27], v[10:11]
	v_add_f64 v[42:43], v[40:41], -v[42:43]
	v_add_f64 v[18:19], v[18:19], v[36:37]
	v_add_f64 v[50:51], v[38:39], v[26:27]
	;; [unrolled: 1-line block ×3, first 2 shown]
	v_cvt_i32_f64_e32 v11, v[50:51]
	v_add_f64 v[18:19], v[20:21], v[18:19]
	v_cvt_f64_i32_e32 v[44:45], v11
	v_add_f64 v[26:27], v[26:27], -v[44:45]
	v_add_f64 v[18:19], v[22:23], v[18:19]
	v_add_f64 v[20:21], v[38:39], v[26:27]
	;; [unrolled: 1-line block ×3, first 2 shown]
	v_add_f64 v[22:23], v[20:21], -v[26:27]
	v_cmp_le_f64_e32 vcc, 0.5, v[20:21]
	v_add_f64 v[22:23], v[38:39], -v[22:23]
	v_addc_co_u32_e64 v34, s[0:1], 0, v11, vcc
	v_cndmask_b32_e32 v11, 0, v31, vcc
	v_add_f64 v[20:21], v[20:21], -v[10:11]
	v_add_f64 v[18:19], v[18:19], v[22:23]
	v_add_f64 v[22:23], v[20:21], v[18:19]
	v_mul_f64 v[24:25], v[22:23], s[16:17]
	v_add_f64 v[20:21], v[22:23], -v[20:21]
	v_fma_f64 v[26:27], v[22:23], s[16:17], -v[24:25]
	v_add_f64 v[18:19], v[18:19], -v[20:21]
	v_fma_f64 v[20:21], v[22:23], s[22:23], v[26:27]
	v_fma_f64 v[18:19], v[18:19], s[16:17], v[20:21]
	v_add_f64 v[20:21], v[24:25], v[18:19]
	v_add_f64 v[22:23], v[20:21], -v[24:25]
	v_add_f64 v[18:19], v[18:19], -v[22:23]
.LBB97_47:                              ;   in Loop: Header=BB97_41 Depth=1
	s_andn2_saveexec_b64 s[0:1], s[2:3]
	s_cbranch_execz .LBB97_49
; %bb.48:                               ;   in Loop: Header=BB97_41 Depth=1
	v_mul_f64 v[18:19], |v[8:9]|, s[24:25]
	s_mov_b32 s20, s26
	v_rndne_f64_e32 v[22:23], v[18:19]
	v_fma_f64 v[18:19], v[22:23], s[18:19], |v[8:9]|
	v_mul_f64 v[20:21], v[22:23], s[26:27]
	v_cvt_i32_f64_e32 v34, v[22:23]
	v_add_f64 v[24:25], v[18:19], v[20:21]
	v_add_f64 v[26:27], v[18:19], -v[24:25]
	v_fma_f64 v[18:19], v[22:23], s[26:27], v[18:19]
	v_add_f64 v[26:27], v[26:27], v[20:21]
	v_add_f64 v[24:25], v[24:25], -v[18:19]
	v_fma_f64 v[20:21], v[22:23], s[20:21], v[20:21]
	v_add_f64 v[24:25], v[24:25], v[26:27]
	v_add_f64 v[20:21], v[24:25], -v[20:21]
	v_fma_f64 v[24:25], v[22:23], s[28:29], v[20:21]
	v_add_f64 v[20:21], v[18:19], v[24:25]
	v_add_f64 v[18:19], v[20:21], -v[18:19]
	v_add_f64 v[18:19], v[24:25], -v[18:19]
.LBB97_49:                              ;   in Loop: Header=BB97_41 Depth=1
	s_or_b64 exec, exec, s[0:1]
	s_waitcnt vmcnt(0)
	v_cmp_nlt_f64_e64 s[0:1], |v[2:3]|, s[10:11]
                                        ; implicit-def: $vgpr35
                                        ; implicit-def: $vgpr24_vgpr25
                                        ; implicit-def: $vgpr22_vgpr23
	s_and_saveexec_b64 s[2:3], s[0:1]
	s_xor_b64 s[2:3], exec, s[2:3]
	s_cbranch_execz .LBB97_51
; %bb.50:                               ;   in Loop: Header=BB97_41 Depth=1
	v_trig_preop_f64 v[22:23], |v[2:3]|, 0
	v_ldexp_f64 v[26:27], |v[2:3]|, s61
	v_cmp_ge_f64_e64 vcc, |v[2:3]|, s[12:13]
	v_trig_preop_f64 v[24:25], |v[2:3]|, 1
	v_and_b32_e32 v11, 0x7fffffff, v3
	v_trig_preop_f64 v[39:40], |v[2:3]|, 2
	s_mov_b32 s16, s18
	s_mov_b32 s23, s21
	v_cndmask_b32_e32 v27, v11, v27, vcc
	v_cndmask_b32_e32 v26, v2, v26, vcc
	v_mul_f64 v[28:29], v[22:23], v[26:27]
	v_mul_f64 v[35:36], v[24:25], v[26:27]
	;; [unrolled: 1-line block ×3, first 2 shown]
	v_fma_f64 v[22:23], v[22:23], v[26:27], -v[28:29]
	v_fma_f64 v[24:25], v[24:25], v[26:27], -v[35:36]
	;; [unrolled: 1-line block ×3, first 2 shown]
	v_add_f64 v[37:38], v[35:36], v[22:23]
	v_add_f64 v[41:42], v[37:38], -v[35:36]
	v_add_f64 v[47:48], v[28:29], v[37:38]
	v_add_f64 v[43:44], v[37:38], -v[41:42]
	v_add_f64 v[22:23], v[22:23], -v[41:42]
	v_add_f64 v[41:42], v[45:46], v[24:25]
	v_add_f64 v[28:29], v[47:48], -v[28:29]
	v_add_f64 v[35:36], v[35:36], -v[43:44]
	v_ldexp_f64 v[43:44], v[47:48], -2
	v_add_f64 v[49:50], v[41:42], -v[45:46]
	v_add_f64 v[28:29], v[37:38], -v[28:29]
	v_add_f64 v[22:23], v[22:23], v[35:36]
	v_fract_f64_e32 v[35:36], v[43:44]
	v_cmp_neq_f64_e64 vcc, |v[43:44]|, s[14:15]
	v_add_f64 v[24:25], v[24:25], -v[49:50]
	v_add_f64 v[37:38], v[41:42], v[22:23]
	v_ldexp_f64 v[35:36], v[35:36], 2
	v_add_f64 v[43:44], v[28:29], v[37:38]
	v_cndmask_b32_e32 v36, 0, v36, vcc
	v_cndmask_b32_e32 v35, 0, v35, vcc
	v_add_f64 v[51:52], v[37:38], -v[41:42]
	v_add_f64 v[47:48], v[43:44], v[35:36]
	v_add_f64 v[28:29], v[43:44], -v[28:29]
	v_add_f64 v[53:54], v[37:38], -v[51:52]
	;; [unrolled: 1-line block ×3, first 2 shown]
	v_cmp_gt_f64_e32 vcc, 0, v[47:48]
	v_add_f64 v[47:48], v[41:42], -v[49:50]
	v_add_f64 v[28:29], v[37:38], -v[28:29]
	;; [unrolled: 1-line block ×3, first 2 shown]
	v_cndmask_b32_e32 v11, 0, v30, vcc
	v_add_f64 v[35:36], v[35:36], v[10:11]
	v_add_f64 v[47:48], v[45:46], -v[47:48]
	v_add_f64 v[22:23], v[22:23], v[41:42]
	v_add_f64 v[55:56], v[43:44], v[35:36]
	;; [unrolled: 1-line block ×3, first 2 shown]
	v_cvt_i32_f64_e32 v11, v[55:56]
	v_add_f64 v[22:23], v[24:25], v[22:23]
	v_cvt_f64_i32_e32 v[49:50], v11
	v_add_f64 v[35:36], v[35:36], -v[49:50]
	v_add_f64 v[22:23], v[26:27], v[22:23]
	v_add_f64 v[24:25], v[43:44], v[35:36]
	;; [unrolled: 1-line block ×3, first 2 shown]
	v_add_f64 v[26:27], v[24:25], -v[35:36]
	v_cmp_le_f64_e32 vcc, 0.5, v[24:25]
	v_add_f64 v[26:27], v[43:44], -v[26:27]
	v_addc_co_u32_e64 v35, s[0:1], 0, v11, vcc
	v_cndmask_b32_e32 v11, 0, v31, vcc
	v_add_f64 v[24:25], v[24:25], -v[10:11]
	v_add_f64 v[22:23], v[22:23], v[26:27]
	v_add_f64 v[26:27], v[24:25], v[22:23]
	v_mul_f64 v[28:29], v[26:27], s[16:17]
	v_add_f64 v[24:25], v[26:27], -v[24:25]
	v_fma_f64 v[36:37], v[26:27], s[16:17], -v[28:29]
	v_add_f64 v[22:23], v[22:23], -v[24:25]
	v_fma_f64 v[24:25], v[26:27], s[22:23], v[36:37]
	v_fma_f64 v[22:23], v[22:23], s[16:17], v[24:25]
	v_add_f64 v[24:25], v[28:29], v[22:23]
	v_add_f64 v[26:27], v[24:25], -v[28:29]
	v_add_f64 v[22:23], v[22:23], -v[26:27]
.LBB97_51:                              ;   in Loop: Header=BB97_41 Depth=1
	s_andn2_saveexec_b64 s[0:1], s[2:3]
	s_cbranch_execz .LBB97_53
; %bb.52:                               ;   in Loop: Header=BB97_41 Depth=1
	v_mul_f64 v[22:23], |v[2:3]|, s[24:25]
	s_mov_b32 s20, s26
	v_rndne_f64_e32 v[26:27], v[22:23]
	v_fma_f64 v[22:23], v[26:27], s[18:19], |v[2:3]|
	v_mul_f64 v[24:25], v[26:27], s[26:27]
	v_add_f64 v[28:29], v[22:23], v[24:25]
	v_add_f64 v[35:36], v[22:23], -v[28:29]
	v_fma_f64 v[22:23], v[26:27], s[26:27], v[22:23]
	v_add_f64 v[35:36], v[35:36], v[24:25]
	v_add_f64 v[28:29], v[28:29], -v[22:23]
	v_fma_f64 v[24:25], v[26:27], s[20:21], v[24:25]
	v_add_f64 v[28:29], v[28:29], v[35:36]
	v_cvt_i32_f64_e32 v35, v[26:27]
	v_add_f64 v[24:25], v[28:29], -v[24:25]
	v_fma_f64 v[28:29], v[26:27], s[28:29], v[24:25]
	v_add_f64 v[24:25], v[22:23], v[28:29]
	v_add_f64 v[22:23], v[24:25], -v[22:23]
	v_add_f64 v[22:23], v[28:29], -v[22:23]
.LBB97_53:                              ;   in Loop: Header=BB97_41 Depth=1
	s_or_b64 exec, exec, s[0:1]
	v_cmp_nlt_f64_e64 s[0:1], |v[4:5]|, s[10:11]
                                        ; implicit-def: $vgpr36
                                        ; implicit-def: $vgpr28_vgpr29
                                        ; implicit-def: $vgpr26_vgpr27
	s_and_saveexec_b64 s[2:3], s[0:1]
	s_xor_b64 s[2:3], exec, s[2:3]
	s_cbranch_execz .LBB97_55
; %bb.54:                               ;   in Loop: Header=BB97_41 Depth=1
	v_trig_preop_f64 v[26:27], |v[4:5]|, 0
	v_ldexp_f64 v[36:37], |v[4:5]|, s61
	v_cmp_ge_f64_e64 vcc, |v[4:5]|, s[12:13]
	v_trig_preop_f64 v[28:29], |v[4:5]|, 1
	v_and_b32_e32 v11, 0x7fffffff, v5
	v_trig_preop_f64 v[44:45], |v[4:5]|, 2
	s_mov_b32 s16, s18
	s_mov_b32 s23, s21
	v_cndmask_b32_e32 v37, v11, v37, vcc
	v_cndmask_b32_e32 v36, v4, v36, vcc
	v_mul_f64 v[38:39], v[26:27], v[36:37]
	v_mul_f64 v[40:41], v[28:29], v[36:37]
	;; [unrolled: 1-line block ×3, first 2 shown]
	v_fma_f64 v[26:27], v[26:27], v[36:37], -v[38:39]
	v_fma_f64 v[28:29], v[28:29], v[36:37], -v[40:41]
	;; [unrolled: 1-line block ×3, first 2 shown]
	v_add_f64 v[42:43], v[40:41], v[26:27]
	v_add_f64 v[46:47], v[42:43], -v[40:41]
	v_add_f64 v[52:53], v[38:39], v[42:43]
	v_add_f64 v[48:49], v[42:43], -v[46:47]
	v_add_f64 v[26:27], v[26:27], -v[46:47]
	v_add_f64 v[46:47], v[50:51], v[28:29]
	v_add_f64 v[38:39], v[52:53], -v[38:39]
	v_add_f64 v[40:41], v[40:41], -v[48:49]
	v_ldexp_f64 v[48:49], v[52:53], -2
	v_add_f64 v[54:55], v[46:47], -v[50:51]
	v_add_f64 v[38:39], v[42:43], -v[38:39]
	v_add_f64 v[26:27], v[26:27], v[40:41]
	v_fract_f64_e32 v[40:41], v[48:49]
	v_cmp_neq_f64_e64 vcc, |v[48:49]|, s[14:15]
	v_add_f64 v[28:29], v[28:29], -v[54:55]
	v_add_f64 v[42:43], v[46:47], v[26:27]
	v_ldexp_f64 v[40:41], v[40:41], 2
	v_add_f64 v[48:49], v[38:39], v[42:43]
	v_cndmask_b32_e32 v41, 0, v41, vcc
	v_cndmask_b32_e32 v40, 0, v40, vcc
	v_add_f64 v[56:57], v[42:43], -v[46:47]
	v_add_f64 v[52:53], v[48:49], v[40:41]
	v_add_f64 v[38:39], v[48:49], -v[38:39]
	v_add_f64 v[58:59], v[42:43], -v[56:57]
	v_add_f64 v[26:27], v[26:27], -v[56:57]
	v_cmp_gt_f64_e32 vcc, 0, v[52:53]
	v_add_f64 v[52:53], v[46:47], -v[54:55]
	v_add_f64 v[38:39], v[42:43], -v[38:39]
	;; [unrolled: 1-line block ×3, first 2 shown]
	v_cndmask_b32_e32 v11, 0, v30, vcc
	v_add_f64 v[40:41], v[40:41], v[10:11]
	v_add_f64 v[52:53], v[50:51], -v[52:53]
	v_add_f64 v[26:27], v[26:27], v[46:47]
	v_add_f64 v[60:61], v[48:49], v[40:41]
	;; [unrolled: 1-line block ×3, first 2 shown]
	v_cvt_i32_f64_e32 v11, v[60:61]
	v_add_f64 v[26:27], v[28:29], v[26:27]
	v_cvt_f64_i32_e32 v[54:55], v11
	v_add_f64 v[40:41], v[40:41], -v[54:55]
	v_add_f64 v[26:27], v[36:37], v[26:27]
	v_add_f64 v[28:29], v[48:49], v[40:41]
	;; [unrolled: 1-line block ×3, first 2 shown]
	v_add_f64 v[36:37], v[28:29], -v[40:41]
	v_cmp_le_f64_e32 vcc, 0.5, v[28:29]
	v_add_f64 v[37:38], v[48:49], -v[36:37]
	v_addc_co_u32_e64 v36, s[0:1], 0, v11, vcc
	v_cndmask_b32_e32 v11, 0, v31, vcc
	v_add_f64 v[28:29], v[28:29], -v[10:11]
	v_add_f64 v[26:27], v[26:27], v[37:38]
	v_add_f64 v[37:38], v[28:29], v[26:27]
	v_mul_f64 v[39:40], v[37:38], s[16:17]
	v_add_f64 v[28:29], v[37:38], -v[28:29]
	v_fma_f64 v[41:42], v[37:38], s[16:17], -v[39:40]
	v_add_f64 v[26:27], v[26:27], -v[28:29]
	v_fma_f64 v[28:29], v[37:38], s[22:23], v[41:42]
	v_fma_f64 v[26:27], v[26:27], s[16:17], v[28:29]
	v_add_f64 v[28:29], v[39:40], v[26:27]
	v_add_f64 v[37:38], v[28:29], -v[39:40]
	v_add_f64 v[26:27], v[26:27], -v[37:38]
.LBB97_55:                              ;   in Loop: Header=BB97_41 Depth=1
	s_andn2_saveexec_b64 s[0:1], s[2:3]
	s_cbranch_execz .LBB97_40
; %bb.56:                               ;   in Loop: Header=BB97_41 Depth=1
	v_mul_f64 v[26:27], |v[4:5]|, s[24:25]
	s_mov_b32 s20, s26
	v_rndne_f64_e32 v[36:37], v[26:27]
	v_fma_f64 v[26:27], v[36:37], s[18:19], |v[4:5]|
	v_mul_f64 v[28:29], v[36:37], s[26:27]
	v_add_f64 v[38:39], v[26:27], v[28:29]
	v_add_f64 v[40:41], v[26:27], -v[38:39]
	v_fma_f64 v[26:27], v[36:37], s[26:27], v[26:27]
	v_add_f64 v[40:41], v[40:41], v[28:29]
	v_add_f64 v[38:39], v[38:39], -v[26:27]
	v_fma_f64 v[28:29], v[36:37], s[20:21], v[28:29]
	;; [unrolled: 3-line block ×3, first 2 shown]
	v_cvt_i32_f64_e32 v36, v[36:37]
	v_add_f64 v[28:29], v[26:27], v[38:39]
	v_add_f64 v[26:27], v[28:29], -v[26:27]
	v_add_f64 v[26:27], v[38:39], -v[26:27]
	s_branch .LBB97_40
.LBB97_57:
	s_endpgm
	.section	.rodata,"a",@progbits
	.p2align	6, 0x0
	.amdhsa_kernel _ZN2at6native12_GLOBAL__N_125multi_tensor_apply_kernelINS1_18TensorListMetadataILi1EEENS1_14UnaryOpFunctorIdLi1ELi1ELi0EEEJNS0_3TanIdEEEEEvT_T0_DpT1_
		.amdhsa_group_segment_fixed_size 0
		.amdhsa_private_segment_fixed_size 0
		.amdhsa_kernarg_size 3632
		.amdhsa_user_sgpr_count 6
		.amdhsa_user_sgpr_private_segment_buffer 1
		.amdhsa_user_sgpr_dispatch_ptr 0
		.amdhsa_user_sgpr_queue_ptr 0
		.amdhsa_user_sgpr_kernarg_segment_ptr 1
		.amdhsa_user_sgpr_dispatch_id 0
		.amdhsa_user_sgpr_flat_scratch_init 0
		.amdhsa_user_sgpr_private_segment_size 0
		.amdhsa_uses_dynamic_stack 0
		.amdhsa_system_sgpr_private_segment_wavefront_offset 0
		.amdhsa_system_sgpr_workgroup_id_x 1
		.amdhsa_system_sgpr_workgroup_id_y 0
		.amdhsa_system_sgpr_workgroup_id_z 0
		.amdhsa_system_sgpr_workgroup_info 0
		.amdhsa_system_vgpr_workitem_id 0
		.amdhsa_next_free_vgpr 73
		.amdhsa_next_free_sgpr 79
		.amdhsa_reserve_vcc 1
		.amdhsa_reserve_flat_scratch 0
		.amdhsa_float_round_mode_32 0
		.amdhsa_float_round_mode_16_64 0
		.amdhsa_float_denorm_mode_32 3
		.amdhsa_float_denorm_mode_16_64 3
		.amdhsa_dx10_clamp 1
		.amdhsa_ieee_mode 1
		.amdhsa_fp16_overflow 0
		.amdhsa_exception_fp_ieee_invalid_op 0
		.amdhsa_exception_fp_denorm_src 0
		.amdhsa_exception_fp_ieee_div_zero 0
		.amdhsa_exception_fp_ieee_overflow 0
		.amdhsa_exception_fp_ieee_underflow 0
		.amdhsa_exception_fp_ieee_inexact 0
		.amdhsa_exception_int_div_zero 0
	.end_amdhsa_kernel
	.section	.text._ZN2at6native12_GLOBAL__N_125multi_tensor_apply_kernelINS1_18TensorListMetadataILi1EEENS1_14UnaryOpFunctorIdLi1ELi1ELi0EEEJNS0_3TanIdEEEEEvT_T0_DpT1_,"axG",@progbits,_ZN2at6native12_GLOBAL__N_125multi_tensor_apply_kernelINS1_18TensorListMetadataILi1EEENS1_14UnaryOpFunctorIdLi1ELi1ELi0EEEJNS0_3TanIdEEEEEvT_T0_DpT1_,comdat
.Lfunc_end97:
	.size	_ZN2at6native12_GLOBAL__N_125multi_tensor_apply_kernelINS1_18TensorListMetadataILi1EEENS1_14UnaryOpFunctorIdLi1ELi1ELi0EEEJNS0_3TanIdEEEEEvT_T0_DpT1_, .Lfunc_end97-_ZN2at6native12_GLOBAL__N_125multi_tensor_apply_kernelINS1_18TensorListMetadataILi1EEENS1_14UnaryOpFunctorIdLi1ELi1ELi0EEEJNS0_3TanIdEEEEEvT_T0_DpT1_
                                        ; -- End function
	.set _ZN2at6native12_GLOBAL__N_125multi_tensor_apply_kernelINS1_18TensorListMetadataILi1EEENS1_14UnaryOpFunctorIdLi1ELi1ELi0EEEJNS0_3TanIdEEEEEvT_T0_DpT1_.num_vgpr, 73
	.set _ZN2at6native12_GLOBAL__N_125multi_tensor_apply_kernelINS1_18TensorListMetadataILi1EEENS1_14UnaryOpFunctorIdLi1ELi1ELi0EEEJNS0_3TanIdEEEEEvT_T0_DpT1_.num_agpr, 0
	.set _ZN2at6native12_GLOBAL__N_125multi_tensor_apply_kernelINS1_18TensorListMetadataILi1EEENS1_14UnaryOpFunctorIdLi1ELi1ELi0EEEJNS0_3TanIdEEEEEvT_T0_DpT1_.numbered_sgpr, 79
	.set _ZN2at6native12_GLOBAL__N_125multi_tensor_apply_kernelINS1_18TensorListMetadataILi1EEENS1_14UnaryOpFunctorIdLi1ELi1ELi0EEEJNS0_3TanIdEEEEEvT_T0_DpT1_.num_named_barrier, 0
	.set _ZN2at6native12_GLOBAL__N_125multi_tensor_apply_kernelINS1_18TensorListMetadataILi1EEENS1_14UnaryOpFunctorIdLi1ELi1ELi0EEEJNS0_3TanIdEEEEEvT_T0_DpT1_.private_seg_size, 0
	.set _ZN2at6native12_GLOBAL__N_125multi_tensor_apply_kernelINS1_18TensorListMetadataILi1EEENS1_14UnaryOpFunctorIdLi1ELi1ELi0EEEJNS0_3TanIdEEEEEvT_T0_DpT1_.uses_vcc, 1
	.set _ZN2at6native12_GLOBAL__N_125multi_tensor_apply_kernelINS1_18TensorListMetadataILi1EEENS1_14UnaryOpFunctorIdLi1ELi1ELi0EEEJNS0_3TanIdEEEEEvT_T0_DpT1_.uses_flat_scratch, 0
	.set _ZN2at6native12_GLOBAL__N_125multi_tensor_apply_kernelINS1_18TensorListMetadataILi1EEENS1_14UnaryOpFunctorIdLi1ELi1ELi0EEEJNS0_3TanIdEEEEEvT_T0_DpT1_.has_dyn_sized_stack, 0
	.set _ZN2at6native12_GLOBAL__N_125multi_tensor_apply_kernelINS1_18TensorListMetadataILi1EEENS1_14UnaryOpFunctorIdLi1ELi1ELi0EEEJNS0_3TanIdEEEEEvT_T0_DpT1_.has_recursion, 0
	.set _ZN2at6native12_GLOBAL__N_125multi_tensor_apply_kernelINS1_18TensorListMetadataILi1EEENS1_14UnaryOpFunctorIdLi1ELi1ELi0EEEJNS0_3TanIdEEEEEvT_T0_DpT1_.has_indirect_call, 0
	.section	.AMDGPU.csdata,"",@progbits
; Kernel info:
; codeLenInByte = 11096
; TotalNumSgprs: 83
; NumVgprs: 73
; ScratchSize: 0
; MemoryBound: 0
; FloatMode: 240
; IeeeMode: 1
; LDSByteSize: 0 bytes/workgroup (compile time only)
; SGPRBlocks: 10
; VGPRBlocks: 18
; NumSGPRsForWavesPerEU: 83
; NumVGPRsForWavesPerEU: 73
; Occupancy: 3
; WaveLimiterHint : 0
; COMPUTE_PGM_RSRC2:SCRATCH_EN: 0
; COMPUTE_PGM_RSRC2:USER_SGPR: 6
; COMPUTE_PGM_RSRC2:TRAP_HANDLER: 0
; COMPUTE_PGM_RSRC2:TGID_X_EN: 1
; COMPUTE_PGM_RSRC2:TGID_Y_EN: 0
; COMPUTE_PGM_RSRC2:TGID_Z_EN: 0
; COMPUTE_PGM_RSRC2:TIDIG_COMP_CNT: 0
	.section	.text._ZN2at6native12_GLOBAL__N_125multi_tensor_apply_kernelINS1_18TensorListMetadataILi1EEENS1_14UnaryOpFunctorIfLi1ELi1ELi0EEEJNS0_3TanIfEEEEEvT_T0_DpT1_,"axG",@progbits,_ZN2at6native12_GLOBAL__N_125multi_tensor_apply_kernelINS1_18TensorListMetadataILi1EEENS1_14UnaryOpFunctorIfLi1ELi1ELi0EEEJNS0_3TanIfEEEEEvT_T0_DpT1_,comdat
	.globl	_ZN2at6native12_GLOBAL__N_125multi_tensor_apply_kernelINS1_18TensorListMetadataILi1EEENS1_14UnaryOpFunctorIfLi1ELi1ELi0EEEJNS0_3TanIfEEEEEvT_T0_DpT1_ ; -- Begin function _ZN2at6native12_GLOBAL__N_125multi_tensor_apply_kernelINS1_18TensorListMetadataILi1EEENS1_14UnaryOpFunctorIfLi1ELi1ELi0EEEJNS0_3TanIfEEEEEvT_T0_DpT1_
	.p2align	8
	.type	_ZN2at6native12_GLOBAL__N_125multi_tensor_apply_kernelINS1_18TensorListMetadataILi1EEENS1_14UnaryOpFunctorIfLi1ELi1ELi0EEEJNS0_3TanIfEEEEEvT_T0_DpT1_,@function
_ZN2at6native12_GLOBAL__N_125multi_tensor_apply_kernelINS1_18TensorListMetadataILi1EEENS1_14UnaryOpFunctorIfLi1ELi1ELi0EEEJNS0_3TanIfEEEEEvT_T0_DpT1_: ; @_ZN2at6native12_GLOBAL__N_125multi_tensor_apply_kernelINS1_18TensorListMetadataILi1EEENS1_14UnaryOpFunctorIfLi1ELi1ELi0EEEJNS0_3TanIfEEEEEvT_T0_DpT1_
; %bb.0:
	v_mov_b32_e32 v1, s6
	global_load_ubyte v1, v1, s[4:5] offset:1760
	s_add_u32 s0, s4, s6
	s_mul_hi_u32 s1, s6, 3
	s_mul_i32 s6, s6, 3
	s_addc_u32 s2, s5, 0
	s_add_u32 s0, s0, s6
	s_addc_u32 s1, s2, s1
	s_load_dword s0, s[0:1], 0x820
	s_mov_b32 s7, 0
	s_waitcnt vmcnt(0)
	v_readfirstlane_b32 s1, v1
	s_lshl_b32 s1, s1, 3
	s_load_dwordx2 s[2:3], s[4:5], s1 offset:0x370
	s_load_dwordx2 s[16:17], s[4:5], s1 offset:0x0
	s_waitcnt lgkmcnt(0)
	s_ashr_i32 s1, s0, 31
	s_lshl_b64 s[18:19], s[0:1], 18
	s_lshl_b64 s[0:1], s[0:1], 16
	s_and_b32 s6, s16, 15
	s_sub_u32 s20, s2, s0
	s_subb_u32 s21, s3, s1
	s_and_b32 s0, s2, 3
	s_mov_b32 s1, s7
	s_or_b64 s[0:1], s[6:7], s[0:1]
	s_cmp_eq_u64 s[0:1], 0
	s_cbranch_scc1 .LBB98_37
; %bb.1:
	v_cmp_lt_i64_e64 s[0:1], s[20:21], 1
	s_and_b64 vcc, exec, s[0:1]
	s_cbranch_vccnz .LBB98_36
; %bb.2:
	v_mov_b32_e32 v3, 0x10000
	s_load_dword s2, s[4:5], 0xd3c
	v_mov_b32_e32 v4, 0
	v_cmp_lt_i64_e32 vcc, s[20:21], v[3:4]
	v_lshlrev_b32_e32 v1, 2, v0
	s_and_b64 s[0:1], vcc, exec
	v_cmp_lt_u64_e32 vcc, s[20:21], v[3:4]
	s_cselect_b32 s23, s21, 0
	s_cselect_b32 s22, s20, 0x10000
	s_waitcnt lgkmcnt(0)
	s_and_b32 s2, s2, 0xffff
	s_and_b64 s[0:1], vcc, exec
	s_cselect_b32 s25, s21, 0
	s_cselect_b32 s24, s20, 0x10000
	s_lshl_b32 s3, s2, 1
	s_lshl_b32 s30, s2, 2
	s_add_u32 s6, s16, s18
	s_addc_u32 s7, s17, s19
	v_mov_b32_e32 v4, s7
	v_add_co_u32_e32 v3, vcc, s6, v1
	s_mul_i32 s0, s2, 3
	v_addc_co_u32_e32 v4, vcc, 0, v4, vcc
	v_add_co_u32_e32 v7, vcc, s0, v0
	v_addc_co_u32_e64 v8, s[0:1], 0, 0, vcc
	v_add_co_u32_e32 v9, vcc, s3, v0
	v_addc_co_u32_e64 v10, s[0:1], 0, 0, vcc
	v_add_co_u32_e32 v11, vcc, s2, v0
	v_lshlrev_b32_e32 v1, 2, v11
	v_addc_co_u32_e64 v12, s[0:1], 0, 0, vcc
	v_mov_b32_e32 v6, s7
	v_add_co_u32_e32 v5, vcc, s6, v1
	v_mov_b32_e32 v2, 0
	s_lshl_b32 s31, s2, 4
	s_mul_i32 s33, s2, 12
	s_lshl_b32 s34, s2, 3
	v_addc_co_u32_e32 v6, vcc, 0, v6, vcc
	s_mov_b64 s[26:27], 0
	s_brev_b32 s35, 18
	s_mov_b32 s36, 0xfe5163ab
	s_mov_b32 s37, 0x3c439041
	;; [unrolled: 1-line block ×10, first 2 shown]
	v_mov_b32_e32 v13, 0x3f93f425
	s_movk_i32 s46, 0x1f8
	v_not_b32_e32 v14, 63
	v_not_b32_e32 v15, 31
	v_mov_b32_e32 v16, 0x7fc00000
	s_branch .LBB98_4
.LBB98_3:                               ;   in Loop: Header=BB98_4 Depth=1
	s_or_b64 exec, exec, s[0:1]
	s_add_u32 s26, s26, s30
	v_add_co_u32_e32 v3, vcc, s31, v3
	v_mov_b32_e32 v17, s22
	s_addc_u32 s27, s27, 0
	v_addc_co_u32_e32 v4, vcc, 0, v4, vcc
	v_mov_b32_e32 v18, s23
	v_cmp_ge_i64_e32 vcc, s[26:27], v[17:18]
	v_add_co_u32_e64 v5, s[0:1], s31, v5
	v_addc_co_u32_e64 v6, s[0:1], 0, v6, s[0:1]
	s_cbranch_vccnz .LBB98_36
.LBB98_4:                               ; =>This Inner Loop Header: Depth=1
	v_mov_b32_e32 v1, s27
	v_add_co_u32_e32 v17, vcc, s26, v0
	v_addc_co_u32_e32 v18, vcc, 0, v1, vcc
	v_cmp_gt_u64_e64 s[6:7], s[24:25], v[17:18]
	v_mov_b32_e32 v20, 0
	s_and_saveexec_b64 s[0:1], s[6:7]
	s_cbranch_execz .LBB98_6
; %bb.5:                                ;   in Loop: Header=BB98_4 Depth=1
	global_load_dword v20, v[3:4], off
.LBB98_6:                               ;   in Loop: Header=BB98_4 Depth=1
	s_or_b64 exec, exec, s[0:1]
	v_mov_b32_e32 v1, s27
	v_add_co_u32_e32 v17, vcc, s26, v11
	v_addc_co_u32_e32 v18, vcc, v12, v1, vcc
	v_cmp_gt_u64_e64 s[2:3], s[24:25], v[17:18]
	v_mov_b32_e32 v17, 0
	v_mov_b32_e32 v19, 0
	s_and_saveexec_b64 s[0:1], s[2:3]
	s_cbranch_execz .LBB98_8
; %bb.7:                                ;   in Loop: Header=BB98_4 Depth=1
	global_load_dword v19, v[5:6], off
.LBB98_8:                               ;   in Loop: Header=BB98_4 Depth=1
	s_or_b64 exec, exec, s[0:1]
	v_mov_b32_e32 v1, s27
	v_add_co_u32_e32 v21, vcc, s26, v9
	v_addc_co_u32_e32 v22, vcc, v10, v1, vcc
	v_cmp_gt_u64_e64 s[0:1], s[24:25], v[21:22]
	s_and_saveexec_b64 s[8:9], s[0:1]
	s_cbranch_execz .LBB98_10
; %bb.9:                                ;   in Loop: Header=BB98_4 Depth=1
	v_add_co_u32_e32 v17, vcc, s34, v3
	v_addc_co_u32_e32 v18, vcc, 0, v4, vcc
	global_load_dword v17, v[17:18], off
.LBB98_10:                              ;   in Loop: Header=BB98_4 Depth=1
	s_or_b64 exec, exec, s[8:9]
	v_mov_b32_e32 v1, s27
	v_add_co_u32_e32 v21, vcc, s26, v7
	v_addc_co_u32_e32 v22, vcc, v8, v1, vcc
	v_cmp_gt_u64_e32 vcc, s[24:25], v[21:22]
	v_mov_b32_e32 v18, 0
	s_and_saveexec_b64 s[10:11], vcc
	s_cbranch_execz .LBB98_12
; %bb.11:                               ;   in Loop: Header=BB98_4 Depth=1
	v_add_co_u32_e64 v21, s[8:9], s33, v3
	v_addc_co_u32_e64 v22, s[8:9], 0, v4, s[8:9]
	global_load_dword v18, v[21:22], off
.LBB98_12:                              ;   in Loop: Header=BB98_4 Depth=1
	s_or_b64 exec, exec, s[10:11]
	s_waitcnt vmcnt(0)
	v_and_b32_e32 v21, 0x7fffffff, v20
	v_cmp_nlt_f32_e64 s[8:9], |v20|, s35
                                        ; implicit-def: $vgpr24
                                        ; implicit-def: $vgpr23
	s_and_saveexec_b64 s[10:11], s[8:9]
	s_xor_b64 s[28:29], exec, s[10:11]
	s_cbranch_execz .LBB98_14
; %bb.13:                               ;   in Loop: Header=BB98_4 Depth=1
	v_and_b32_e32 v1, 0x7fffff, v21
	v_or_b32_e32 v29, 0x800000, v1
	v_mad_u64_u32 v[22:23], s[8:9], v29, s36, 0
	v_mov_b32_e32 v1, v23
	v_mad_u64_u32 v[23:24], s[8:9], v29, s37, v[1:2]
	v_mov_b32_e32 v1, v24
	;; [unrolled: 2-line block ×3, first 2 shown]
	v_mad_u64_u32 v[25:26], s[8:9], v29, s39, v[1:2]
	v_lshrrev_b32_e32 v1, 23, v21
	v_add_u32_e32 v28, 0xffffff88, v1
	v_mov_b32_e32 v1, v26
	v_mad_u64_u32 v[26:27], s[8:9], v29, s40, v[1:2]
	v_cmp_lt_u32_e64 s[8:9], 63, v28
	v_cndmask_b32_e64 v1, 0, v14, s[8:9]
	v_add_u32_e32 v30, v1, v28
	v_mov_b32_e32 v1, v27
	v_mad_u64_u32 v[27:28], s[10:11], v29, s41, v[1:2]
	v_cmp_lt_u32_e64 s[10:11], 31, v30
	v_cndmask_b32_e64 v1, 0, v15, s[10:11]
	;; [unrolled: 5-line block ×3, first 2 shown]
	v_add_u32_e32 v1, v1, v30
	v_cndmask_b32_e64 v30, v27, v25, s[8:9]
	v_cndmask_b32_e64 v28, v28, v26, s[8:9]
	;; [unrolled: 1-line block ×10, first 2 shown]
	v_sub_u32_e32 v30, 32, v1
	v_cndmask_b32_e64 v25, v26, v23, s[10:11]
	v_alignbit_b32 v31, v27, v29, v30
	v_cmp_eq_u32_e64 s[14:15], 0, v1
	v_cndmask_b32_e64 v26, v28, v25, s[12:13]
	v_cndmask_b32_e64 v1, v31, v27, s[14:15]
	v_alignbit_b32 v27, v29, v26, v30
	v_cndmask_b32_e64 v22, v24, v22, s[8:9]
	v_cndmask_b32_e64 v27, v27, v29, s[14:15]
	v_bfe_u32 v31, v1, 29, 1
	v_cndmask_b32_e64 v22, v23, v22, s[10:11]
	v_alignbit_b32 v28, v1, v27, 30
	v_sub_u32_e32 v32, 0, v31
	v_cndmask_b32_e64 v22, v25, v22, s[12:13]
	v_xor_b32_e32 v28, v28, v32
	v_alignbit_b32 v23, v26, v22, v30
	v_cndmask_b32_e64 v23, v23, v26, s[14:15]
	v_ffbh_u32_e32 v25, v28
	v_alignbit_b32 v24, v27, v23, 30
	v_min_u32_e32 v25, 32, v25
	v_alignbit_b32 v22, v23, v22, 30
	v_xor_b32_e32 v24, v24, v32
	v_sub_u32_e32 v26, 31, v25
	v_xor_b32_e32 v22, v22, v32
	v_alignbit_b32 v27, v28, v24, v26
	v_alignbit_b32 v22, v24, v22, v26
	;; [unrolled: 1-line block ×3, first 2 shown]
	v_ffbh_u32_e32 v24, v23
	v_min_u32_e32 v24, 32, v24
	v_lshrrev_b32_e32 v29, 29, v1
	v_not_b32_e32 v26, v24
	v_alignbit_b32 v22, v23, v22, v26
	v_lshlrev_b32_e32 v23, 31, v29
	v_or_b32_e32 v26, 0x33000000, v23
	v_add_lshl_u32 v24, v24, v25, 23
	v_lshrrev_b32_e32 v22, 9, v22
	v_sub_u32_e32 v24, v26, v24
	v_or_b32_e32 v23, 0.5, v23
	v_lshlrev_b32_e32 v25, 23, v25
	v_or_b32_e32 v22, v24, v22
	v_lshrrev_b32_e32 v24, 9, v27
	v_sub_u32_e32 v23, v23, v25
	v_or_b32_e32 v23, v24, v23
	v_mul_f32_e32 v24, 0x3fc90fda, v23
	v_fma_f32 v25, v23, s43, -v24
	v_fmac_f32_e32 v25, 0x33a22168, v23
	v_fmac_f32_e32 v25, 0x3fc90fda, v22
	v_lshrrev_b32_e32 v1, 30, v1
	v_add_f32_e32 v23, v24, v25
	v_add_u32_e32 v24, v31, v1
.LBB98_14:                              ;   in Loop: Header=BB98_4 Depth=1
	s_andn2_saveexec_b64 s[8:9], s[28:29]
; %bb.15:                               ;   in Loop: Header=BB98_4 Depth=1
	v_mul_f32_e64 v1, |v20|, s44
	v_rndne_f32_e32 v1, v1
	v_cvt_i32_f32_e32 v24, v1
	v_fma_f32 v23, v1, s45, |v20|
	v_fmac_f32_e32 v23, 0xb3a22168, v1
	v_fmac_f32_e32 v23, 0xa7c234c4, v1
; %bb.16:                               ;   in Loop: Header=BB98_4 Depth=1
	s_or_b64 exec, exec, s[8:9]
	v_and_b32_e32 v22, 0x7fffffff, v19
	v_cmp_nlt_f32_e64 s[8:9], |v19|, s35
                                        ; implicit-def: $vgpr27
                                        ; implicit-def: $vgpr26
	s_and_saveexec_b64 s[10:11], s[8:9]
	s_xor_b64 s[28:29], exec, s[10:11]
	s_cbranch_execz .LBB98_18
; %bb.17:                               ;   in Loop: Header=BB98_4 Depth=1
	v_and_b32_e32 v1, 0x7fffff, v22
	v_or_b32_e32 v32, 0x800000, v1
	v_mad_u64_u32 v[25:26], s[8:9], v32, s36, 0
	v_mov_b32_e32 v1, v26
	v_mad_u64_u32 v[26:27], s[8:9], v32, s37, v[1:2]
	v_mov_b32_e32 v1, v27
	;; [unrolled: 2-line block ×3, first 2 shown]
	v_mad_u64_u32 v[28:29], s[8:9], v32, s39, v[1:2]
	v_lshrrev_b32_e32 v1, 23, v22
	v_add_u32_e32 v31, 0xffffff88, v1
	v_mov_b32_e32 v1, v29
	v_mad_u64_u32 v[29:30], s[8:9], v32, s40, v[1:2]
	v_cmp_lt_u32_e64 s[8:9], 63, v31
	v_cndmask_b32_e64 v1, 0, v14, s[8:9]
	v_add_u32_e32 v33, v1, v31
	v_mov_b32_e32 v1, v30
	v_mad_u64_u32 v[30:31], s[10:11], v32, s41, v[1:2]
	v_cmp_lt_u32_e64 s[10:11], 31, v33
	v_cndmask_b32_e64 v1, 0, v15, s[10:11]
	;; [unrolled: 5-line block ×3, first 2 shown]
	v_add_u32_e32 v1, v1, v33
	v_cndmask_b32_e64 v33, v30, v28, s[8:9]
	v_cndmask_b32_e64 v31, v31, v29, s[8:9]
	;; [unrolled: 1-line block ×10, first 2 shown]
	v_sub_u32_e32 v33, 32, v1
	v_cndmask_b32_e64 v28, v29, v26, s[10:11]
	v_alignbit_b32 v34, v30, v32, v33
	v_cmp_eq_u32_e64 s[14:15], 0, v1
	v_cndmask_b32_e64 v29, v31, v28, s[12:13]
	v_cndmask_b32_e64 v1, v34, v30, s[14:15]
	v_alignbit_b32 v30, v32, v29, v33
	v_cndmask_b32_e64 v25, v27, v25, s[8:9]
	v_cndmask_b32_e64 v30, v30, v32, s[14:15]
	v_bfe_u32 v34, v1, 29, 1
	v_cndmask_b32_e64 v25, v26, v25, s[10:11]
	v_alignbit_b32 v31, v1, v30, 30
	v_sub_u32_e32 v35, 0, v34
	v_cndmask_b32_e64 v25, v28, v25, s[12:13]
	v_xor_b32_e32 v31, v31, v35
	v_alignbit_b32 v26, v29, v25, v33
	v_cndmask_b32_e64 v26, v26, v29, s[14:15]
	v_ffbh_u32_e32 v28, v31
	v_alignbit_b32 v27, v30, v26, 30
	v_min_u32_e32 v28, 32, v28
	v_alignbit_b32 v25, v26, v25, 30
	v_xor_b32_e32 v27, v27, v35
	v_sub_u32_e32 v29, 31, v28
	v_xor_b32_e32 v25, v25, v35
	v_alignbit_b32 v30, v31, v27, v29
	v_alignbit_b32 v25, v27, v25, v29
	;; [unrolled: 1-line block ×3, first 2 shown]
	v_ffbh_u32_e32 v27, v26
	v_min_u32_e32 v27, 32, v27
	v_lshrrev_b32_e32 v32, 29, v1
	v_not_b32_e32 v29, v27
	v_alignbit_b32 v25, v26, v25, v29
	v_lshlrev_b32_e32 v26, 31, v32
	v_or_b32_e32 v29, 0x33000000, v26
	v_add_lshl_u32 v27, v27, v28, 23
	v_lshrrev_b32_e32 v25, 9, v25
	v_sub_u32_e32 v27, v29, v27
	v_or_b32_e32 v26, 0.5, v26
	v_lshlrev_b32_e32 v28, 23, v28
	v_or_b32_e32 v25, v27, v25
	v_lshrrev_b32_e32 v27, 9, v30
	v_sub_u32_e32 v26, v26, v28
	v_or_b32_e32 v26, v27, v26
	v_mul_f32_e32 v27, 0x3fc90fda, v26
	v_fma_f32 v28, v26, s43, -v27
	v_fmac_f32_e32 v28, 0x33a22168, v26
	v_fmac_f32_e32 v28, 0x3fc90fda, v25
	v_lshrrev_b32_e32 v1, 30, v1
	v_add_f32_e32 v26, v27, v28
	v_add_u32_e32 v27, v34, v1
.LBB98_18:                              ;   in Loop: Header=BB98_4 Depth=1
	s_andn2_saveexec_b64 s[8:9], s[28:29]
; %bb.19:                               ;   in Loop: Header=BB98_4 Depth=1
	v_mul_f32_e64 v1, |v19|, s44
	v_rndne_f32_e32 v1, v1
	v_cvt_i32_f32_e32 v27, v1
	v_fma_f32 v26, v1, s45, |v19|
	v_fmac_f32_e32 v26, 0xb3a22168, v1
	v_fmac_f32_e32 v26, 0xa7c234c4, v1
; %bb.20:                               ;   in Loop: Header=BB98_4 Depth=1
	s_or_b64 exec, exec, s[8:9]
	v_and_b32_e32 v25, 0x7fffffff, v17
	v_cmp_nlt_f32_e64 s[8:9], |v17|, s35
                                        ; implicit-def: $vgpr30
                                        ; implicit-def: $vgpr29
	s_and_saveexec_b64 s[10:11], s[8:9]
	s_xor_b64 s[28:29], exec, s[10:11]
	s_cbranch_execz .LBB98_22
; %bb.21:                               ;   in Loop: Header=BB98_4 Depth=1
	v_and_b32_e32 v1, 0x7fffff, v25
	v_or_b32_e32 v35, 0x800000, v1
	v_mad_u64_u32 v[28:29], s[8:9], v35, s36, 0
	v_mov_b32_e32 v1, v29
	v_mad_u64_u32 v[29:30], s[8:9], v35, s37, v[1:2]
	v_mov_b32_e32 v1, v30
	;; [unrolled: 2-line block ×3, first 2 shown]
	v_mad_u64_u32 v[31:32], s[8:9], v35, s39, v[1:2]
	v_lshrrev_b32_e32 v1, 23, v25
	v_add_u32_e32 v34, 0xffffff88, v1
	v_mov_b32_e32 v1, v32
	v_mad_u64_u32 v[32:33], s[8:9], v35, s40, v[1:2]
	v_cmp_lt_u32_e64 s[8:9], 63, v34
	v_cndmask_b32_e64 v1, 0, v14, s[8:9]
	v_add_u32_e32 v36, v1, v34
	v_mov_b32_e32 v1, v33
	v_mad_u64_u32 v[33:34], s[10:11], v35, s41, v[1:2]
	v_cmp_lt_u32_e64 s[10:11], 31, v36
	v_cndmask_b32_e64 v1, 0, v15, s[10:11]
	;; [unrolled: 5-line block ×3, first 2 shown]
	v_add_u32_e32 v1, v1, v36
	v_cndmask_b32_e64 v36, v33, v31, s[8:9]
	v_cndmask_b32_e64 v34, v34, v32, s[8:9]
	;; [unrolled: 1-line block ×10, first 2 shown]
	v_sub_u32_e32 v36, 32, v1
	v_cndmask_b32_e64 v31, v32, v29, s[10:11]
	v_alignbit_b32 v37, v33, v35, v36
	v_cmp_eq_u32_e64 s[14:15], 0, v1
	v_cndmask_b32_e64 v32, v34, v31, s[12:13]
	v_cndmask_b32_e64 v1, v37, v33, s[14:15]
	v_alignbit_b32 v33, v35, v32, v36
	v_cndmask_b32_e64 v28, v30, v28, s[8:9]
	v_cndmask_b32_e64 v33, v33, v35, s[14:15]
	v_bfe_u32 v37, v1, 29, 1
	v_cndmask_b32_e64 v28, v29, v28, s[10:11]
	v_alignbit_b32 v34, v1, v33, 30
	v_sub_u32_e32 v38, 0, v37
	v_cndmask_b32_e64 v28, v31, v28, s[12:13]
	v_xor_b32_e32 v34, v34, v38
	v_alignbit_b32 v29, v32, v28, v36
	v_cndmask_b32_e64 v29, v29, v32, s[14:15]
	v_ffbh_u32_e32 v31, v34
	v_alignbit_b32 v30, v33, v29, 30
	v_min_u32_e32 v31, 32, v31
	v_alignbit_b32 v28, v29, v28, 30
	v_xor_b32_e32 v30, v30, v38
	v_sub_u32_e32 v32, 31, v31
	v_xor_b32_e32 v28, v28, v38
	v_alignbit_b32 v33, v34, v30, v32
	v_alignbit_b32 v28, v30, v28, v32
	;; [unrolled: 1-line block ×3, first 2 shown]
	v_ffbh_u32_e32 v30, v29
	v_min_u32_e32 v30, 32, v30
	v_lshrrev_b32_e32 v35, 29, v1
	v_not_b32_e32 v32, v30
	v_alignbit_b32 v28, v29, v28, v32
	v_lshlrev_b32_e32 v29, 31, v35
	v_or_b32_e32 v32, 0x33000000, v29
	v_add_lshl_u32 v30, v30, v31, 23
	v_lshrrev_b32_e32 v28, 9, v28
	v_sub_u32_e32 v30, v32, v30
	v_or_b32_e32 v29, 0.5, v29
	v_lshlrev_b32_e32 v31, 23, v31
	v_or_b32_e32 v28, v30, v28
	v_lshrrev_b32_e32 v30, 9, v33
	v_sub_u32_e32 v29, v29, v31
	v_or_b32_e32 v29, v30, v29
	v_mul_f32_e32 v30, 0x3fc90fda, v29
	v_fma_f32 v31, v29, s43, -v30
	v_fmac_f32_e32 v31, 0x33a22168, v29
	v_fmac_f32_e32 v31, 0x3fc90fda, v28
	v_lshrrev_b32_e32 v1, 30, v1
	v_add_f32_e32 v29, v30, v31
	v_add_u32_e32 v30, v37, v1
.LBB98_22:                              ;   in Loop: Header=BB98_4 Depth=1
	s_andn2_saveexec_b64 s[8:9], s[28:29]
; %bb.23:                               ;   in Loop: Header=BB98_4 Depth=1
	v_mul_f32_e64 v1, |v17|, s44
	v_rndne_f32_e32 v1, v1
	v_cvt_i32_f32_e32 v30, v1
	v_fma_f32 v29, v1, s45, |v17|
	v_fmac_f32_e32 v29, 0xb3a22168, v1
	v_fmac_f32_e32 v29, 0xa7c234c4, v1
; %bb.24:                               ;   in Loop: Header=BB98_4 Depth=1
	s_or_b64 exec, exec, s[8:9]
	v_and_b32_e32 v28, 0x7fffffff, v18
	v_cmp_nlt_f32_e64 s[8:9], |v18|, s35
                                        ; implicit-def: $vgpr31
                                        ; implicit-def: $vgpr1
	s_and_saveexec_b64 s[10:11], s[8:9]
	s_xor_b64 s[28:29], exec, s[10:11]
	s_cbranch_execnz .LBB98_30
; %bb.25:                               ;   in Loop: Header=BB98_4 Depth=1
	s_andn2_saveexec_b64 s[8:9], s[28:29]
	s_cbranch_execnz .LBB98_31
.LBB98_26:                              ;   in Loop: Header=BB98_4 Depth=1
	s_or_b64 exec, exec, s[8:9]
	s_and_saveexec_b64 s[8:9], s[6:7]
	s_xor_b64 s[8:9], exec, s[8:9]
	s_cbranch_execnz .LBB98_32
.LBB98_27:                              ;   in Loop: Header=BB98_4 Depth=1
	s_or_b64 exec, exec, s[8:9]
	s_and_saveexec_b64 s[6:7], s[2:3]
	s_cbranch_execnz .LBB98_33
.LBB98_28:                              ;   in Loop: Header=BB98_4 Depth=1
	s_or_b64 exec, exec, s[6:7]
	s_and_saveexec_b64 s[2:3], s[0:1]
	s_cbranch_execnz .LBB98_34
.LBB98_29:                              ;   in Loop: Header=BB98_4 Depth=1
	s_or_b64 exec, exec, s[2:3]
	s_and_saveexec_b64 s[0:1], vcc
	s_cbranch_execz .LBB98_3
	s_branch .LBB98_35
.LBB98_30:                              ;   in Loop: Header=BB98_4 Depth=1
	v_and_b32_e32 v1, 0x7fffff, v28
	v_or_b32_e32 v38, 0x800000, v1
	v_mad_u64_u32 v[31:32], s[8:9], v38, s36, 0
	v_mov_b32_e32 v1, v32
	v_mad_u64_u32 v[32:33], s[8:9], v38, s37, v[1:2]
	v_mov_b32_e32 v1, v33
	;; [unrolled: 2-line block ×3, first 2 shown]
	v_mad_u64_u32 v[34:35], s[8:9], v38, s39, v[1:2]
	v_lshrrev_b32_e32 v1, 23, v28
	v_add_u32_e32 v37, 0xffffff88, v1
	v_mov_b32_e32 v1, v35
	v_mad_u64_u32 v[35:36], s[10:11], v38, s40, v[1:2]
	v_cmp_lt_u32_e64 s[8:9], 63, v37
	v_cndmask_b32_e64 v1, 0, v14, s[8:9]
	v_add_u32_e32 v39, v1, v37
	v_mov_b32_e32 v1, v36
	v_mad_u64_u32 v[36:37], s[12:13], v38, s41, v[1:2]
	v_cmp_lt_u32_e64 s[10:11], 31, v39
	v_cndmask_b32_e64 v1, 0, v15, s[10:11]
	;; [unrolled: 5-line block ×3, first 2 shown]
	v_add_u32_e32 v1, v1, v39
	v_cndmask_b32_e64 v39, v36, v34, s[8:9]
	v_cndmask_b32_e64 v37, v37, v35, s[8:9]
	;; [unrolled: 1-line block ×7, first 2 shown]
	v_sub_u32_e32 v39, 32, v1
	v_cmp_eq_u32_e64 s[14:15], 0, v1
	v_cndmask_b32_e64 v1, v34, v32, s[8:9]
	v_cndmask_b32_e64 v36, v36, v38, s[12:13]
	;; [unrolled: 1-line block ×4, first 2 shown]
	v_alignbit_b32 v40, v36, v38, v39
	v_cndmask_b32_e64 v34, v37, v32, s[12:13]
	v_cndmask_b32_e64 v36, v40, v36, s[14:15]
	v_alignbit_b32 v35, v38, v34, v39
	v_cndmask_b32_e64 v31, v33, v31, s[8:9]
	v_cndmask_b32_e64 v35, v35, v38, s[14:15]
	v_bfe_u32 v40, v36, 29, 1
	v_cndmask_b32_e64 v1, v1, v31, s[10:11]
	v_alignbit_b32 v37, v36, v35, 30
	v_sub_u32_e32 v41, 0, v40
	v_cndmask_b32_e64 v1, v32, v1, s[12:13]
	v_xor_b32_e32 v37, v37, v41
	v_alignbit_b32 v31, v34, v1, v39
	v_cndmask_b32_e64 v31, v31, v34, s[14:15]
	v_ffbh_u32_e32 v33, v37
	v_alignbit_b32 v32, v35, v31, 30
	v_min_u32_e32 v33, 32, v33
	v_alignbit_b32 v1, v31, v1, 30
	v_xor_b32_e32 v32, v32, v41
	v_sub_u32_e32 v34, 31, v33
	v_xor_b32_e32 v1, v1, v41
	v_alignbit_b32 v35, v37, v32, v34
	v_alignbit_b32 v1, v32, v1, v34
	;; [unrolled: 1-line block ×3, first 2 shown]
	v_ffbh_u32_e32 v32, v31
	v_min_u32_e32 v32, 32, v32
	v_lshrrev_b32_e32 v38, 29, v36
	v_not_b32_e32 v34, v32
	v_alignbit_b32 v1, v31, v1, v34
	v_lshlrev_b32_e32 v31, 31, v38
	v_or_b32_e32 v34, 0x33000000, v31
	v_add_lshl_u32 v32, v32, v33, 23
	v_lshrrev_b32_e32 v1, 9, v1
	v_sub_u32_e32 v32, v34, v32
	v_or_b32_e32 v31, 0.5, v31
	v_lshlrev_b32_e32 v33, 23, v33
	v_or_b32_e32 v1, v32, v1
	v_lshrrev_b32_e32 v32, 9, v35
	v_sub_u32_e32 v31, v31, v33
	v_or_b32_e32 v31, v32, v31
	v_mul_f32_e32 v32, 0x3fc90fda, v31
	v_fma_f32 v33, v31, s43, -v32
	v_fmac_f32_e32 v33, 0x33a22168, v31
	v_fmac_f32_e32 v33, 0x3fc90fda, v1
	v_lshrrev_b32_e32 v31, 30, v36
	v_add_f32_e32 v1, v32, v33
	v_add_u32_e32 v31, v40, v31
	s_andn2_saveexec_b64 s[8:9], s[28:29]
	s_cbranch_execz .LBB98_26
.LBB98_31:                              ;   in Loop: Header=BB98_4 Depth=1
	v_mul_f32_e64 v1, |v18|, s44
	v_rndne_f32_e32 v32, v1
	v_cvt_i32_f32_e32 v31, v32
	v_fma_f32 v1, v32, s45, |v18|
	v_fmac_f32_e32 v1, 0xb3a22168, v32
	v_fmac_f32_e32 v1, 0xa7c234c4, v32
	s_or_b64 exec, exec, s[8:9]
	s_and_saveexec_b64 s[8:9], s[6:7]
	s_xor_b64 s[8:9], exec, s[8:9]
	s_cbranch_execz .LBB98_27
.LBB98_32:                              ;   in Loop: Header=BB98_4 Depth=1
	v_mul_f32_e32 v32, v23, v23
	v_mov_b32_e32 v34, 0xbf039337
	v_fmac_f32_e32 v34, 0x3c971480, v32
	v_fma_f32 v34, v32, v34, v13
	v_rcp_f32_e32 v34, v34
	v_mov_b32_e32 v33, 0x3ec54587
	v_fmac_f32_e32 v33, 0xbc8cedd3, v32
	v_and_b32_e32 v24, 1, v24
	v_mul_f32_e32 v33, v33, v34
	v_mul_f32_e32 v32, v32, v33
	v_fma_f32 v33, v32, v23, v23
	v_sub_f32_e32 v34, v33, v23
	v_fma_f32 v23, v32, v23, -v34
	v_rcp_f32_e32 v32, v33
	v_cmp_eq_u32_e64 s[6:7], 0, v24
	v_xor_b32_e32 v21, v21, v20
	v_fma_f32 v34, v33, -v32, 1.0
	v_fma_f32 v23, v23, -v32, v34
	v_fma_f32 v23, v23, -v32, -v32
	v_cndmask_b32_e64 v23, v23, v33, s[6:7]
	v_xor_b32_e32 v21, v21, v23
	v_cmp_class_f32_e64 s[6:7], v20, s46
	v_cndmask_b32_e64 v20, v16, v21, s[6:7]
	global_store_dword v[3:4], v20, off
	s_or_b64 exec, exec, s[8:9]
	s_and_saveexec_b64 s[6:7], s[2:3]
	s_cbranch_execz .LBB98_28
.LBB98_33:                              ;   in Loop: Header=BB98_4 Depth=1
	v_mul_f32_e32 v20, v26, v26
	v_mov_b32_e32 v21, 0xbf039337
	v_fmac_f32_e32 v21, 0x3c971480, v20
	v_fma_f32 v21, v20, v21, v13
	v_rcp_f32_e32 v21, v21
	v_mov_b32_e32 v23, 0x3ec54587
	v_fmac_f32_e32 v23, 0xbc8cedd3, v20
	v_and_b32_e32 v24, 1, v27
	v_mul_f32_e32 v21, v23, v21
	v_mul_f32_e32 v20, v20, v21
	v_fma_f32 v21, v20, v26, v26
	v_rcp_f32_e32 v23, v21
	v_sub_f32_e32 v27, v21, v26
	v_fma_f32 v20, v20, v26, -v27
	v_cmp_eq_u32_e64 s[2:3], 0, v24
	v_fma_f32 v26, v21, -v23, 1.0
	v_fma_f32 v20, v20, -v23, v26
	v_fma_f32 v20, v20, -v23, -v23
	v_cndmask_b32_e64 v20, v20, v21, s[2:3]
	v_xor_b32_e32 v21, v22, v19
	v_xor_b32_e32 v20, v21, v20
	v_cmp_class_f32_e64 s[2:3], v19, s46
	v_cndmask_b32_e64 v19, v16, v20, s[2:3]
	global_store_dword v[5:6], v19, off
	s_or_b64 exec, exec, s[6:7]
	s_and_saveexec_b64 s[2:3], s[0:1]
	s_cbranch_execz .LBB98_29
.LBB98_34:                              ;   in Loop: Header=BB98_4 Depth=1
	v_mul_f32_e32 v19, v29, v29
	v_mov_b32_e32 v20, 0xbf039337
	v_fmac_f32_e32 v20, 0x3c971480, v19
	v_fma_f32 v20, v19, v20, v13
	v_rcp_f32_e32 v20, v20
	v_mov_b32_e32 v21, 0x3ec54587
	v_fmac_f32_e32 v21, 0xbc8cedd3, v19
	v_and_b32_e32 v22, 1, v30
	v_mul_f32_e32 v20, v21, v20
	v_mul_f32_e32 v19, v19, v20
	v_fma_f32 v20, v19, v29, v29
	v_rcp_f32_e32 v21, v20
	v_sub_f32_e32 v23, v20, v29
	v_fma_f32 v19, v19, v29, -v23
	v_cmp_eq_u32_e64 s[0:1], 0, v22
	v_fma_f32 v23, v20, -v21, 1.0
	v_fma_f32 v19, v19, -v21, v23
	v_fma_f32 v19, v19, -v21, -v21
	v_cndmask_b32_e64 v19, v19, v20, s[0:1]
	v_xor_b32_e32 v20, v25, v17
	v_xor_b32_e32 v19, v20, v19
	v_cmp_class_f32_e64 s[0:1], v17, s46
	v_cndmask_b32_e64 v17, v16, v19, s[0:1]
	v_add_co_u32_e64 v19, s[0:1], s34, v3
	v_addc_co_u32_e64 v20, s[0:1], 0, v4, s[0:1]
	global_store_dword v[19:20], v17, off
	s_or_b64 exec, exec, s[2:3]
	s_and_saveexec_b64 s[0:1], vcc
	s_cbranch_execz .LBB98_3
.LBB98_35:                              ;   in Loop: Header=BB98_4 Depth=1
	v_mul_f32_e32 v17, v1, v1
	v_mov_b32_e32 v19, 0xbf039337
	v_fmac_f32_e32 v19, 0x3c971480, v17
	v_fma_f32 v19, v17, v19, v13
	v_rcp_f32_e32 v19, v19
	v_mov_b32_e32 v20, 0x3ec54587
	v_fmac_f32_e32 v20, 0xbc8cedd3, v17
	v_and_b32_e32 v21, 1, v31
	v_mul_f32_e32 v19, v20, v19
	v_mul_f32_e32 v17, v17, v19
	v_fma_f32 v19, v17, v1, v1
	v_rcp_f32_e32 v20, v19
	v_sub_f32_e32 v22, v19, v1
	v_fma_f32 v1, v17, v1, -v22
	v_cmp_eq_u32_e32 vcc, 0, v21
	v_fma_f32 v17, v19, -v20, 1.0
	v_fma_f32 v1, v1, -v20, v17
	v_fma_f32 v1, v1, -v20, -v20
	v_cndmask_b32_e32 v1, v1, v19, vcc
	v_xor_b32_e32 v17, v28, v18
	v_xor_b32_e32 v1, v17, v1
	v_cmp_class_f32_e64 vcc, v18, s46
	v_cndmask_b32_e32 v1, v16, v1, vcc
	v_add_co_u32_e32 v17, vcc, s33, v3
	v_addc_co_u32_e32 v18, vcc, 0, v4, vcc
	global_store_dword v[17:18], v1, off
	s_branch .LBB98_3
.LBB98_36:
	s_cbranch_execz .LBB98_38
	s_branch .LBB98_57
.LBB98_37:
.LBB98_38:
	v_mov_b32_e32 v1, 0x10000
	v_mov_b32_e32 v2, 0
	v_cmp_lt_i64_e32 vcc, s[20:21], v[1:2]
	v_mov_b32_e32 v7, 0
	s_and_b64 s[0:1], vcc, exec
	s_cselect_b32 s7, s21, 0
	s_cselect_b32 s6, s20, 0x10000
	v_lshlrev_b32_e32 v6, 2, v0
	v_cmp_gt_i64_e32 vcc, s[6:7], v[6:7]
	s_and_saveexec_b64 s[0:1], vcc
	s_cbranch_execz .LBB98_57
; %bb.39:
	s_load_dword s0, s[4:5], 0xd3c
	v_lshlrev_b32_e32 v2, 4, v0
	v_mov_b32_e32 v1, v7
	s_mov_b64 s[8:9], 0
	s_brev_b32 s14, 18
	s_waitcnt lgkmcnt(0)
	s_and_b32 s12, s0, 0xffff
	s_add_u32 s0, s16, s18
	s_addc_u32 s1, s17, s19
	v_mov_b32_e32 v3, s1
	v_add_co_u32_e32 v2, vcc, s0, v2
	v_addc_co_u32_e32 v3, vcc, 0, v3, vcc
	v_add_co_u32_e32 v8, vcc, 8, v2
	v_addc_co_u32_e32 v9, vcc, 0, v3, vcc
	s_lshl_b32 s13, s12, 4
	s_mov_b32 s15, 0xfe5163ab
	s_mov_b32 s16, 0x3c439041
	;; [unrolled: 1-line block ×10, first 2 shown]
	v_mov_b32_e32 v10, 0x3f93f425
	s_movk_i32 s25, 0x1f8
	v_not_b32_e32 v11, 63
	v_not_b32_e32 v12, 31
	v_mov_b32_e32 v13, 0x7fc00000
	s_branch .LBB98_41
.LBB98_40:                              ;   in Loop: Header=BB98_41 Depth=1
	s_or_b64 exec, exec, s[0:1]
	v_mul_f32_e32 v25, v22, v22
	v_mov_b32_e32 v26, 0xbf039337
	v_fmac_f32_e32 v26, 0x3c971480, v25
	v_fma_f32 v26, v25, v26, v10
	v_rcp_f32_e32 v26, v26
	v_mov_b32_e32 v27, 0x3ec54587
	v_fmac_f32_e32 v27, 0xbc8cedd3, v25
	v_and_b32_e32 v23, 1, v23
	v_mul_f32_e32 v26, v27, v26
	v_mul_f32_e32 v25, v25, v26
	v_fma_f32 v26, v25, v22, v22
	v_rcp_f32_e32 v27, v26
	v_sub_f32_e32 v28, v26, v22
	v_fma_f32 v22, v25, v22, -v28
	v_cmp_eq_u32_e32 vcc, 0, v23
	v_fma_f32 v25, v26, -v27, 1.0
	v_fma_f32 v22, v22, -v27, v25
	v_fma_f32 v22, v22, -v27, -v27
	v_cndmask_b32_e32 v22, v22, v26, vcc
	v_xor_b32_e32 v20, v20, v4
	v_xor_b32_e32 v20, v20, v22
	v_mul_f32_e32 v22, v18, v18
	v_mov_b32_e32 v23, 0xbf039337
	v_fmac_f32_e32 v23, 0x3c971480, v22
	v_fma_f32 v23, v22, v23, v10
	v_rcp_f32_e32 v23, v23
	v_cmp_class_f32_e64 vcc, v4, s25
	v_cndmask_b32_e32 v4, v13, v20, vcc
	v_mov_b32_e32 v20, 0x3ec54587
	v_fmac_f32_e32 v20, 0xbc8cedd3, v22
	v_mul_f32_e32 v20, v20, v23
	v_mul_f32_e32 v20, v22, v20
	v_fma_f32 v22, v20, v18, v18
	v_rcp_f32_e32 v23, v22
	v_sub_f32_e32 v25, v22, v18
	v_fma_f32 v18, v20, v18, -v25
	v_and_b32_e32 v19, 1, v19
	v_fma_f32 v20, v22, -v23, 1.0
	v_fma_f32 v18, v18, -v23, v20
	v_fma_f32 v18, v18, -v23, -v23
	v_cmp_eq_u32_e32 vcc, 0, v19
	v_cndmask_b32_e32 v18, v18, v22, vcc
	v_xor_b32_e32 v17, v17, v3
	v_xor_b32_e32 v17, v17, v18
	v_mul_f32_e32 v18, v15, v15
	v_mov_b32_e32 v19, 0xbf039337
	v_fmac_f32_e32 v19, 0x3c971480, v18
	v_fma_f32 v19, v18, v19, v10
	v_rcp_f32_e32 v19, v19
	v_cmp_class_f32_e64 vcc, v3, s25
	v_cndmask_b32_e32 v3, v13, v17, vcc
	v_mov_b32_e32 v17, 0x3ec54587
	v_fmac_f32_e32 v17, 0xbc8cedd3, v18
	v_mul_f32_e32 v17, v17, v19
	v_mul_f32_e32 v17, v18, v17
	v_fma_f32 v18, v17, v15, v15
	v_rcp_f32_e32 v19, v18
	v_sub_f32_e32 v20, v18, v15
	v_fma_f32 v15, v17, v15, -v20
	v_and_b32_e32 v16, 1, v16
	v_fma_f32 v17, v18, -v19, 1.0
	v_fma_f32 v15, v15, -v19, v17
	v_fma_f32 v15, v15, -v19, -v19
	v_cmp_eq_u32_e32 vcc, 0, v16
	;; [unrolled: 23-line block ×3, first 2 shown]
	v_cndmask_b32_e32 v6, v6, v15, vcc
	v_add_co_u32_e32 v0, vcc, s12, v0
	v_xor_b32_e32 v14, v21, v5
	v_addc_co_u32_e32 v1, vcc, 0, v1, vcc
	v_xor_b32_e32 v6, v14, v6
	v_lshlrev_b64 v[14:15], 2, v[0:1]
	v_cmp_class_f32_e64 vcc, v5, s25
	v_cndmask_b32_e32 v5, v13, v6, vcc
	v_cmp_le_i64_e32 vcc, s[6:7], v[14:15]
	global_store_dwordx4 v[8:9], v[2:5], off offset:-8
	s_or_b64 s[8:9], vcc, s[8:9]
	v_add_co_u32_e32 v8, vcc, s13, v8
	v_addc_co_u32_e32 v9, vcc, 0, v9, vcc
	s_andn2_b64 exec, exec, s[8:9]
	s_cbranch_execz .LBB98_57
.LBB98_41:                              ; =>This Inner Loop Header: Depth=1
	global_load_dwordx4 v[2:5], v[8:9], off offset:-8
                                        ; implicit-def: $vgpr16
                                        ; implicit-def: $vgpr15
	s_waitcnt vmcnt(0)
	v_and_b32_e32 v14, 0x7fffffff, v2
	v_cmp_nlt_f32_e64 s[0:1], |v2|, s14
	s_and_saveexec_b64 s[2:3], s[0:1]
	s_xor_b64 s[10:11], exec, s[2:3]
	s_cbranch_execz .LBB98_43
; %bb.42:                               ;   in Loop: Header=BB98_41 Depth=1
	v_and_b32_e32 v6, 0x7fffff, v14
	v_or_b32_e32 v22, 0x800000, v6
	v_mad_u64_u32 v[15:16], s[0:1], v22, s15, 0
	v_mov_b32_e32 v6, v16
	v_mad_u64_u32 v[16:17], s[0:1], v22, s16, v[6:7]
	v_mov_b32_e32 v6, v17
	;; [unrolled: 2-line block ×3, first 2 shown]
	v_mad_u64_u32 v[18:19], s[0:1], v22, s18, v[6:7]
	v_lshrrev_b32_e32 v6, 23, v14
	v_add_u32_e32 v21, 0xffffff88, v6
	v_mov_b32_e32 v6, v19
	v_mad_u64_u32 v[19:20], s[0:1], v22, s19, v[6:7]
	v_cmp_lt_u32_e32 vcc, 63, v21
	v_cndmask_b32_e32 v6, 0, v11, vcc
	v_add_u32_e32 v23, v6, v21
	v_mov_b32_e32 v6, v20
	v_mad_u64_u32 v[20:21], s[0:1], v22, s20, v[6:7]
	v_cmp_lt_u32_e64 s[0:1], 31, v23
	v_cndmask_b32_e64 v6, 0, v12, s[0:1]
	v_add_u32_e32 v23, v6, v23
	v_mov_b32_e32 v6, v21
	v_mad_u64_u32 v[21:22], s[2:3], v22, s21, v[6:7]
	v_cmp_lt_u32_e64 s[2:3], 31, v23
	v_cndmask_b32_e64 v6, 0, v12, s[2:3]
	v_add_u32_e32 v6, v6, v23
	v_cndmask_b32_e32 v23, v20, v18, vcc
	v_cndmask_b32_e32 v20, v22, v20, vcc
	;; [unrolled: 1-line block ×4, first 2 shown]
	v_cndmask_b32_e64 v22, v21, v23, s[0:1]
	v_cndmask_b32_e64 v20, v20, v21, s[0:1]
	;; [unrolled: 1-line block ×3, first 2 shown]
	v_cndmask_b32_e32 v16, v18, v16, vcc
	v_cndmask_b32_e64 v20, v20, v22, s[2:3]
	v_cndmask_b32_e64 v22, v22, v21, s[2:3]
	v_sub_u32_e32 v23, 32, v6
	v_cndmask_b32_e64 v18, v19, v16, s[0:1]
	v_alignbit_b32 v24, v20, v22, v23
	v_cmp_eq_u32_e64 s[4:5], 0, v6
	v_cndmask_b32_e64 v19, v21, v18, s[2:3]
	v_cndmask_b32_e64 v6, v24, v20, s[4:5]
	v_alignbit_b32 v20, v22, v19, v23
	v_cndmask_b32_e32 v15, v17, v15, vcc
	v_cndmask_b32_e64 v20, v20, v22, s[4:5]
	v_bfe_u32 v24, v6, 29, 1
	v_cndmask_b32_e64 v15, v16, v15, s[0:1]
	v_alignbit_b32 v21, v6, v20, 30
	v_sub_u32_e32 v25, 0, v24
	v_cndmask_b32_e64 v15, v18, v15, s[2:3]
	v_xor_b32_e32 v21, v21, v25
	v_alignbit_b32 v16, v19, v15, v23
	v_cndmask_b32_e64 v16, v16, v19, s[4:5]
	v_ffbh_u32_e32 v18, v21
	v_alignbit_b32 v17, v20, v16, 30
	v_min_u32_e32 v18, 32, v18
	v_alignbit_b32 v15, v16, v15, 30
	v_xor_b32_e32 v17, v17, v25
	v_sub_u32_e32 v19, 31, v18
	v_xor_b32_e32 v15, v15, v25
	v_alignbit_b32 v20, v21, v17, v19
	v_alignbit_b32 v15, v17, v15, v19
	;; [unrolled: 1-line block ×3, first 2 shown]
	v_ffbh_u32_e32 v17, v16
	v_min_u32_e32 v17, 32, v17
	v_lshrrev_b32_e32 v22, 29, v6
	v_not_b32_e32 v19, v17
	v_alignbit_b32 v15, v16, v15, v19
	v_lshlrev_b32_e32 v16, 31, v22
	v_or_b32_e32 v19, 0x33000000, v16
	v_add_lshl_u32 v17, v17, v18, 23
	v_lshrrev_b32_e32 v15, 9, v15
	v_sub_u32_e32 v17, v19, v17
	v_or_b32_e32 v16, 0.5, v16
	v_lshlrev_b32_e32 v18, 23, v18
	v_or_b32_e32 v15, v17, v15
	v_lshrrev_b32_e32 v17, 9, v20
	v_sub_u32_e32 v16, v16, v18
	v_or_b32_e32 v16, v17, v16
	v_mul_f32_e32 v17, 0x3fc90fda, v16
	v_fma_f32 v18, v16, s22, -v17
	v_fmac_f32_e32 v18, 0x33a22168, v16
	v_fmac_f32_e32 v18, 0x3fc90fda, v15
	v_lshrrev_b32_e32 v6, 30, v6
	v_add_f32_e32 v15, v17, v18
	v_add_u32_e32 v16, v24, v6
.LBB98_43:                              ;   in Loop: Header=BB98_41 Depth=1
	s_andn2_saveexec_b64 s[0:1], s[10:11]
; %bb.44:                               ;   in Loop: Header=BB98_41 Depth=1
	v_mul_f32_e64 v6, |v2|, s23
	v_rndne_f32_e32 v6, v6
	v_cvt_i32_f32_e32 v16, v6
	v_fma_f32 v15, v6, s24, |v2|
	v_fmac_f32_e32 v15, 0xb3a22168, v6
	v_fmac_f32_e32 v15, 0xa7c234c4, v6
; %bb.45:                               ;   in Loop: Header=BB98_41 Depth=1
	s_or_b64 exec, exec, s[0:1]
	v_and_b32_e32 v17, 0x7fffffff, v3
	v_cmp_nlt_f32_e64 s[0:1], |v3|, s14
                                        ; implicit-def: $vgpr19
                                        ; implicit-def: $vgpr18
	s_and_saveexec_b64 s[2:3], s[0:1]
	s_xor_b64 s[10:11], exec, s[2:3]
	s_cbranch_execz .LBB98_47
; %bb.46:                               ;   in Loop: Header=BB98_41 Depth=1
	v_and_b32_e32 v6, 0x7fffff, v17
	v_or_b32_e32 v25, 0x800000, v6
	v_mad_u64_u32 v[18:19], s[0:1], v25, s15, 0
	v_mov_b32_e32 v6, v19
	v_mad_u64_u32 v[19:20], s[0:1], v25, s16, v[6:7]
	v_mov_b32_e32 v6, v20
	;; [unrolled: 2-line block ×3, first 2 shown]
	v_mad_u64_u32 v[21:22], s[0:1], v25, s18, v[6:7]
	v_lshrrev_b32_e32 v6, 23, v17
	v_add_u32_e32 v24, 0xffffff88, v6
	v_mov_b32_e32 v6, v22
	v_mad_u64_u32 v[22:23], s[0:1], v25, s19, v[6:7]
	v_cmp_lt_u32_e32 vcc, 63, v24
	v_cndmask_b32_e32 v6, 0, v11, vcc
	v_add_u32_e32 v26, v6, v24
	v_mov_b32_e32 v6, v23
	v_mad_u64_u32 v[23:24], s[0:1], v25, s20, v[6:7]
	v_cmp_lt_u32_e64 s[0:1], 31, v26
	v_cndmask_b32_e64 v6, 0, v12, s[0:1]
	v_add_u32_e32 v26, v6, v26
	v_mov_b32_e32 v6, v24
	v_mad_u64_u32 v[24:25], s[2:3], v25, s21, v[6:7]
	v_cmp_lt_u32_e64 s[2:3], 31, v26
	v_cndmask_b32_e64 v6, 0, v12, s[2:3]
	v_add_u32_e32 v6, v6, v26
	v_cndmask_b32_e32 v26, v23, v21, vcc
	v_cndmask_b32_e32 v24, v24, v22, vcc
	;; [unrolled: 1-line block ×4, first 2 shown]
	v_cndmask_b32_e64 v25, v24, v26, s[0:1]
	v_cndmask_b32_e64 v23, v23, v24, s[0:1]
	;; [unrolled: 1-line block ×3, first 2 shown]
	v_cndmask_b32_e32 v19, v21, v19, vcc
	v_cndmask_b32_e64 v23, v23, v25, s[2:3]
	v_cndmask_b32_e64 v25, v25, v24, s[2:3]
	v_sub_u32_e32 v26, 32, v6
	v_cndmask_b32_e64 v21, v22, v19, s[0:1]
	v_alignbit_b32 v27, v23, v25, v26
	v_cmp_eq_u32_e64 s[4:5], 0, v6
	v_cndmask_b32_e64 v22, v24, v21, s[2:3]
	v_cndmask_b32_e64 v6, v27, v23, s[4:5]
	v_alignbit_b32 v23, v25, v22, v26
	v_cndmask_b32_e32 v18, v20, v18, vcc
	v_cndmask_b32_e64 v23, v23, v25, s[4:5]
	v_bfe_u32 v27, v6, 29, 1
	v_cndmask_b32_e64 v18, v19, v18, s[0:1]
	v_alignbit_b32 v24, v6, v23, 30
	v_sub_u32_e32 v28, 0, v27
	v_cndmask_b32_e64 v18, v21, v18, s[2:3]
	v_xor_b32_e32 v24, v24, v28
	v_alignbit_b32 v19, v22, v18, v26
	v_cndmask_b32_e64 v19, v19, v22, s[4:5]
	v_ffbh_u32_e32 v21, v24
	v_alignbit_b32 v20, v23, v19, 30
	v_min_u32_e32 v21, 32, v21
	v_alignbit_b32 v18, v19, v18, 30
	v_xor_b32_e32 v20, v20, v28
	v_sub_u32_e32 v22, 31, v21
	v_xor_b32_e32 v18, v18, v28
	v_alignbit_b32 v23, v24, v20, v22
	v_alignbit_b32 v18, v20, v18, v22
	;; [unrolled: 1-line block ×3, first 2 shown]
	v_ffbh_u32_e32 v20, v19
	v_min_u32_e32 v20, 32, v20
	v_lshrrev_b32_e32 v25, 29, v6
	v_not_b32_e32 v22, v20
	v_alignbit_b32 v18, v19, v18, v22
	v_lshlrev_b32_e32 v19, 31, v25
	v_or_b32_e32 v22, 0x33000000, v19
	v_add_lshl_u32 v20, v20, v21, 23
	v_lshrrev_b32_e32 v18, 9, v18
	v_sub_u32_e32 v20, v22, v20
	v_or_b32_e32 v19, 0.5, v19
	v_lshlrev_b32_e32 v21, 23, v21
	v_or_b32_e32 v18, v20, v18
	v_lshrrev_b32_e32 v20, 9, v23
	v_sub_u32_e32 v19, v19, v21
	v_or_b32_e32 v19, v20, v19
	v_mul_f32_e32 v20, 0x3fc90fda, v19
	v_fma_f32 v21, v19, s22, -v20
	v_fmac_f32_e32 v21, 0x33a22168, v19
	v_fmac_f32_e32 v21, 0x3fc90fda, v18
	v_lshrrev_b32_e32 v6, 30, v6
	v_add_f32_e32 v18, v20, v21
	v_add_u32_e32 v19, v27, v6
.LBB98_47:                              ;   in Loop: Header=BB98_41 Depth=1
	s_andn2_saveexec_b64 s[0:1], s[10:11]
; %bb.48:                               ;   in Loop: Header=BB98_41 Depth=1
	v_mul_f32_e64 v6, |v3|, s23
	v_rndne_f32_e32 v6, v6
	v_cvt_i32_f32_e32 v19, v6
	v_fma_f32 v18, v6, s24, |v3|
	v_fmac_f32_e32 v18, 0xb3a22168, v6
	v_fmac_f32_e32 v18, 0xa7c234c4, v6
; %bb.49:                               ;   in Loop: Header=BB98_41 Depth=1
	s_or_b64 exec, exec, s[0:1]
	v_and_b32_e32 v20, 0x7fffffff, v4
	v_cmp_nlt_f32_e64 s[0:1], |v4|, s14
                                        ; implicit-def: $vgpr23
                                        ; implicit-def: $vgpr22
	s_and_saveexec_b64 s[2:3], s[0:1]
	s_xor_b64 s[10:11], exec, s[2:3]
	s_cbranch_execz .LBB98_51
; %bb.50:                               ;   in Loop: Header=BB98_41 Depth=1
	v_and_b32_e32 v6, 0x7fffff, v20
	v_or_b32_e32 v28, 0x800000, v6
	v_mad_u64_u32 v[21:22], s[0:1], v28, s15, 0
	v_mov_b32_e32 v6, v22
	v_mad_u64_u32 v[22:23], s[0:1], v28, s16, v[6:7]
	v_mov_b32_e32 v6, v23
	;; [unrolled: 2-line block ×3, first 2 shown]
	v_mad_u64_u32 v[24:25], s[0:1], v28, s18, v[6:7]
	v_lshrrev_b32_e32 v6, 23, v20
	v_add_u32_e32 v27, 0xffffff88, v6
	v_mov_b32_e32 v6, v25
	v_mad_u64_u32 v[25:26], s[0:1], v28, s19, v[6:7]
	v_cmp_lt_u32_e32 vcc, 63, v27
	v_cndmask_b32_e32 v6, 0, v11, vcc
	v_add_u32_e32 v29, v6, v27
	v_mov_b32_e32 v6, v26
	v_mad_u64_u32 v[26:27], s[0:1], v28, s20, v[6:7]
	v_cmp_lt_u32_e64 s[0:1], 31, v29
	v_cndmask_b32_e64 v6, 0, v12, s[0:1]
	v_add_u32_e32 v29, v6, v29
	v_mov_b32_e32 v6, v27
	v_mad_u64_u32 v[27:28], s[2:3], v28, s21, v[6:7]
	v_cmp_lt_u32_e64 s[2:3], 31, v29
	v_cndmask_b32_e64 v6, 0, v12, s[2:3]
	v_add_u32_e32 v6, v6, v29
	v_cndmask_b32_e32 v29, v26, v24, vcc
	v_cndmask_b32_e32 v27, v27, v25, vcc
	;; [unrolled: 1-line block ×4, first 2 shown]
	v_cndmask_b32_e64 v28, v27, v29, s[0:1]
	v_cndmask_b32_e64 v26, v26, v27, s[0:1]
	;; [unrolled: 1-line block ×3, first 2 shown]
	v_cndmask_b32_e32 v22, v24, v22, vcc
	v_cndmask_b32_e64 v26, v26, v28, s[2:3]
	v_cndmask_b32_e64 v28, v28, v27, s[2:3]
	v_sub_u32_e32 v29, 32, v6
	v_cndmask_b32_e64 v24, v25, v22, s[0:1]
	v_alignbit_b32 v30, v26, v28, v29
	v_cmp_eq_u32_e64 s[4:5], 0, v6
	v_cndmask_b32_e64 v25, v27, v24, s[2:3]
	v_cndmask_b32_e64 v6, v30, v26, s[4:5]
	v_alignbit_b32 v26, v28, v25, v29
	v_cndmask_b32_e32 v21, v23, v21, vcc
	v_cndmask_b32_e64 v26, v26, v28, s[4:5]
	v_bfe_u32 v30, v6, 29, 1
	v_cndmask_b32_e64 v21, v22, v21, s[0:1]
	v_alignbit_b32 v27, v6, v26, 30
	v_sub_u32_e32 v31, 0, v30
	v_cndmask_b32_e64 v21, v24, v21, s[2:3]
	v_xor_b32_e32 v27, v27, v31
	v_alignbit_b32 v22, v25, v21, v29
	v_cndmask_b32_e64 v22, v22, v25, s[4:5]
	v_ffbh_u32_e32 v24, v27
	v_alignbit_b32 v23, v26, v22, 30
	v_min_u32_e32 v24, 32, v24
	v_alignbit_b32 v21, v22, v21, 30
	v_xor_b32_e32 v23, v23, v31
	v_sub_u32_e32 v25, 31, v24
	v_xor_b32_e32 v21, v21, v31
	v_alignbit_b32 v26, v27, v23, v25
	v_alignbit_b32 v21, v23, v21, v25
	v_alignbit_b32 v22, v26, v21, 9
	v_ffbh_u32_e32 v23, v22
	v_min_u32_e32 v23, 32, v23
	v_lshrrev_b32_e32 v28, 29, v6
	v_not_b32_e32 v25, v23
	v_alignbit_b32 v21, v22, v21, v25
	v_lshlrev_b32_e32 v22, 31, v28
	v_or_b32_e32 v25, 0x33000000, v22
	v_add_lshl_u32 v23, v23, v24, 23
	v_lshrrev_b32_e32 v21, 9, v21
	v_sub_u32_e32 v23, v25, v23
	v_or_b32_e32 v22, 0.5, v22
	v_lshlrev_b32_e32 v24, 23, v24
	v_or_b32_e32 v21, v23, v21
	v_lshrrev_b32_e32 v23, 9, v26
	v_sub_u32_e32 v22, v22, v24
	v_or_b32_e32 v22, v23, v22
	v_mul_f32_e32 v23, 0x3fc90fda, v22
	v_fma_f32 v24, v22, s22, -v23
	v_fmac_f32_e32 v24, 0x33a22168, v22
	v_fmac_f32_e32 v24, 0x3fc90fda, v21
	v_lshrrev_b32_e32 v6, 30, v6
	v_add_f32_e32 v22, v23, v24
	v_add_u32_e32 v23, v30, v6
.LBB98_51:                              ;   in Loop: Header=BB98_41 Depth=1
	s_andn2_saveexec_b64 s[0:1], s[10:11]
; %bb.52:                               ;   in Loop: Header=BB98_41 Depth=1
	v_mul_f32_e64 v6, |v4|, s23
	v_rndne_f32_e32 v6, v6
	v_cvt_i32_f32_e32 v23, v6
	v_fma_f32 v22, v6, s24, |v4|
	v_fmac_f32_e32 v22, 0xb3a22168, v6
	v_fmac_f32_e32 v22, 0xa7c234c4, v6
; %bb.53:                               ;   in Loop: Header=BB98_41 Depth=1
	s_or_b64 exec, exec, s[0:1]
	v_and_b32_e32 v21, 0x7fffffff, v5
	v_cmp_nlt_f32_e64 s[0:1], |v5|, s14
                                        ; implicit-def: $vgpr24
                                        ; implicit-def: $vgpr6
	s_and_saveexec_b64 s[2:3], s[0:1]
	s_xor_b64 s[10:11], exec, s[2:3]
	s_cbranch_execz .LBB98_55
; %bb.54:                               ;   in Loop: Header=BB98_41 Depth=1
	v_and_b32_e32 v6, 0x7fffff, v21
	v_or_b32_e32 v31, 0x800000, v6
	v_mad_u64_u32 v[24:25], s[0:1], v31, s15, 0
	v_mov_b32_e32 v6, v25
	v_mad_u64_u32 v[25:26], s[0:1], v31, s16, v[6:7]
	v_mov_b32_e32 v6, v26
	;; [unrolled: 2-line block ×3, first 2 shown]
	v_mad_u64_u32 v[27:28], s[0:1], v31, s18, v[6:7]
	v_lshrrev_b32_e32 v6, 23, v21
	v_add_u32_e32 v30, 0xffffff88, v6
	v_mov_b32_e32 v6, v28
	v_mad_u64_u32 v[28:29], s[0:1], v31, s19, v[6:7]
	v_cmp_lt_u32_e32 vcc, 63, v30
	v_cndmask_b32_e32 v6, 0, v11, vcc
	v_add_u32_e32 v32, v6, v30
	v_mov_b32_e32 v6, v29
	v_mad_u64_u32 v[29:30], s[0:1], v31, s20, v[6:7]
	v_cmp_lt_u32_e64 s[0:1], 31, v32
	v_cndmask_b32_e64 v6, 0, v12, s[0:1]
	v_add_u32_e32 v32, v6, v32
	v_mov_b32_e32 v6, v30
	v_mad_u64_u32 v[30:31], s[2:3], v31, s21, v[6:7]
	v_cmp_lt_u32_e64 s[2:3], 31, v32
	v_cndmask_b32_e64 v6, 0, v12, s[2:3]
	v_add_u32_e32 v6, v6, v32
	v_cndmask_b32_e32 v32, v29, v27, vcc
	v_cndmask_b32_e32 v30, v30, v28, vcc
	;; [unrolled: 1-line block ×4, first 2 shown]
	v_cndmask_b32_e64 v31, v30, v32, s[0:1]
	v_cndmask_b32_e64 v29, v29, v30, s[0:1]
	;; [unrolled: 1-line block ×3, first 2 shown]
	v_sub_u32_e32 v32, 32, v6
	v_cmp_eq_u32_e64 s[4:5], 0, v6
	v_cndmask_b32_e32 v6, v27, v25, vcc
	v_cndmask_b32_e64 v29, v29, v31, s[2:3]
	v_cndmask_b32_e64 v31, v31, v30, s[2:3]
	;; [unrolled: 1-line block ×3, first 2 shown]
	v_alignbit_b32 v33, v29, v31, v32
	v_cndmask_b32_e64 v27, v30, v25, s[2:3]
	v_cndmask_b32_e64 v29, v33, v29, s[4:5]
	v_alignbit_b32 v28, v31, v27, v32
	v_cndmask_b32_e32 v24, v26, v24, vcc
	v_cndmask_b32_e64 v28, v28, v31, s[4:5]
	v_bfe_u32 v33, v29, 29, 1
	v_cndmask_b32_e64 v6, v6, v24, s[0:1]
	v_alignbit_b32 v30, v29, v28, 30
	v_sub_u32_e32 v34, 0, v33
	v_cndmask_b32_e64 v6, v25, v6, s[2:3]
	v_xor_b32_e32 v30, v30, v34
	v_alignbit_b32 v24, v27, v6, v32
	v_cndmask_b32_e64 v24, v24, v27, s[4:5]
	v_ffbh_u32_e32 v26, v30
	v_alignbit_b32 v25, v28, v24, 30
	v_min_u32_e32 v26, 32, v26
	v_alignbit_b32 v6, v24, v6, 30
	v_xor_b32_e32 v25, v25, v34
	v_sub_u32_e32 v27, 31, v26
	v_xor_b32_e32 v6, v6, v34
	v_alignbit_b32 v28, v30, v25, v27
	v_alignbit_b32 v6, v25, v6, v27
	;; [unrolled: 1-line block ×3, first 2 shown]
	v_ffbh_u32_e32 v25, v24
	v_min_u32_e32 v25, 32, v25
	v_lshrrev_b32_e32 v31, 29, v29
	v_not_b32_e32 v27, v25
	v_alignbit_b32 v6, v24, v6, v27
	v_lshlrev_b32_e32 v24, 31, v31
	v_or_b32_e32 v27, 0x33000000, v24
	v_add_lshl_u32 v25, v25, v26, 23
	v_lshrrev_b32_e32 v6, 9, v6
	v_sub_u32_e32 v25, v27, v25
	v_or_b32_e32 v24, 0.5, v24
	v_lshlrev_b32_e32 v26, 23, v26
	v_or_b32_e32 v6, v25, v6
	v_lshrrev_b32_e32 v25, 9, v28
	v_sub_u32_e32 v24, v24, v26
	v_or_b32_e32 v24, v25, v24
	v_mul_f32_e32 v25, 0x3fc90fda, v24
	v_fma_f32 v26, v24, s22, -v25
	v_fmac_f32_e32 v26, 0x33a22168, v24
	v_fmac_f32_e32 v26, 0x3fc90fda, v6
	v_lshrrev_b32_e32 v24, 30, v29
	v_add_f32_e32 v6, v25, v26
	v_add_u32_e32 v24, v33, v24
.LBB98_55:                              ;   in Loop: Header=BB98_41 Depth=1
	s_andn2_saveexec_b64 s[0:1], s[10:11]
	s_cbranch_execz .LBB98_40
; %bb.56:                               ;   in Loop: Header=BB98_41 Depth=1
	v_mul_f32_e64 v6, |v5|, s23
	v_rndne_f32_e32 v25, v6
	v_cvt_i32_f32_e32 v24, v25
	v_fma_f32 v6, v25, s24, |v5|
	v_fmac_f32_e32 v6, 0xb3a22168, v25
	v_fmac_f32_e32 v6, 0xa7c234c4, v25
	s_branch .LBB98_40
.LBB98_57:
	s_endpgm
	.section	.rodata,"a",@progbits
	.p2align	6, 0x0
	.amdhsa_kernel _ZN2at6native12_GLOBAL__N_125multi_tensor_apply_kernelINS1_18TensorListMetadataILi1EEENS1_14UnaryOpFunctorIfLi1ELi1ELi0EEEJNS0_3TanIfEEEEEvT_T0_DpT1_
		.amdhsa_group_segment_fixed_size 0
		.amdhsa_private_segment_fixed_size 0
		.amdhsa_kernarg_size 3632
		.amdhsa_user_sgpr_count 6
		.amdhsa_user_sgpr_private_segment_buffer 1
		.amdhsa_user_sgpr_dispatch_ptr 0
		.amdhsa_user_sgpr_queue_ptr 0
		.amdhsa_user_sgpr_kernarg_segment_ptr 1
		.amdhsa_user_sgpr_dispatch_id 0
		.amdhsa_user_sgpr_flat_scratch_init 0
		.amdhsa_user_sgpr_private_segment_size 0
		.amdhsa_uses_dynamic_stack 0
		.amdhsa_system_sgpr_private_segment_wavefront_offset 0
		.amdhsa_system_sgpr_workgroup_id_x 1
		.amdhsa_system_sgpr_workgroup_id_y 0
		.amdhsa_system_sgpr_workgroup_id_z 0
		.amdhsa_system_sgpr_workgroup_info 0
		.amdhsa_system_vgpr_workitem_id 0
		.amdhsa_next_free_vgpr 42
		.amdhsa_next_free_sgpr 47
		.amdhsa_reserve_vcc 1
		.amdhsa_reserve_flat_scratch 0
		.amdhsa_float_round_mode_32 0
		.amdhsa_float_round_mode_16_64 0
		.amdhsa_float_denorm_mode_32 3
		.amdhsa_float_denorm_mode_16_64 3
		.amdhsa_dx10_clamp 1
		.amdhsa_ieee_mode 1
		.amdhsa_fp16_overflow 0
		.amdhsa_exception_fp_ieee_invalid_op 0
		.amdhsa_exception_fp_denorm_src 0
		.amdhsa_exception_fp_ieee_div_zero 0
		.amdhsa_exception_fp_ieee_overflow 0
		.amdhsa_exception_fp_ieee_underflow 0
		.amdhsa_exception_fp_ieee_inexact 0
		.amdhsa_exception_int_div_zero 0
	.end_amdhsa_kernel
	.section	.text._ZN2at6native12_GLOBAL__N_125multi_tensor_apply_kernelINS1_18TensorListMetadataILi1EEENS1_14UnaryOpFunctorIfLi1ELi1ELi0EEEJNS0_3TanIfEEEEEvT_T0_DpT1_,"axG",@progbits,_ZN2at6native12_GLOBAL__N_125multi_tensor_apply_kernelINS1_18TensorListMetadataILi1EEENS1_14UnaryOpFunctorIfLi1ELi1ELi0EEEJNS0_3TanIfEEEEEvT_T0_DpT1_,comdat
.Lfunc_end98:
	.size	_ZN2at6native12_GLOBAL__N_125multi_tensor_apply_kernelINS1_18TensorListMetadataILi1EEENS1_14UnaryOpFunctorIfLi1ELi1ELi0EEEJNS0_3TanIfEEEEEvT_T0_DpT1_, .Lfunc_end98-_ZN2at6native12_GLOBAL__N_125multi_tensor_apply_kernelINS1_18TensorListMetadataILi1EEENS1_14UnaryOpFunctorIfLi1ELi1ELi0EEEJNS0_3TanIfEEEEEvT_T0_DpT1_
                                        ; -- End function
	.set _ZN2at6native12_GLOBAL__N_125multi_tensor_apply_kernelINS1_18TensorListMetadataILi1EEENS1_14UnaryOpFunctorIfLi1ELi1ELi0EEEJNS0_3TanIfEEEEEvT_T0_DpT1_.num_vgpr, 42
	.set _ZN2at6native12_GLOBAL__N_125multi_tensor_apply_kernelINS1_18TensorListMetadataILi1EEENS1_14UnaryOpFunctorIfLi1ELi1ELi0EEEJNS0_3TanIfEEEEEvT_T0_DpT1_.num_agpr, 0
	.set _ZN2at6native12_GLOBAL__N_125multi_tensor_apply_kernelINS1_18TensorListMetadataILi1EEENS1_14UnaryOpFunctorIfLi1ELi1ELi0EEEJNS0_3TanIfEEEEEvT_T0_DpT1_.numbered_sgpr, 47
	.set _ZN2at6native12_GLOBAL__N_125multi_tensor_apply_kernelINS1_18TensorListMetadataILi1EEENS1_14UnaryOpFunctorIfLi1ELi1ELi0EEEJNS0_3TanIfEEEEEvT_T0_DpT1_.num_named_barrier, 0
	.set _ZN2at6native12_GLOBAL__N_125multi_tensor_apply_kernelINS1_18TensorListMetadataILi1EEENS1_14UnaryOpFunctorIfLi1ELi1ELi0EEEJNS0_3TanIfEEEEEvT_T0_DpT1_.private_seg_size, 0
	.set _ZN2at6native12_GLOBAL__N_125multi_tensor_apply_kernelINS1_18TensorListMetadataILi1EEENS1_14UnaryOpFunctorIfLi1ELi1ELi0EEEJNS0_3TanIfEEEEEvT_T0_DpT1_.uses_vcc, 1
	.set _ZN2at6native12_GLOBAL__N_125multi_tensor_apply_kernelINS1_18TensorListMetadataILi1EEENS1_14UnaryOpFunctorIfLi1ELi1ELi0EEEJNS0_3TanIfEEEEEvT_T0_DpT1_.uses_flat_scratch, 0
	.set _ZN2at6native12_GLOBAL__N_125multi_tensor_apply_kernelINS1_18TensorListMetadataILi1EEENS1_14UnaryOpFunctorIfLi1ELi1ELi0EEEJNS0_3TanIfEEEEEvT_T0_DpT1_.has_dyn_sized_stack, 0
	.set _ZN2at6native12_GLOBAL__N_125multi_tensor_apply_kernelINS1_18TensorListMetadataILi1EEENS1_14UnaryOpFunctorIfLi1ELi1ELi0EEEJNS0_3TanIfEEEEEvT_T0_DpT1_.has_recursion, 0
	.set _ZN2at6native12_GLOBAL__N_125multi_tensor_apply_kernelINS1_18TensorListMetadataILi1EEENS1_14UnaryOpFunctorIfLi1ELi1ELi0EEEJNS0_3TanIfEEEEEvT_T0_DpT1_.has_indirect_call, 0
	.section	.AMDGPU.csdata,"",@progbits
; Kernel info:
; codeLenInByte = 7196
; TotalNumSgprs: 51
; NumVgprs: 42
; ScratchSize: 0
; MemoryBound: 0
; FloatMode: 240
; IeeeMode: 1
; LDSByteSize: 0 bytes/workgroup (compile time only)
; SGPRBlocks: 6
; VGPRBlocks: 10
; NumSGPRsForWavesPerEU: 51
; NumVGPRsForWavesPerEU: 42
; Occupancy: 5
; WaveLimiterHint : 0
; COMPUTE_PGM_RSRC2:SCRATCH_EN: 0
; COMPUTE_PGM_RSRC2:USER_SGPR: 6
; COMPUTE_PGM_RSRC2:TRAP_HANDLER: 0
; COMPUTE_PGM_RSRC2:TGID_X_EN: 1
; COMPUTE_PGM_RSRC2:TGID_Y_EN: 0
; COMPUTE_PGM_RSRC2:TGID_Z_EN: 0
; COMPUTE_PGM_RSRC2:TIDIG_COMP_CNT: 0
	.section	.text._ZN2at6native12_GLOBAL__N_125multi_tensor_apply_kernelINS1_18TensorListMetadataILi1EEENS1_14UnaryOpFunctorIN3c107complexIdEELi1ELi1ELi0EEEJNS0_3TanIS8_EEEEEvT_T0_DpT1_,"axG",@progbits,_ZN2at6native12_GLOBAL__N_125multi_tensor_apply_kernelINS1_18TensorListMetadataILi1EEENS1_14UnaryOpFunctorIN3c107complexIdEELi1ELi1ELi0EEEJNS0_3TanIS8_EEEEEvT_T0_DpT1_,comdat
	.globl	_ZN2at6native12_GLOBAL__N_125multi_tensor_apply_kernelINS1_18TensorListMetadataILi1EEENS1_14UnaryOpFunctorIN3c107complexIdEELi1ELi1ELi0EEEJNS0_3TanIS8_EEEEEvT_T0_DpT1_ ; -- Begin function _ZN2at6native12_GLOBAL__N_125multi_tensor_apply_kernelINS1_18TensorListMetadataILi1EEENS1_14UnaryOpFunctorIN3c107complexIdEELi1ELi1ELi0EEEJNS0_3TanIS8_EEEEEvT_T0_DpT1_
	.p2align	8
	.type	_ZN2at6native12_GLOBAL__N_125multi_tensor_apply_kernelINS1_18TensorListMetadataILi1EEENS1_14UnaryOpFunctorIN3c107complexIdEELi1ELi1ELi0EEEJNS0_3TanIS8_EEEEEvT_T0_DpT1_,@function
_ZN2at6native12_GLOBAL__N_125multi_tensor_apply_kernelINS1_18TensorListMetadataILi1EEENS1_14UnaryOpFunctorIN3c107complexIdEELi1ELi1ELi0EEEJNS0_3TanIS8_EEEEEvT_T0_DpT1_: ; @_ZN2at6native12_GLOBAL__N_125multi_tensor_apply_kernelINS1_18TensorListMetadataILi1EEENS1_14UnaryOpFunctorIN3c107complexIdEELi1ELi1ELi0EEEJNS0_3TanIS8_EEEEEvT_T0_DpT1_
; %bb.0:
	v_mov_b32_e32 v1, s6
	global_load_ubyte v1, v1, s[4:5] offset:1760
	s_add_u32 s0, s4, s6
	s_mul_hi_u32 s1, s6, 3
	s_mul_i32 s6, s6, 3
	s_addc_u32 s2, s5, 0
	s_add_u32 s0, s0, s6
	s_addc_u32 s1, s2, s1
	s_load_dword s0, s[0:1], 0x820
                                        ; implicit-def: $vgpr81 : SGPR spill to VGPR lane
	s_mov_b32 s7, 0
	s_waitcnt vmcnt(0)
	v_readfirstlane_b32 s1, v1
	s_lshl_b32 s1, s1, 3
	s_load_dwordx2 s[8:9], s[4:5], s1 offset:0x0
	s_load_dwordx2 s[2:3], s[4:5], s1 offset:0x370
	s_waitcnt lgkmcnt(0)
	s_ashr_i32 s1, s0, 31
	s_lshl_b64 s[10:11], s[0:1], 20
	s_add_u32 s33, s8, s10
	v_writelane_b32 v81, s8, 0
	v_writelane_b32 v81, s9, 1
	;; [unrolled: 1-line block ×3, first 2 shown]
	s_addc_u32 s72, s9, s11
	s_lshl_b64 s[0:1], s[0:1], 16
	s_and_b32 s6, s33, 63
	s_sub_u32 s16, s2, s0
	s_subb_u32 s17, s3, s1
	s_and_b32 s0, s2, 3
	s_mov_b32 s1, s7
	s_or_b64 s[0:1], s[6:7], s[0:1]
	s_cmp_eq_u64 s[0:1], 0
	v_writelane_b32 v81, s11, 3
	s_cbranch_scc1 .LBB99_173
; %bb.1:
	v_cmp_lt_i64_e64 s[0:1], s[16:17], 1
	s_and_b64 vcc, exec, s[0:1]
	s_cbranch_vccnz .LBB99_172
; %bb.2:
	v_mov_b32_e32 v1, 0x10000
	s_load_dword s2, s[4:5], 0xd3c
	v_mov_b32_e32 v2, 0
	v_cmp_lt_i64_e32 vcc, s[16:17], v[1:2]
	v_mov_b32_e32 v21, 0
	s_and_b64 s[0:1], vcc, exec
	v_cmp_lt_u64_e32 vcc, s[16:17], v[1:2]
	s_cselect_b32 s19, s17, 0
	s_cselect_b32 s18, s16, 0x10000
	s_waitcnt lgkmcnt(0)
	s_and_b32 s2, s2, 0xffff
	s_and_b64 s[0:1], vcc, exec
	s_mul_i32 s6, s2, 3
	v_add_co_u32_e32 v42, vcc, s2, v0
	v_lshlrev_b32_e32 v23, 4, v0
	v_mov_b32_e32 v24, v21
	v_addc_co_u32_e64 v43, s[0:1], 0, 0, vcc
	v_add_co_u32_e32 v44, vcc, s6, v0
	v_mad_u64_u32 v[24:25], s[0:1], s2, 48, v[23:24]
	v_addc_co_u32_e64 v45, s[0:1], 0, 0, vcc
	s_cselect_b32 s21, s17, 0
	s_cselect_b32 s20, s16, 0x10000
	s_lshl_b32 s0, s2, 5
	s_lshl_b32 s3, s2, 1
	v_add_co_u32_e32 v1, vcc, s0, v23
	v_addc_co_u32_e64 v47, s[0:1], 0, 0, vcc
	v_add_co_u32_e32 v49, vcc, s3, v0
	s_mov_b32 s50, 0x54442d18
	s_mov_b32 s24, 0x6dc9c883
	s_mov_b32 s52, 0x33145c00
	s_mov_b32 s28, 0x252049c0
	s_mov_b32 s64, 0xfefa39ef
	s_mov_b32 s82, 0x9037ab78
	s_mov_b32 s84, 0x46cc5e42
	s_mov_b32 s86, 0xa17f65f6
	s_mov_b32 s88, 0x19f4ec90
	s_mov_b32 s90, 0x16c16967
	s_mov_b32 s14, 0x55555555
	s_mov_b32 s94, 0xb42fdfa7
	s_mov_b32 s30, 0xf9a43bb8
	s_mov_b32 s34, 0x796cde01
	s_mov_b32 s36, 0x19e83e5c
	s_mov_b32 s80, 0x11110bb3
	s_mov_b32 s62, 0x652b82fe
	s_mov_b32 s44, 0
	s_mov_b32 s46, 0
	s_mov_b32 s48, 0
	s_lshl_b32 s73, s2, 2
	s_lshl_b32 s74, s2, 6
	v_or_b32_e32 v24, 8, v24
	v_lshlrev_b32_e32 v46, 4, v42
	v_or_b32_e32 v48, 8, v1
	v_addc_co_u32_e64 v50, s[0:1], 0, 0, vcc
	s_mov_b32 s51, 0xbff921fb
	s_mov_b32 s25, 0x3fe45f30
	;; [unrolled: 1-line block ×5, first 2 shown]
	v_mov_b32_e32 v51, 0x260
	s_mov_b32 s83, 0x3e21eeb6
	s_mov_b32 s85, 0xbda907db
	;; [unrolled: 1-line block ×12, first 2 shown]
	v_mov_b32_e32 v52, 0x40100000
	v_mov_b32_e32 v53, 0x3ff00000
	;; [unrolled: 1-line block ×10, first 2 shown]
	s_brev_b32 s75, -2
	s_mov_b32 s76, 0x7ff00000
	s_movk_i32 s77, 0x1f8
	s_movk_i32 s79, 0xff80
	s_mov_b32 s78, 0xfffff
	s_mov_b64 s[42:43], 0
	s_mov_b32 s45, 0x41d00000
	s_mov_b32 s47, 0x7b000000
	;; [unrolled: 1-line block ×12, first 2 shown]
	s_branch .LBB99_4
.LBB99_3:                               ;   in Loop: Header=BB99_4 Depth=1
	s_or_b64 exec, exec, s[0:1]
	s_add_u32 s42, s42, s73
	v_mov_b32_e32 v1, s18
	s_addc_u32 s43, s43, 0
	v_mov_b32_e32 v2, s19
	v_cmp_ge_i64_e32 vcc, s[42:43], v[1:2]
	s_add_u32 s33, s33, s74
	s_addc_u32 s72, s72, 0
	s_cbranch_vccnz .LBB99_172
.LBB99_4:                               ; =>This Inner Loop Header: Depth=1
	v_mov_b32_e32 v2, s43
	v_add_co_u32_e32 v1, vcc, s42, v0
	v_addc_co_u32_e32 v2, vcc, 0, v2, vcc
	v_cmp_gt_u64_e64 s[0:1], s[20:21], v[1:2]
	v_mov_b32_e32 v19, 0
	v_mov_b32_e32 v11, 0
	;; [unrolled: 1-line block ×6, first 2 shown]
	s_and_saveexec_b64 s[2:3], s[0:1]
	s_cbranch_execz .LBB99_6
; %bb.5:                                ;   in Loop: Header=BB99_4 Depth=1
	v_mov_b32_e32 v2, s72
	v_add_co_u32_e32 v1, vcc, s33, v23
	v_addc_co_u32_e32 v2, vcc, 0, v2, vcc
	global_load_dwordx4 v[9:12], v[1:2], off
.LBB99_6:                               ;   in Loop: Header=BB99_4 Depth=1
	s_or_b64 exec, exec, s[2:3]
	v_mov_b32_e32 v2, s43
	v_add_co_u32_e32 v1, vcc, s42, v42
	v_addc_co_u32_e32 v2, vcc, v43, v2, vcc
	v_cmp_gt_u64_e64 s[2:3], s[20:21], v[1:2]
	v_mov_b32_e32 v17, 0
	v_mov_b32_e32 v18, 0
	s_and_saveexec_b64 s[6:7], s[2:3]
	s_cbranch_execz .LBB99_8
; %bb.7:                                ;   in Loop: Header=BB99_4 Depth=1
	v_mov_b32_e32 v2, s72
	v_add_co_u32_e32 v1, vcc, s33, v46
	v_addc_co_u32_e32 v2, vcc, 0, v2, vcc
	global_load_dwordx4 v[17:20], v[1:2], off
.LBB99_8:                               ;   in Loop: Header=BB99_4 Depth=1
	s_or_b64 exec, exec, s[6:7]
	v_mov_b32_e32 v2, s43
	v_add_co_u32_e32 v1, vcc, s42, v49
	v_addc_co_u32_e32 v2, vcc, v50, v2, vcc
	v_cmp_gt_u64_e64 s[6:7], s[20:21], v[1:2]
	v_mov_b32_e32 v7, 0
	v_mov_b32_e32 v15, 0
	;; [unrolled: 1-line block ×6, first 2 shown]
	s_and_saveexec_b64 s[8:9], s[6:7]
	s_cbranch_execz .LBB99_10
; %bb.9:                                ;   in Loop: Header=BB99_4 Depth=1
	v_mov_b32_e32 v2, s72
	v_add_co_u32_e32 v1, vcc, s33, v48
	v_addc_co_u32_e32 v2, vcc, v2, v47, vcc
	global_load_dwordx4 v[13:16], v[1:2], off offset:-8
.LBB99_10:                              ;   in Loop: Header=BB99_4 Depth=1
	s_or_b64 exec, exec, s[8:9]
	v_mov_b32_e32 v2, s43
	v_add_co_u32_e32 v1, vcc, s42, v44
	v_addc_co_u32_e32 v2, vcc, v45, v2, vcc
	v_cmp_gt_u64_e64 s[8:9], s[20:21], v[1:2]
	v_mov_b32_e32 v5, 0
	v_mov_b32_e32 v6, 0
	s_and_saveexec_b64 s[10:11], s[8:9]
	s_cbranch_execz .LBB99_12
; %bb.11:                               ;   in Loop: Header=BB99_4 Depth=1
	v_mov_b32_e32 v2, s72
	v_add_co_u32_e32 v1, vcc, s33, v24
	v_addc_co_u32_e32 v2, vcc, v2, v25, vcc
	global_load_dwordx4 v[5:8], v[1:2], off offset:-8
.LBB99_12:                              ;   in Loop: Header=BB99_4 Depth=1
	s_or_b64 exec, exec, s[10:11]
	s_waitcnt vmcnt(0)
	v_xor_b32_e32 v4, 0x80000000, v12
	v_and_b32_e32 v1, 0x7fffffff, v4
	v_mov_b32_e32 v3, v11
	v_cmp_gt_u32_e32 vcc, s76, v1
	s_and_saveexec_b64 s[10:11], vcc
	s_xor_b64 s[60:61], exec, s[10:11]
	s_cbranch_execz .LBB99_34
; %bb.13:                               ;   in Loop: Header=BB99_4 Depth=1
	v_cmp_class_f64_e64 s[10:11], v[9:10], s77
	s_and_saveexec_b64 s[66:67], s[10:11]
	s_xor_b64 s[66:67], exec, s[66:67]
	s_cbranch_execz .LBB99_31
; %bb.14:                               ;   in Loop: Header=BB99_4 Depth=1
	s_mov_b32 s10, 0x40360000
	v_cmp_gt_u32_e32 vcc, s10, v1
	s_and_saveexec_b64 s[10:11], vcc
	s_xor_b64 s[68:69], exec, s[10:11]
	s_cbranch_execz .LBB99_20
; %bb.15:                               ;   in Loop: Header=BB99_4 Depth=1
	v_cmp_nlt_f64_e64 s[10:11], |v[9:10]|, s[44:45]
                                        ; implicit-def: $vgpr3
                                        ; implicit-def: $vgpr1_vgpr2
                                        ; implicit-def: $vgpr30_vgpr31
	s_and_saveexec_b64 s[70:71], s[10:11]
	s_xor_b64 s[10:11], exec, s[70:71]
	s_cbranch_execz .LBB99_17
; %bb.16:                               ;   in Loop: Header=BB99_4 Depth=1
	v_trig_preop_f64 v[1:2], |v[9:10]|, 0
	v_ldexp_f64 v[30:31], |v[9:10]|, s79
	v_cmp_ge_f64_e64 vcc, |v[9:10]|, s[46:47]
	v_trig_preop_f64 v[32:33], |v[9:10]|, 1
	v_and_b32_e32 v3, 0x7fffffff, v10
	v_trig_preop_f64 v[40:41], |v[9:10]|, 2
	s_mov_b32 s22, s50
	s_mov_b32 s55, s27
	v_cndmask_b32_e32 v31, v3, v31, vcc
	v_cndmask_b32_e32 v30, v9, v30, vcc
	v_mul_f64 v[34:35], v[1:2], v[30:31]
	v_mul_f64 v[36:37], v[32:33], v[30:31]
	;; [unrolled: 1-line block ×3, first 2 shown]
	v_fma_f64 v[1:2], v[1:2], v[30:31], -v[34:35]
	v_fma_f64 v[32:33], v[32:33], v[30:31], -v[36:37]
	;; [unrolled: 1-line block ×3, first 2 shown]
	v_add_f64 v[38:39], v[36:37], v[1:2]
	v_add_f64 v[58:59], v[38:39], -v[36:37]
	v_add_f64 v[64:65], v[34:35], v[38:39]
	v_add_f64 v[60:61], v[38:39], -v[58:59]
	v_add_f64 v[1:2], v[1:2], -v[58:59]
	v_add_f64 v[58:59], v[62:63], v[32:33]
	v_add_f64 v[34:35], v[64:65], -v[34:35]
	v_add_f64 v[36:37], v[36:37], -v[60:61]
	v_ldexp_f64 v[60:61], v[64:65], -2
	v_add_f64 v[66:67], v[58:59], -v[62:63]
	v_add_f64 v[34:35], v[38:39], -v[34:35]
	v_add_f64 v[1:2], v[1:2], v[36:37]
	v_fract_f64_e32 v[36:37], v[60:61]
	v_cmp_neq_f64_e64 vcc, |v[60:61]|, s[48:49]
	v_add_f64 v[32:33], v[32:33], -v[66:67]
	v_add_f64 v[38:39], v[58:59], v[1:2]
	v_ldexp_f64 v[36:37], v[36:37], 2
	v_add_f64 v[60:61], v[34:35], v[38:39]
	v_cndmask_b32_e32 v37, 0, v37, vcc
	v_cndmask_b32_e32 v36, 0, v36, vcc
	v_add_f64 v[68:69], v[38:39], -v[58:59]
	v_add_f64 v[64:65], v[60:61], v[36:37]
	v_add_f64 v[34:35], v[60:61], -v[34:35]
	v_add_f64 v[70:71], v[38:39], -v[68:69]
	v_add_f64 v[1:2], v[1:2], -v[68:69]
	v_cmp_gt_f64_e32 vcc, 0, v[64:65]
	v_add_f64 v[64:65], v[58:59], -v[66:67]
	v_add_f64 v[34:35], v[38:39], -v[34:35]
	;; [unrolled: 1-line block ×3, first 2 shown]
	v_cndmask_b32_e32 v22, 0, v52, vcc
	v_add_f64 v[36:37], v[36:37], v[21:22]
	v_add_f64 v[64:65], v[62:63], -v[64:65]
	v_add_f64 v[1:2], v[1:2], v[58:59]
	v_add_f64 v[72:73], v[60:61], v[36:37]
	;; [unrolled: 1-line block ×3, first 2 shown]
	v_cvt_i32_f64_e32 v3, v[72:73]
	v_add_f64 v[1:2], v[32:33], v[1:2]
	v_cvt_f64_i32_e32 v[66:67], v3
	v_add_f64 v[36:37], v[36:37], -v[66:67]
	v_add_f64 v[1:2], v[30:31], v[1:2]
	v_add_f64 v[32:33], v[60:61], v[36:37]
	;; [unrolled: 1-line block ×3, first 2 shown]
	v_add_f64 v[30:31], v[32:33], -v[36:37]
	v_cmp_le_f64_e32 vcc, 0.5, v[32:33]
	v_add_f64 v[30:31], v[60:61], -v[30:31]
	v_cndmask_b32_e32 v22, 0, v53, vcc
	v_addc_co_u32_e32 v3, vcc, 0, v3, vcc
	v_add_f64 v[1:2], v[1:2], v[30:31]
	v_add_f64 v[30:31], v[32:33], -v[21:22]
	v_add_f64 v[32:33], v[30:31], v[1:2]
	v_mul_f64 v[34:35], v[32:33], s[22:23]
	v_add_f64 v[30:31], v[32:33], -v[30:31]
	v_fma_f64 v[36:37], v[32:33], s[22:23], -v[34:35]
	v_add_f64 v[1:2], v[1:2], -v[30:31]
	v_fma_f64 v[30:31], v[32:33], s[54:55], v[36:37]
	v_fma_f64 v[30:31], v[1:2], s[22:23], v[30:31]
	v_add_f64 v[1:2], v[34:35], v[30:31]
	v_add_f64 v[32:33], v[1:2], -v[34:35]
	v_add_f64 v[30:31], v[30:31], -v[32:33]
.LBB99_17:                              ;   in Loop: Header=BB99_4 Depth=1
	s_andn2_saveexec_b64 s[10:11], s[10:11]
	s_cbranch_execz .LBB99_19
; %bb.18:                               ;   in Loop: Header=BB99_4 Depth=1
	v_mul_f64 v[1:2], |v[9:10]|, s[24:25]
	s_mov_b32 s26, s52
	v_rndne_f64_e32 v[32:33], v[1:2]
	v_fma_f64 v[1:2], v[32:33], s[50:51], |v[9:10]|
	v_mul_f64 v[30:31], v[32:33], s[52:53]
	v_cvt_i32_f64_e32 v3, v[32:33]
	v_fma_f64 v[38:39], v[32:33], s[52:53], v[1:2]
	v_add_f64 v[34:35], v[1:2], v[30:31]
	v_add_f64 v[36:37], v[1:2], -v[34:35]
	v_add_f64 v[34:35], v[34:35], -v[38:39]
	v_add_f64 v[1:2], v[36:37], v[30:31]
	v_fma_f64 v[30:31], v[32:33], s[26:27], v[30:31]
	v_add_f64 v[1:2], v[34:35], v[1:2]
	v_add_f64 v[1:2], v[1:2], -v[30:31]
	v_fma_f64 v[30:31], v[32:33], s[28:29], v[1:2]
	v_add_f64 v[1:2], v[38:39], v[30:31]
	v_add_f64 v[34:35], v[1:2], -v[38:39]
	v_add_f64 v[30:31], v[30:31], -v[34:35]
.LBB99_19:                              ;   in Loop: Header=BB99_4 Depth=1
	s_or_b64 exec, exec, s[10:11]
	v_add_f64 v[32:33], |v[11:12]|, s[64:65]
	s_mov_b32 s58, s64
	s_mov_b32 s10, 0x3b39803f
	;; [unrolled: 1-line block ×7, first 2 shown]
	v_add_f64 v[34:35], v[32:33], -|v[11:12]|
	v_and_b32_e32 v10, 0x80000000, v10
	v_add_f64 v[36:37], v[34:35], -v[32:33]
	v_add_f64 v[34:35], v[34:35], s[58:59]
	v_add_f64 v[36:37], |v[11:12]|, v[36:37]
	v_add_f64 v[34:35], v[36:37], -v[34:35]
	v_add_f64 v[34:35], v[34:35], s[10:11]
	s_mov_b32 s10, 0xf278e000
	s_mov_b32 s11, 0xbd53de6a
	v_add_f64 v[36:37], v[32:33], v[34:35]
	v_mul_f64 v[38:39], v[36:37], s[40:41]
	v_add_f64 v[32:33], v[32:33], -v[36:37]
	v_rndne_f64_e32 v[38:39], v[38:39]
	v_add_f64 v[32:33], v[34:35], v[32:33]
	v_fma_f64 v[34:35], v[38:39], s[56:57], v[36:37]
	v_mul_f64 v[36:37], v[38:39], s[10:11]
	s_mov_b32 s10, 0xf97b57a0
	s_mov_b32 s11, 0xbac9cc01
	v_cvt_i32_f64_e32 v9, v[38:39]
	v_add_f64 v[40:41], v[32:33], v[34:35]
	v_add_f64 v[58:59], v[40:41], v[36:37]
	v_add_f64 v[34:35], v[34:35], -v[40:41]
	v_add_f64 v[40:41], v[40:41], -v[58:59]
	v_add_f64 v[32:33], v[32:33], v[34:35]
	v_add_f64 v[34:35], v[40:41], v[36:37]
	;; [unrolled: 1-line block ×3, first 2 shown]
	v_mul_f64 v[34:35], v[38:39], s[10:11]
	s_mov_b32 s10, 0x6a5dcb37
	s_mov_b32 s11, 0x3e5ade15
	v_add_f64 v[36:37], v[58:59], v[32:33]
	v_add_f64 v[40:41], v[36:37], v[34:35]
	v_add_f64 v[58:59], v[58:59], -v[36:37]
	v_add_f64 v[36:37], v[36:37], -v[40:41]
	v_add_f64 v[32:33], v[32:33], v[58:59]
	v_add_f64 v[34:35], v[36:37], v[34:35]
	;; [unrolled: 1-line block ×4, first 2 shown]
	v_fma_f64 v[36:37], v[34:35], s[10:11], v[28:29]
	s_mov_b32 s10, 0x623fde64
	s_mov_b32 s11, 0x3ec71dee
	v_add_f64 v[40:41], v[40:41], -v[34:35]
	v_mul_f64 v[58:59], v[34:35], v[34:35]
	v_fma_f64 v[36:37], v[34:35], v[36:37], s[10:11]
	s_mov_b32 s10, 0x7c89e6b0
	s_mov_b32 s11, 0x3efa0199
	v_add_f64 v[32:33], v[32:33], v[40:41]
	v_fma_f64 v[40:41], v[34:35], v[34:35], -v[58:59]
	v_fma_f64 v[36:37], v[34:35], v[36:37], s[10:11]
	s_mov_b32 s10, 0x14761f6e
	s_mov_b32 s11, 0x3f2a01a0
	v_add_f64 v[60:61], v[32:33], v[32:33]
	v_fma_f64 v[36:37], v[34:35], v[36:37], s[10:11]
	s_mov_b32 s10, 0x1852b7b0
	s_mov_b32 s11, 0x3f56c16c
	v_fma_f64 v[40:41], v[34:35], v[60:61], v[40:41]
	v_fma_f64 v[36:37], v[34:35], v[36:37], s[10:11]
	s_mov_b32 s10, 0x55555511
	s_mov_b32 s11, 0x3fc55555
	v_add_f64 v[60:61], v[58:59], v[40:41]
	v_fma_f64 v[36:37], v[34:35], v[36:37], s[38:39]
	v_add_f64 v[58:59], v[60:61], -v[58:59]
	v_fma_f64 v[36:37], v[34:35], v[36:37], s[92:93]
	v_add_f64 v[40:41], v[40:41], -v[58:59]
	v_fma_f64 v[36:37], v[34:35], v[36:37], s[10:11]
	s_mov_b32 s10, 11
	s_mov_b32 s11, 0x3fe00000
	v_fma_f64 v[36:37], v[34:35], v[36:37], s[10:11]
	s_mov_b32 s10, 0xc751c08c
	s_mov_b32 s11, 0x3ef5e089
	v_mul_f64 v[62:63], v[60:61], v[36:37]
	v_fma_f64 v[58:59], v[60:61], v[36:37], -v[62:63]
	v_fma_f64 v[36:37], v[40:41], v[36:37], v[58:59]
	v_add_f64 v[40:41], v[62:63], v[36:37]
	v_add_f64 v[58:59], v[34:35], v[40:41]
	v_add_f64 v[60:61], v[40:41], -v[62:63]
	v_add_f64 v[34:35], v[58:59], -v[34:35]
	;; [unrolled: 1-line block ×3, first 2 shown]
	v_add_f64 v[60:61], v[30:31], v[30:31]
	v_add_f64 v[34:35], v[40:41], -v[34:35]
	v_add_f64 v[32:33], v[32:33], v[36:37]
	v_add_f64 v[32:33], v[32:33], v[34:35]
	;; [unrolled: 1-line block ×3, first 2 shown]
	v_add_f64 v[36:37], v[34:35], 1.0
	v_add_f64 v[40:41], v[34:35], -v[58:59]
	v_add_f64 v[58:59], v[36:37], -1.0
	v_add_f64 v[32:33], v[32:33], -v[40:41]
	v_add_f64 v[34:35], v[34:35], -v[58:59]
	v_add_f64 v[32:33], v[32:33], v[34:35]
	v_add_f64 v[34:35], v[36:37], v[32:33]
	v_ldexp_f64 v[38:39], v[34:35], v9
	v_add_f64 v[34:35], v[34:35], -v[36:37]
	v_rcp_f64_e32 v[40:41], v[38:39]
	v_add_f64 v[32:33], v[32:33], -v[34:35]
	v_ldexp_f64 v[32:33], v[32:33], v9
	v_fma_f64 v[58:59], -v[38:39], v[40:41], 1.0
	v_fma_f64 v[40:41], v[58:59], v[40:41], v[40:41]
	v_fma_f64 v[58:59], -v[38:39], v[40:41], 1.0
	v_fma_f64 v[36:37], v[58:59], v[40:41], v[40:41]
	v_mul_f64 v[40:41], v[1:2], v[1:2]
	v_mul_f64 v[34:35], v[38:39], v[36:37]
	v_fma_f64 v[62:63], v[1:2], v[1:2], -v[40:41]
	v_fma_f64 v[58:59], v[36:37], v[38:39], -v[34:35]
	v_fma_f64 v[60:61], v[1:2], v[60:61], v[62:63]
	v_fma_f64 v[58:59], v[36:37], v[32:33], v[58:59]
	v_add_f64 v[40:41], v[40:41], v[60:61]
	v_add_f64 v[62:63], v[34:35], v[58:59]
	v_fma_f64 v[64:65], v[40:41], s[10:11], v[26:27]
	s_mov_b32 s10, 0x90a8aae0
	s_mov_b32 s11, 0x3f17746f
	v_add_f64 v[60:61], -v[62:63], 1.0
	v_add_f64 v[34:35], v[62:63], -v[34:35]
	v_fma_f64 v[64:65], v[40:41], v[64:65], s[10:11]
	s_mov_b32 s10, 0xa6fbf144
	s_mov_b32 s11, 0xbefbb44d
	v_add_f64 v[66:67], -v[60:61], 1.0
	v_add_f64 v[34:35], v[34:35], -v[58:59]
	v_add_f64 v[58:59], v[66:67], -v[62:63]
	v_fma_f64 v[62:63], v[40:41], v[64:65], s[10:11]
	s_mov_b32 s10, 0xa7943acf
	s_mov_b32 s11, 0x3f21e634
	v_add_f64 v[34:35], v[34:35], v[58:59]
	v_fma_f64 v[58:59], v[40:41], v[62:63], s[10:11]
	s_mov_b32 s10, 0xdeb68feb
	s_mov_b32 s11, 0x3f2d250f
	v_add_f64 v[62:63], v[60:61], v[34:35]
	v_fma_f64 v[58:59], v[40:41], v[58:59], s[10:11]
	s_mov_b32 s10, 0xb58c4d95
	s_mov_b32 s11, 0x3f437fd9
	v_mul_f64 v[64:65], v[36:37], v[62:63]
	v_fma_f64 v[58:59], v[40:41], v[58:59], s[10:11]
	s_mov_b32 s10, 0x15120e2c
	s_mov_b32 s11, 0x3f57d5af
	v_add_f64 v[60:61], v[60:61], -v[62:63]
	v_mul_f64 v[66:67], v[38:39], v[64:65]
	v_fma_f64 v[58:59], v[40:41], v[58:59], s[10:11]
	s_mov_b32 s10, 0xe09491df
	s_mov_b32 s11, 0x3f6d6d93
	v_add_f64 v[34:35], v[34:35], v[60:61]
	v_fma_f64 v[68:69], v[64:65], v[38:39], -v[66:67]
	v_fma_f64 v[58:59], v[40:41], v[58:59], s[10:11]
	s_mov_b32 s10, 0x2033784d
	s_mov_b32 s11, 0x3f8226e1
	v_fma_f64 v[68:69], v[64:65], v[32:33], v[68:69]
	v_fma_f64 v[58:59], v[40:41], v[58:59], s[10:11]
	s_mov_b32 s10, 0x9ac36ae2
	s_mov_b32 s11, 0x3f9664f4
	v_add_f64 v[70:71], v[66:67], v[68:69]
	v_fma_f64 v[58:59], v[40:41], v[58:59], s[10:11]
	s_mov_b32 s10, 0x1b451c21
	s_mov_b32 s11, 0x3faba1ba
	v_add_f64 v[72:73], v[62:63], -v[70:71]
	v_fma_f64 v[58:59], v[40:41], v[58:59], s[10:11]
	s_mov_b32 s10, 0x111185b7
	s_mov_b32 s11, 0x3fc11111
	v_add_f64 v[60:61], v[70:71], -v[66:67]
	v_add_f64 v[62:63], v[62:63], -v[72:73]
	v_fma_f64 v[58:59], v[40:41], v[58:59], s[10:11]
	s_mov_b32 s10, 0x555554ee
	s_mov_b32 s11, 0x3fd55555
	v_add_f64 v[60:61], v[60:61], -v[68:69]
	v_add_f64 v[62:63], v[62:63], -v[70:71]
	v_fma_f64 v[58:59], v[40:41], v[58:59], s[10:11]
	s_mov_b32 s10, 0x8fb9f87e
	s_mov_b32 s11, 0x408633ce
	v_cmp_nge_f64_e64 vcc, |v[11:12]|, s[10:11]
	s_mov_b32 s10, 0
	s_mov_b32 s11, 0x3e400000
	v_add_f64 v[34:35], v[34:35], v[62:63]
	v_mul_f64 v[40:41], v[40:41], v[58:59]
	v_add_f64 v[58:59], v[36:37], v[64:65]
	v_add_f64 v[34:35], v[60:61], v[34:35]
	v_mul_f64 v[60:61], v[1:2], v[40:41]
	v_add_f64 v[62:63], v[58:59], -v[36:37]
	v_add_f64 v[34:35], v[72:73], v[34:35]
	v_add_f64 v[66:67], v[1:2], v[60:61]
	v_add_f64 v[62:63], v[64:65], -v[62:63]
	v_mul_f64 v[34:35], v[36:37], v[34:35]
	v_fma_f64 v[36:37], v[1:2], v[40:41], -v[60:61]
	v_add_f64 v[1:2], v[66:67], -v[1:2]
	v_add_f64 v[34:35], v[62:63], v[34:35]
	v_add_f64 v[30:31], v[30:31], v[36:37]
	v_add_f64 v[1:2], v[60:61], -v[1:2]
	v_add_f64 v[36:37], v[58:59], v[34:35]
	v_add_f64 v[1:2], v[30:31], v[1:2]
	v_ldexp_f64 v[30:31], v[36:37], -2
	v_add_f64 v[36:37], v[36:37], -v[58:59]
	v_add_f64 v[40:41], v[66:67], v[1:2]
	v_add_f64 v[60:61], v[38:39], -v[30:31]
	v_add_f64 v[34:35], v[34:35], -v[36:37]
	v_rcp_f64_e32 v[62:63], v[40:41]
	v_add_f64 v[38:39], v[38:39], -v[60:61]
	v_ldexp_f64 v[34:35], v[34:35], -2
	v_add_f64 v[30:31], v[38:39], -v[30:31]
	v_fma_f64 v[36:37], -v[40:41], v[62:63], 1.0
	v_add_f64 v[30:31], v[32:33], v[30:31]
	v_fma_f64 v[32:33], v[36:37], v[62:63], v[62:63]
	v_add_f64 v[30:31], v[30:31], -v[34:35]
	v_fma_f64 v[34:35], -v[40:41], v[32:33], 1.0
	v_add_f64 v[30:31], v[60:61], v[30:31]
	v_fma_f64 v[32:33], v[34:35], v[32:33], v[32:33]
	v_cndmask_b32_e32 v9, v54, v31, vcc
	v_cndmask_b32_e32 v22, 0, v30, vcc
	v_cmp_lt_f64_e64 vcc, |v[11:12]|, s[10:11]
	v_and_b32_e32 v12, 0x7fffffff, v12
	s_mov_b32 s10, 0
	v_add_f64 v[30:31], v[40:41], -v[66:67]
	v_mul_f64 v[34:35], v[40:41], v[32:33]
	s_brev_b32 s11, 8
	v_cndmask_b32_e32 v9, v9, v12, vcc
	v_cndmask_b32_e32 v11, v22, v11, vcc
	v_bfi_b32 v12, s75, v9, v4
	v_fma_f64 v[36:37], v[11:12], v[11:12], 1.0
	v_add_f64 v[1:2], v[1:2], -v[30:31]
	v_fma_f64 v[30:31], v[32:33], v[40:41], -v[34:35]
	v_and_b32_e32 v9, 1, v3
	v_cmp_gt_f64_e32 vcc, s[10:11], v[36:37]
	v_cmp_eq_u32_e64 s[10:11], 0, v9
	v_fma_f64 v[1:2], v[32:33], v[1:2], v[30:31]
	v_cndmask_b32_e32 v4, 0, v55, vcc
	v_ldexp_f64 v[36:37], v[36:37], v4
	v_add_f64 v[38:39], v[34:35], v[1:2]
	v_cndmask_b32_e32 v22, 0, v56, vcc
	v_rsq_f64_e32 v[30:31], v[36:37]
	v_add_f64 v[58:59], -v[38:39], 1.0
	v_add_f64 v[34:35], v[38:39], -v[34:35]
	v_cmp_class_f64_e32 vcc, v[36:37], v51
	v_add_f64 v[62:63], -v[58:59], 1.0
	v_add_f64 v[1:2], v[34:35], -v[1:2]
	v_mul_f64 v[60:61], v[36:37], v[30:31]
	v_mul_f64 v[30:31], v[30:31], 0.5
	v_add_f64 v[38:39], v[62:63], -v[38:39]
	v_fma_f64 v[34:35], -v[30:31], v[60:61], 0.5
	v_add_f64 v[1:2], v[1:2], v[38:39]
	v_fma_f64 v[60:61], v[60:61], v[34:35], v[60:61]
	v_fma_f64 v[30:31], v[30:31], v[34:35], v[30:31]
	v_add_f64 v[1:2], v[58:59], v[1:2]
	v_fma_f64 v[34:35], -v[60:61], v[60:61], v[36:37]
	v_mul_f64 v[1:2], v[32:33], v[1:2]
	v_fma_f64 v[34:35], v[34:35], v[30:31], v[60:61]
	v_add_f64 v[1:2], v[32:33], v[1:2]
	v_fma_f64 v[38:39], -v[34:35], v[34:35], v[36:37]
	v_xor_b32_e32 v2, 0x80000000, v2
	v_cndmask_b32_e64 v2, v2, v41, s[10:11]
	v_cndmask_b32_e64 v1, v1, v40, s[10:11]
	v_xor_b32_e32 v2, v2, v10
	v_fma_f64 v[9:10], v[1:2], v[1:2], 1.0
	v_fma_f64 v[3:4], v[38:39], v[30:31], v[34:35]
	v_mul_f64 v[30:31], v[11:12], v[9:10]
	v_ldexp_f64 v[3:4], v[3:4], v22
	v_cndmask_b32_e32 v4, v4, v37, vcc
	v_cndmask_b32_e32 v3, v3, v36, vcc
	v_mul_f64 v[3:4], v[3:4], v[9:10]
	v_fma_f64 v[9:10], v[11:12], v[30:31], 1.0
	v_mul_f64 v[3:4], v[11:12], v[3:4]
	v_div_scale_f64 v[30:31], s[10:11], v[9:10], v[9:10], v[1:2]
	v_div_scale_f64 v[11:12], s[10:11], v[9:10], v[9:10], v[3:4]
	;; [unrolled: 1-line block ×3, first 2 shown]
	v_rcp_f64_e32 v[34:35], v[30:31]
	v_rcp_f64_e32 v[32:33], v[11:12]
	v_fma_f64 v[38:39], -v[30:31], v[34:35], 1.0
	v_fma_f64 v[36:37], -v[11:12], v[32:33], 1.0
	v_fma_f64 v[34:35], v[34:35], v[38:39], v[34:35]
	v_fma_f64 v[32:33], v[32:33], v[36:37], v[32:33]
	v_div_scale_f64 v[36:37], vcc, v[3:4], v[9:10], v[3:4]
	v_fma_f64 v[58:59], -v[30:31], v[34:35], 1.0
	v_fma_f64 v[38:39], -v[11:12], v[32:33], 1.0
	v_fma_f64 v[34:35], v[34:35], v[58:59], v[34:35]
	v_fma_f64 v[32:33], v[32:33], v[38:39], v[32:33]
	v_mul_f64 v[58:59], v[40:41], v[34:35]
	v_mul_f64 v[38:39], v[36:37], v[32:33]
	v_fma_f64 v[30:31], -v[30:31], v[58:59], v[40:41]
	v_fma_f64 v[11:12], -v[11:12], v[38:39], v[36:37]
	v_div_fmas_f64 v[11:12], v[11:12], v[32:33], v[38:39]
	s_mov_b64 vcc, s[10:11]
	v_div_fmas_f64 v[30:31], v[30:31], v[34:35], v[58:59]
	v_div_fixup_f64 v[3:4], v[11:12], v[9:10], v[3:4]
	v_div_fixup_f64 v[1:2], v[30:31], v[9:10], v[1:2]
                                        ; implicit-def: $vgpr9_vgpr10
.LBB99_20:                              ;   in Loop: Header=BB99_4 Depth=1
	s_andn2_saveexec_b64 s[10:11], s[68:69]
	s_cbranch_execz .LBB99_23
; %bb.21:                               ;   in Loop: Header=BB99_4 Depth=1
	v_cmp_nlt_f64_e64 s[68:69], |v[9:10]|, s[44:45]
                                        ; implicit-def: $vgpr40
                                        ; implicit-def: $vgpr1_vgpr2
                                        ; implicit-def: $vgpr38_vgpr39
	s_and_saveexec_b64 s[70:71], s[68:69]
	s_xor_b64 s[70:71], exec, s[70:71]
	s_cbranch_execz .LBB99_24
; %bb.22:                               ;   in Loop: Header=BB99_4 Depth=1
	v_trig_preop_f64 v[1:2], |v[9:10]|, 0
	v_ldexp_f64 v[30:31], |v[9:10]|, s79
	v_cmp_ge_f64_e64 vcc, |v[9:10]|, s[46:47]
	v_trig_preop_f64 v[32:33], |v[9:10]|, 1
	v_and_b32_e32 v3, 0x7fffffff, v10
	v_trig_preop_f64 v[40:41], |v[9:10]|, 2
	s_mov_b32 s22, s50
	s_mov_b32 s55, s27
	v_cndmask_b32_e32 v31, v3, v31, vcc
	v_cndmask_b32_e32 v30, v9, v30, vcc
	v_mul_f64 v[34:35], v[1:2], v[30:31]
	v_mul_f64 v[36:37], v[32:33], v[30:31]
	v_mul_f64 v[62:63], v[40:41], v[30:31]
	v_fma_f64 v[1:2], v[1:2], v[30:31], -v[34:35]
	v_fma_f64 v[32:33], v[32:33], v[30:31], -v[36:37]
	v_fma_f64 v[30:31], v[40:41], v[30:31], -v[62:63]
	v_add_f64 v[38:39], v[36:37], v[1:2]
	v_add_f64 v[58:59], v[38:39], -v[36:37]
	v_add_f64 v[64:65], v[34:35], v[38:39]
	v_add_f64 v[60:61], v[38:39], -v[58:59]
	v_add_f64 v[1:2], v[1:2], -v[58:59]
	v_add_f64 v[58:59], v[62:63], v[32:33]
	v_add_f64 v[34:35], v[64:65], -v[34:35]
	v_add_f64 v[36:37], v[36:37], -v[60:61]
	v_ldexp_f64 v[60:61], v[64:65], -2
	v_add_f64 v[66:67], v[58:59], -v[62:63]
	v_add_f64 v[34:35], v[38:39], -v[34:35]
	v_add_f64 v[1:2], v[1:2], v[36:37]
	v_fract_f64_e32 v[36:37], v[60:61]
	v_cmp_neq_f64_e64 vcc, |v[60:61]|, s[48:49]
	v_add_f64 v[32:33], v[32:33], -v[66:67]
	v_add_f64 v[38:39], v[58:59], v[1:2]
	v_ldexp_f64 v[36:37], v[36:37], 2
	v_add_f64 v[60:61], v[34:35], v[38:39]
	v_cndmask_b32_e32 v37, 0, v37, vcc
	v_cndmask_b32_e32 v36, 0, v36, vcc
	v_add_f64 v[68:69], v[38:39], -v[58:59]
	v_add_f64 v[64:65], v[60:61], v[36:37]
	v_add_f64 v[34:35], v[60:61], -v[34:35]
	v_add_f64 v[70:71], v[38:39], -v[68:69]
	;; [unrolled: 1-line block ×3, first 2 shown]
	v_cmp_gt_f64_e32 vcc, 0, v[64:65]
	v_add_f64 v[64:65], v[58:59], -v[66:67]
	v_add_f64 v[34:35], v[38:39], -v[34:35]
	v_add_f64 v[58:59], v[58:59], -v[70:71]
	v_cndmask_b32_e32 v22, 0, v52, vcc
	v_add_f64 v[36:37], v[36:37], v[21:22]
	v_add_f64 v[64:65], v[62:63], -v[64:65]
	v_add_f64 v[1:2], v[1:2], v[58:59]
	v_add_f64 v[72:73], v[60:61], v[36:37]
	v_add_f64 v[32:33], v[32:33], v[64:65]
	v_cvt_i32_f64_e32 v3, v[72:73]
	v_add_f64 v[1:2], v[32:33], v[1:2]
	v_cvt_f64_i32_e32 v[66:67], v3
	v_add_f64 v[36:37], v[36:37], -v[66:67]
	v_add_f64 v[1:2], v[30:31], v[1:2]
	v_add_f64 v[32:33], v[60:61], v[36:37]
	;; [unrolled: 1-line block ×3, first 2 shown]
	v_add_f64 v[30:31], v[32:33], -v[36:37]
	v_cmp_le_f64_e32 vcc, 0.5, v[32:33]
	v_add_f64 v[30:31], v[60:61], -v[30:31]
	v_cndmask_b32_e32 v22, 0, v53, vcc
	v_addc_co_u32_e32 v40, vcc, 0, v3, vcc
	v_add_f64 v[1:2], v[1:2], v[30:31]
	v_add_f64 v[30:31], v[32:33], -v[21:22]
	v_add_f64 v[32:33], v[30:31], v[1:2]
	v_mul_f64 v[34:35], v[32:33], s[22:23]
	v_add_f64 v[30:31], v[32:33], -v[30:31]
	v_fma_f64 v[36:37], v[32:33], s[22:23], -v[34:35]
	v_add_f64 v[1:2], v[1:2], -v[30:31]
	v_fma_f64 v[30:31], v[32:33], s[54:55], v[36:37]
	v_fma_f64 v[30:31], v[1:2], s[22:23], v[30:31]
	v_add_f64 v[1:2], v[34:35], v[30:31]
	v_add_f64 v[32:33], v[1:2], -v[34:35]
	v_add_f64 v[38:39], v[30:31], -v[32:33]
	s_andn2_saveexec_b64 s[70:71], s[70:71]
	s_cbranch_execz .LBB99_26
	s_branch .LBB99_25
.LBB99_23:                              ;   in Loop: Header=BB99_4 Depth=1
	s_or_b64 exec, exec, s[10:11]
                                        ; implicit-def: $vgpr9_vgpr10
	s_andn2_saveexec_b64 s[10:11], s[66:67]
	s_cbranch_execnz .LBB99_32
	s_branch .LBB99_33
.LBB99_24:                              ;   in Loop: Header=BB99_4 Depth=1
	s_andn2_saveexec_b64 s[70:71], s[70:71]
	s_cbranch_execz .LBB99_26
.LBB99_25:                              ;   in Loop: Header=BB99_4 Depth=1
	v_mul_f64 v[1:2], |v[9:10]|, s[24:25]
	s_mov_b32 s26, s52
	v_rndne_f64_e32 v[30:31], v[1:2]
	v_fma_f64 v[1:2], v[30:31], s[50:51], |v[9:10]|
	v_mul_f64 v[32:33], v[30:31], s[52:53]
	v_cvt_i32_f64_e32 v40, v[30:31]
	v_fma_f64 v[38:39], v[30:31], s[52:53], v[1:2]
	v_add_f64 v[34:35], v[1:2], v[32:33]
	v_add_f64 v[36:37], v[1:2], -v[34:35]
	v_add_f64 v[34:35], v[34:35], -v[38:39]
	v_add_f64 v[1:2], v[36:37], v[32:33]
	v_fma_f64 v[32:33], v[30:31], s[26:27], v[32:33]
	v_add_f64 v[1:2], v[34:35], v[1:2]
	v_add_f64 v[1:2], v[1:2], -v[32:33]
	v_fma_f64 v[32:33], v[30:31], s[28:29], v[1:2]
	v_add_f64 v[1:2], v[38:39], v[32:33]
	v_add_f64 v[34:35], v[1:2], -v[38:39]
	v_add_f64 v[38:39], v[32:33], -v[34:35]
.LBB99_26:                              ;   in Loop: Header=BB99_4 Depth=1
	s_or_b64 exec, exec, s[70:71]
                                        ; implicit-def: $vgpr3
                                        ; implicit-def: $vgpr30_vgpr31
                                        ; implicit-def: $vgpr32_vgpr33
	s_and_saveexec_b64 s[70:71], s[68:69]
	s_xor_b64 s[68:69], exec, s[70:71]
	s_cbranch_execz .LBB99_28
; %bb.27:                               ;   in Loop: Header=BB99_4 Depth=1
	v_trig_preop_f64 v[30:31], |v[9:10]|, 0
	v_ldexp_f64 v[32:33], |v[9:10]|, s79
	v_cmp_ge_f64_e64 vcc, |v[9:10]|, s[46:47]
	v_trig_preop_f64 v[34:35], |v[9:10]|, 1
	v_and_b32_e32 v3, 0x7fffffff, v10
	v_trig_preop_f64 v[62:63], |v[9:10]|, 2
	s_mov_b32 s22, s50
	s_mov_b32 s55, s27
	v_cndmask_b32_e32 v33, v3, v33, vcc
	v_cndmask_b32_e32 v32, v9, v32, vcc
	v_mul_f64 v[36:37], v[30:31], v[32:33]
	v_mul_f64 v[58:59], v[34:35], v[32:33]
	;; [unrolled: 1-line block ×3, first 2 shown]
	v_fma_f64 v[30:31], v[30:31], v[32:33], -v[36:37]
	v_fma_f64 v[34:35], v[34:35], v[32:33], -v[58:59]
	;; [unrolled: 1-line block ×3, first 2 shown]
	v_add_f64 v[60:61], v[58:59], v[30:31]
	v_add_f64 v[64:65], v[60:61], -v[58:59]
	v_add_f64 v[70:71], v[36:37], v[60:61]
	v_add_f64 v[66:67], v[60:61], -v[64:65]
	v_add_f64 v[30:31], v[30:31], -v[64:65]
	v_add_f64 v[64:65], v[68:69], v[34:35]
	v_add_f64 v[36:37], v[70:71], -v[36:37]
	v_add_f64 v[58:59], v[58:59], -v[66:67]
	v_ldexp_f64 v[66:67], v[70:71], -2
	v_add_f64 v[72:73], v[64:65], -v[68:69]
	v_add_f64 v[36:37], v[60:61], -v[36:37]
	v_add_f64 v[30:31], v[30:31], v[58:59]
	v_fract_f64_e32 v[58:59], v[66:67]
	v_cmp_neq_f64_e64 vcc, |v[66:67]|, s[48:49]
	v_add_f64 v[34:35], v[34:35], -v[72:73]
	v_add_f64 v[60:61], v[64:65], v[30:31]
	v_ldexp_f64 v[58:59], v[58:59], 2
	v_add_f64 v[66:67], v[36:37], v[60:61]
	v_cndmask_b32_e32 v59, 0, v59, vcc
	v_cndmask_b32_e32 v58, 0, v58, vcc
	v_add_f64 v[74:75], v[60:61], -v[64:65]
	v_add_f64 v[70:71], v[66:67], v[58:59]
	v_add_f64 v[36:37], v[66:67], -v[36:37]
	v_add_f64 v[76:77], v[60:61], -v[74:75]
	;; [unrolled: 1-line block ×3, first 2 shown]
	v_cmp_gt_f64_e32 vcc, 0, v[70:71]
	v_add_f64 v[70:71], v[64:65], -v[72:73]
	v_add_f64 v[36:37], v[60:61], -v[36:37]
	;; [unrolled: 1-line block ×3, first 2 shown]
	v_cndmask_b32_e32 v22, 0, v52, vcc
	v_add_f64 v[58:59], v[58:59], v[21:22]
	v_add_f64 v[70:71], v[68:69], -v[70:71]
	v_add_f64 v[30:31], v[30:31], v[64:65]
	v_add_f64 v[78:79], v[66:67], v[58:59]
	;; [unrolled: 1-line block ×3, first 2 shown]
	v_cvt_i32_f64_e32 v3, v[78:79]
	v_add_f64 v[30:31], v[34:35], v[30:31]
	v_cvt_f64_i32_e32 v[72:73], v3
	v_add_f64 v[58:59], v[58:59], -v[72:73]
	v_add_f64 v[30:31], v[32:33], v[30:31]
	v_add_f64 v[34:35], v[66:67], v[58:59]
	;; [unrolled: 1-line block ×3, first 2 shown]
	v_add_f64 v[32:33], v[34:35], -v[58:59]
	v_cmp_le_f64_e32 vcc, 0.5, v[34:35]
	v_add_f64 v[32:33], v[66:67], -v[32:33]
	v_cndmask_b32_e32 v22, 0, v53, vcc
	v_addc_co_u32_e32 v3, vcc, 0, v3, vcc
	v_add_f64 v[30:31], v[30:31], v[32:33]
	v_add_f64 v[32:33], v[34:35], -v[21:22]
	v_add_f64 v[34:35], v[32:33], v[30:31]
	v_mul_f64 v[36:37], v[34:35], s[22:23]
	v_add_f64 v[32:33], v[34:35], -v[32:33]
	v_fma_f64 v[58:59], v[34:35], s[22:23], -v[36:37]
	v_add_f64 v[30:31], v[30:31], -v[32:33]
	v_fma_f64 v[32:33], v[34:35], s[54:55], v[58:59]
	v_fma_f64 v[32:33], v[30:31], s[22:23], v[32:33]
	v_add_f64 v[30:31], v[36:37], v[32:33]
	v_add_f64 v[34:35], v[30:31], -v[36:37]
	v_add_f64 v[32:33], v[32:33], -v[34:35]
	s_andn2_saveexec_b64 s[68:69], s[68:69]
	s_cbranch_execnz .LBB99_29
	s_branch .LBB99_30
.LBB99_28:                              ;   in Loop: Header=BB99_4 Depth=1
	s_andn2_saveexec_b64 s[68:69], s[68:69]
	s_cbranch_execz .LBB99_30
.LBB99_29:                              ;   in Loop: Header=BB99_4 Depth=1
	v_mul_f64 v[30:31], |v[9:10]|, s[24:25]
	s_mov_b32 s26, s52
	v_rndne_f64_e32 v[34:35], v[30:31]
	v_fma_f64 v[30:31], v[34:35], s[50:51], |v[9:10]|
	v_mul_f64 v[32:33], v[34:35], s[52:53]
	v_cvt_i32_f64_e32 v3, v[34:35]
	v_fma_f64 v[60:61], v[34:35], s[52:53], v[30:31]
	v_add_f64 v[36:37], v[30:31], v[32:33]
	v_add_f64 v[58:59], v[30:31], -v[36:37]
	v_add_f64 v[36:37], v[36:37], -v[60:61]
	v_add_f64 v[30:31], v[58:59], v[32:33]
	v_fma_f64 v[32:33], v[34:35], s[26:27], v[32:33]
	v_add_f64 v[30:31], v[36:37], v[30:31]
	v_add_f64 v[30:31], v[30:31], -v[32:33]
	v_fma_f64 v[32:33], v[34:35], s[28:29], v[30:31]
	v_add_f64 v[30:31], v[60:61], v[32:33]
	v_add_f64 v[36:37], v[30:31], -v[60:61]
	v_add_f64 v[32:33], v[32:33], -v[36:37]
.LBB99_30:                              ;   in Loop: Header=BB99_4 Depth=1
	s_or_b64 exec, exec, s[68:69]
	v_mul_f64 v[58:59], v[1:2], v[1:2]
	v_mul_f64 v[66:67], v[38:39], 0.5
	s_mov_b32 s12, s14
	v_and_b32_e32 v9, 1, v40
	v_cmp_eq_u32_e32 vcc, 0, v9
	v_lshlrev_b32_e32 v9, 30, v40
	v_xor_b32_e32 v9, v9, v10
	v_and_b32_e32 v9, 0x80000000, v9
	v_mul_f64 v[34:35], v[58:59], 0.5
	v_mul_f64 v[62:63], v[58:59], v[58:59]
	s_mov_b32 s68, 0x3b39803f
	s_mov_b32 s69, 0xbc7abc9e
	;; [unrolled: 1-line block ×4, first 2 shown]
	v_bfi_b32 v22, s75, v53, v4
	v_add_f64 v[60:61], -v[34:35], 1.0
	v_add_f64 v[36:37], -v[60:61], 1.0
	v_add_f64 v[34:35], v[36:37], -v[34:35]
	v_mov_b32_e32 v36, s82
	v_mov_b32_e32 v37, s83
	v_fma_f64 v[64:65], v[58:59], s[84:85], v[36:37]
	v_fma_f64 v[34:35], v[1:2], -v[38:39], v[34:35]
	v_fma_f64 v[64:65], v[58:59], v[64:65], s[86:87]
	v_fma_f64 v[64:65], v[58:59], v[64:65], s[88:89]
	;; [unrolled: 1-line block ×5, first 2 shown]
	v_mul_f64 v[64:65], v[1:2], -v[58:59]
	v_add_f64 v[60:61], v[60:61], v[34:35]
	v_mov_b32_e32 v34, s94
	v_mov_b32_e32 v35, s95
	v_fma_f64 v[62:63], v[58:59], s[30:31], v[34:35]
	v_fma_f64 v[62:63], v[58:59], v[62:63], s[34:35]
	;; [unrolled: 1-line block ×5, first 2 shown]
	v_fma_f64 v[38:39], v[58:59], v[62:63], -v[38:39]
	v_fma_f64 v[38:39], v[64:65], s[12:13], v[38:39]
	v_add_f64 v[1:2], v[1:2], -v[38:39]
	v_cndmask_b32_e32 v2, v61, v2, vcc
	v_xor_b32_e32 v2, v2, v9
	v_mul_f64 v[9:10], |v[11:12]|, s[62:63]
	v_cndmask_b32_e32 v1, v60, v1, vcc
	v_mul_f64 v[1:2], v[1:2], 4.0
	v_rndne_f64_e32 v[9:10], v[9:10]
	v_fma_f64 v[38:39], v[9:10], s[64:65], -|v[11:12]|
	v_fma_f64 v[38:39], v[9:10], s[68:69], v[38:39]
	s_mov_b32 s68, 0x6a5dcb37
	s_mov_b32 s69, 0x3e5ade15
	v_cvt_i32_f64_e32 v9, v[9:10]
	v_fma_f64 v[40:41], v[38:39], s[68:69], v[28:29]
	s_mov_b32 s68, 0x623fde64
	s_mov_b32 s69, 0x3ec71dee
	v_fma_f64 v[40:41], v[38:39], v[40:41], s[68:69]
	s_mov_b32 s68, 0x7c89e6b0
	s_mov_b32 s69, 0x3efa0199
	;; [unrolled: 3-line block ×5, first 2 shown]
	v_fma_f64 v[40:41], v[38:39], v[40:41], s[38:39]
	v_fma_f64 v[40:41], v[38:39], v[40:41], s[92:93]
	;; [unrolled: 1-line block ×3, first 2 shown]
	s_mov_b32 s68, 11
	s_mov_b32 s69, 0x3fe00000
	v_fma_f64 v[40:41], v[38:39], v[40:41], s[68:69]
	s_mov_b32 s68, 0
	s_mov_b32 s69, 0x4090cc00
	v_cmp_ngt_f64_e64 vcc, |v[11:12]|, s[68:69]
	v_mul_f64 v[11:12], v[30:31], v[30:31]
	v_fma_f64 v[40:41], v[38:39], v[40:41], 1.0
	v_fma_f64 v[36:37], v[11:12], s[84:85], v[36:37]
	v_fma_f64 v[34:35], v[11:12], s[30:31], v[34:35]
	v_fma_f64 v[38:39], v[38:39], v[40:41], 1.0
	v_fma_f64 v[36:37], v[11:12], v[36:37], s[86:87]
	v_fma_f64 v[34:35], v[11:12], v[34:35], s[34:35]
	v_ldexp_f64 v[9:10], v[38:39], v9
	v_mul_f64 v[38:39], v[11:12], 0.5
	v_fma_f64 v[36:37], v[11:12], v[36:37], s[88:89]
	v_fma_f64 v[34:35], v[11:12], v[34:35], s[36:37]
	v_cndmask_b32_e32 v10, 0, v10, vcc
	v_add_f64 v[40:41], -v[38:39], 1.0
	v_cndmask_b32_e32 v9, 0, v9, vcc
	v_fma_f64 v[36:37], v[11:12], v[36:37], s[90:91]
	v_fma_f64 v[34:35], v[11:12], v[34:35], s[80:81]
	v_add_f64 v[58:59], -v[40:41], 1.0
	v_fma_f64 v[36:37], v[11:12], v[36:37], s[14:15]
	v_add_f64 v[38:39], v[58:59], -v[38:39]
	v_mul_f64 v[58:59], v[11:12], v[11:12]
	v_fma_f64 v[38:39], v[30:31], -v[32:33], v[38:39]
	v_fma_f64 v[36:37], v[58:59], v[36:37], v[38:39]
	v_mul_f64 v[38:39], v[30:31], -v[11:12]
	v_add_f64 v[36:37], v[40:41], v[36:37]
	v_mul_f64 v[40:41], v[32:33], 0.5
	v_fma_f64 v[34:35], v[38:39], v[34:35], v[40:41]
	v_fma_f64 v[11:12], v[11:12], v[34:35], -v[32:33]
	v_fma_f64 v[11:12], v[38:39], s[12:13], v[11:12]
	v_add_f64 v[11:12], v[30:31], -v[11:12]
	v_xor_b32_e32 v4, 0x80000000, v12
	v_and_b32_e32 v12, 1, v3
	v_cmp_eq_u32_e32 vcc, 0, v12
	v_lshlrev_b32_e32 v3, 30, v3
	v_cndmask_b32_e32 v4, v4, v37, vcc
	v_and_b32_e32 v3, 0x80000000, v3
	v_cndmask_b32_e32 v11, v11, v36, vcc
	v_xor_b32_e32 v12, v4, v3
	v_mul_f64 v[1:2], v[1:2], v[11:12]
	v_mov_b32_e32 v3, v21
	v_mov_b32_e32 v4, v22
	v_mul_f64 v[1:2], v[9:10], v[1:2]
	v_mul_f64 v[1:2], v[9:10], v[1:2]
	s_or_b64 exec, exec, s[10:11]
                                        ; implicit-def: $vgpr9_vgpr10
.LBB99_31:                              ;   in Loop: Header=BB99_4 Depth=1
	s_andn2_saveexec_b64 s[10:11], s[66:67]
	s_cbranch_execz .LBB99_33
.LBB99_32:                              ;   in Loop: Header=BB99_4 Depth=1
	v_add_f64 v[1:2], v[9:10], -v[9:10]
	v_mov_b32_e32 v4, v2
	v_mov_b32_e32 v3, v1
.LBB99_33:                              ;   in Loop: Header=BB99_4 Depth=1
	s_or_b64 exec, exec, s[10:11]
                                        ; implicit-def: $vgpr9_vgpr10
.LBB99_34:                              ;   in Loop: Header=BB99_4 Depth=1
	s_andn2_saveexec_b64 s[60:61], s[60:61]
	s_cbranch_execz .LBB99_50
; %bb.35:                               ;   in Loop: Header=BB99_4 Depth=1
	v_and_or_b32 v1, v4, s78, v3
	v_cmp_ne_u32_e32 vcc, 0, v1
	s_and_saveexec_b64 s[10:11], vcc
	s_xor_b64 s[10:11], exec, s[10:11]
	s_cbranch_execz .LBB99_37
; %bb.36:                               ;   in Loop: Header=BB99_4 Depth=1
	v_mul_f64 v[1:2], v[9:10], -v[11:12]
	v_cmp_eq_f64_e32 vcc, 0, v[9:10]
	v_cndmask_b32_e32 v2, v2, v10, vcc
	v_cndmask_b32_e32 v1, v1, v9, vcc
                                        ; implicit-def: $vgpr9_vgpr10
.LBB99_37:                              ;   in Loop: Header=BB99_4 Depth=1
	s_andn2_saveexec_b64 s[66:67], s[10:11]
	s_cbranch_execz .LBB99_49
; %bb.38:                               ;   in Loop: Header=BB99_4 Depth=1
	v_cmp_neq_f64_e64 s[10:11], |v[9:10]|, s[48:49]
	s_and_saveexec_b64 s[68:69], s[10:11]
	s_cbranch_execz .LBB99_48
; %bb.39:                               ;   in Loop: Header=BB99_4 Depth=1
	v_trig_preop_f64 v[38:39], |v[9:10]|, 0
	v_trig_preop_f64 v[36:37], |v[9:10]|, 1
	;; [unrolled: 1-line block ×3, first 2 shown]
	v_cmp_nlt_f64_e64 s[10:11], |v[9:10]|, s[44:45]
	v_ldexp_f64 v[40:41], |v[9:10]|, s79
	v_and_b32_e32 v59, 0x7fffffff, v10
                                        ; implicit-def: $vgpr58
                                        ; implicit-def: $vgpr32_vgpr33
                                        ; implicit-def: $vgpr34_vgpr35
	s_and_saveexec_b64 s[70:71], s[10:11]
	s_xor_b64 s[70:71], exec, s[70:71]
	s_cbranch_execz .LBB99_41
; %bb.40:                               ;   in Loop: Header=BB99_4 Depth=1
	v_cmp_ge_f64_e64 vcc, |v[9:10]|, s[46:47]
	s_mov_b32 s22, s50
	s_mov_b32 s55, s27
	v_cndmask_b32_e32 v12, v59, v41, vcc
	v_cndmask_b32_e32 v11, v9, v40, vcc
	v_mul_f64 v[30:31], v[38:39], v[11:12]
	v_mul_f64 v[32:33], v[36:37], v[11:12]
	;; [unrolled: 1-line block ×3, first 2 shown]
	v_fma_f64 v[34:35], v[38:39], v[11:12], -v[30:31]
	v_fma_f64 v[68:69], v[36:37], v[11:12], -v[32:33]
	v_fma_f64 v[11:12], v[1:2], v[11:12], -v[66:67]
	v_add_f64 v[60:61], v[32:33], v[34:35]
	v_add_f64 v[62:63], v[60:61], -v[32:33]
	v_add_f64 v[70:71], v[30:31], v[60:61]
	v_add_f64 v[64:65], v[60:61], -v[62:63]
	v_add_f64 v[34:35], v[34:35], -v[62:63]
	v_add_f64 v[62:63], v[66:67], v[68:69]
	v_add_f64 v[30:31], v[70:71], -v[30:31]
	v_add_f64 v[32:33], v[32:33], -v[64:65]
	v_ldexp_f64 v[64:65], v[70:71], -2
	v_add_f64 v[72:73], v[62:63], -v[66:67]
	v_add_f64 v[30:31], v[60:61], -v[30:31]
	v_add_f64 v[32:33], v[34:35], v[32:33]
	v_fract_f64_e32 v[34:35], v[64:65]
	v_cmp_neq_f64_e64 vcc, |v[64:65]|, s[48:49]
	v_add_f64 v[68:69], v[68:69], -v[72:73]
	v_add_f64 v[60:61], v[62:63], v[32:33]
	v_ldexp_f64 v[34:35], v[34:35], 2
	v_add_f64 v[64:65], v[30:31], v[60:61]
	v_cndmask_b32_e32 v35, 0, v35, vcc
	v_cndmask_b32_e32 v34, 0, v34, vcc
	v_add_f64 v[74:75], v[60:61], -v[62:63]
	v_add_f64 v[70:71], v[64:65], v[34:35]
	v_add_f64 v[30:31], v[64:65], -v[30:31]
	v_add_f64 v[76:77], v[60:61], -v[74:75]
	;; [unrolled: 1-line block ×3, first 2 shown]
	v_cmp_gt_f64_e32 vcc, 0, v[70:71]
	v_add_f64 v[70:71], v[62:63], -v[72:73]
	v_add_f64 v[30:31], v[60:61], -v[30:31]
	;; [unrolled: 1-line block ×3, first 2 shown]
	v_cndmask_b32_e32 v22, 0, v52, vcc
	v_add_f64 v[34:35], v[34:35], v[21:22]
	v_add_f64 v[70:71], v[66:67], -v[70:71]
	v_add_f64 v[32:33], v[32:33], v[62:63]
	v_add_f64 v[78:79], v[64:65], v[34:35]
	;; [unrolled: 1-line block ×3, first 2 shown]
	v_cvt_i32_f64_e32 v58, v[78:79]
	v_add_f64 v[32:33], v[68:69], v[32:33]
	v_cvt_f64_i32_e32 v[72:73], v58
	v_add_f64 v[34:35], v[34:35], -v[72:73]
	v_add_f64 v[11:12], v[11:12], v[32:33]
	v_add_f64 v[62:63], v[64:65], v[34:35]
	;; [unrolled: 1-line block ×3, first 2 shown]
	v_add_f64 v[32:33], v[62:63], -v[34:35]
	v_cmp_le_f64_e32 vcc, 0.5, v[62:63]
	v_add_f64 v[30:31], v[64:65], -v[32:33]
	v_cndmask_b32_e32 v22, 0, v53, vcc
	v_addc_co_u32_e32 v58, vcc, 0, v58, vcc
	v_add_f64 v[11:12], v[11:12], v[30:31]
	v_add_f64 v[30:31], v[62:63], -v[21:22]
	v_add_f64 v[32:33], v[30:31], v[11:12]
	v_mul_f64 v[34:35], v[32:33], s[22:23]
	v_add_f64 v[30:31], v[32:33], -v[30:31]
	v_fma_f64 v[60:61], v[32:33], s[22:23], -v[34:35]
	v_add_f64 v[11:12], v[11:12], -v[30:31]
	v_fma_f64 v[30:31], v[32:33], s[54:55], v[60:61]
	v_fma_f64 v[11:12], v[11:12], s[22:23], v[30:31]
	v_add_f64 v[32:33], v[34:35], v[11:12]
	v_add_f64 v[30:31], v[32:33], -v[34:35]
	v_add_f64 v[34:35], v[11:12], -v[30:31]
	s_andn2_saveexec_b64 s[70:71], s[70:71]
	s_cbranch_execz .LBB99_43
	s_branch .LBB99_42
.LBB99_41:                              ;   in Loop: Header=BB99_4 Depth=1
	s_andn2_saveexec_b64 s[70:71], s[70:71]
	s_cbranch_execz .LBB99_43
.LBB99_42:                              ;   in Loop: Header=BB99_4 Depth=1
	v_mul_f64 v[11:12], |v[9:10]|, s[24:25]
	s_mov_b32 s26, s52
	v_rndne_f64_e32 v[11:12], v[11:12]
	v_fma_f64 v[30:31], v[11:12], s[50:51], |v[9:10]|
	v_mul_f64 v[32:33], v[11:12], s[52:53]
	v_cvt_i32_f64_e32 v58, v[11:12]
	v_add_f64 v[34:35], v[30:31], v[32:33]
	v_add_f64 v[60:61], v[30:31], -v[34:35]
	v_fma_f64 v[30:31], v[11:12], s[52:53], v[30:31]
	v_add_f64 v[60:61], v[60:61], v[32:33]
	v_add_f64 v[34:35], v[34:35], -v[30:31]
	v_fma_f64 v[32:33], v[11:12], s[26:27], v[32:33]
	;; [unrolled: 3-line block ×3, first 2 shown]
	v_add_f64 v[32:33], v[30:31], v[34:35]
	v_add_f64 v[30:31], v[32:33], -v[30:31]
	v_add_f64 v[34:35], v[34:35], -v[30:31]
.LBB99_43:                              ;   in Loop: Header=BB99_4 Depth=1
	s_or_b64 exec, exec, s[70:71]
                                        ; implicit-def: $vgpr22
                                        ; implicit-def: $vgpr11_vgpr12
                                        ; implicit-def: $vgpr30_vgpr31
	s_and_saveexec_b64 s[70:71], s[10:11]
	s_xor_b64 s[10:11], exec, s[70:71]
	s_cbranch_execz .LBB99_45
; %bb.44:                               ;   in Loop: Header=BB99_4 Depth=1
	v_cmp_ge_f64_e64 vcc, |v[9:10]|, s[46:47]
	s_mov_b32 s22, s50
	s_mov_b32 s55, s27
	v_cndmask_b32_e32 v12, v59, v41, vcc
	v_cndmask_b32_e32 v11, v9, v40, vcc
	v_mul_f64 v[30:31], v[38:39], v[11:12]
	v_mul_f64 v[40:41], v[36:37], v[11:12]
	;; [unrolled: 1-line block ×3, first 2 shown]
	v_fma_f64 v[38:39], v[38:39], v[11:12], -v[30:31]
	v_fma_f64 v[36:37], v[36:37], v[11:12], -v[40:41]
	;; [unrolled: 1-line block ×3, first 2 shown]
	v_add_f64 v[59:60], v[40:41], v[38:39]
	v_add_f64 v[61:62], v[59:60], -v[40:41]
	v_add_f64 v[67:68], v[30:31], v[59:60]
	v_add_f64 v[63:64], v[59:60], -v[61:62]
	v_add_f64 v[38:39], v[38:39], -v[61:62]
	v_add_f64 v[61:62], v[65:66], v[36:37]
	v_add_f64 v[30:31], v[67:68], -v[30:31]
	v_add_f64 v[40:41], v[40:41], -v[63:64]
	v_ldexp_f64 v[63:64], v[67:68], -2
	v_add_f64 v[69:70], v[61:62], -v[65:66]
	v_add_f64 v[30:31], v[59:60], -v[30:31]
	v_add_f64 v[38:39], v[38:39], v[40:41]
	v_fract_f64_e32 v[40:41], v[63:64]
	v_cmp_neq_f64_e64 vcc, |v[63:64]|, s[48:49]
	v_add_f64 v[36:37], v[36:37], -v[69:70]
	v_add_f64 v[59:60], v[61:62], v[38:39]
	v_ldexp_f64 v[40:41], v[40:41], 2
	v_add_f64 v[63:64], v[30:31], v[59:60]
	v_cndmask_b32_e32 v41, 0, v41, vcc
	v_cndmask_b32_e32 v40, 0, v40, vcc
	v_add_f64 v[71:72], v[59:60], -v[61:62]
	v_add_f64 v[67:68], v[63:64], v[40:41]
	v_add_f64 v[11:12], v[63:64], -v[30:31]
	v_add_f64 v[73:74], v[59:60], -v[71:72]
	;; [unrolled: 1-line block ×3, first 2 shown]
	v_cmp_gt_f64_e32 vcc, 0, v[67:68]
	v_add_f64 v[67:68], v[61:62], -v[69:70]
	v_add_f64 v[11:12], v[59:60], -v[11:12]
	;; [unrolled: 1-line block ×3, first 2 shown]
	v_cndmask_b32_e32 v22, 0, v52, vcc
	v_add_f64 v[40:41], v[40:41], v[21:22]
	v_add_f64 v[67:68], v[65:66], -v[67:68]
	v_add_f64 v[38:39], v[38:39], v[61:62]
	v_add_f64 v[75:76], v[63:64], v[40:41]
	;; [unrolled: 1-line block ×3, first 2 shown]
	v_cvt_i32_f64_e32 v71, v[75:76]
	v_add_f64 v[30:31], v[36:37], v[38:39]
	v_cvt_f64_i32_e32 v[69:70], v71
	v_add_f64 v[40:41], v[40:41], -v[69:70]
	v_add_f64 v[1:2], v[1:2], v[30:31]
	v_add_f64 v[36:37], v[63:64], v[40:41]
	;; [unrolled: 1-line block ×3, first 2 shown]
	v_add_f64 v[30:31], v[36:37], -v[40:41]
	v_cmp_le_f64_e32 vcc, 0.5, v[36:37]
	v_add_f64 v[11:12], v[63:64], -v[30:31]
	v_cndmask_b32_e32 v22, 0, v53, vcc
	v_add_f64 v[1:2], v[1:2], v[11:12]
	v_add_f64 v[11:12], v[36:37], -v[21:22]
	v_addc_co_u32_e32 v22, vcc, 0, v71, vcc
	v_add_f64 v[30:31], v[11:12], v[1:2]
	v_mul_f64 v[36:37], v[30:31], s[22:23]
	v_add_f64 v[11:12], v[30:31], -v[11:12]
	v_fma_f64 v[38:39], v[30:31], s[22:23], -v[36:37]
	v_add_f64 v[1:2], v[1:2], -v[11:12]
	v_fma_f64 v[11:12], v[30:31], s[54:55], v[38:39]
	v_fma_f64 v[1:2], v[1:2], s[22:23], v[11:12]
	v_add_f64 v[11:12], v[36:37], v[1:2]
	v_add_f64 v[30:31], v[11:12], -v[36:37]
	v_add_f64 v[30:31], v[1:2], -v[30:31]
	s_andn2_saveexec_b64 s[10:11], s[10:11]
	s_cbranch_execnz .LBB99_46
	s_branch .LBB99_47
.LBB99_45:                              ;   in Loop: Header=BB99_4 Depth=1
	s_andn2_saveexec_b64 s[10:11], s[10:11]
	s_cbranch_execz .LBB99_47
.LBB99_46:                              ;   in Loop: Header=BB99_4 Depth=1
	v_mul_f64 v[1:2], |v[9:10]|, s[24:25]
	s_mov_b32 s26, s52
	v_rndne_f64_e32 v[1:2], v[1:2]
	v_fma_f64 v[11:12], v[1:2], s[50:51], |v[9:10]|
	v_mul_f64 v[30:31], v[1:2], s[52:53]
	v_cvt_i32_f64_e32 v22, v[1:2]
	v_fma_f64 v[40:41], v[1:2], s[52:53], v[11:12]
	v_add_f64 v[36:37], v[11:12], v[30:31]
	v_add_f64 v[38:39], v[11:12], -v[36:37]
	v_add_f64 v[36:37], v[36:37], -v[40:41]
	v_add_f64 v[11:12], v[38:39], v[30:31]
	v_fma_f64 v[30:31], v[1:2], s[26:27], v[30:31]
	v_add_f64 v[11:12], v[36:37], v[11:12]
	v_add_f64 v[11:12], v[11:12], -v[30:31]
	v_fma_f64 v[30:31], v[1:2], s[28:29], v[11:12]
	v_add_f64 v[11:12], v[40:41], v[30:31]
	v_add_f64 v[36:37], v[11:12], -v[40:41]
	v_add_f64 v[30:31], v[30:31], -v[36:37]
.LBB99_47:                              ;   in Loop: Header=BB99_4 Depth=1
	s_or_b64 exec, exec, s[10:11]
	v_mul_f64 v[1:2], v[32:33], v[32:33]
	v_mov_b32_e32 v59, s82
	v_mov_b32_e32 v60, s83
	v_mul_f64 v[63:64], v[34:35], 0.5
	s_mov_b32 s12, s14
	v_mul_f64 v[36:37], v[1:2], 0.5
	v_fma_f64 v[61:62], v[1:2], s[84:85], v[59:60]
	v_add_f64 v[38:39], -v[36:37], 1.0
	v_fma_f64 v[61:62], v[1:2], v[61:62], s[86:87]
	v_add_f64 v[40:41], -v[38:39], 1.0
	v_fma_f64 v[61:62], v[1:2], v[61:62], s[88:89]
	v_add_f64 v[36:37], v[40:41], -v[36:37]
	v_fma_f64 v[61:62], v[1:2], v[61:62], s[90:91]
	v_mul_f64 v[40:41], v[1:2], v[1:2]
	v_fma_f64 v[36:37], v[32:33], -v[34:35], v[36:37]
	v_fma_f64 v[61:62], v[1:2], v[61:62], s[14:15]
	v_fma_f64 v[36:37], v[40:41], v[61:62], v[36:37]
	v_mul_f64 v[61:62], v[32:33], -v[1:2]
	v_add_f64 v[36:37], v[38:39], v[36:37]
	v_mov_b32_e32 v38, s94
	v_mov_b32_e32 v39, s95
	v_fma_f64 v[40:41], v[1:2], s[30:31], v[38:39]
	v_fma_f64 v[40:41], v[1:2], v[40:41], s[34:35]
	;; [unrolled: 1-line block ×5, first 2 shown]
	v_fma_f64 v[1:2], v[1:2], v[40:41], -v[34:35]
	v_fma_f64 v[1:2], v[61:62], s[12:13], v[1:2]
	v_add_f64 v[1:2], v[32:33], -v[1:2]
	v_and_b32_e32 v32, 1, v58
	v_cmp_eq_u32_e32 vcc, 0, v32
	v_lshlrev_b32_e32 v32, 30, v58
	v_xor_b32_e32 v32, v32, v10
	v_and_b32_e32 v32, 0x80000000, v32
	v_cndmask_b32_e32 v1, v36, v1, vcc
	v_cndmask_b32_e32 v2, v37, v2, vcc
	v_cmp_class_f64_e64 vcc, v[9:10], s77
	v_mul_f64 v[9:10], v[11:12], v[11:12]
	v_xor_b32_e32 v2, v2, v32
	v_cndmask_b32_e32 v1, 0, v1, vcc
	v_mul_f64 v[32:33], v[9:10], 0.5
	v_fma_f64 v[40:41], v[9:10], s[84:85], v[59:60]
	v_cndmask_b32_e32 v2, v57, v2, vcc
	v_add_f64 v[34:35], -v[32:33], 1.0
	v_fma_f64 v[40:41], v[9:10], v[40:41], s[86:87]
	v_add_f64 v[36:37], -v[34:35], 1.0
	v_fma_f64 v[40:41], v[9:10], v[40:41], s[88:89]
	v_add_f64 v[32:33], v[36:37], -v[32:33]
	v_fma_f64 v[40:41], v[9:10], v[40:41], s[90:91]
	v_mul_f64 v[36:37], v[9:10], v[9:10]
	v_fma_f64 v[32:33], v[11:12], -v[30:31], v[32:33]
	v_fma_f64 v[40:41], v[9:10], v[40:41], s[14:15]
	v_fma_f64 v[32:33], v[36:37], v[40:41], v[32:33]
	v_mul_f64 v[36:37], v[11:12], -v[9:10]
	v_add_f64 v[32:33], v[34:35], v[32:33]
	v_fma_f64 v[34:35], v[9:10], s[30:31], v[38:39]
	v_mul_f64 v[38:39], v[30:31], 0.5
	v_fma_f64 v[34:35], v[9:10], v[34:35], s[34:35]
	v_fma_f64 v[34:35], v[9:10], v[34:35], s[36:37]
	;; [unrolled: 1-line block ×4, first 2 shown]
	v_fma_f64 v[9:10], v[9:10], v[34:35], -v[30:31]
	v_fma_f64 v[9:10], v[36:37], s[12:13], v[9:10]
	v_add_f64 v[9:10], v[11:12], -v[9:10]
	v_and_b32_e32 v11, 1, v22
	v_cmp_eq_u32_e64 s[10:11], 0, v11
	v_lshlrev_b32_e32 v11, 30, v22
	v_and_b32_e32 v11, 0x80000000, v11
	v_xor_b32_e32 v10, 0x80000000, v10
	v_cndmask_b32_e64 v10, v10, v33, s[10:11]
	v_cndmask_b32_e64 v9, v9, v32, s[10:11]
	v_xor_b32_e32 v10, v10, v11
	v_cndmask_b32_e32 v9, 0, v9, vcc
	v_cndmask_b32_e32 v10, v57, v10, vcc
	v_mul_f64 v[9:10], v[1:2], v[9:10]
.LBB99_48:                              ;   in Loop: Header=BB99_4 Depth=1
	s_or_b64 exec, exec, s[68:69]
	v_bfi_b32 v22, s75, 0, v10
	v_mov_b32_e32 v1, v21
	v_add_u32_e32 v4, -2.0, v4
	v_mov_b32_e32 v2, v22
.LBB99_49:                              ;   in Loop: Header=BB99_4 Depth=1
	s_or_b64 exec, exec, s[66:67]
.LBB99_50:                              ;   in Loop: Header=BB99_4 Depth=1
	s_or_b64 exec, exec, s[60:61]
	v_xor_b32_e32 v12, 0x80000000, v20
	v_and_b32_e32 v9, 0x7fffffff, v12
	v_mov_b32_e32 v11, v19
	v_cmp_gt_u32_e32 vcc, s76, v9
	s_and_saveexec_b64 s[10:11], vcc
	s_xor_b64 s[60:61], exec, s[10:11]
	s_cbranch_execz .LBB99_72
; %bb.51:                               ;   in Loop: Header=BB99_4 Depth=1
	v_cmp_class_f64_e64 s[10:11], v[17:18], s77
	s_and_saveexec_b64 s[66:67], s[10:11]
	s_xor_b64 s[66:67], exec, s[66:67]
	s_cbranch_execz .LBB99_69
; %bb.52:                               ;   in Loop: Header=BB99_4 Depth=1
	s_mov_b32 s10, 0x40360000
	v_cmp_gt_u32_e32 vcc, s10, v9
	s_and_saveexec_b64 s[10:11], vcc
	s_xor_b64 s[68:69], exec, s[10:11]
	s_cbranch_execz .LBB99_58
; %bb.53:                               ;   in Loop: Header=BB99_4 Depth=1
	v_cmp_nlt_f64_e64 s[10:11], |v[17:18]|, s[44:45]
                                        ; implicit-def: $vgpr11
                                        ; implicit-def: $vgpr9_vgpr10
                                        ; implicit-def: $vgpr30_vgpr31
	s_and_saveexec_b64 s[70:71], s[10:11]
	s_xor_b64 s[10:11], exec, s[70:71]
	s_cbranch_execz .LBB99_55
; %bb.54:                               ;   in Loop: Header=BB99_4 Depth=1
	v_trig_preop_f64 v[9:10], |v[17:18]|, 0
	v_ldexp_f64 v[30:31], |v[17:18]|, s79
	v_cmp_ge_f64_e64 vcc, |v[17:18]|, s[46:47]
	v_trig_preop_f64 v[32:33], |v[17:18]|, 1
	v_and_b32_e32 v11, 0x7fffffff, v18
	v_trig_preop_f64 v[40:41], |v[17:18]|, 2
	s_mov_b32 s22, s50
	s_mov_b32 s55, s27
	v_cndmask_b32_e32 v31, v11, v31, vcc
	v_cndmask_b32_e32 v30, v17, v30, vcc
	v_mul_f64 v[34:35], v[9:10], v[30:31]
	v_mul_f64 v[36:37], v[32:33], v[30:31]
	v_mul_f64 v[62:63], v[40:41], v[30:31]
	v_fma_f64 v[9:10], v[9:10], v[30:31], -v[34:35]
	v_fma_f64 v[32:33], v[32:33], v[30:31], -v[36:37]
	;; [unrolled: 1-line block ×3, first 2 shown]
	v_add_f64 v[38:39], v[36:37], v[9:10]
	v_add_f64 v[58:59], v[38:39], -v[36:37]
	v_add_f64 v[64:65], v[34:35], v[38:39]
	v_add_f64 v[60:61], v[38:39], -v[58:59]
	v_add_f64 v[9:10], v[9:10], -v[58:59]
	v_add_f64 v[58:59], v[62:63], v[32:33]
	v_add_f64 v[34:35], v[64:65], -v[34:35]
	v_add_f64 v[36:37], v[36:37], -v[60:61]
	v_ldexp_f64 v[60:61], v[64:65], -2
	v_add_f64 v[66:67], v[58:59], -v[62:63]
	v_add_f64 v[34:35], v[38:39], -v[34:35]
	v_add_f64 v[9:10], v[9:10], v[36:37]
	v_fract_f64_e32 v[36:37], v[60:61]
	v_cmp_neq_f64_e64 vcc, |v[60:61]|, s[48:49]
	v_add_f64 v[32:33], v[32:33], -v[66:67]
	v_add_f64 v[38:39], v[58:59], v[9:10]
	v_ldexp_f64 v[36:37], v[36:37], 2
	v_add_f64 v[60:61], v[34:35], v[38:39]
	v_cndmask_b32_e32 v37, 0, v37, vcc
	v_cndmask_b32_e32 v36, 0, v36, vcc
	v_add_f64 v[68:69], v[38:39], -v[58:59]
	v_add_f64 v[64:65], v[60:61], v[36:37]
	v_add_f64 v[34:35], v[60:61], -v[34:35]
	v_add_f64 v[70:71], v[38:39], -v[68:69]
	;; [unrolled: 1-line block ×3, first 2 shown]
	v_cmp_gt_f64_e32 vcc, 0, v[64:65]
	v_add_f64 v[64:65], v[58:59], -v[66:67]
	v_add_f64 v[34:35], v[38:39], -v[34:35]
	;; [unrolled: 1-line block ×3, first 2 shown]
	v_cndmask_b32_e32 v22, 0, v52, vcc
	v_add_f64 v[36:37], v[36:37], v[21:22]
	v_add_f64 v[64:65], v[62:63], -v[64:65]
	v_add_f64 v[9:10], v[9:10], v[58:59]
	v_add_f64 v[72:73], v[60:61], v[36:37]
	;; [unrolled: 1-line block ×3, first 2 shown]
	v_cvt_i32_f64_e32 v11, v[72:73]
	v_add_f64 v[9:10], v[32:33], v[9:10]
	v_cvt_f64_i32_e32 v[66:67], v11
	v_add_f64 v[36:37], v[36:37], -v[66:67]
	v_add_f64 v[9:10], v[30:31], v[9:10]
	v_add_f64 v[32:33], v[60:61], v[36:37]
	;; [unrolled: 1-line block ×3, first 2 shown]
	v_add_f64 v[30:31], v[32:33], -v[36:37]
	v_cmp_le_f64_e32 vcc, 0.5, v[32:33]
	v_add_f64 v[30:31], v[60:61], -v[30:31]
	v_cndmask_b32_e32 v22, 0, v53, vcc
	v_addc_co_u32_e32 v11, vcc, 0, v11, vcc
	v_add_f64 v[9:10], v[9:10], v[30:31]
	v_add_f64 v[30:31], v[32:33], -v[21:22]
	v_add_f64 v[32:33], v[30:31], v[9:10]
	v_mul_f64 v[34:35], v[32:33], s[22:23]
	v_add_f64 v[30:31], v[32:33], -v[30:31]
	v_fma_f64 v[36:37], v[32:33], s[22:23], -v[34:35]
	v_add_f64 v[9:10], v[9:10], -v[30:31]
	v_fma_f64 v[30:31], v[32:33], s[54:55], v[36:37]
	v_fma_f64 v[30:31], v[9:10], s[22:23], v[30:31]
	v_add_f64 v[9:10], v[34:35], v[30:31]
	v_add_f64 v[32:33], v[9:10], -v[34:35]
	v_add_f64 v[30:31], v[30:31], -v[32:33]
.LBB99_55:                              ;   in Loop: Header=BB99_4 Depth=1
	s_andn2_saveexec_b64 s[10:11], s[10:11]
	s_cbranch_execz .LBB99_57
; %bb.56:                               ;   in Loop: Header=BB99_4 Depth=1
	v_mul_f64 v[9:10], |v[17:18]|, s[24:25]
	s_mov_b32 s26, s52
	v_rndne_f64_e32 v[32:33], v[9:10]
	v_fma_f64 v[9:10], v[32:33], s[50:51], |v[17:18]|
	v_mul_f64 v[30:31], v[32:33], s[52:53]
	v_cvt_i32_f64_e32 v11, v[32:33]
	v_fma_f64 v[38:39], v[32:33], s[52:53], v[9:10]
	v_add_f64 v[34:35], v[9:10], v[30:31]
	v_add_f64 v[36:37], v[9:10], -v[34:35]
	v_add_f64 v[34:35], v[34:35], -v[38:39]
	v_add_f64 v[9:10], v[36:37], v[30:31]
	v_fma_f64 v[30:31], v[32:33], s[26:27], v[30:31]
	v_add_f64 v[9:10], v[34:35], v[9:10]
	v_add_f64 v[9:10], v[9:10], -v[30:31]
	v_fma_f64 v[30:31], v[32:33], s[28:29], v[9:10]
	v_add_f64 v[9:10], v[38:39], v[30:31]
	v_add_f64 v[34:35], v[9:10], -v[38:39]
	v_add_f64 v[30:31], v[30:31], -v[34:35]
.LBB99_57:                              ;   in Loop: Header=BB99_4 Depth=1
	s_or_b64 exec, exec, s[10:11]
	v_add_f64 v[32:33], |v[19:20]|, s[64:65]
	s_mov_b32 s58, s64
	s_mov_b32 s10, 0x3b39803f
	;; [unrolled: 1-line block ×7, first 2 shown]
	v_add_f64 v[34:35], v[32:33], -|v[19:20]|
	v_and_b32_e32 v18, 0x80000000, v18
	v_add_f64 v[36:37], v[34:35], -v[32:33]
	v_add_f64 v[34:35], v[34:35], s[58:59]
	v_add_f64 v[36:37], |v[19:20]|, v[36:37]
	v_add_f64 v[34:35], v[36:37], -v[34:35]
	v_add_f64 v[34:35], v[34:35], s[10:11]
	s_mov_b32 s10, 0xf278e000
	s_mov_b32 s11, 0xbd53de6a
	v_add_f64 v[36:37], v[32:33], v[34:35]
	v_mul_f64 v[38:39], v[36:37], s[40:41]
	v_add_f64 v[32:33], v[32:33], -v[36:37]
	v_rndne_f64_e32 v[38:39], v[38:39]
	v_add_f64 v[32:33], v[34:35], v[32:33]
	v_fma_f64 v[34:35], v[38:39], s[56:57], v[36:37]
	v_mul_f64 v[36:37], v[38:39], s[10:11]
	s_mov_b32 s10, 0xf97b57a0
	s_mov_b32 s11, 0xbac9cc01
	v_cvt_i32_f64_e32 v17, v[38:39]
	v_add_f64 v[40:41], v[32:33], v[34:35]
	v_add_f64 v[58:59], v[40:41], v[36:37]
	v_add_f64 v[34:35], v[34:35], -v[40:41]
	v_add_f64 v[40:41], v[40:41], -v[58:59]
	v_add_f64 v[32:33], v[32:33], v[34:35]
	v_add_f64 v[34:35], v[40:41], v[36:37]
	;; [unrolled: 1-line block ×3, first 2 shown]
	v_mul_f64 v[34:35], v[38:39], s[10:11]
	s_mov_b32 s10, 0x6a5dcb37
	s_mov_b32 s11, 0x3e5ade15
	v_add_f64 v[36:37], v[58:59], v[32:33]
	v_add_f64 v[40:41], v[36:37], v[34:35]
	v_add_f64 v[58:59], v[58:59], -v[36:37]
	v_add_f64 v[36:37], v[36:37], -v[40:41]
	v_add_f64 v[32:33], v[32:33], v[58:59]
	v_add_f64 v[34:35], v[36:37], v[34:35]
	;; [unrolled: 1-line block ×4, first 2 shown]
	v_fma_f64 v[36:37], v[34:35], s[10:11], v[28:29]
	s_mov_b32 s10, 0x623fde64
	s_mov_b32 s11, 0x3ec71dee
	v_add_f64 v[40:41], v[40:41], -v[34:35]
	v_mul_f64 v[58:59], v[34:35], v[34:35]
	v_fma_f64 v[36:37], v[34:35], v[36:37], s[10:11]
	s_mov_b32 s10, 0x7c89e6b0
	s_mov_b32 s11, 0x3efa0199
	v_add_f64 v[32:33], v[32:33], v[40:41]
	v_fma_f64 v[40:41], v[34:35], v[34:35], -v[58:59]
	v_fma_f64 v[36:37], v[34:35], v[36:37], s[10:11]
	s_mov_b32 s10, 0x14761f6e
	s_mov_b32 s11, 0x3f2a01a0
	v_add_f64 v[60:61], v[32:33], v[32:33]
	v_fma_f64 v[36:37], v[34:35], v[36:37], s[10:11]
	s_mov_b32 s10, 0x1852b7b0
	s_mov_b32 s11, 0x3f56c16c
	v_fma_f64 v[40:41], v[34:35], v[60:61], v[40:41]
	v_fma_f64 v[36:37], v[34:35], v[36:37], s[10:11]
	s_mov_b32 s10, 0x55555511
	s_mov_b32 s11, 0x3fc55555
	v_add_f64 v[60:61], v[58:59], v[40:41]
	v_fma_f64 v[36:37], v[34:35], v[36:37], s[38:39]
	v_add_f64 v[58:59], v[60:61], -v[58:59]
	v_fma_f64 v[36:37], v[34:35], v[36:37], s[92:93]
	v_add_f64 v[40:41], v[40:41], -v[58:59]
	v_fma_f64 v[36:37], v[34:35], v[36:37], s[10:11]
	s_mov_b32 s10, 11
	s_mov_b32 s11, 0x3fe00000
	v_fma_f64 v[36:37], v[34:35], v[36:37], s[10:11]
	s_mov_b32 s10, 0xc751c08c
	s_mov_b32 s11, 0x3ef5e089
	v_mul_f64 v[62:63], v[60:61], v[36:37]
	v_fma_f64 v[58:59], v[60:61], v[36:37], -v[62:63]
	v_fma_f64 v[36:37], v[40:41], v[36:37], v[58:59]
	v_add_f64 v[40:41], v[62:63], v[36:37]
	v_add_f64 v[58:59], v[34:35], v[40:41]
	v_add_f64 v[60:61], v[40:41], -v[62:63]
	v_add_f64 v[34:35], v[58:59], -v[34:35]
	;; [unrolled: 1-line block ×3, first 2 shown]
	v_add_f64 v[60:61], v[30:31], v[30:31]
	v_add_f64 v[34:35], v[40:41], -v[34:35]
	v_add_f64 v[32:33], v[32:33], v[36:37]
	v_add_f64 v[32:33], v[32:33], v[34:35]
	;; [unrolled: 1-line block ×3, first 2 shown]
	v_add_f64 v[36:37], v[34:35], 1.0
	v_add_f64 v[40:41], v[34:35], -v[58:59]
	v_add_f64 v[58:59], v[36:37], -1.0
	v_add_f64 v[32:33], v[32:33], -v[40:41]
	v_add_f64 v[34:35], v[34:35], -v[58:59]
	v_add_f64 v[32:33], v[32:33], v[34:35]
	v_add_f64 v[34:35], v[36:37], v[32:33]
	v_ldexp_f64 v[38:39], v[34:35], v17
	v_add_f64 v[34:35], v[34:35], -v[36:37]
	v_rcp_f64_e32 v[40:41], v[38:39]
	v_add_f64 v[32:33], v[32:33], -v[34:35]
	v_ldexp_f64 v[32:33], v[32:33], v17
	v_fma_f64 v[58:59], -v[38:39], v[40:41], 1.0
	v_fma_f64 v[40:41], v[58:59], v[40:41], v[40:41]
	v_fma_f64 v[58:59], -v[38:39], v[40:41], 1.0
	v_fma_f64 v[36:37], v[58:59], v[40:41], v[40:41]
	v_mul_f64 v[40:41], v[9:10], v[9:10]
	v_mul_f64 v[34:35], v[38:39], v[36:37]
	v_fma_f64 v[62:63], v[9:10], v[9:10], -v[40:41]
	v_fma_f64 v[58:59], v[36:37], v[38:39], -v[34:35]
	v_fma_f64 v[60:61], v[9:10], v[60:61], v[62:63]
	v_fma_f64 v[58:59], v[36:37], v[32:33], v[58:59]
	v_add_f64 v[40:41], v[40:41], v[60:61]
	v_add_f64 v[62:63], v[34:35], v[58:59]
	v_fma_f64 v[64:65], v[40:41], s[10:11], v[26:27]
	s_mov_b32 s10, 0x90a8aae0
	s_mov_b32 s11, 0x3f17746f
	v_add_f64 v[60:61], -v[62:63], 1.0
	v_add_f64 v[34:35], v[62:63], -v[34:35]
	v_fma_f64 v[64:65], v[40:41], v[64:65], s[10:11]
	s_mov_b32 s10, 0xa6fbf144
	s_mov_b32 s11, 0xbefbb44d
	v_add_f64 v[66:67], -v[60:61], 1.0
	v_add_f64 v[34:35], v[34:35], -v[58:59]
	v_add_f64 v[58:59], v[66:67], -v[62:63]
	v_fma_f64 v[62:63], v[40:41], v[64:65], s[10:11]
	s_mov_b32 s10, 0xa7943acf
	s_mov_b32 s11, 0x3f21e634
	v_add_f64 v[34:35], v[34:35], v[58:59]
	v_fma_f64 v[58:59], v[40:41], v[62:63], s[10:11]
	s_mov_b32 s10, 0xdeb68feb
	s_mov_b32 s11, 0x3f2d250f
	v_add_f64 v[62:63], v[60:61], v[34:35]
	v_fma_f64 v[58:59], v[40:41], v[58:59], s[10:11]
	s_mov_b32 s10, 0xb58c4d95
	s_mov_b32 s11, 0x3f437fd9
	v_mul_f64 v[64:65], v[36:37], v[62:63]
	v_fma_f64 v[58:59], v[40:41], v[58:59], s[10:11]
	s_mov_b32 s10, 0x15120e2c
	s_mov_b32 s11, 0x3f57d5af
	v_add_f64 v[60:61], v[60:61], -v[62:63]
	v_mul_f64 v[66:67], v[38:39], v[64:65]
	v_fma_f64 v[58:59], v[40:41], v[58:59], s[10:11]
	s_mov_b32 s10, 0xe09491df
	s_mov_b32 s11, 0x3f6d6d93
	v_add_f64 v[34:35], v[34:35], v[60:61]
	v_fma_f64 v[68:69], v[64:65], v[38:39], -v[66:67]
	v_fma_f64 v[58:59], v[40:41], v[58:59], s[10:11]
	s_mov_b32 s10, 0x2033784d
	s_mov_b32 s11, 0x3f8226e1
	v_fma_f64 v[68:69], v[64:65], v[32:33], v[68:69]
	v_fma_f64 v[58:59], v[40:41], v[58:59], s[10:11]
	s_mov_b32 s10, 0x9ac36ae2
	s_mov_b32 s11, 0x3f9664f4
	v_add_f64 v[70:71], v[66:67], v[68:69]
	v_fma_f64 v[58:59], v[40:41], v[58:59], s[10:11]
	s_mov_b32 s10, 0x1b451c21
	s_mov_b32 s11, 0x3faba1ba
	v_add_f64 v[72:73], v[62:63], -v[70:71]
	v_fma_f64 v[58:59], v[40:41], v[58:59], s[10:11]
	s_mov_b32 s10, 0x111185b7
	s_mov_b32 s11, 0x3fc11111
	v_add_f64 v[60:61], v[70:71], -v[66:67]
	v_add_f64 v[62:63], v[62:63], -v[72:73]
	v_fma_f64 v[58:59], v[40:41], v[58:59], s[10:11]
	s_mov_b32 s10, 0x555554ee
	s_mov_b32 s11, 0x3fd55555
	v_add_f64 v[60:61], v[60:61], -v[68:69]
	v_add_f64 v[62:63], v[62:63], -v[70:71]
	v_fma_f64 v[58:59], v[40:41], v[58:59], s[10:11]
	s_mov_b32 s10, 0x8fb9f87e
	s_mov_b32 s11, 0x408633ce
	v_cmp_nge_f64_e64 vcc, |v[19:20]|, s[10:11]
	s_mov_b32 s10, 0
	s_mov_b32 s11, 0x3e400000
	v_add_f64 v[34:35], v[34:35], v[62:63]
	v_mul_f64 v[40:41], v[40:41], v[58:59]
	v_add_f64 v[58:59], v[36:37], v[64:65]
	v_add_f64 v[34:35], v[60:61], v[34:35]
	v_mul_f64 v[60:61], v[9:10], v[40:41]
	v_add_f64 v[62:63], v[58:59], -v[36:37]
	v_add_f64 v[34:35], v[72:73], v[34:35]
	v_add_f64 v[66:67], v[9:10], v[60:61]
	v_add_f64 v[62:63], v[64:65], -v[62:63]
	v_mul_f64 v[34:35], v[36:37], v[34:35]
	v_fma_f64 v[36:37], v[9:10], v[40:41], -v[60:61]
	v_add_f64 v[9:10], v[66:67], -v[9:10]
	v_add_f64 v[34:35], v[62:63], v[34:35]
	v_add_f64 v[30:31], v[30:31], v[36:37]
	v_add_f64 v[9:10], v[60:61], -v[9:10]
	v_add_f64 v[36:37], v[58:59], v[34:35]
	v_add_f64 v[9:10], v[30:31], v[9:10]
	v_ldexp_f64 v[30:31], v[36:37], -2
	v_add_f64 v[36:37], v[36:37], -v[58:59]
	v_add_f64 v[40:41], v[66:67], v[9:10]
	v_add_f64 v[60:61], v[38:39], -v[30:31]
	v_add_f64 v[34:35], v[34:35], -v[36:37]
	v_rcp_f64_e32 v[62:63], v[40:41]
	v_add_f64 v[38:39], v[38:39], -v[60:61]
	v_ldexp_f64 v[34:35], v[34:35], -2
	v_add_f64 v[30:31], v[38:39], -v[30:31]
	v_fma_f64 v[36:37], -v[40:41], v[62:63], 1.0
	v_add_f64 v[30:31], v[32:33], v[30:31]
	v_fma_f64 v[32:33], v[36:37], v[62:63], v[62:63]
	v_add_f64 v[30:31], v[30:31], -v[34:35]
	v_fma_f64 v[34:35], -v[40:41], v[32:33], 1.0
	v_add_f64 v[30:31], v[60:61], v[30:31]
	v_fma_f64 v[32:33], v[34:35], v[32:33], v[32:33]
	v_cndmask_b32_e32 v17, v54, v31, vcc
	v_cndmask_b32_e32 v22, 0, v30, vcc
	v_cmp_lt_f64_e64 vcc, |v[19:20]|, s[10:11]
	v_and_b32_e32 v20, 0x7fffffff, v20
	s_mov_b32 s10, 0
	v_add_f64 v[30:31], v[40:41], -v[66:67]
	v_mul_f64 v[34:35], v[40:41], v[32:33]
	s_brev_b32 s11, 8
	v_cndmask_b32_e32 v17, v17, v20, vcc
	v_cndmask_b32_e32 v19, v22, v19, vcc
	v_bfi_b32 v20, s75, v17, v12
	v_fma_f64 v[36:37], v[19:20], v[19:20], 1.0
	v_add_f64 v[9:10], v[9:10], -v[30:31]
	v_fma_f64 v[30:31], v[32:33], v[40:41], -v[34:35]
	v_and_b32_e32 v17, 1, v11
	v_cmp_gt_f64_e32 vcc, s[10:11], v[36:37]
	v_cmp_eq_u32_e64 s[10:11], 0, v17
	v_fma_f64 v[9:10], v[32:33], v[9:10], v[30:31]
	v_cndmask_b32_e32 v12, 0, v55, vcc
	v_ldexp_f64 v[36:37], v[36:37], v12
	v_add_f64 v[38:39], v[34:35], v[9:10]
	v_cndmask_b32_e32 v22, 0, v56, vcc
	v_rsq_f64_e32 v[30:31], v[36:37]
	v_add_f64 v[58:59], -v[38:39], 1.0
	v_add_f64 v[34:35], v[38:39], -v[34:35]
	v_cmp_class_f64_e32 vcc, v[36:37], v51
	v_add_f64 v[62:63], -v[58:59], 1.0
	v_add_f64 v[9:10], v[34:35], -v[9:10]
	v_mul_f64 v[60:61], v[36:37], v[30:31]
	v_mul_f64 v[30:31], v[30:31], 0.5
	v_add_f64 v[38:39], v[62:63], -v[38:39]
	v_fma_f64 v[34:35], -v[30:31], v[60:61], 0.5
	v_add_f64 v[9:10], v[9:10], v[38:39]
	v_fma_f64 v[60:61], v[60:61], v[34:35], v[60:61]
	v_fma_f64 v[30:31], v[30:31], v[34:35], v[30:31]
	v_add_f64 v[9:10], v[58:59], v[9:10]
	v_fma_f64 v[34:35], -v[60:61], v[60:61], v[36:37]
	v_mul_f64 v[9:10], v[32:33], v[9:10]
	v_fma_f64 v[34:35], v[34:35], v[30:31], v[60:61]
	v_add_f64 v[9:10], v[32:33], v[9:10]
	v_fma_f64 v[38:39], -v[34:35], v[34:35], v[36:37]
	v_xor_b32_e32 v10, 0x80000000, v10
	v_cndmask_b32_e64 v10, v10, v41, s[10:11]
	v_cndmask_b32_e64 v9, v9, v40, s[10:11]
	v_xor_b32_e32 v10, v10, v18
	v_fma_f64 v[17:18], v[9:10], v[9:10], 1.0
	v_fma_f64 v[11:12], v[38:39], v[30:31], v[34:35]
	v_mul_f64 v[30:31], v[19:20], v[17:18]
	v_ldexp_f64 v[11:12], v[11:12], v22
	v_cndmask_b32_e32 v12, v12, v37, vcc
	v_cndmask_b32_e32 v11, v11, v36, vcc
	v_mul_f64 v[11:12], v[11:12], v[17:18]
	v_fma_f64 v[17:18], v[19:20], v[30:31], 1.0
	v_mul_f64 v[11:12], v[19:20], v[11:12]
	v_div_scale_f64 v[30:31], s[10:11], v[17:18], v[17:18], v[9:10]
	v_div_scale_f64 v[19:20], s[10:11], v[17:18], v[17:18], v[11:12]
	;; [unrolled: 1-line block ×3, first 2 shown]
	v_rcp_f64_e32 v[34:35], v[30:31]
	v_rcp_f64_e32 v[32:33], v[19:20]
	v_fma_f64 v[38:39], -v[30:31], v[34:35], 1.0
	v_fma_f64 v[36:37], -v[19:20], v[32:33], 1.0
	v_fma_f64 v[34:35], v[34:35], v[38:39], v[34:35]
	v_fma_f64 v[32:33], v[32:33], v[36:37], v[32:33]
	v_div_scale_f64 v[36:37], vcc, v[11:12], v[17:18], v[11:12]
	v_fma_f64 v[58:59], -v[30:31], v[34:35], 1.0
	v_fma_f64 v[38:39], -v[19:20], v[32:33], 1.0
	v_fma_f64 v[34:35], v[34:35], v[58:59], v[34:35]
	v_fma_f64 v[32:33], v[32:33], v[38:39], v[32:33]
	v_mul_f64 v[58:59], v[40:41], v[34:35]
	v_mul_f64 v[38:39], v[36:37], v[32:33]
	v_fma_f64 v[30:31], -v[30:31], v[58:59], v[40:41]
	v_fma_f64 v[19:20], -v[19:20], v[38:39], v[36:37]
	v_div_fmas_f64 v[19:20], v[19:20], v[32:33], v[38:39]
	s_mov_b64 vcc, s[10:11]
	v_div_fmas_f64 v[30:31], v[30:31], v[34:35], v[58:59]
	v_div_fixup_f64 v[11:12], v[19:20], v[17:18], v[11:12]
	v_div_fixup_f64 v[9:10], v[30:31], v[17:18], v[9:10]
                                        ; implicit-def: $vgpr17_vgpr18
.LBB99_58:                              ;   in Loop: Header=BB99_4 Depth=1
	s_andn2_saveexec_b64 s[10:11], s[68:69]
	s_cbranch_execz .LBB99_68
; %bb.59:                               ;   in Loop: Header=BB99_4 Depth=1
	v_cmp_nlt_f64_e64 s[68:69], |v[17:18]|, s[44:45]
                                        ; implicit-def: $vgpr40
                                        ; implicit-def: $vgpr9_vgpr10
                                        ; implicit-def: $vgpr38_vgpr39
	s_and_saveexec_b64 s[70:71], s[68:69]
	s_xor_b64 s[70:71], exec, s[70:71]
	s_cbranch_execz .LBB99_61
; %bb.60:                               ;   in Loop: Header=BB99_4 Depth=1
	v_trig_preop_f64 v[9:10], |v[17:18]|, 0
	v_ldexp_f64 v[30:31], |v[17:18]|, s79
	v_cmp_ge_f64_e64 vcc, |v[17:18]|, s[46:47]
	v_trig_preop_f64 v[32:33], |v[17:18]|, 1
	v_and_b32_e32 v11, 0x7fffffff, v18
	v_trig_preop_f64 v[40:41], |v[17:18]|, 2
	s_mov_b32 s22, s50
	s_mov_b32 s55, s27
	v_cndmask_b32_e32 v31, v11, v31, vcc
	v_cndmask_b32_e32 v30, v17, v30, vcc
	v_mul_f64 v[34:35], v[9:10], v[30:31]
	v_mul_f64 v[36:37], v[32:33], v[30:31]
	;; [unrolled: 1-line block ×3, first 2 shown]
	v_fma_f64 v[9:10], v[9:10], v[30:31], -v[34:35]
	v_fma_f64 v[32:33], v[32:33], v[30:31], -v[36:37]
	;; [unrolled: 1-line block ×3, first 2 shown]
	v_add_f64 v[38:39], v[36:37], v[9:10]
	v_add_f64 v[58:59], v[38:39], -v[36:37]
	v_add_f64 v[64:65], v[34:35], v[38:39]
	v_add_f64 v[60:61], v[38:39], -v[58:59]
	v_add_f64 v[9:10], v[9:10], -v[58:59]
	v_add_f64 v[58:59], v[62:63], v[32:33]
	v_add_f64 v[34:35], v[64:65], -v[34:35]
	v_add_f64 v[36:37], v[36:37], -v[60:61]
	v_ldexp_f64 v[60:61], v[64:65], -2
	v_add_f64 v[66:67], v[58:59], -v[62:63]
	v_add_f64 v[34:35], v[38:39], -v[34:35]
	v_add_f64 v[9:10], v[9:10], v[36:37]
	v_fract_f64_e32 v[36:37], v[60:61]
	v_cmp_neq_f64_e64 vcc, |v[60:61]|, s[48:49]
	v_add_f64 v[32:33], v[32:33], -v[66:67]
	v_add_f64 v[38:39], v[58:59], v[9:10]
	v_ldexp_f64 v[36:37], v[36:37], 2
	v_add_f64 v[60:61], v[34:35], v[38:39]
	v_cndmask_b32_e32 v37, 0, v37, vcc
	v_cndmask_b32_e32 v36, 0, v36, vcc
	v_add_f64 v[68:69], v[38:39], -v[58:59]
	v_add_f64 v[64:65], v[60:61], v[36:37]
	v_add_f64 v[34:35], v[60:61], -v[34:35]
	v_add_f64 v[70:71], v[38:39], -v[68:69]
	;; [unrolled: 1-line block ×3, first 2 shown]
	v_cmp_gt_f64_e32 vcc, 0, v[64:65]
	v_add_f64 v[64:65], v[58:59], -v[66:67]
	v_add_f64 v[34:35], v[38:39], -v[34:35]
	;; [unrolled: 1-line block ×3, first 2 shown]
	v_cndmask_b32_e32 v22, 0, v52, vcc
	v_add_f64 v[36:37], v[36:37], v[21:22]
	v_add_f64 v[64:65], v[62:63], -v[64:65]
	v_add_f64 v[9:10], v[9:10], v[58:59]
	v_add_f64 v[72:73], v[60:61], v[36:37]
	;; [unrolled: 1-line block ×3, first 2 shown]
	v_cvt_i32_f64_e32 v11, v[72:73]
	v_add_f64 v[9:10], v[32:33], v[9:10]
	v_cvt_f64_i32_e32 v[66:67], v11
	v_add_f64 v[36:37], v[36:37], -v[66:67]
	v_add_f64 v[9:10], v[30:31], v[9:10]
	v_add_f64 v[32:33], v[60:61], v[36:37]
	v_add_f64 v[9:10], v[34:35], v[9:10]
	v_add_f64 v[30:31], v[32:33], -v[36:37]
	v_cmp_le_f64_e32 vcc, 0.5, v[32:33]
	v_add_f64 v[30:31], v[60:61], -v[30:31]
	v_cndmask_b32_e32 v22, 0, v53, vcc
	v_addc_co_u32_e32 v40, vcc, 0, v11, vcc
	v_add_f64 v[9:10], v[9:10], v[30:31]
	v_add_f64 v[30:31], v[32:33], -v[21:22]
	v_add_f64 v[32:33], v[30:31], v[9:10]
	v_mul_f64 v[34:35], v[32:33], s[22:23]
	v_add_f64 v[30:31], v[32:33], -v[30:31]
	v_fma_f64 v[36:37], v[32:33], s[22:23], -v[34:35]
	v_add_f64 v[9:10], v[9:10], -v[30:31]
	v_fma_f64 v[30:31], v[32:33], s[54:55], v[36:37]
	v_fma_f64 v[30:31], v[9:10], s[22:23], v[30:31]
	v_add_f64 v[9:10], v[34:35], v[30:31]
	v_add_f64 v[32:33], v[9:10], -v[34:35]
	v_add_f64 v[38:39], v[30:31], -v[32:33]
	s_andn2_saveexec_b64 s[70:71], s[70:71]
	s_cbranch_execz .LBB99_63
	s_branch .LBB99_62
.LBB99_61:                              ;   in Loop: Header=BB99_4 Depth=1
	s_andn2_saveexec_b64 s[70:71], s[70:71]
	s_cbranch_execz .LBB99_63
.LBB99_62:                              ;   in Loop: Header=BB99_4 Depth=1
	v_mul_f64 v[9:10], |v[17:18]|, s[24:25]
	s_mov_b32 s26, s52
	v_rndne_f64_e32 v[30:31], v[9:10]
	v_fma_f64 v[9:10], v[30:31], s[50:51], |v[17:18]|
	v_mul_f64 v[32:33], v[30:31], s[52:53]
	v_cvt_i32_f64_e32 v40, v[30:31]
	v_fma_f64 v[38:39], v[30:31], s[52:53], v[9:10]
	v_add_f64 v[34:35], v[9:10], v[32:33]
	v_add_f64 v[36:37], v[9:10], -v[34:35]
	v_add_f64 v[34:35], v[34:35], -v[38:39]
	v_add_f64 v[9:10], v[36:37], v[32:33]
	v_fma_f64 v[32:33], v[30:31], s[26:27], v[32:33]
	v_add_f64 v[9:10], v[34:35], v[9:10]
	v_add_f64 v[9:10], v[9:10], -v[32:33]
	v_fma_f64 v[32:33], v[30:31], s[28:29], v[9:10]
	v_add_f64 v[9:10], v[38:39], v[32:33]
	v_add_f64 v[34:35], v[9:10], -v[38:39]
	v_add_f64 v[38:39], v[32:33], -v[34:35]
.LBB99_63:                              ;   in Loop: Header=BB99_4 Depth=1
	s_or_b64 exec, exec, s[70:71]
                                        ; implicit-def: $vgpr11
                                        ; implicit-def: $vgpr30_vgpr31
                                        ; implicit-def: $vgpr32_vgpr33
	s_and_saveexec_b64 s[70:71], s[68:69]
	s_xor_b64 s[68:69], exec, s[70:71]
	s_cbranch_execz .LBB99_65
; %bb.64:                               ;   in Loop: Header=BB99_4 Depth=1
	v_trig_preop_f64 v[30:31], |v[17:18]|, 0
	v_ldexp_f64 v[32:33], |v[17:18]|, s79
	v_cmp_ge_f64_e64 vcc, |v[17:18]|, s[46:47]
	v_trig_preop_f64 v[34:35], |v[17:18]|, 1
	v_and_b32_e32 v11, 0x7fffffff, v18
	v_trig_preop_f64 v[62:63], |v[17:18]|, 2
	s_mov_b32 s22, s50
	s_mov_b32 s55, s27
	v_cndmask_b32_e32 v33, v11, v33, vcc
	v_cndmask_b32_e32 v32, v17, v32, vcc
	v_mul_f64 v[36:37], v[30:31], v[32:33]
	v_mul_f64 v[58:59], v[34:35], v[32:33]
	;; [unrolled: 1-line block ×3, first 2 shown]
	v_fma_f64 v[30:31], v[30:31], v[32:33], -v[36:37]
	v_fma_f64 v[34:35], v[34:35], v[32:33], -v[58:59]
	;; [unrolled: 1-line block ×3, first 2 shown]
	v_add_f64 v[60:61], v[58:59], v[30:31]
	v_add_f64 v[64:65], v[60:61], -v[58:59]
	v_add_f64 v[70:71], v[36:37], v[60:61]
	v_add_f64 v[66:67], v[60:61], -v[64:65]
	v_add_f64 v[30:31], v[30:31], -v[64:65]
	v_add_f64 v[64:65], v[68:69], v[34:35]
	v_add_f64 v[36:37], v[70:71], -v[36:37]
	v_add_f64 v[58:59], v[58:59], -v[66:67]
	v_ldexp_f64 v[66:67], v[70:71], -2
	v_add_f64 v[72:73], v[64:65], -v[68:69]
	v_add_f64 v[36:37], v[60:61], -v[36:37]
	v_add_f64 v[30:31], v[30:31], v[58:59]
	v_fract_f64_e32 v[58:59], v[66:67]
	v_cmp_neq_f64_e64 vcc, |v[66:67]|, s[48:49]
	v_add_f64 v[34:35], v[34:35], -v[72:73]
	v_add_f64 v[60:61], v[64:65], v[30:31]
	v_ldexp_f64 v[58:59], v[58:59], 2
	v_add_f64 v[66:67], v[36:37], v[60:61]
	v_cndmask_b32_e32 v59, 0, v59, vcc
	v_cndmask_b32_e32 v58, 0, v58, vcc
	v_add_f64 v[74:75], v[60:61], -v[64:65]
	v_add_f64 v[70:71], v[66:67], v[58:59]
	v_add_f64 v[36:37], v[66:67], -v[36:37]
	v_add_f64 v[76:77], v[60:61], -v[74:75]
	;; [unrolled: 1-line block ×3, first 2 shown]
	v_cmp_gt_f64_e32 vcc, 0, v[70:71]
	v_add_f64 v[70:71], v[64:65], -v[72:73]
	v_add_f64 v[36:37], v[60:61], -v[36:37]
	;; [unrolled: 1-line block ×3, first 2 shown]
	v_cndmask_b32_e32 v22, 0, v52, vcc
	v_add_f64 v[58:59], v[58:59], v[21:22]
	v_add_f64 v[70:71], v[68:69], -v[70:71]
	v_add_f64 v[30:31], v[30:31], v[64:65]
	v_add_f64 v[78:79], v[66:67], v[58:59]
	v_add_f64 v[34:35], v[34:35], v[70:71]
	v_cvt_i32_f64_e32 v11, v[78:79]
	v_add_f64 v[30:31], v[34:35], v[30:31]
	v_cvt_f64_i32_e32 v[72:73], v11
	v_add_f64 v[58:59], v[58:59], -v[72:73]
	v_add_f64 v[30:31], v[32:33], v[30:31]
	v_add_f64 v[34:35], v[66:67], v[58:59]
	;; [unrolled: 1-line block ×3, first 2 shown]
	v_add_f64 v[32:33], v[34:35], -v[58:59]
	v_cmp_le_f64_e32 vcc, 0.5, v[34:35]
	v_add_f64 v[32:33], v[66:67], -v[32:33]
	v_cndmask_b32_e32 v22, 0, v53, vcc
	v_addc_co_u32_e32 v11, vcc, 0, v11, vcc
	v_add_f64 v[30:31], v[30:31], v[32:33]
	v_add_f64 v[32:33], v[34:35], -v[21:22]
	v_add_f64 v[34:35], v[32:33], v[30:31]
	v_mul_f64 v[36:37], v[34:35], s[22:23]
	v_add_f64 v[32:33], v[34:35], -v[32:33]
	v_fma_f64 v[58:59], v[34:35], s[22:23], -v[36:37]
	v_add_f64 v[30:31], v[30:31], -v[32:33]
	v_fma_f64 v[32:33], v[34:35], s[54:55], v[58:59]
	v_fma_f64 v[32:33], v[30:31], s[22:23], v[32:33]
	v_add_f64 v[30:31], v[36:37], v[32:33]
	v_add_f64 v[34:35], v[30:31], -v[36:37]
	v_add_f64 v[32:33], v[32:33], -v[34:35]
	s_andn2_saveexec_b64 s[68:69], s[68:69]
	s_cbranch_execnz .LBB99_66
	s_branch .LBB99_67
.LBB99_65:                              ;   in Loop: Header=BB99_4 Depth=1
	s_andn2_saveexec_b64 s[68:69], s[68:69]
	s_cbranch_execz .LBB99_67
.LBB99_66:                              ;   in Loop: Header=BB99_4 Depth=1
	v_mul_f64 v[30:31], |v[17:18]|, s[24:25]
	s_mov_b32 s26, s52
	v_rndne_f64_e32 v[34:35], v[30:31]
	v_fma_f64 v[30:31], v[34:35], s[50:51], |v[17:18]|
	v_mul_f64 v[32:33], v[34:35], s[52:53]
	v_cvt_i32_f64_e32 v11, v[34:35]
	v_fma_f64 v[60:61], v[34:35], s[52:53], v[30:31]
	v_add_f64 v[36:37], v[30:31], v[32:33]
	v_add_f64 v[58:59], v[30:31], -v[36:37]
	v_add_f64 v[36:37], v[36:37], -v[60:61]
	v_add_f64 v[30:31], v[58:59], v[32:33]
	v_fma_f64 v[32:33], v[34:35], s[26:27], v[32:33]
	v_add_f64 v[30:31], v[36:37], v[30:31]
	v_add_f64 v[30:31], v[30:31], -v[32:33]
	v_fma_f64 v[32:33], v[34:35], s[28:29], v[30:31]
	v_add_f64 v[30:31], v[60:61], v[32:33]
	v_add_f64 v[36:37], v[30:31], -v[60:61]
	v_add_f64 v[32:33], v[32:33], -v[36:37]
.LBB99_67:                              ;   in Loop: Header=BB99_4 Depth=1
	s_or_b64 exec, exec, s[68:69]
	v_mul_f64 v[58:59], v[9:10], v[9:10]
	v_mul_f64 v[66:67], v[38:39], 0.5
	s_mov_b32 s12, s14
	v_and_b32_e32 v17, 1, v40
	v_cmp_eq_u32_e32 vcc, 0, v17
	v_lshlrev_b32_e32 v17, 30, v40
	v_xor_b32_e32 v17, v17, v18
	v_and_b32_e32 v17, 0x80000000, v17
	v_mul_f64 v[34:35], v[58:59], 0.5
	v_mul_f64 v[62:63], v[58:59], v[58:59]
	s_mov_b32 s68, 0x3b39803f
	s_mov_b32 s69, 0xbc7abc9e
	;; [unrolled: 1-line block ×4, first 2 shown]
	v_bfi_b32 v22, s75, v53, v12
	v_add_f64 v[60:61], -v[34:35], 1.0
	v_add_f64 v[36:37], -v[60:61], 1.0
	v_add_f64 v[34:35], v[36:37], -v[34:35]
	v_mov_b32_e32 v36, s82
	v_mov_b32_e32 v37, s83
	v_fma_f64 v[64:65], v[58:59], s[84:85], v[36:37]
	v_fma_f64 v[34:35], v[9:10], -v[38:39], v[34:35]
	v_fma_f64 v[64:65], v[58:59], v[64:65], s[86:87]
	v_fma_f64 v[64:65], v[58:59], v[64:65], s[88:89]
	v_fma_f64 v[64:65], v[58:59], v[64:65], s[90:91]
	v_fma_f64 v[64:65], v[58:59], v[64:65], s[14:15]
	v_fma_f64 v[34:35], v[62:63], v[64:65], v[34:35]
	v_mul_f64 v[64:65], v[9:10], -v[58:59]
	v_add_f64 v[60:61], v[60:61], v[34:35]
	v_mov_b32_e32 v34, s94
	v_mov_b32_e32 v35, s95
	v_fma_f64 v[62:63], v[58:59], s[30:31], v[34:35]
	v_fma_f64 v[62:63], v[58:59], v[62:63], s[34:35]
	;; [unrolled: 1-line block ×5, first 2 shown]
	v_fma_f64 v[38:39], v[58:59], v[62:63], -v[38:39]
	v_fma_f64 v[38:39], v[64:65], s[12:13], v[38:39]
	v_add_f64 v[9:10], v[9:10], -v[38:39]
	v_cndmask_b32_e32 v10, v61, v10, vcc
	v_xor_b32_e32 v10, v10, v17
	v_mul_f64 v[17:18], |v[19:20]|, s[62:63]
	v_cndmask_b32_e32 v9, v60, v9, vcc
	v_mul_f64 v[9:10], v[9:10], 4.0
	v_rndne_f64_e32 v[17:18], v[17:18]
	v_fma_f64 v[38:39], v[17:18], s[64:65], -|v[19:20]|
	v_fma_f64 v[38:39], v[17:18], s[68:69], v[38:39]
	s_mov_b32 s68, 0x6a5dcb37
	s_mov_b32 s69, 0x3e5ade15
	v_cvt_i32_f64_e32 v17, v[17:18]
	v_fma_f64 v[40:41], v[38:39], s[68:69], v[28:29]
	s_mov_b32 s68, 0x623fde64
	s_mov_b32 s69, 0x3ec71dee
	v_fma_f64 v[40:41], v[38:39], v[40:41], s[68:69]
	s_mov_b32 s68, 0x7c89e6b0
	s_mov_b32 s69, 0x3efa0199
	;; [unrolled: 3-line block ×5, first 2 shown]
	v_fma_f64 v[40:41], v[38:39], v[40:41], s[38:39]
	v_fma_f64 v[40:41], v[38:39], v[40:41], s[92:93]
	;; [unrolled: 1-line block ×3, first 2 shown]
	s_mov_b32 s68, 11
	s_mov_b32 s69, 0x3fe00000
	v_fma_f64 v[40:41], v[38:39], v[40:41], s[68:69]
	s_mov_b32 s68, 0
	s_mov_b32 s69, 0x4090cc00
	v_cmp_ngt_f64_e64 vcc, |v[19:20]|, s[68:69]
	v_mul_f64 v[19:20], v[30:31], v[30:31]
	v_fma_f64 v[40:41], v[38:39], v[40:41], 1.0
	v_fma_f64 v[36:37], v[19:20], s[84:85], v[36:37]
	v_fma_f64 v[34:35], v[19:20], s[30:31], v[34:35]
	v_fma_f64 v[38:39], v[38:39], v[40:41], 1.0
	v_fma_f64 v[36:37], v[19:20], v[36:37], s[86:87]
	v_fma_f64 v[34:35], v[19:20], v[34:35], s[34:35]
	v_ldexp_f64 v[17:18], v[38:39], v17
	v_mul_f64 v[38:39], v[19:20], 0.5
	v_fma_f64 v[36:37], v[19:20], v[36:37], s[88:89]
	v_fma_f64 v[34:35], v[19:20], v[34:35], s[36:37]
	v_cndmask_b32_e32 v18, 0, v18, vcc
	v_add_f64 v[40:41], -v[38:39], 1.0
	v_cndmask_b32_e32 v17, 0, v17, vcc
	v_fma_f64 v[36:37], v[19:20], v[36:37], s[90:91]
	v_fma_f64 v[34:35], v[19:20], v[34:35], s[80:81]
	v_add_f64 v[58:59], -v[40:41], 1.0
	v_fma_f64 v[36:37], v[19:20], v[36:37], s[14:15]
	v_add_f64 v[38:39], v[58:59], -v[38:39]
	v_mul_f64 v[58:59], v[19:20], v[19:20]
	v_fma_f64 v[38:39], v[30:31], -v[32:33], v[38:39]
	v_fma_f64 v[36:37], v[58:59], v[36:37], v[38:39]
	v_mul_f64 v[38:39], v[30:31], -v[19:20]
	v_add_f64 v[36:37], v[40:41], v[36:37]
	v_mul_f64 v[40:41], v[32:33], 0.5
	v_fma_f64 v[34:35], v[38:39], v[34:35], v[40:41]
	v_fma_f64 v[19:20], v[19:20], v[34:35], -v[32:33]
	v_fma_f64 v[19:20], v[38:39], s[12:13], v[19:20]
	v_add_f64 v[19:20], v[30:31], -v[19:20]
	v_xor_b32_e32 v12, 0x80000000, v20
	v_and_b32_e32 v20, 1, v11
	v_cmp_eq_u32_e32 vcc, 0, v20
	v_lshlrev_b32_e32 v11, 30, v11
	v_cndmask_b32_e32 v12, v12, v37, vcc
	v_and_b32_e32 v11, 0x80000000, v11
	v_cndmask_b32_e32 v19, v19, v36, vcc
	v_xor_b32_e32 v20, v12, v11
	v_mul_f64 v[9:10], v[9:10], v[19:20]
	v_mov_b32_e32 v11, v21
	v_mov_b32_e32 v12, v22
	v_mul_f64 v[9:10], v[17:18], v[9:10]
	v_mul_f64 v[9:10], v[17:18], v[9:10]
.LBB99_68:                              ;   in Loop: Header=BB99_4 Depth=1
	s_or_b64 exec, exec, s[10:11]
                                        ; implicit-def: $vgpr17_vgpr18
.LBB99_69:                              ;   in Loop: Header=BB99_4 Depth=1
	s_andn2_saveexec_b64 s[10:11], s[66:67]
	s_cbranch_execz .LBB99_71
; %bb.70:                               ;   in Loop: Header=BB99_4 Depth=1
	v_add_f64 v[9:10], v[17:18], -v[17:18]
	v_mov_b32_e32 v12, v10
	v_mov_b32_e32 v11, v9
.LBB99_71:                              ;   in Loop: Header=BB99_4 Depth=1
	s_or_b64 exec, exec, s[10:11]
                                        ; implicit-def: $vgpr17_vgpr18
.LBB99_72:                              ;   in Loop: Header=BB99_4 Depth=1
	s_andn2_saveexec_b64 s[60:61], s[60:61]
	s_cbranch_execz .LBB99_88
; %bb.73:                               ;   in Loop: Header=BB99_4 Depth=1
	v_and_or_b32 v9, v12, s78, v11
	v_cmp_ne_u32_e32 vcc, 0, v9
	s_and_saveexec_b64 s[10:11], vcc
	s_xor_b64 s[10:11], exec, s[10:11]
	s_cbranch_execz .LBB99_75
; %bb.74:                               ;   in Loop: Header=BB99_4 Depth=1
	v_mul_f64 v[9:10], v[17:18], -v[19:20]
	v_cmp_eq_f64_e32 vcc, 0, v[17:18]
	v_cndmask_b32_e32 v10, v10, v18, vcc
	v_cndmask_b32_e32 v9, v9, v17, vcc
                                        ; implicit-def: $vgpr17_vgpr18
.LBB99_75:                              ;   in Loop: Header=BB99_4 Depth=1
	s_andn2_saveexec_b64 s[66:67], s[10:11]
	s_cbranch_execz .LBB99_87
; %bb.76:                               ;   in Loop: Header=BB99_4 Depth=1
	v_cmp_neq_f64_e64 s[10:11], |v[17:18]|, s[48:49]
	s_and_saveexec_b64 s[68:69], s[10:11]
	s_cbranch_execz .LBB99_86
; %bb.77:                               ;   in Loop: Header=BB99_4 Depth=1
	v_trig_preop_f64 v[38:39], |v[17:18]|, 0
	v_trig_preop_f64 v[36:37], |v[17:18]|, 1
	v_trig_preop_f64 v[9:10], |v[17:18]|, 2
	v_cmp_nlt_f64_e64 s[10:11], |v[17:18]|, s[44:45]
	v_ldexp_f64 v[40:41], |v[17:18]|, s79
	v_and_b32_e32 v59, 0x7fffffff, v18
                                        ; implicit-def: $vgpr58
                                        ; implicit-def: $vgpr32_vgpr33
                                        ; implicit-def: $vgpr34_vgpr35
	s_and_saveexec_b64 s[70:71], s[10:11]
	s_xor_b64 s[70:71], exec, s[70:71]
	s_cbranch_execz .LBB99_79
; %bb.78:                               ;   in Loop: Header=BB99_4 Depth=1
	v_cmp_ge_f64_e64 vcc, |v[17:18]|, s[46:47]
	s_mov_b32 s22, s50
	s_mov_b32 s55, s27
	v_cndmask_b32_e32 v20, v59, v41, vcc
	v_cndmask_b32_e32 v19, v17, v40, vcc
	v_mul_f64 v[30:31], v[38:39], v[19:20]
	v_mul_f64 v[32:33], v[36:37], v[19:20]
	;; [unrolled: 1-line block ×3, first 2 shown]
	v_fma_f64 v[34:35], v[38:39], v[19:20], -v[30:31]
	v_fma_f64 v[68:69], v[36:37], v[19:20], -v[32:33]
	;; [unrolled: 1-line block ×3, first 2 shown]
	v_add_f64 v[60:61], v[32:33], v[34:35]
	v_add_f64 v[62:63], v[60:61], -v[32:33]
	v_add_f64 v[70:71], v[30:31], v[60:61]
	v_add_f64 v[64:65], v[60:61], -v[62:63]
	v_add_f64 v[34:35], v[34:35], -v[62:63]
	v_add_f64 v[62:63], v[66:67], v[68:69]
	v_add_f64 v[30:31], v[70:71], -v[30:31]
	v_add_f64 v[32:33], v[32:33], -v[64:65]
	v_ldexp_f64 v[64:65], v[70:71], -2
	v_add_f64 v[72:73], v[62:63], -v[66:67]
	v_add_f64 v[30:31], v[60:61], -v[30:31]
	v_add_f64 v[32:33], v[34:35], v[32:33]
	v_fract_f64_e32 v[34:35], v[64:65]
	v_cmp_neq_f64_e64 vcc, |v[64:65]|, s[48:49]
	v_add_f64 v[68:69], v[68:69], -v[72:73]
	v_add_f64 v[60:61], v[62:63], v[32:33]
	v_ldexp_f64 v[34:35], v[34:35], 2
	v_add_f64 v[64:65], v[30:31], v[60:61]
	v_cndmask_b32_e32 v35, 0, v35, vcc
	v_cndmask_b32_e32 v34, 0, v34, vcc
	v_add_f64 v[74:75], v[60:61], -v[62:63]
	v_add_f64 v[70:71], v[64:65], v[34:35]
	v_add_f64 v[30:31], v[64:65], -v[30:31]
	v_add_f64 v[76:77], v[60:61], -v[74:75]
	;; [unrolled: 1-line block ×3, first 2 shown]
	v_cmp_gt_f64_e32 vcc, 0, v[70:71]
	v_add_f64 v[70:71], v[62:63], -v[72:73]
	v_add_f64 v[30:31], v[60:61], -v[30:31]
	;; [unrolled: 1-line block ×3, first 2 shown]
	v_cndmask_b32_e32 v22, 0, v52, vcc
	v_add_f64 v[34:35], v[34:35], v[21:22]
	v_add_f64 v[70:71], v[66:67], -v[70:71]
	v_add_f64 v[32:33], v[32:33], v[62:63]
	v_add_f64 v[78:79], v[64:65], v[34:35]
	;; [unrolled: 1-line block ×3, first 2 shown]
	v_cvt_i32_f64_e32 v58, v[78:79]
	v_add_f64 v[32:33], v[68:69], v[32:33]
	v_cvt_f64_i32_e32 v[72:73], v58
	v_add_f64 v[34:35], v[34:35], -v[72:73]
	v_add_f64 v[19:20], v[19:20], v[32:33]
	v_add_f64 v[62:63], v[64:65], v[34:35]
	;; [unrolled: 1-line block ×3, first 2 shown]
	v_add_f64 v[32:33], v[62:63], -v[34:35]
	v_cmp_le_f64_e32 vcc, 0.5, v[62:63]
	v_add_f64 v[30:31], v[64:65], -v[32:33]
	v_cndmask_b32_e32 v22, 0, v53, vcc
	v_addc_co_u32_e32 v58, vcc, 0, v58, vcc
	v_add_f64 v[19:20], v[19:20], v[30:31]
	v_add_f64 v[30:31], v[62:63], -v[21:22]
	v_add_f64 v[32:33], v[30:31], v[19:20]
	v_mul_f64 v[34:35], v[32:33], s[22:23]
	v_add_f64 v[30:31], v[32:33], -v[30:31]
	v_fma_f64 v[60:61], v[32:33], s[22:23], -v[34:35]
	v_add_f64 v[19:20], v[19:20], -v[30:31]
	v_fma_f64 v[30:31], v[32:33], s[54:55], v[60:61]
	v_fma_f64 v[19:20], v[19:20], s[22:23], v[30:31]
	v_add_f64 v[32:33], v[34:35], v[19:20]
	v_add_f64 v[30:31], v[32:33], -v[34:35]
	v_add_f64 v[34:35], v[19:20], -v[30:31]
	s_andn2_saveexec_b64 s[70:71], s[70:71]
	s_cbranch_execz .LBB99_81
	s_branch .LBB99_80
.LBB99_79:                              ;   in Loop: Header=BB99_4 Depth=1
	s_andn2_saveexec_b64 s[70:71], s[70:71]
	s_cbranch_execz .LBB99_81
.LBB99_80:                              ;   in Loop: Header=BB99_4 Depth=1
	v_mul_f64 v[19:20], |v[17:18]|, s[24:25]
	s_mov_b32 s26, s52
	v_rndne_f64_e32 v[19:20], v[19:20]
	v_fma_f64 v[30:31], v[19:20], s[50:51], |v[17:18]|
	v_mul_f64 v[32:33], v[19:20], s[52:53]
	v_cvt_i32_f64_e32 v58, v[19:20]
	v_add_f64 v[34:35], v[30:31], v[32:33]
	v_add_f64 v[60:61], v[30:31], -v[34:35]
	v_fma_f64 v[30:31], v[19:20], s[52:53], v[30:31]
	v_add_f64 v[60:61], v[60:61], v[32:33]
	v_add_f64 v[34:35], v[34:35], -v[30:31]
	v_fma_f64 v[32:33], v[19:20], s[26:27], v[32:33]
	;; [unrolled: 3-line block ×3, first 2 shown]
	v_add_f64 v[32:33], v[30:31], v[34:35]
	v_add_f64 v[30:31], v[32:33], -v[30:31]
	v_add_f64 v[34:35], v[34:35], -v[30:31]
.LBB99_81:                              ;   in Loop: Header=BB99_4 Depth=1
	s_or_b64 exec, exec, s[70:71]
                                        ; implicit-def: $vgpr22
                                        ; implicit-def: $vgpr19_vgpr20
                                        ; implicit-def: $vgpr30_vgpr31
	s_and_saveexec_b64 s[70:71], s[10:11]
	s_xor_b64 s[10:11], exec, s[70:71]
	s_cbranch_execz .LBB99_83
; %bb.82:                               ;   in Loop: Header=BB99_4 Depth=1
	v_cmp_ge_f64_e64 vcc, |v[17:18]|, s[46:47]
	s_mov_b32 s22, s50
	s_mov_b32 s55, s27
	v_cndmask_b32_e32 v20, v59, v41, vcc
	v_cndmask_b32_e32 v19, v17, v40, vcc
	v_mul_f64 v[30:31], v[38:39], v[19:20]
	v_mul_f64 v[40:41], v[36:37], v[19:20]
	;; [unrolled: 1-line block ×3, first 2 shown]
	v_fma_f64 v[38:39], v[38:39], v[19:20], -v[30:31]
	v_fma_f64 v[36:37], v[36:37], v[19:20], -v[40:41]
	;; [unrolled: 1-line block ×3, first 2 shown]
	v_add_f64 v[59:60], v[40:41], v[38:39]
	v_add_f64 v[61:62], v[59:60], -v[40:41]
	v_add_f64 v[67:68], v[30:31], v[59:60]
	v_add_f64 v[63:64], v[59:60], -v[61:62]
	v_add_f64 v[38:39], v[38:39], -v[61:62]
	v_add_f64 v[61:62], v[65:66], v[36:37]
	v_add_f64 v[30:31], v[67:68], -v[30:31]
	v_add_f64 v[40:41], v[40:41], -v[63:64]
	v_ldexp_f64 v[63:64], v[67:68], -2
	v_add_f64 v[69:70], v[61:62], -v[65:66]
	v_add_f64 v[30:31], v[59:60], -v[30:31]
	v_add_f64 v[38:39], v[38:39], v[40:41]
	v_fract_f64_e32 v[40:41], v[63:64]
	v_cmp_neq_f64_e64 vcc, |v[63:64]|, s[48:49]
	v_add_f64 v[36:37], v[36:37], -v[69:70]
	v_add_f64 v[59:60], v[61:62], v[38:39]
	v_ldexp_f64 v[40:41], v[40:41], 2
	v_add_f64 v[63:64], v[30:31], v[59:60]
	v_cndmask_b32_e32 v41, 0, v41, vcc
	v_cndmask_b32_e32 v40, 0, v40, vcc
	v_add_f64 v[71:72], v[59:60], -v[61:62]
	v_add_f64 v[67:68], v[63:64], v[40:41]
	v_add_f64 v[19:20], v[63:64], -v[30:31]
	v_add_f64 v[73:74], v[59:60], -v[71:72]
	;; [unrolled: 1-line block ×3, first 2 shown]
	v_cmp_gt_f64_e32 vcc, 0, v[67:68]
	v_add_f64 v[67:68], v[61:62], -v[69:70]
	v_add_f64 v[19:20], v[59:60], -v[19:20]
	;; [unrolled: 1-line block ×3, first 2 shown]
	v_cndmask_b32_e32 v22, 0, v52, vcc
	v_add_f64 v[40:41], v[40:41], v[21:22]
	v_add_f64 v[67:68], v[65:66], -v[67:68]
	v_add_f64 v[38:39], v[38:39], v[61:62]
	v_add_f64 v[75:76], v[63:64], v[40:41]
	v_add_f64 v[36:37], v[36:37], v[67:68]
	v_cvt_i32_f64_e32 v71, v[75:76]
	v_add_f64 v[30:31], v[36:37], v[38:39]
	v_cvt_f64_i32_e32 v[69:70], v71
	v_add_f64 v[40:41], v[40:41], -v[69:70]
	v_add_f64 v[9:10], v[9:10], v[30:31]
	v_add_f64 v[36:37], v[63:64], v[40:41]
	v_add_f64 v[9:10], v[19:20], v[9:10]
	v_add_f64 v[30:31], v[36:37], -v[40:41]
	v_cmp_le_f64_e32 vcc, 0.5, v[36:37]
	v_add_f64 v[19:20], v[63:64], -v[30:31]
	v_cndmask_b32_e32 v22, 0, v53, vcc
	v_add_f64 v[9:10], v[9:10], v[19:20]
	v_add_f64 v[19:20], v[36:37], -v[21:22]
	v_addc_co_u32_e32 v22, vcc, 0, v71, vcc
	v_add_f64 v[30:31], v[19:20], v[9:10]
	v_mul_f64 v[36:37], v[30:31], s[22:23]
	v_add_f64 v[19:20], v[30:31], -v[19:20]
	v_fma_f64 v[38:39], v[30:31], s[22:23], -v[36:37]
	v_add_f64 v[9:10], v[9:10], -v[19:20]
	v_fma_f64 v[19:20], v[30:31], s[54:55], v[38:39]
	v_fma_f64 v[9:10], v[9:10], s[22:23], v[19:20]
	v_add_f64 v[19:20], v[36:37], v[9:10]
	v_add_f64 v[30:31], v[19:20], -v[36:37]
	v_add_f64 v[30:31], v[9:10], -v[30:31]
	s_andn2_saveexec_b64 s[10:11], s[10:11]
	s_cbranch_execnz .LBB99_84
	s_branch .LBB99_85
.LBB99_83:                              ;   in Loop: Header=BB99_4 Depth=1
	s_andn2_saveexec_b64 s[10:11], s[10:11]
	s_cbranch_execz .LBB99_85
.LBB99_84:                              ;   in Loop: Header=BB99_4 Depth=1
	v_mul_f64 v[9:10], |v[17:18]|, s[24:25]
	s_mov_b32 s26, s52
	v_rndne_f64_e32 v[9:10], v[9:10]
	v_fma_f64 v[19:20], v[9:10], s[50:51], |v[17:18]|
	v_mul_f64 v[30:31], v[9:10], s[52:53]
	v_cvt_i32_f64_e32 v22, v[9:10]
	v_fma_f64 v[40:41], v[9:10], s[52:53], v[19:20]
	v_add_f64 v[36:37], v[19:20], v[30:31]
	v_add_f64 v[38:39], v[19:20], -v[36:37]
	v_add_f64 v[36:37], v[36:37], -v[40:41]
	v_add_f64 v[19:20], v[38:39], v[30:31]
	v_fma_f64 v[30:31], v[9:10], s[26:27], v[30:31]
	v_add_f64 v[19:20], v[36:37], v[19:20]
	v_add_f64 v[19:20], v[19:20], -v[30:31]
	v_fma_f64 v[30:31], v[9:10], s[28:29], v[19:20]
	v_add_f64 v[19:20], v[40:41], v[30:31]
	v_add_f64 v[36:37], v[19:20], -v[40:41]
	v_add_f64 v[30:31], v[30:31], -v[36:37]
.LBB99_85:                              ;   in Loop: Header=BB99_4 Depth=1
	s_or_b64 exec, exec, s[10:11]
	v_mul_f64 v[9:10], v[32:33], v[32:33]
	v_mov_b32_e32 v59, s82
	v_mov_b32_e32 v60, s83
	v_mul_f64 v[63:64], v[34:35], 0.5
	s_mov_b32 s12, s14
	v_mul_f64 v[36:37], v[9:10], 0.5
	v_fma_f64 v[61:62], v[9:10], s[84:85], v[59:60]
	v_add_f64 v[38:39], -v[36:37], 1.0
	v_fma_f64 v[61:62], v[9:10], v[61:62], s[86:87]
	v_add_f64 v[40:41], -v[38:39], 1.0
	v_fma_f64 v[61:62], v[9:10], v[61:62], s[88:89]
	v_add_f64 v[36:37], v[40:41], -v[36:37]
	v_fma_f64 v[61:62], v[9:10], v[61:62], s[90:91]
	v_mul_f64 v[40:41], v[9:10], v[9:10]
	v_fma_f64 v[36:37], v[32:33], -v[34:35], v[36:37]
	v_fma_f64 v[61:62], v[9:10], v[61:62], s[14:15]
	v_fma_f64 v[36:37], v[40:41], v[61:62], v[36:37]
	v_mul_f64 v[61:62], v[32:33], -v[9:10]
	v_add_f64 v[36:37], v[38:39], v[36:37]
	v_mov_b32_e32 v38, s94
	v_mov_b32_e32 v39, s95
	v_fma_f64 v[40:41], v[9:10], s[30:31], v[38:39]
	v_fma_f64 v[40:41], v[9:10], v[40:41], s[34:35]
	;; [unrolled: 1-line block ×5, first 2 shown]
	v_fma_f64 v[9:10], v[9:10], v[40:41], -v[34:35]
	v_fma_f64 v[9:10], v[61:62], s[12:13], v[9:10]
	v_add_f64 v[9:10], v[32:33], -v[9:10]
	v_and_b32_e32 v32, 1, v58
	v_cmp_eq_u32_e32 vcc, 0, v32
	v_lshlrev_b32_e32 v32, 30, v58
	v_xor_b32_e32 v32, v32, v18
	v_and_b32_e32 v32, 0x80000000, v32
	v_cndmask_b32_e32 v9, v36, v9, vcc
	v_cndmask_b32_e32 v10, v37, v10, vcc
	v_cmp_class_f64_e64 vcc, v[17:18], s77
	v_mul_f64 v[17:18], v[19:20], v[19:20]
	v_xor_b32_e32 v10, v10, v32
	v_cndmask_b32_e32 v9, 0, v9, vcc
	v_mul_f64 v[32:33], v[17:18], 0.5
	v_fma_f64 v[40:41], v[17:18], s[84:85], v[59:60]
	v_cndmask_b32_e32 v10, v57, v10, vcc
	v_add_f64 v[34:35], -v[32:33], 1.0
	v_fma_f64 v[40:41], v[17:18], v[40:41], s[86:87]
	v_add_f64 v[36:37], -v[34:35], 1.0
	v_fma_f64 v[40:41], v[17:18], v[40:41], s[88:89]
	v_add_f64 v[32:33], v[36:37], -v[32:33]
	v_fma_f64 v[40:41], v[17:18], v[40:41], s[90:91]
	v_mul_f64 v[36:37], v[17:18], v[17:18]
	v_fma_f64 v[32:33], v[19:20], -v[30:31], v[32:33]
	v_fma_f64 v[40:41], v[17:18], v[40:41], s[14:15]
	v_fma_f64 v[32:33], v[36:37], v[40:41], v[32:33]
	v_mul_f64 v[36:37], v[19:20], -v[17:18]
	v_add_f64 v[32:33], v[34:35], v[32:33]
	v_fma_f64 v[34:35], v[17:18], s[30:31], v[38:39]
	v_mul_f64 v[38:39], v[30:31], 0.5
	v_fma_f64 v[34:35], v[17:18], v[34:35], s[34:35]
	v_fma_f64 v[34:35], v[17:18], v[34:35], s[36:37]
	;; [unrolled: 1-line block ×4, first 2 shown]
	v_fma_f64 v[17:18], v[17:18], v[34:35], -v[30:31]
	v_fma_f64 v[17:18], v[36:37], s[12:13], v[17:18]
	v_add_f64 v[17:18], v[19:20], -v[17:18]
	v_and_b32_e32 v19, 1, v22
	v_cmp_eq_u32_e64 s[10:11], 0, v19
	v_lshlrev_b32_e32 v19, 30, v22
	v_and_b32_e32 v19, 0x80000000, v19
	v_xor_b32_e32 v18, 0x80000000, v18
	v_cndmask_b32_e64 v18, v18, v33, s[10:11]
	v_cndmask_b32_e64 v17, v17, v32, s[10:11]
	v_xor_b32_e32 v18, v18, v19
	v_cndmask_b32_e32 v17, 0, v17, vcc
	v_cndmask_b32_e32 v18, v57, v18, vcc
	v_mul_f64 v[17:18], v[9:10], v[17:18]
.LBB99_86:                              ;   in Loop: Header=BB99_4 Depth=1
	s_or_b64 exec, exec, s[68:69]
	v_bfi_b32 v22, s75, 0, v18
	v_mov_b32_e32 v9, v21
	v_add_u32_e32 v12, -2.0, v12
	v_mov_b32_e32 v10, v22
.LBB99_87:                              ;   in Loop: Header=BB99_4 Depth=1
	s_or_b64 exec, exec, s[66:67]
.LBB99_88:                              ;   in Loop: Header=BB99_4 Depth=1
	s_or_b64 exec, exec, s[60:61]
	v_xor_b32_e32 v20, 0x80000000, v16
	v_and_b32_e32 v17, 0x7fffffff, v20
	v_mov_b32_e32 v19, v15
	v_cmp_gt_u32_e32 vcc, s76, v17
	s_and_saveexec_b64 s[10:11], vcc
	s_xor_b64 s[60:61], exec, s[10:11]
	s_cbranch_execz .LBB99_110
; %bb.89:                               ;   in Loop: Header=BB99_4 Depth=1
	v_cmp_class_f64_e64 s[10:11], v[13:14], s77
	s_and_saveexec_b64 s[66:67], s[10:11]
	s_xor_b64 s[66:67], exec, s[66:67]
	s_cbranch_execz .LBB99_107
; %bb.90:                               ;   in Loop: Header=BB99_4 Depth=1
	s_mov_b32 s10, 0x40360000
	v_cmp_gt_u32_e32 vcc, s10, v17
	s_and_saveexec_b64 s[10:11], vcc
	s_xor_b64 s[68:69], exec, s[10:11]
	s_cbranch_execz .LBB99_96
; %bb.91:                               ;   in Loop: Header=BB99_4 Depth=1
	v_cmp_nlt_f64_e64 s[10:11], |v[13:14]|, s[44:45]
                                        ; implicit-def: $vgpr19
                                        ; implicit-def: $vgpr17_vgpr18
                                        ; implicit-def: $vgpr30_vgpr31
	s_and_saveexec_b64 s[70:71], s[10:11]
	s_xor_b64 s[10:11], exec, s[70:71]
	s_cbranch_execz .LBB99_93
; %bb.92:                               ;   in Loop: Header=BB99_4 Depth=1
	v_trig_preop_f64 v[17:18], |v[13:14]|, 0
	v_ldexp_f64 v[30:31], |v[13:14]|, s79
	v_cmp_ge_f64_e64 vcc, |v[13:14]|, s[46:47]
	v_trig_preop_f64 v[32:33], |v[13:14]|, 1
	v_and_b32_e32 v19, 0x7fffffff, v14
	v_trig_preop_f64 v[40:41], |v[13:14]|, 2
	s_mov_b32 s22, s50
	s_mov_b32 s55, s27
	v_cndmask_b32_e32 v31, v19, v31, vcc
	v_cndmask_b32_e32 v30, v13, v30, vcc
	v_mul_f64 v[34:35], v[17:18], v[30:31]
	v_mul_f64 v[36:37], v[32:33], v[30:31]
	;; [unrolled: 1-line block ×3, first 2 shown]
	v_fma_f64 v[17:18], v[17:18], v[30:31], -v[34:35]
	v_fma_f64 v[32:33], v[32:33], v[30:31], -v[36:37]
	;; [unrolled: 1-line block ×3, first 2 shown]
	v_add_f64 v[38:39], v[36:37], v[17:18]
	v_add_f64 v[58:59], v[38:39], -v[36:37]
	v_add_f64 v[64:65], v[34:35], v[38:39]
	v_add_f64 v[60:61], v[38:39], -v[58:59]
	v_add_f64 v[17:18], v[17:18], -v[58:59]
	v_add_f64 v[58:59], v[62:63], v[32:33]
	v_add_f64 v[34:35], v[64:65], -v[34:35]
	v_add_f64 v[36:37], v[36:37], -v[60:61]
	v_ldexp_f64 v[60:61], v[64:65], -2
	v_add_f64 v[66:67], v[58:59], -v[62:63]
	v_add_f64 v[34:35], v[38:39], -v[34:35]
	v_add_f64 v[17:18], v[17:18], v[36:37]
	v_fract_f64_e32 v[36:37], v[60:61]
	v_cmp_neq_f64_e64 vcc, |v[60:61]|, s[48:49]
	v_add_f64 v[32:33], v[32:33], -v[66:67]
	v_add_f64 v[38:39], v[58:59], v[17:18]
	v_ldexp_f64 v[36:37], v[36:37], 2
	v_add_f64 v[60:61], v[34:35], v[38:39]
	v_cndmask_b32_e32 v37, 0, v37, vcc
	v_cndmask_b32_e32 v36, 0, v36, vcc
	v_add_f64 v[68:69], v[38:39], -v[58:59]
	v_add_f64 v[64:65], v[60:61], v[36:37]
	v_add_f64 v[34:35], v[60:61], -v[34:35]
	v_add_f64 v[70:71], v[38:39], -v[68:69]
	;; [unrolled: 1-line block ×3, first 2 shown]
	v_cmp_gt_f64_e32 vcc, 0, v[64:65]
	v_add_f64 v[64:65], v[58:59], -v[66:67]
	v_add_f64 v[34:35], v[38:39], -v[34:35]
	;; [unrolled: 1-line block ×3, first 2 shown]
	v_cndmask_b32_e32 v22, 0, v52, vcc
	v_add_f64 v[36:37], v[36:37], v[21:22]
	v_add_f64 v[64:65], v[62:63], -v[64:65]
	v_add_f64 v[17:18], v[17:18], v[58:59]
	v_add_f64 v[72:73], v[60:61], v[36:37]
	;; [unrolled: 1-line block ×3, first 2 shown]
	v_cvt_i32_f64_e32 v19, v[72:73]
	v_add_f64 v[17:18], v[32:33], v[17:18]
	v_cvt_f64_i32_e32 v[66:67], v19
	v_add_f64 v[36:37], v[36:37], -v[66:67]
	v_add_f64 v[17:18], v[30:31], v[17:18]
	v_add_f64 v[32:33], v[60:61], v[36:37]
	;; [unrolled: 1-line block ×3, first 2 shown]
	v_add_f64 v[30:31], v[32:33], -v[36:37]
	v_cmp_le_f64_e32 vcc, 0.5, v[32:33]
	v_add_f64 v[30:31], v[60:61], -v[30:31]
	v_cndmask_b32_e32 v22, 0, v53, vcc
	v_addc_co_u32_e32 v19, vcc, 0, v19, vcc
	v_add_f64 v[17:18], v[17:18], v[30:31]
	v_add_f64 v[30:31], v[32:33], -v[21:22]
	v_add_f64 v[32:33], v[30:31], v[17:18]
	v_mul_f64 v[34:35], v[32:33], s[22:23]
	v_add_f64 v[30:31], v[32:33], -v[30:31]
	v_fma_f64 v[36:37], v[32:33], s[22:23], -v[34:35]
	v_add_f64 v[17:18], v[17:18], -v[30:31]
	v_fma_f64 v[30:31], v[32:33], s[54:55], v[36:37]
	v_fma_f64 v[30:31], v[17:18], s[22:23], v[30:31]
	v_add_f64 v[17:18], v[34:35], v[30:31]
	v_add_f64 v[32:33], v[17:18], -v[34:35]
	v_add_f64 v[30:31], v[30:31], -v[32:33]
.LBB99_93:                              ;   in Loop: Header=BB99_4 Depth=1
	s_andn2_saveexec_b64 s[10:11], s[10:11]
	s_cbranch_execz .LBB99_95
; %bb.94:                               ;   in Loop: Header=BB99_4 Depth=1
	v_mul_f64 v[17:18], |v[13:14]|, s[24:25]
	s_mov_b32 s26, s52
	v_rndne_f64_e32 v[32:33], v[17:18]
	v_fma_f64 v[17:18], v[32:33], s[50:51], |v[13:14]|
	v_mul_f64 v[30:31], v[32:33], s[52:53]
	v_cvt_i32_f64_e32 v19, v[32:33]
	v_fma_f64 v[38:39], v[32:33], s[52:53], v[17:18]
	v_add_f64 v[34:35], v[17:18], v[30:31]
	v_add_f64 v[36:37], v[17:18], -v[34:35]
	v_add_f64 v[34:35], v[34:35], -v[38:39]
	v_add_f64 v[17:18], v[36:37], v[30:31]
	v_fma_f64 v[30:31], v[32:33], s[26:27], v[30:31]
	v_add_f64 v[17:18], v[34:35], v[17:18]
	v_add_f64 v[17:18], v[17:18], -v[30:31]
	v_fma_f64 v[30:31], v[32:33], s[28:29], v[17:18]
	v_add_f64 v[17:18], v[38:39], v[30:31]
	v_add_f64 v[34:35], v[17:18], -v[38:39]
	v_add_f64 v[30:31], v[30:31], -v[34:35]
.LBB99_95:                              ;   in Loop: Header=BB99_4 Depth=1
	s_or_b64 exec, exec, s[10:11]
	v_add_f64 v[32:33], |v[15:16]|, s[64:65]
	s_mov_b32 s58, s64
	s_mov_b32 s10, 0x3b39803f
	s_mov_b32 s11, 0xbc7abc9e
	s_mov_b32 s40, s62
	s_mov_b32 s57, s65
	s_mov_b32 s39, s81
	s_mov_b32 s93, s15
	v_add_f64 v[34:35], v[32:33], -|v[15:16]|
	v_and_b32_e32 v19, 1, v19
	v_add_f64 v[36:37], v[34:35], -v[32:33]
	v_add_f64 v[34:35], v[34:35], s[58:59]
	v_add_f64 v[36:37], |v[15:16]|, v[36:37]
	v_add_f64 v[34:35], v[36:37], -v[34:35]
	v_add_f64 v[34:35], v[34:35], s[10:11]
	s_mov_b32 s10, 0xf278e000
	s_mov_b32 s11, 0xbd53de6a
	v_add_f64 v[36:37], v[32:33], v[34:35]
	v_mul_f64 v[38:39], v[36:37], s[40:41]
	v_add_f64 v[32:33], v[32:33], -v[36:37]
	v_rndne_f64_e32 v[38:39], v[38:39]
	v_add_f64 v[32:33], v[34:35], v[32:33]
	v_fma_f64 v[34:35], v[38:39], s[56:57], v[36:37]
	v_mul_f64 v[36:37], v[38:39], s[10:11]
	s_mov_b32 s10, 0xf97b57a0
	s_mov_b32 s11, 0xbac9cc01
	v_cvt_i32_f64_e32 v13, v[38:39]
	v_add_f64 v[40:41], v[32:33], v[34:35]
	v_add_f64 v[58:59], v[40:41], v[36:37]
	v_add_f64 v[34:35], v[34:35], -v[40:41]
	v_add_f64 v[40:41], v[40:41], -v[58:59]
	v_add_f64 v[32:33], v[32:33], v[34:35]
	v_add_f64 v[34:35], v[40:41], v[36:37]
	;; [unrolled: 1-line block ×3, first 2 shown]
	v_mul_f64 v[34:35], v[38:39], s[10:11]
	s_mov_b32 s10, 0x6a5dcb37
	s_mov_b32 s11, 0x3e5ade15
	v_add_f64 v[36:37], v[58:59], v[32:33]
	v_add_f64 v[40:41], v[36:37], v[34:35]
	v_add_f64 v[58:59], v[58:59], -v[36:37]
	v_add_f64 v[36:37], v[36:37], -v[40:41]
	v_add_f64 v[32:33], v[32:33], v[58:59]
	v_add_f64 v[34:35], v[36:37], v[34:35]
	;; [unrolled: 1-line block ×4, first 2 shown]
	v_fma_f64 v[36:37], v[34:35], s[10:11], v[28:29]
	s_mov_b32 s10, 0x623fde64
	s_mov_b32 s11, 0x3ec71dee
	v_add_f64 v[40:41], v[40:41], -v[34:35]
	v_mul_f64 v[58:59], v[34:35], v[34:35]
	v_fma_f64 v[36:37], v[34:35], v[36:37], s[10:11]
	s_mov_b32 s10, 0x7c89e6b0
	s_mov_b32 s11, 0x3efa0199
	v_add_f64 v[32:33], v[32:33], v[40:41]
	v_fma_f64 v[40:41], v[34:35], v[34:35], -v[58:59]
	v_fma_f64 v[36:37], v[34:35], v[36:37], s[10:11]
	s_mov_b32 s10, 0x14761f6e
	s_mov_b32 s11, 0x3f2a01a0
	v_add_f64 v[60:61], v[32:33], v[32:33]
	v_fma_f64 v[36:37], v[34:35], v[36:37], s[10:11]
	s_mov_b32 s10, 0x1852b7b0
	s_mov_b32 s11, 0x3f56c16c
	v_fma_f64 v[40:41], v[34:35], v[60:61], v[40:41]
	v_fma_f64 v[36:37], v[34:35], v[36:37], s[10:11]
	s_mov_b32 s10, 0x55555511
	s_mov_b32 s11, 0x3fc55555
	v_add_f64 v[60:61], v[58:59], v[40:41]
	v_fma_f64 v[36:37], v[34:35], v[36:37], s[38:39]
	v_add_f64 v[58:59], v[60:61], -v[58:59]
	v_fma_f64 v[36:37], v[34:35], v[36:37], s[92:93]
	v_add_f64 v[40:41], v[40:41], -v[58:59]
	v_fma_f64 v[36:37], v[34:35], v[36:37], s[10:11]
	s_mov_b32 s10, 11
	s_mov_b32 s11, 0x3fe00000
	v_fma_f64 v[36:37], v[34:35], v[36:37], s[10:11]
	s_mov_b32 s10, 0xc751c08c
	s_mov_b32 s11, 0x3ef5e089
	v_mul_f64 v[62:63], v[60:61], v[36:37]
	v_fma_f64 v[58:59], v[60:61], v[36:37], -v[62:63]
	v_fma_f64 v[36:37], v[40:41], v[36:37], v[58:59]
	v_add_f64 v[40:41], v[62:63], v[36:37]
	v_add_f64 v[58:59], v[34:35], v[40:41]
	v_add_f64 v[60:61], v[40:41], -v[62:63]
	v_add_f64 v[34:35], v[58:59], -v[34:35]
	v_add_f64 v[36:37], v[36:37], -v[60:61]
	v_add_f64 v[60:61], v[30:31], v[30:31]
	v_add_f64 v[34:35], v[40:41], -v[34:35]
	v_add_f64 v[32:33], v[32:33], v[36:37]
	v_add_f64 v[32:33], v[32:33], v[34:35]
	;; [unrolled: 1-line block ×3, first 2 shown]
	v_add_f64 v[36:37], v[34:35], 1.0
	v_add_f64 v[40:41], v[34:35], -v[58:59]
	v_add_f64 v[58:59], v[36:37], -1.0
	v_add_f64 v[32:33], v[32:33], -v[40:41]
	v_add_f64 v[34:35], v[34:35], -v[58:59]
	v_add_f64 v[32:33], v[32:33], v[34:35]
	v_add_f64 v[34:35], v[36:37], v[32:33]
	v_ldexp_f64 v[38:39], v[34:35], v13
	v_add_f64 v[34:35], v[34:35], -v[36:37]
	v_rcp_f64_e32 v[40:41], v[38:39]
	v_add_f64 v[32:33], v[32:33], -v[34:35]
	v_ldexp_f64 v[32:33], v[32:33], v13
	v_fma_f64 v[58:59], -v[38:39], v[40:41], 1.0
	v_fma_f64 v[40:41], v[58:59], v[40:41], v[40:41]
	v_fma_f64 v[58:59], -v[38:39], v[40:41], 1.0
	v_fma_f64 v[36:37], v[58:59], v[40:41], v[40:41]
	v_mul_f64 v[40:41], v[17:18], v[17:18]
	v_mul_f64 v[34:35], v[38:39], v[36:37]
	v_fma_f64 v[62:63], v[17:18], v[17:18], -v[40:41]
	v_fma_f64 v[58:59], v[36:37], v[38:39], -v[34:35]
	v_fma_f64 v[60:61], v[17:18], v[60:61], v[62:63]
	v_fma_f64 v[58:59], v[36:37], v[32:33], v[58:59]
	v_add_f64 v[40:41], v[40:41], v[60:61]
	v_add_f64 v[62:63], v[34:35], v[58:59]
	v_fma_f64 v[64:65], v[40:41], s[10:11], v[26:27]
	s_mov_b32 s10, 0x90a8aae0
	s_mov_b32 s11, 0x3f17746f
	v_add_f64 v[60:61], -v[62:63], 1.0
	v_add_f64 v[34:35], v[62:63], -v[34:35]
	v_fma_f64 v[64:65], v[40:41], v[64:65], s[10:11]
	s_mov_b32 s10, 0xa6fbf144
	s_mov_b32 s11, 0xbefbb44d
	v_add_f64 v[66:67], -v[60:61], 1.0
	v_add_f64 v[34:35], v[34:35], -v[58:59]
	v_add_f64 v[58:59], v[66:67], -v[62:63]
	v_fma_f64 v[62:63], v[40:41], v[64:65], s[10:11]
	s_mov_b32 s10, 0xa7943acf
	s_mov_b32 s11, 0x3f21e634
	v_add_f64 v[34:35], v[34:35], v[58:59]
	v_fma_f64 v[58:59], v[40:41], v[62:63], s[10:11]
	s_mov_b32 s10, 0xdeb68feb
	s_mov_b32 s11, 0x3f2d250f
	v_add_f64 v[62:63], v[60:61], v[34:35]
	v_fma_f64 v[58:59], v[40:41], v[58:59], s[10:11]
	s_mov_b32 s10, 0xb58c4d95
	s_mov_b32 s11, 0x3f437fd9
	v_mul_f64 v[64:65], v[36:37], v[62:63]
	v_fma_f64 v[58:59], v[40:41], v[58:59], s[10:11]
	s_mov_b32 s10, 0x15120e2c
	s_mov_b32 s11, 0x3f57d5af
	v_add_f64 v[60:61], v[60:61], -v[62:63]
	v_mul_f64 v[66:67], v[38:39], v[64:65]
	v_fma_f64 v[58:59], v[40:41], v[58:59], s[10:11]
	s_mov_b32 s10, 0xe09491df
	s_mov_b32 s11, 0x3f6d6d93
	v_add_f64 v[34:35], v[34:35], v[60:61]
	v_fma_f64 v[68:69], v[64:65], v[38:39], -v[66:67]
	v_fma_f64 v[58:59], v[40:41], v[58:59], s[10:11]
	s_mov_b32 s10, 0x2033784d
	s_mov_b32 s11, 0x3f8226e1
	v_fma_f64 v[68:69], v[64:65], v[32:33], v[68:69]
	v_fma_f64 v[58:59], v[40:41], v[58:59], s[10:11]
	s_mov_b32 s10, 0x9ac36ae2
	s_mov_b32 s11, 0x3f9664f4
	v_add_f64 v[70:71], v[66:67], v[68:69]
	v_fma_f64 v[58:59], v[40:41], v[58:59], s[10:11]
	s_mov_b32 s10, 0x1b451c21
	s_mov_b32 s11, 0x3faba1ba
	v_add_f64 v[72:73], v[62:63], -v[70:71]
	v_fma_f64 v[58:59], v[40:41], v[58:59], s[10:11]
	s_mov_b32 s10, 0x111185b7
	s_mov_b32 s11, 0x3fc11111
	v_add_f64 v[60:61], v[70:71], -v[66:67]
	v_add_f64 v[62:63], v[62:63], -v[72:73]
	v_fma_f64 v[58:59], v[40:41], v[58:59], s[10:11]
	s_mov_b32 s10, 0x555554ee
	s_mov_b32 s11, 0x3fd55555
	v_add_f64 v[60:61], v[60:61], -v[68:69]
	v_add_f64 v[62:63], v[62:63], -v[70:71]
	v_fma_f64 v[58:59], v[40:41], v[58:59], s[10:11]
	s_mov_b32 s10, 0x8fb9f87e
	s_mov_b32 s11, 0x408633ce
	v_cmp_nge_f64_e64 vcc, |v[15:16]|, s[10:11]
	s_mov_b32 s10, 0
	s_mov_b32 s11, 0x3e400000
	v_add_f64 v[34:35], v[34:35], v[62:63]
	v_mul_f64 v[40:41], v[40:41], v[58:59]
	v_add_f64 v[58:59], v[36:37], v[64:65]
	v_add_f64 v[34:35], v[60:61], v[34:35]
	v_mul_f64 v[60:61], v[17:18], v[40:41]
	v_add_f64 v[62:63], v[58:59], -v[36:37]
	v_add_f64 v[34:35], v[72:73], v[34:35]
	v_add_f64 v[66:67], v[17:18], v[60:61]
	v_add_f64 v[62:63], v[64:65], -v[62:63]
	v_mul_f64 v[34:35], v[36:37], v[34:35]
	v_fma_f64 v[36:37], v[17:18], v[40:41], -v[60:61]
	v_add_f64 v[17:18], v[66:67], -v[17:18]
	v_add_f64 v[34:35], v[62:63], v[34:35]
	v_add_f64 v[30:31], v[30:31], v[36:37]
	v_add_f64 v[17:18], v[60:61], -v[17:18]
	v_add_f64 v[36:37], v[58:59], v[34:35]
	v_add_f64 v[17:18], v[30:31], v[17:18]
	v_ldexp_f64 v[30:31], v[36:37], -2
	v_add_f64 v[36:37], v[36:37], -v[58:59]
	v_add_f64 v[40:41], v[66:67], v[17:18]
	v_add_f64 v[60:61], v[38:39], -v[30:31]
	v_add_f64 v[34:35], v[34:35], -v[36:37]
	v_rcp_f64_e32 v[62:63], v[40:41]
	v_add_f64 v[38:39], v[38:39], -v[60:61]
	v_ldexp_f64 v[34:35], v[34:35], -2
	v_add_f64 v[30:31], v[38:39], -v[30:31]
	v_fma_f64 v[36:37], -v[40:41], v[62:63], 1.0
	v_add_f64 v[30:31], v[32:33], v[30:31]
	v_fma_f64 v[32:33], v[36:37], v[62:63], v[62:63]
	v_add_f64 v[30:31], v[30:31], -v[34:35]
	v_fma_f64 v[34:35], -v[40:41], v[32:33], 1.0
	v_add_f64 v[30:31], v[60:61], v[30:31]
	v_fma_f64 v[32:33], v[34:35], v[32:33], v[32:33]
	v_cndmask_b32_e32 v13, v54, v31, vcc
	v_cndmask_b32_e32 v22, 0, v30, vcc
	v_cmp_lt_f64_e64 vcc, |v[15:16]|, s[10:11]
	v_and_b32_e32 v16, 0x7fffffff, v16
	s_mov_b32 s10, 0
	v_add_f64 v[30:31], v[40:41], -v[66:67]
	v_mul_f64 v[34:35], v[40:41], v[32:33]
	s_brev_b32 s11, 8
	v_cndmask_b32_e32 v13, v13, v16, vcc
	v_cndmask_b32_e32 v15, v22, v15, vcc
	v_bfi_b32 v16, s75, v13, v20
	v_fma_f64 v[36:37], v[15:16], v[15:16], 1.0
	v_add_f64 v[17:18], v[17:18], -v[30:31]
	v_fma_f64 v[30:31], v[32:33], v[40:41], -v[34:35]
	v_and_b32_e32 v20, 0x80000000, v14
	v_cmp_gt_f64_e32 vcc, s[10:11], v[36:37]
	v_cmp_eq_u32_e64 s[10:11], 0, v19
	v_fma_f64 v[17:18], v[32:33], v[17:18], v[30:31]
	v_cndmask_b32_e32 v13, 0, v55, vcc
	v_ldexp_f64 v[36:37], v[36:37], v13
	v_add_f64 v[38:39], v[34:35], v[17:18]
	v_cndmask_b32_e32 v22, 0, v56, vcc
	v_rsq_f64_e32 v[30:31], v[36:37]
	v_add_f64 v[58:59], -v[38:39], 1.0
	v_add_f64 v[34:35], v[38:39], -v[34:35]
	v_cmp_class_f64_e32 vcc, v[36:37], v51
	v_add_f64 v[62:63], -v[58:59], 1.0
	v_add_f64 v[17:18], v[34:35], -v[17:18]
	v_mul_f64 v[60:61], v[36:37], v[30:31]
	v_mul_f64 v[30:31], v[30:31], 0.5
	v_add_f64 v[38:39], v[62:63], -v[38:39]
	v_fma_f64 v[34:35], -v[30:31], v[60:61], 0.5
	v_add_f64 v[17:18], v[17:18], v[38:39]
	v_fma_f64 v[60:61], v[60:61], v[34:35], v[60:61]
	v_fma_f64 v[30:31], v[30:31], v[34:35], v[30:31]
	v_add_f64 v[17:18], v[58:59], v[17:18]
	v_fma_f64 v[34:35], -v[60:61], v[60:61], v[36:37]
	v_mul_f64 v[17:18], v[32:33], v[17:18]
	v_fma_f64 v[34:35], v[34:35], v[30:31], v[60:61]
	v_add_f64 v[17:18], v[32:33], v[17:18]
	v_fma_f64 v[38:39], -v[34:35], v[34:35], v[36:37]
	v_xor_b32_e32 v18, 0x80000000, v18
	v_cndmask_b32_e64 v18, v18, v41, s[10:11]
	v_cndmask_b32_e64 v17, v17, v40, s[10:11]
	v_xor_b32_e32 v18, v18, v20
	v_fma_f64 v[19:20], v[17:18], v[17:18], 1.0
	v_fma_f64 v[13:14], v[38:39], v[30:31], v[34:35]
	v_mul_f64 v[30:31], v[15:16], v[19:20]
	v_ldexp_f64 v[13:14], v[13:14], v22
	v_fma_f64 v[30:31], v[15:16], v[30:31], 1.0
	v_cndmask_b32_e32 v14, v14, v37, vcc
	v_cndmask_b32_e32 v13, v13, v36, vcc
	v_mul_f64 v[13:14], v[13:14], v[19:20]
	v_div_scale_f64 v[19:20], s[10:11], v[30:31], v[30:31], v[17:18]
	v_mul_f64 v[13:14], v[15:16], v[13:14]
	v_div_scale_f64 v[15:16], s[10:11], v[30:31], v[30:31], v[13:14]
	v_div_scale_f64 v[40:41], s[10:11], v[17:18], v[30:31], v[17:18]
	v_rcp_f64_e32 v[34:35], v[19:20]
	v_rcp_f64_e32 v[32:33], v[15:16]
	v_fma_f64 v[38:39], -v[19:20], v[34:35], 1.0
	v_fma_f64 v[34:35], v[34:35], v[38:39], v[34:35]
	v_fma_f64 v[36:37], -v[15:16], v[32:33], 1.0
	v_fma_f64 v[58:59], -v[19:20], v[34:35], 1.0
	v_fma_f64 v[32:33], v[32:33], v[36:37], v[32:33]
	v_div_scale_f64 v[36:37], vcc, v[13:14], v[30:31], v[13:14]
	v_fma_f64 v[34:35], v[34:35], v[58:59], v[34:35]
	v_fma_f64 v[38:39], -v[15:16], v[32:33], 1.0
	v_mul_f64 v[58:59], v[40:41], v[34:35]
	v_fma_f64 v[32:33], v[32:33], v[38:39], v[32:33]
	v_fma_f64 v[19:20], -v[19:20], v[58:59], v[40:41]
	v_mul_f64 v[38:39], v[36:37], v[32:33]
	v_fma_f64 v[15:16], -v[15:16], v[38:39], v[36:37]
	v_div_fmas_f64 v[15:16], v[15:16], v[32:33], v[38:39]
	s_mov_b64 vcc, s[10:11]
	v_div_fmas_f64 v[32:33], v[19:20], v[34:35], v[58:59]
	v_div_fixup_f64 v[19:20], v[15:16], v[30:31], v[13:14]
                                        ; implicit-def: $vgpr13_vgpr14
	v_div_fixup_f64 v[17:18], v[32:33], v[30:31], v[17:18]
.LBB99_96:                              ;   in Loop: Header=BB99_4 Depth=1
	s_andn2_saveexec_b64 s[10:11], s[68:69]
	s_cbranch_execz .LBB99_106
; %bb.97:                               ;   in Loop: Header=BB99_4 Depth=1
	v_cmp_nlt_f64_e64 s[68:69], |v[13:14]|, s[44:45]
                                        ; implicit-def: $vgpr40
                                        ; implicit-def: $vgpr36_vgpr37
                                        ; implicit-def: $vgpr38_vgpr39
	s_and_saveexec_b64 s[70:71], s[68:69]
	s_xor_b64 s[70:71], exec, s[70:71]
	s_cbranch_execz .LBB99_99
; %bb.98:                               ;   in Loop: Header=BB99_4 Depth=1
	v_trig_preop_f64 v[17:18], |v[13:14]|, 0
	v_ldexp_f64 v[30:31], |v[13:14]|, s79
	v_cmp_ge_f64_e64 vcc, |v[13:14]|, s[46:47]
	v_trig_preop_f64 v[32:33], |v[13:14]|, 1
	v_and_b32_e32 v19, 0x7fffffff, v14
	v_trig_preop_f64 v[40:41], |v[13:14]|, 2
	s_mov_b32 s22, s50
	s_mov_b32 s55, s27
	v_cndmask_b32_e32 v31, v19, v31, vcc
	v_cndmask_b32_e32 v30, v13, v30, vcc
	v_mul_f64 v[34:35], v[17:18], v[30:31]
	v_mul_f64 v[36:37], v[32:33], v[30:31]
	;; [unrolled: 1-line block ×3, first 2 shown]
	v_fma_f64 v[17:18], v[17:18], v[30:31], -v[34:35]
	v_fma_f64 v[32:33], v[32:33], v[30:31], -v[36:37]
	;; [unrolled: 1-line block ×3, first 2 shown]
	v_add_f64 v[38:39], v[36:37], v[17:18]
	v_add_f64 v[58:59], v[38:39], -v[36:37]
	v_add_f64 v[64:65], v[34:35], v[38:39]
	v_add_f64 v[60:61], v[38:39], -v[58:59]
	v_add_f64 v[17:18], v[17:18], -v[58:59]
	v_add_f64 v[58:59], v[62:63], v[32:33]
	v_add_f64 v[34:35], v[64:65], -v[34:35]
	v_add_f64 v[36:37], v[36:37], -v[60:61]
	v_ldexp_f64 v[60:61], v[64:65], -2
	v_add_f64 v[66:67], v[58:59], -v[62:63]
	v_add_f64 v[34:35], v[38:39], -v[34:35]
	v_add_f64 v[17:18], v[17:18], v[36:37]
	v_fract_f64_e32 v[36:37], v[60:61]
	v_cmp_neq_f64_e64 vcc, |v[60:61]|, s[48:49]
	v_add_f64 v[32:33], v[32:33], -v[66:67]
	v_add_f64 v[38:39], v[58:59], v[17:18]
	v_ldexp_f64 v[36:37], v[36:37], 2
	v_add_f64 v[60:61], v[34:35], v[38:39]
	v_cndmask_b32_e32 v37, 0, v37, vcc
	v_cndmask_b32_e32 v36, 0, v36, vcc
	v_add_f64 v[68:69], v[38:39], -v[58:59]
	v_add_f64 v[64:65], v[60:61], v[36:37]
	v_add_f64 v[34:35], v[60:61], -v[34:35]
	v_add_f64 v[70:71], v[38:39], -v[68:69]
	v_add_f64 v[17:18], v[17:18], -v[68:69]
	v_cmp_gt_f64_e32 vcc, 0, v[64:65]
	v_add_f64 v[64:65], v[58:59], -v[66:67]
	v_add_f64 v[34:35], v[38:39], -v[34:35]
	;; [unrolled: 1-line block ×3, first 2 shown]
	v_cndmask_b32_e32 v22, 0, v52, vcc
	v_add_f64 v[36:37], v[36:37], v[21:22]
	v_add_f64 v[64:65], v[62:63], -v[64:65]
	v_add_f64 v[17:18], v[17:18], v[58:59]
	v_add_f64 v[72:73], v[60:61], v[36:37]
	;; [unrolled: 1-line block ×3, first 2 shown]
	v_cvt_i32_f64_e32 v19, v[72:73]
	v_add_f64 v[17:18], v[32:33], v[17:18]
	v_cvt_f64_i32_e32 v[66:67], v19
	v_add_f64 v[36:37], v[36:37], -v[66:67]
	v_add_f64 v[17:18], v[30:31], v[17:18]
	v_add_f64 v[32:33], v[60:61], v[36:37]
	;; [unrolled: 1-line block ×3, first 2 shown]
	v_add_f64 v[30:31], v[32:33], -v[36:37]
	v_cmp_le_f64_e32 vcc, 0.5, v[32:33]
	v_add_f64 v[30:31], v[60:61], -v[30:31]
	v_cndmask_b32_e32 v22, 0, v53, vcc
	v_addc_co_u32_e32 v40, vcc, 0, v19, vcc
	v_add_f64 v[17:18], v[17:18], v[30:31]
	v_add_f64 v[30:31], v[32:33], -v[21:22]
	v_add_f64 v[32:33], v[30:31], v[17:18]
	v_mul_f64 v[34:35], v[32:33], s[22:23]
	v_add_f64 v[30:31], v[32:33], -v[30:31]
	v_fma_f64 v[36:37], v[32:33], s[22:23], -v[34:35]
	v_add_f64 v[17:18], v[17:18], -v[30:31]
	v_fma_f64 v[30:31], v[32:33], s[54:55], v[36:37]
	v_fma_f64 v[17:18], v[17:18], s[22:23], v[30:31]
	v_add_f64 v[36:37], v[34:35], v[17:18]
	v_add_f64 v[30:31], v[36:37], -v[34:35]
	v_add_f64 v[38:39], v[17:18], -v[30:31]
	s_andn2_saveexec_b64 s[70:71], s[70:71]
	s_cbranch_execz .LBB99_101
	s_branch .LBB99_100
.LBB99_99:                              ;   in Loop: Header=BB99_4 Depth=1
	s_andn2_saveexec_b64 s[70:71], s[70:71]
	s_cbranch_execz .LBB99_101
.LBB99_100:                             ;   in Loop: Header=BB99_4 Depth=1
	v_mul_f64 v[17:18], |v[13:14]|, s[24:25]
	s_mov_b32 s26, s52
	v_rndne_f64_e32 v[17:18], v[17:18]
	v_fma_f64 v[30:31], v[17:18], s[50:51], |v[13:14]|
	v_mul_f64 v[32:33], v[17:18], s[52:53]
	v_cvt_i32_f64_e32 v40, v[17:18]
	v_add_f64 v[34:35], v[30:31], v[32:33]
	v_add_f64 v[36:37], v[30:31], -v[34:35]
	v_fma_f64 v[30:31], v[17:18], s[52:53], v[30:31]
	v_add_f64 v[36:37], v[36:37], v[32:33]
	v_add_f64 v[34:35], v[34:35], -v[30:31]
	v_fma_f64 v[32:33], v[17:18], s[26:27], v[32:33]
	;; [unrolled: 3-line block ×3, first 2 shown]
	v_add_f64 v[36:37], v[30:31], v[32:33]
	v_add_f64 v[30:31], v[36:37], -v[30:31]
	v_add_f64 v[38:39], v[32:33], -v[30:31]
.LBB99_101:                             ;   in Loop: Header=BB99_4 Depth=1
	s_or_b64 exec, exec, s[70:71]
                                        ; implicit-def: $vgpr19
                                        ; implicit-def: $vgpr17_vgpr18
                                        ; implicit-def: $vgpr30_vgpr31
	s_and_saveexec_b64 s[70:71], s[68:69]
	s_xor_b64 s[68:69], exec, s[70:71]
	s_cbranch_execz .LBB99_103
; %bb.102:                              ;   in Loop: Header=BB99_4 Depth=1
	v_trig_preop_f64 v[17:18], |v[13:14]|, 0
	v_ldexp_f64 v[30:31], |v[13:14]|, s79
	v_cmp_ge_f64_e64 vcc, |v[13:14]|, s[46:47]
	v_trig_preop_f64 v[32:33], |v[13:14]|, 1
	v_and_b32_e32 v19, 0x7fffffff, v14
	v_trig_preop_f64 v[62:63], |v[13:14]|, 2
	s_mov_b32 s22, s50
	s_mov_b32 s55, s27
	v_cndmask_b32_e32 v31, v19, v31, vcc
	v_cndmask_b32_e32 v30, v13, v30, vcc
	v_mul_f64 v[34:35], v[17:18], v[30:31]
	v_mul_f64 v[58:59], v[32:33], v[30:31]
	;; [unrolled: 1-line block ×3, first 2 shown]
	v_fma_f64 v[17:18], v[17:18], v[30:31], -v[34:35]
	v_fma_f64 v[32:33], v[32:33], v[30:31], -v[58:59]
	;; [unrolled: 1-line block ×3, first 2 shown]
	v_add_f64 v[60:61], v[58:59], v[17:18]
	v_add_f64 v[64:65], v[60:61], -v[58:59]
	v_add_f64 v[70:71], v[34:35], v[60:61]
	v_add_f64 v[66:67], v[60:61], -v[64:65]
	v_add_f64 v[17:18], v[17:18], -v[64:65]
	v_add_f64 v[64:65], v[68:69], v[32:33]
	v_add_f64 v[34:35], v[70:71], -v[34:35]
	v_add_f64 v[58:59], v[58:59], -v[66:67]
	v_ldexp_f64 v[66:67], v[70:71], -2
	v_add_f64 v[72:73], v[64:65], -v[68:69]
	v_add_f64 v[34:35], v[60:61], -v[34:35]
	v_add_f64 v[17:18], v[17:18], v[58:59]
	v_fract_f64_e32 v[58:59], v[66:67]
	v_cmp_neq_f64_e64 vcc, |v[66:67]|, s[48:49]
	v_add_f64 v[32:33], v[32:33], -v[72:73]
	v_add_f64 v[60:61], v[64:65], v[17:18]
	v_ldexp_f64 v[58:59], v[58:59], 2
	v_add_f64 v[66:67], v[34:35], v[60:61]
	v_cndmask_b32_e32 v59, 0, v59, vcc
	v_cndmask_b32_e32 v58, 0, v58, vcc
	v_add_f64 v[74:75], v[60:61], -v[64:65]
	v_add_f64 v[70:71], v[66:67], v[58:59]
	v_add_f64 v[34:35], v[66:67], -v[34:35]
	v_add_f64 v[76:77], v[60:61], -v[74:75]
	;; [unrolled: 1-line block ×3, first 2 shown]
	v_cmp_gt_f64_e32 vcc, 0, v[70:71]
	v_add_f64 v[70:71], v[64:65], -v[72:73]
	v_add_f64 v[34:35], v[60:61], -v[34:35]
	;; [unrolled: 1-line block ×3, first 2 shown]
	v_cndmask_b32_e32 v22, 0, v52, vcc
	v_add_f64 v[58:59], v[58:59], v[21:22]
	v_add_f64 v[70:71], v[68:69], -v[70:71]
	v_add_f64 v[17:18], v[17:18], v[64:65]
	v_add_f64 v[78:79], v[66:67], v[58:59]
	v_add_f64 v[32:33], v[32:33], v[70:71]
	v_cvt_i32_f64_e32 v19, v[78:79]
	v_add_f64 v[17:18], v[32:33], v[17:18]
	v_cvt_f64_i32_e32 v[72:73], v19
	v_add_f64 v[58:59], v[58:59], -v[72:73]
	v_add_f64 v[17:18], v[30:31], v[17:18]
	v_add_f64 v[32:33], v[66:67], v[58:59]
	;; [unrolled: 1-line block ×3, first 2 shown]
	v_add_f64 v[30:31], v[32:33], -v[58:59]
	v_cmp_le_f64_e32 vcc, 0.5, v[32:33]
	v_add_f64 v[30:31], v[66:67], -v[30:31]
	v_cndmask_b32_e32 v22, 0, v53, vcc
	v_addc_co_u32_e32 v19, vcc, 0, v19, vcc
	v_add_f64 v[17:18], v[17:18], v[30:31]
	v_add_f64 v[30:31], v[32:33], -v[21:22]
	v_add_f64 v[32:33], v[30:31], v[17:18]
	v_mul_f64 v[34:35], v[32:33], s[22:23]
	v_add_f64 v[30:31], v[32:33], -v[30:31]
	v_fma_f64 v[58:59], v[32:33], s[22:23], -v[34:35]
	v_add_f64 v[17:18], v[17:18], -v[30:31]
	v_fma_f64 v[30:31], v[32:33], s[54:55], v[58:59]
	v_fma_f64 v[30:31], v[17:18], s[22:23], v[30:31]
	v_add_f64 v[17:18], v[34:35], v[30:31]
	v_add_f64 v[32:33], v[17:18], -v[34:35]
	v_add_f64 v[30:31], v[30:31], -v[32:33]
	s_andn2_saveexec_b64 s[68:69], s[68:69]
	s_cbranch_execnz .LBB99_104
	s_branch .LBB99_105
.LBB99_103:                             ;   in Loop: Header=BB99_4 Depth=1
	s_andn2_saveexec_b64 s[68:69], s[68:69]
	s_cbranch_execz .LBB99_105
.LBB99_104:                             ;   in Loop: Header=BB99_4 Depth=1
	v_mul_f64 v[17:18], |v[13:14]|, s[24:25]
	s_mov_b32 s26, s52
	v_rndne_f64_e32 v[32:33], v[17:18]
	v_fma_f64 v[17:18], v[32:33], s[50:51], |v[13:14]|
	v_mul_f64 v[30:31], v[32:33], s[52:53]
	v_cvt_i32_f64_e32 v19, v[32:33]
	v_fma_f64 v[60:61], v[32:33], s[52:53], v[17:18]
	v_add_f64 v[34:35], v[17:18], v[30:31]
	v_add_f64 v[58:59], v[17:18], -v[34:35]
	v_add_f64 v[34:35], v[34:35], -v[60:61]
	v_add_f64 v[17:18], v[58:59], v[30:31]
	v_fma_f64 v[30:31], v[32:33], s[26:27], v[30:31]
	v_add_f64 v[17:18], v[34:35], v[17:18]
	v_add_f64 v[17:18], v[17:18], -v[30:31]
	v_fma_f64 v[30:31], v[32:33], s[28:29], v[17:18]
	v_add_f64 v[17:18], v[60:61], v[30:31]
	v_add_f64 v[34:35], v[17:18], -v[60:61]
	v_add_f64 v[30:31], v[30:31], -v[34:35]
.LBB99_105:                             ;   in Loop: Header=BB99_4 Depth=1
	s_or_b64 exec, exec, s[68:69]
	v_mul_f64 v[58:59], v[36:37], v[36:37]
	v_mul_f64 v[66:67], v[38:39], 0.5
	s_mov_b32 s12, s14
	v_and_b32_e32 v13, 1, v40
	v_cmp_eq_u32_e32 vcc, 0, v13
	s_mov_b32 s68, 0x3b39803f
	s_mov_b32 s69, 0xbc7abc9e
	;; [unrolled: 1-line block ×3, first 2 shown]
	v_mul_f64 v[32:33], v[58:59], 0.5
	v_mul_f64 v[62:63], v[58:59], v[58:59]
	s_mov_b32 s93, s15
	v_add_f64 v[60:61], -v[32:33], 1.0
	v_add_f64 v[34:35], -v[60:61], 1.0
	v_add_f64 v[32:33], v[34:35], -v[32:33]
	v_mov_b32_e32 v34, s82
	v_mov_b32_e32 v35, s83
	v_fma_f64 v[64:65], v[58:59], s[84:85], v[34:35]
	v_fma_f64 v[32:33], v[36:37], -v[38:39], v[32:33]
	v_fma_f64 v[64:65], v[58:59], v[64:65], s[86:87]
	v_fma_f64 v[64:65], v[58:59], v[64:65], s[88:89]
	;; [unrolled: 1-line block ×5, first 2 shown]
	v_mul_f64 v[64:65], v[36:37], -v[58:59]
	v_add_f64 v[60:61], v[60:61], v[32:33]
	v_mov_b32_e32 v32, s94
	v_mov_b32_e32 v33, s95
	v_fma_f64 v[62:63], v[58:59], s[30:31], v[32:33]
	v_fma_f64 v[62:63], v[58:59], v[62:63], s[34:35]
	;; [unrolled: 1-line block ×5, first 2 shown]
	v_fma_f64 v[38:39], v[58:59], v[62:63], -v[38:39]
	v_fma_f64 v[38:39], v[64:65], s[12:13], v[38:39]
	v_add_f64 v[36:37], v[36:37], -v[38:39]
	v_cndmask_b32_e32 v13, v60, v36, vcc
	v_lshlrev_b32_e32 v36, 30, v40
	v_cndmask_b32_e32 v22, v61, v37, vcc
	v_xor_b32_e32 v14, v36, v14
	v_mul_f64 v[36:37], |v[15:16]|, s[62:63]
	v_and_b32_e32 v14, 0x80000000, v14
	v_xor_b32_e32 v14, v22, v14
	v_mul_f64 v[13:14], v[13:14], 4.0
	v_rndne_f64_e32 v[36:37], v[36:37]
	v_fma_f64 v[38:39], v[36:37], s[64:65], -|v[15:16]|
	v_cvt_i32_f64_e32 v22, v[36:37]
	v_fma_f64 v[38:39], v[36:37], s[68:69], v[38:39]
	s_mov_b32 s68, 0x6a5dcb37
	s_mov_b32 s69, 0x3e5ade15
	v_fma_f64 v[40:41], v[38:39], s[68:69], v[28:29]
	s_mov_b32 s68, 0x623fde64
	s_mov_b32 s69, 0x3ec71dee
	;; [unrolled: 3-line block ×6, first 2 shown]
	v_fma_f64 v[40:41], v[38:39], v[40:41], s[38:39]
	v_fma_f64 v[40:41], v[38:39], v[40:41], s[92:93]
	;; [unrolled: 1-line block ×3, first 2 shown]
	s_mov_b32 s68, 11
	s_mov_b32 s69, 0x3fe00000
	v_fma_f64 v[40:41], v[38:39], v[40:41], s[68:69]
	s_mov_b32 s68, 0
	s_mov_b32 s69, 0x4090cc00
	v_cmp_ngt_f64_e64 vcc, |v[15:16]|, s[68:69]
	v_fma_f64 v[40:41], v[38:39], v[40:41], 1.0
	v_fma_f64 v[38:39], v[38:39], v[40:41], 1.0
	v_ldexp_f64 v[36:37], v[38:39], v22
	v_bfi_b32 v22, s75, v53, v20
	v_and_b32_e32 v20, 1, v19
	v_lshlrev_b32_e32 v19, 30, v19
	v_and_b32_e32 v19, 0x80000000, v19
	v_cndmask_b32_e32 v16, 0, v37, vcc
	v_cndmask_b32_e32 v15, 0, v36, vcc
	v_mul_f64 v[36:37], v[17:18], v[17:18]
	v_cmp_eq_u32_e32 vcc, 0, v20
	v_mul_f64 v[38:39], v[36:37], 0.5
	v_fma_f64 v[34:35], v[36:37], s[84:85], v[34:35]
	v_fma_f64 v[32:33], v[36:37], s[30:31], v[32:33]
	v_add_f64 v[40:41], -v[38:39], 1.0
	v_fma_f64 v[34:35], v[36:37], v[34:35], s[86:87]
	v_fma_f64 v[32:33], v[36:37], v[32:33], s[34:35]
	v_add_f64 v[58:59], -v[40:41], 1.0
	v_fma_f64 v[34:35], v[36:37], v[34:35], s[88:89]
	v_fma_f64 v[32:33], v[36:37], v[32:33], s[36:37]
	v_add_f64 v[38:39], v[58:59], -v[38:39]
	v_fma_f64 v[34:35], v[36:37], v[34:35], s[90:91]
	v_mul_f64 v[58:59], v[36:37], v[36:37]
	v_fma_f64 v[32:33], v[36:37], v[32:33], s[80:81]
	v_fma_f64 v[38:39], v[17:18], -v[30:31], v[38:39]
	v_fma_f64 v[34:35], v[36:37], v[34:35], s[14:15]
	v_fma_f64 v[34:35], v[58:59], v[34:35], v[38:39]
	v_mul_f64 v[38:39], v[17:18], -v[36:37]
	v_add_f64 v[34:35], v[40:41], v[34:35]
	v_mul_f64 v[40:41], v[30:31], 0.5
	v_fma_f64 v[32:33], v[38:39], v[32:33], v[40:41]
	v_fma_f64 v[30:31], v[36:37], v[32:33], -v[30:31]
	v_fma_f64 v[30:31], v[38:39], s[12:13], v[30:31]
	v_add_f64 v[17:18], v[17:18], -v[30:31]
	v_xor_b32_e32 v18, 0x80000000, v18
	v_cndmask_b32_e32 v18, v18, v35, vcc
	v_cndmask_b32_e32 v17, v17, v34, vcc
	v_xor_b32_e32 v18, v18, v19
	v_mul_f64 v[13:14], v[13:14], v[17:18]
	v_mov_b32_e32 v19, v21
	v_mov_b32_e32 v20, v22
	v_mul_f64 v[13:14], v[15:16], v[13:14]
	v_mul_f64 v[17:18], v[15:16], v[13:14]
.LBB99_106:                             ;   in Loop: Header=BB99_4 Depth=1
	s_or_b64 exec, exec, s[10:11]
                                        ; implicit-def: $vgpr13_vgpr14
.LBB99_107:                             ;   in Loop: Header=BB99_4 Depth=1
	s_andn2_saveexec_b64 s[10:11], s[66:67]
	s_cbranch_execz .LBB99_109
; %bb.108:                              ;   in Loop: Header=BB99_4 Depth=1
	v_add_f64 v[17:18], v[13:14], -v[13:14]
	v_mov_b32_e32 v20, v18
	v_mov_b32_e32 v19, v17
.LBB99_109:                             ;   in Loop: Header=BB99_4 Depth=1
	s_or_b64 exec, exec, s[10:11]
                                        ; implicit-def: $vgpr13_vgpr14
.LBB99_110:                             ;   in Loop: Header=BB99_4 Depth=1
	s_andn2_saveexec_b64 s[60:61], s[60:61]
	s_cbranch_execz .LBB99_126
; %bb.111:                              ;   in Loop: Header=BB99_4 Depth=1
	v_and_or_b32 v17, v20, s78, v19
	v_cmp_ne_u32_e32 vcc, 0, v17
	s_and_saveexec_b64 s[10:11], vcc
	s_xor_b64 s[10:11], exec, s[10:11]
	s_cbranch_execz .LBB99_113
; %bb.112:                              ;   in Loop: Header=BB99_4 Depth=1
	v_mul_f64 v[15:16], v[13:14], -v[15:16]
	v_cmp_eq_f64_e32 vcc, 0, v[13:14]
	v_cndmask_b32_e32 v18, v16, v14, vcc
	v_cndmask_b32_e32 v17, v15, v13, vcc
                                        ; implicit-def: $vgpr13_vgpr14
.LBB99_113:                             ;   in Loop: Header=BB99_4 Depth=1
	s_andn2_saveexec_b64 s[66:67], s[10:11]
	s_cbranch_execz .LBB99_125
; %bb.114:                              ;   in Loop: Header=BB99_4 Depth=1
	v_cmp_neq_f64_e64 s[10:11], |v[13:14]|, s[48:49]
	s_and_saveexec_b64 s[68:69], s[10:11]
	s_cbranch_execz .LBB99_124
; %bb.115:                              ;   in Loop: Header=BB99_4 Depth=1
	v_trig_preop_f64 v[38:39], |v[13:14]|, 0
	v_trig_preop_f64 v[36:37], |v[13:14]|, 1
	v_trig_preop_f64 v[30:31], |v[13:14]|, 2
	v_cmp_nlt_f64_e64 s[10:11], |v[13:14]|, s[44:45]
	v_ldexp_f64 v[40:41], |v[13:14]|, s79
	v_and_b32_e32 v59, 0x7fffffff, v14
                                        ; implicit-def: $vgpr58
                                        ; implicit-def: $vgpr32_vgpr33
                                        ; implicit-def: $vgpr34_vgpr35
	s_and_saveexec_b64 s[70:71], s[10:11]
	s_xor_b64 s[70:71], exec, s[70:71]
	s_cbranch_execz .LBB99_117
; %bb.116:                              ;   in Loop: Header=BB99_4 Depth=1
	v_cmp_ge_f64_e64 vcc, |v[13:14]|, s[46:47]
	s_mov_b32 s22, s50
	s_mov_b32 s55, s27
	v_cndmask_b32_e32 v16, v59, v41, vcc
	v_cndmask_b32_e32 v15, v13, v40, vcc
	v_mul_f64 v[17:18], v[38:39], v[15:16]
	v_mul_f64 v[32:33], v[36:37], v[15:16]
	v_mul_f64 v[66:67], v[30:31], v[15:16]
	v_fma_f64 v[34:35], v[38:39], v[15:16], -v[17:18]
	v_fma_f64 v[68:69], v[36:37], v[15:16], -v[32:33]
	v_fma_f64 v[15:16], v[30:31], v[15:16], -v[66:67]
	v_add_f64 v[60:61], v[32:33], v[34:35]
	v_add_f64 v[62:63], v[60:61], -v[32:33]
	v_add_f64 v[70:71], v[17:18], v[60:61]
	v_add_f64 v[64:65], v[60:61], -v[62:63]
	v_add_f64 v[34:35], v[34:35], -v[62:63]
	v_add_f64 v[62:63], v[66:67], v[68:69]
	v_add_f64 v[17:18], v[70:71], -v[17:18]
	v_add_f64 v[32:33], v[32:33], -v[64:65]
	v_ldexp_f64 v[64:65], v[70:71], -2
	v_add_f64 v[72:73], v[62:63], -v[66:67]
	v_add_f64 v[17:18], v[60:61], -v[17:18]
	v_add_f64 v[32:33], v[34:35], v[32:33]
	v_fract_f64_e32 v[34:35], v[64:65]
	v_cmp_neq_f64_e64 vcc, |v[64:65]|, s[48:49]
	v_add_f64 v[68:69], v[68:69], -v[72:73]
	v_add_f64 v[60:61], v[62:63], v[32:33]
	v_ldexp_f64 v[34:35], v[34:35], 2
	v_add_f64 v[64:65], v[17:18], v[60:61]
	v_cndmask_b32_e32 v35, 0, v35, vcc
	v_cndmask_b32_e32 v34, 0, v34, vcc
	v_add_f64 v[74:75], v[60:61], -v[62:63]
	v_add_f64 v[70:71], v[64:65], v[34:35]
	v_add_f64 v[17:18], v[64:65], -v[17:18]
	v_add_f64 v[76:77], v[60:61], -v[74:75]
	;; [unrolled: 1-line block ×3, first 2 shown]
	v_cmp_gt_f64_e32 vcc, 0, v[70:71]
	v_add_f64 v[70:71], v[62:63], -v[72:73]
	v_add_f64 v[17:18], v[60:61], -v[17:18]
	;; [unrolled: 1-line block ×3, first 2 shown]
	v_cndmask_b32_e32 v22, 0, v52, vcc
	v_add_f64 v[34:35], v[34:35], v[21:22]
	v_add_f64 v[70:71], v[66:67], -v[70:71]
	v_add_f64 v[32:33], v[32:33], v[62:63]
	v_add_f64 v[78:79], v[64:65], v[34:35]
	;; [unrolled: 1-line block ×3, first 2 shown]
	v_cvt_i32_f64_e32 v58, v[78:79]
	v_add_f64 v[32:33], v[68:69], v[32:33]
	v_cvt_f64_i32_e32 v[72:73], v58
	v_add_f64 v[34:35], v[34:35], -v[72:73]
	v_add_f64 v[15:16], v[15:16], v[32:33]
	v_add_f64 v[62:63], v[64:65], v[34:35]
	;; [unrolled: 1-line block ×3, first 2 shown]
	v_add_f64 v[32:33], v[62:63], -v[34:35]
	v_cmp_le_f64_e32 vcc, 0.5, v[62:63]
	v_add_f64 v[17:18], v[64:65], -v[32:33]
	v_cndmask_b32_e32 v22, 0, v53, vcc
	v_addc_co_u32_e32 v58, vcc, 0, v58, vcc
	v_add_f64 v[15:16], v[15:16], v[17:18]
	v_add_f64 v[17:18], v[62:63], -v[21:22]
	v_add_f64 v[32:33], v[17:18], v[15:16]
	v_mul_f64 v[34:35], v[32:33], s[22:23]
	v_add_f64 v[17:18], v[32:33], -v[17:18]
	v_fma_f64 v[60:61], v[32:33], s[22:23], -v[34:35]
	v_add_f64 v[15:16], v[15:16], -v[17:18]
	v_fma_f64 v[17:18], v[32:33], s[54:55], v[60:61]
	v_fma_f64 v[15:16], v[15:16], s[22:23], v[17:18]
	v_add_f64 v[32:33], v[34:35], v[15:16]
	v_add_f64 v[17:18], v[32:33], -v[34:35]
	v_add_f64 v[34:35], v[15:16], -v[17:18]
	s_andn2_saveexec_b64 s[70:71], s[70:71]
	s_cbranch_execz .LBB99_119
	s_branch .LBB99_118
.LBB99_117:                             ;   in Loop: Header=BB99_4 Depth=1
	s_andn2_saveexec_b64 s[70:71], s[70:71]
	s_cbranch_execz .LBB99_119
.LBB99_118:                             ;   in Loop: Header=BB99_4 Depth=1
	v_mul_f64 v[15:16], |v[13:14]|, s[24:25]
	s_mov_b32 s26, s52
	v_rndne_f64_e32 v[15:16], v[15:16]
	v_fma_f64 v[17:18], v[15:16], s[50:51], |v[13:14]|
	v_mul_f64 v[32:33], v[15:16], s[52:53]
	v_cvt_i32_f64_e32 v58, v[15:16]
	v_add_f64 v[34:35], v[17:18], v[32:33]
	v_add_f64 v[60:61], v[17:18], -v[34:35]
	v_fma_f64 v[17:18], v[15:16], s[52:53], v[17:18]
	v_add_f64 v[60:61], v[60:61], v[32:33]
	v_add_f64 v[34:35], v[34:35], -v[17:18]
	v_fma_f64 v[32:33], v[15:16], s[26:27], v[32:33]
	;; [unrolled: 3-line block ×3, first 2 shown]
	v_add_f64 v[32:33], v[17:18], v[34:35]
	v_add_f64 v[17:18], v[32:33], -v[17:18]
	v_add_f64 v[34:35], v[34:35], -v[17:18]
.LBB99_119:                             ;   in Loop: Header=BB99_4 Depth=1
	s_or_b64 exec, exec, s[70:71]
                                        ; implicit-def: $vgpr22
                                        ; implicit-def: $vgpr15_vgpr16
                                        ; implicit-def: $vgpr17_vgpr18
	s_and_saveexec_b64 s[70:71], s[10:11]
	s_xor_b64 s[10:11], exec, s[70:71]
	s_cbranch_execz .LBB99_121
; %bb.120:                              ;   in Loop: Header=BB99_4 Depth=1
	v_cmp_ge_f64_e64 vcc, |v[13:14]|, s[46:47]
	s_mov_b32 s22, s50
	s_mov_b32 s55, s27
	v_cndmask_b32_e32 v16, v59, v41, vcc
	v_cndmask_b32_e32 v15, v13, v40, vcc
	v_mul_f64 v[17:18], v[38:39], v[15:16]
	v_mul_f64 v[40:41], v[36:37], v[15:16]
	;; [unrolled: 1-line block ×3, first 2 shown]
	v_fma_f64 v[38:39], v[38:39], v[15:16], -v[17:18]
	v_fma_f64 v[36:37], v[36:37], v[15:16], -v[40:41]
	;; [unrolled: 1-line block ×3, first 2 shown]
	v_add_f64 v[59:60], v[40:41], v[38:39]
	v_add_f64 v[61:62], v[59:60], -v[40:41]
	v_add_f64 v[67:68], v[17:18], v[59:60]
	v_add_f64 v[63:64], v[59:60], -v[61:62]
	v_add_f64 v[38:39], v[38:39], -v[61:62]
	v_add_f64 v[61:62], v[65:66], v[36:37]
	v_add_f64 v[17:18], v[67:68], -v[17:18]
	v_add_f64 v[40:41], v[40:41], -v[63:64]
	v_ldexp_f64 v[63:64], v[67:68], -2
	v_add_f64 v[69:70], v[61:62], -v[65:66]
	v_add_f64 v[17:18], v[59:60], -v[17:18]
	v_add_f64 v[38:39], v[38:39], v[40:41]
	v_fract_f64_e32 v[40:41], v[63:64]
	v_cmp_neq_f64_e64 vcc, |v[63:64]|, s[48:49]
	v_add_f64 v[36:37], v[36:37], -v[69:70]
	v_add_f64 v[59:60], v[61:62], v[38:39]
	v_ldexp_f64 v[40:41], v[40:41], 2
	v_add_f64 v[63:64], v[17:18], v[59:60]
	v_cndmask_b32_e32 v41, 0, v41, vcc
	v_cndmask_b32_e32 v40, 0, v40, vcc
	v_add_f64 v[71:72], v[59:60], -v[61:62]
	v_add_f64 v[67:68], v[63:64], v[40:41]
	v_add_f64 v[17:18], v[63:64], -v[17:18]
	v_add_f64 v[73:74], v[59:60], -v[71:72]
	;; [unrolled: 1-line block ×3, first 2 shown]
	v_cmp_gt_f64_e32 vcc, 0, v[67:68]
	v_add_f64 v[67:68], v[61:62], -v[69:70]
	v_add_f64 v[17:18], v[59:60], -v[17:18]
	;; [unrolled: 1-line block ×3, first 2 shown]
	v_cndmask_b32_e32 v22, 0, v52, vcc
	v_add_f64 v[40:41], v[40:41], v[21:22]
	v_add_f64 v[67:68], v[65:66], -v[67:68]
	v_add_f64 v[38:39], v[38:39], v[61:62]
	v_add_f64 v[75:76], v[63:64], v[40:41]
	;; [unrolled: 1-line block ×3, first 2 shown]
	v_cvt_i32_f64_e32 v71, v[75:76]
	v_add_f64 v[30:31], v[36:37], v[38:39]
	v_cvt_f64_i32_e32 v[69:70], v71
	v_add_f64 v[40:41], v[40:41], -v[69:70]
	v_add_f64 v[15:16], v[15:16], v[30:31]
	v_add_f64 v[36:37], v[63:64], v[40:41]
	;; [unrolled: 1-line block ×3, first 2 shown]
	v_add_f64 v[30:31], v[36:37], -v[40:41]
	v_cmp_le_f64_e32 vcc, 0.5, v[36:37]
	v_add_f64 v[17:18], v[63:64], -v[30:31]
	v_cndmask_b32_e32 v22, 0, v53, vcc
	v_add_f64 v[15:16], v[15:16], v[17:18]
	v_add_f64 v[17:18], v[36:37], -v[21:22]
	v_addc_co_u32_e32 v22, vcc, 0, v71, vcc
	v_add_f64 v[30:31], v[17:18], v[15:16]
	v_mul_f64 v[36:37], v[30:31], s[22:23]
	v_add_f64 v[17:18], v[30:31], -v[17:18]
	v_fma_f64 v[38:39], v[30:31], s[22:23], -v[36:37]
	v_add_f64 v[15:16], v[15:16], -v[17:18]
	v_fma_f64 v[17:18], v[30:31], s[54:55], v[38:39]
	v_fma_f64 v[17:18], v[15:16], s[22:23], v[17:18]
	v_add_f64 v[15:16], v[36:37], v[17:18]
	v_add_f64 v[30:31], v[15:16], -v[36:37]
	v_add_f64 v[17:18], v[17:18], -v[30:31]
	s_andn2_saveexec_b64 s[10:11], s[10:11]
	s_cbranch_execnz .LBB99_122
	s_branch .LBB99_123
.LBB99_121:                             ;   in Loop: Header=BB99_4 Depth=1
	s_andn2_saveexec_b64 s[10:11], s[10:11]
	s_cbranch_execz .LBB99_123
.LBB99_122:                             ;   in Loop: Header=BB99_4 Depth=1
	v_mul_f64 v[15:16], |v[13:14]|, s[24:25]
	s_mov_b32 s26, s52
	v_rndne_f64_e32 v[30:31], v[15:16]
	v_fma_f64 v[15:16], v[30:31], s[50:51], |v[13:14]|
	v_mul_f64 v[17:18], v[30:31], s[52:53]
	v_cvt_i32_f64_e32 v22, v[30:31]
	v_fma_f64 v[40:41], v[30:31], s[52:53], v[15:16]
	v_add_f64 v[36:37], v[15:16], v[17:18]
	v_add_f64 v[38:39], v[15:16], -v[36:37]
	v_add_f64 v[36:37], v[36:37], -v[40:41]
	v_add_f64 v[15:16], v[38:39], v[17:18]
	v_fma_f64 v[17:18], v[30:31], s[26:27], v[17:18]
	v_add_f64 v[15:16], v[36:37], v[15:16]
	v_add_f64 v[15:16], v[15:16], -v[17:18]
	v_fma_f64 v[17:18], v[30:31], s[28:29], v[15:16]
	v_add_f64 v[15:16], v[40:41], v[17:18]
	v_add_f64 v[36:37], v[15:16], -v[40:41]
	v_add_f64 v[17:18], v[17:18], -v[36:37]
.LBB99_123:                             ;   in Loop: Header=BB99_4 Depth=1
	s_or_b64 exec, exec, s[10:11]
	v_mul_f64 v[30:31], v[32:33], v[32:33]
	v_mov_b32_e32 v59, s82
	v_mov_b32_e32 v60, s83
	v_mul_f64 v[63:64], v[34:35], 0.5
	s_mov_b32 s12, s14
	v_mul_f64 v[36:37], v[30:31], 0.5
	v_fma_f64 v[61:62], v[30:31], s[84:85], v[59:60]
	v_add_f64 v[38:39], -v[36:37], 1.0
	v_fma_f64 v[61:62], v[30:31], v[61:62], s[86:87]
	v_add_f64 v[40:41], -v[38:39], 1.0
	v_fma_f64 v[61:62], v[30:31], v[61:62], s[88:89]
	v_add_f64 v[36:37], v[40:41], -v[36:37]
	v_fma_f64 v[61:62], v[30:31], v[61:62], s[90:91]
	v_mul_f64 v[40:41], v[30:31], v[30:31]
	v_fma_f64 v[36:37], v[32:33], -v[34:35], v[36:37]
	v_fma_f64 v[61:62], v[30:31], v[61:62], s[14:15]
	v_fma_f64 v[36:37], v[40:41], v[61:62], v[36:37]
	v_mul_f64 v[61:62], v[32:33], -v[30:31]
	v_add_f64 v[36:37], v[38:39], v[36:37]
	v_mov_b32_e32 v38, s94
	v_mov_b32_e32 v39, s95
	v_fma_f64 v[40:41], v[30:31], s[30:31], v[38:39]
	v_fma_f64 v[40:41], v[30:31], v[40:41], s[34:35]
	;; [unrolled: 1-line block ×5, first 2 shown]
	v_fma_f64 v[30:31], v[30:31], v[40:41], -v[34:35]
	v_fma_f64 v[30:31], v[61:62], s[12:13], v[30:31]
	v_add_f64 v[30:31], v[32:33], -v[30:31]
	v_and_b32_e32 v32, 1, v58
	v_cmp_eq_u32_e32 vcc, 0, v32
	v_lshlrev_b32_e32 v32, 30, v58
	v_xor_b32_e32 v32, v32, v14
	v_and_b32_e32 v32, 0x80000000, v32
	v_cndmask_b32_e32 v30, v36, v30, vcc
	v_cndmask_b32_e32 v31, v37, v31, vcc
	v_cmp_class_f64_e64 vcc, v[13:14], s77
	v_xor_b32_e32 v31, v31, v32
	v_cndmask_b32_e32 v13, 0, v30, vcc
	v_cndmask_b32_e32 v14, v57, v31, vcc
	v_mul_f64 v[30:31], v[15:16], v[15:16]
	v_mul_f64 v[32:33], v[30:31], 0.5
	v_fma_f64 v[40:41], v[30:31], s[84:85], v[59:60]
	v_add_f64 v[34:35], -v[32:33], 1.0
	v_fma_f64 v[40:41], v[30:31], v[40:41], s[86:87]
	v_add_f64 v[36:37], -v[34:35], 1.0
	v_fma_f64 v[40:41], v[30:31], v[40:41], s[88:89]
	v_add_f64 v[32:33], v[36:37], -v[32:33]
	v_fma_f64 v[40:41], v[30:31], v[40:41], s[90:91]
	v_mul_f64 v[36:37], v[30:31], v[30:31]
	v_fma_f64 v[32:33], v[15:16], -v[17:18], v[32:33]
	v_fma_f64 v[40:41], v[30:31], v[40:41], s[14:15]
	v_fma_f64 v[32:33], v[36:37], v[40:41], v[32:33]
	v_mul_f64 v[36:37], v[15:16], -v[30:31]
	v_add_f64 v[32:33], v[34:35], v[32:33]
	v_fma_f64 v[34:35], v[30:31], s[30:31], v[38:39]
	v_mul_f64 v[38:39], v[17:18], 0.5
	v_fma_f64 v[34:35], v[30:31], v[34:35], s[34:35]
	v_fma_f64 v[34:35], v[30:31], v[34:35], s[36:37]
	v_fma_f64 v[34:35], v[30:31], v[34:35], s[80:81]
	v_fma_f64 v[34:35], v[36:37], v[34:35], v[38:39]
	v_fma_f64 v[17:18], v[30:31], v[34:35], -v[17:18]
	v_fma_f64 v[17:18], v[36:37], s[12:13], v[17:18]
	v_add_f64 v[15:16], v[15:16], -v[17:18]
	v_and_b32_e32 v17, 1, v22
	v_cmp_eq_u32_e64 s[10:11], 0, v17
	v_lshlrev_b32_e32 v17, 30, v22
	v_and_b32_e32 v17, 0x80000000, v17
	v_xor_b32_e32 v16, 0x80000000, v16
	v_cndmask_b32_e64 v16, v16, v33, s[10:11]
	v_cndmask_b32_e64 v15, v15, v32, s[10:11]
	v_xor_b32_e32 v16, v16, v17
	v_cndmask_b32_e32 v15, 0, v15, vcc
	v_cndmask_b32_e32 v16, v57, v16, vcc
	v_mul_f64 v[13:14], v[13:14], v[15:16]
.LBB99_124:                             ;   in Loop: Header=BB99_4 Depth=1
	s_or_b64 exec, exec, s[68:69]
	v_bfi_b32 v22, s75, 0, v14
	v_mov_b32_e32 v17, v21
	v_add_u32_e32 v20, -2.0, v20
	v_mov_b32_e32 v18, v22
.LBB99_125:                             ;   in Loop: Header=BB99_4 Depth=1
	s_or_b64 exec, exec, s[66:67]
.LBB99_126:                             ;   in Loop: Header=BB99_4 Depth=1
	s_or_b64 exec, exec, s[60:61]
	v_xor_b32_e32 v16, 0x80000000, v8
	v_and_b32_e32 v13, 0x7fffffff, v16
	v_mov_b32_e32 v15, v7
	v_cmp_gt_u32_e32 vcc, s76, v13
	s_and_saveexec_b64 s[10:11], vcc
	s_xor_b64 s[60:61], exec, s[10:11]
	s_cbranch_execz .LBB99_137
; %bb.127:                              ;   in Loop: Header=BB99_4 Depth=1
	v_cmp_class_f64_e64 s[10:11], v[5:6], s77
	s_and_saveexec_b64 s[66:67], s[10:11]
	s_xor_b64 s[66:67], exec, s[66:67]
	s_cbranch_execz .LBB99_156
; %bb.128:                              ;   in Loop: Header=BB99_4 Depth=1
	s_mov_b32 s10, 0x40360000
	v_cmp_gt_u32_e32 vcc, s10, v13
	s_and_saveexec_b64 s[10:11], vcc
	s_xor_b64 s[68:69], exec, s[10:11]
	s_cbranch_execz .LBB99_134
; %bb.129:                              ;   in Loop: Header=BB99_4 Depth=1
	v_cmp_nlt_f64_e64 s[10:11], |v[5:6]|, s[44:45]
                                        ; implicit-def: $vgpr15
                                        ; implicit-def: $vgpr13_vgpr14
                                        ; implicit-def: $vgpr30_vgpr31
	s_and_saveexec_b64 s[70:71], s[10:11]
	s_xor_b64 s[10:11], exec, s[70:71]
	s_cbranch_execz .LBB99_131
; %bb.130:                              ;   in Loop: Header=BB99_4 Depth=1
	v_trig_preop_f64 v[13:14], |v[5:6]|, 0
	v_ldexp_f64 v[30:31], |v[5:6]|, s79
	v_cmp_ge_f64_e64 vcc, |v[5:6]|, s[46:47]
	v_trig_preop_f64 v[32:33], |v[5:6]|, 1
	v_and_b32_e32 v15, 0x7fffffff, v6
	v_trig_preop_f64 v[40:41], |v[5:6]|, 2
	s_mov_b32 s22, s50
	s_mov_b32 s55, s27
	v_cndmask_b32_e32 v31, v15, v31, vcc
	v_cndmask_b32_e32 v30, v5, v30, vcc
	v_mul_f64 v[34:35], v[13:14], v[30:31]
	v_mul_f64 v[36:37], v[32:33], v[30:31]
	;; [unrolled: 1-line block ×3, first 2 shown]
	v_fma_f64 v[13:14], v[13:14], v[30:31], -v[34:35]
	v_fma_f64 v[32:33], v[32:33], v[30:31], -v[36:37]
	;; [unrolled: 1-line block ×3, first 2 shown]
	v_add_f64 v[38:39], v[36:37], v[13:14]
	v_add_f64 v[58:59], v[38:39], -v[36:37]
	v_add_f64 v[64:65], v[34:35], v[38:39]
	v_add_f64 v[60:61], v[38:39], -v[58:59]
	v_add_f64 v[13:14], v[13:14], -v[58:59]
	v_add_f64 v[58:59], v[62:63], v[32:33]
	v_add_f64 v[34:35], v[64:65], -v[34:35]
	v_add_f64 v[36:37], v[36:37], -v[60:61]
	v_ldexp_f64 v[60:61], v[64:65], -2
	v_add_f64 v[66:67], v[58:59], -v[62:63]
	v_add_f64 v[34:35], v[38:39], -v[34:35]
	v_add_f64 v[13:14], v[13:14], v[36:37]
	v_fract_f64_e32 v[36:37], v[60:61]
	v_cmp_neq_f64_e64 vcc, |v[60:61]|, s[48:49]
	v_add_f64 v[32:33], v[32:33], -v[66:67]
	v_add_f64 v[38:39], v[58:59], v[13:14]
	v_ldexp_f64 v[36:37], v[36:37], 2
	v_add_f64 v[60:61], v[34:35], v[38:39]
	v_cndmask_b32_e32 v37, 0, v37, vcc
	v_cndmask_b32_e32 v36, 0, v36, vcc
	v_add_f64 v[68:69], v[38:39], -v[58:59]
	v_add_f64 v[64:65], v[60:61], v[36:37]
	v_add_f64 v[34:35], v[60:61], -v[34:35]
	v_add_f64 v[70:71], v[38:39], -v[68:69]
	;; [unrolled: 1-line block ×3, first 2 shown]
	v_cmp_gt_f64_e32 vcc, 0, v[64:65]
	v_add_f64 v[64:65], v[58:59], -v[66:67]
	v_add_f64 v[34:35], v[38:39], -v[34:35]
	;; [unrolled: 1-line block ×3, first 2 shown]
	v_cndmask_b32_e32 v22, 0, v52, vcc
	v_add_f64 v[36:37], v[36:37], v[21:22]
	v_add_f64 v[64:65], v[62:63], -v[64:65]
	v_add_f64 v[13:14], v[13:14], v[58:59]
	v_add_f64 v[72:73], v[60:61], v[36:37]
	;; [unrolled: 1-line block ×3, first 2 shown]
	v_cvt_i32_f64_e32 v15, v[72:73]
	v_add_f64 v[13:14], v[32:33], v[13:14]
	v_cvt_f64_i32_e32 v[66:67], v15
	v_add_f64 v[36:37], v[36:37], -v[66:67]
	v_add_f64 v[13:14], v[30:31], v[13:14]
	v_add_f64 v[32:33], v[60:61], v[36:37]
	v_add_f64 v[13:14], v[34:35], v[13:14]
	v_add_f64 v[30:31], v[32:33], -v[36:37]
	v_cmp_le_f64_e32 vcc, 0.5, v[32:33]
	v_add_f64 v[30:31], v[60:61], -v[30:31]
	v_cndmask_b32_e32 v22, 0, v53, vcc
	v_addc_co_u32_e32 v15, vcc, 0, v15, vcc
	v_add_f64 v[13:14], v[13:14], v[30:31]
	v_add_f64 v[30:31], v[32:33], -v[21:22]
	v_add_f64 v[32:33], v[30:31], v[13:14]
	v_mul_f64 v[34:35], v[32:33], s[22:23]
	v_add_f64 v[30:31], v[32:33], -v[30:31]
	v_fma_f64 v[36:37], v[32:33], s[22:23], -v[34:35]
	v_add_f64 v[13:14], v[13:14], -v[30:31]
	v_fma_f64 v[30:31], v[32:33], s[54:55], v[36:37]
	v_fma_f64 v[30:31], v[13:14], s[22:23], v[30:31]
	v_add_f64 v[13:14], v[34:35], v[30:31]
	v_add_f64 v[32:33], v[13:14], -v[34:35]
	v_add_f64 v[30:31], v[30:31], -v[32:33]
.LBB99_131:                             ;   in Loop: Header=BB99_4 Depth=1
	s_andn2_saveexec_b64 s[10:11], s[10:11]
	s_cbranch_execz .LBB99_133
; %bb.132:                              ;   in Loop: Header=BB99_4 Depth=1
	v_mul_f64 v[13:14], |v[5:6]|, s[24:25]
	s_mov_b32 s26, s52
	v_rndne_f64_e32 v[32:33], v[13:14]
	v_fma_f64 v[13:14], v[32:33], s[50:51], |v[5:6]|
	v_mul_f64 v[30:31], v[32:33], s[52:53]
	v_cvt_i32_f64_e32 v15, v[32:33]
	v_fma_f64 v[38:39], v[32:33], s[52:53], v[13:14]
	v_add_f64 v[34:35], v[13:14], v[30:31]
	v_add_f64 v[36:37], v[13:14], -v[34:35]
	v_add_f64 v[34:35], v[34:35], -v[38:39]
	v_add_f64 v[13:14], v[36:37], v[30:31]
	v_fma_f64 v[30:31], v[32:33], s[26:27], v[30:31]
	v_add_f64 v[13:14], v[34:35], v[13:14]
	v_add_f64 v[13:14], v[13:14], -v[30:31]
	v_fma_f64 v[30:31], v[32:33], s[28:29], v[13:14]
	v_add_f64 v[13:14], v[38:39], v[30:31]
	v_add_f64 v[34:35], v[13:14], -v[38:39]
	v_add_f64 v[30:31], v[30:31], -v[34:35]
.LBB99_133:                             ;   in Loop: Header=BB99_4 Depth=1
	s_or_b64 exec, exec, s[10:11]
	v_add_f64 v[32:33], |v[7:8]|, s[64:65]
	s_mov_b32 s58, s64
	s_mov_b32 s10, 0x3b39803f
	s_mov_b32 s11, 0xbc7abc9e
	s_mov_b32 s40, s62
	s_mov_b32 s57, s65
	s_mov_b32 s39, s81
	s_mov_b32 s93, s15
	v_add_f64 v[34:35], v[32:33], -|v[7:8]|
	v_and_b32_e32 v15, 1, v15
	v_add_f64 v[36:37], v[34:35], -v[32:33]
	v_add_f64 v[34:35], v[34:35], s[58:59]
	v_add_f64 v[36:37], |v[7:8]|, v[36:37]
	v_add_f64 v[34:35], v[36:37], -v[34:35]
	v_add_f64 v[34:35], v[34:35], s[10:11]
	s_mov_b32 s10, 0xf278e000
	s_mov_b32 s11, 0xbd53de6a
	v_add_f64 v[36:37], v[32:33], v[34:35]
	v_mul_f64 v[38:39], v[36:37], s[40:41]
	v_add_f64 v[32:33], v[32:33], -v[36:37]
	v_rndne_f64_e32 v[38:39], v[38:39]
	v_add_f64 v[32:33], v[34:35], v[32:33]
	v_fma_f64 v[34:35], v[38:39], s[56:57], v[36:37]
	v_mul_f64 v[36:37], v[38:39], s[10:11]
	s_mov_b32 s10, 0xf97b57a0
	s_mov_b32 s11, 0xbac9cc01
	v_cvt_i32_f64_e32 v5, v[38:39]
	v_add_f64 v[40:41], v[32:33], v[34:35]
	v_add_f64 v[58:59], v[40:41], v[36:37]
	v_add_f64 v[34:35], v[34:35], -v[40:41]
	v_add_f64 v[40:41], v[40:41], -v[58:59]
	v_add_f64 v[32:33], v[32:33], v[34:35]
	v_add_f64 v[34:35], v[40:41], v[36:37]
	;; [unrolled: 1-line block ×3, first 2 shown]
	v_mul_f64 v[34:35], v[38:39], s[10:11]
	s_mov_b32 s10, 0x6a5dcb37
	s_mov_b32 s11, 0x3e5ade15
	v_add_f64 v[36:37], v[58:59], v[32:33]
	v_add_f64 v[40:41], v[36:37], v[34:35]
	v_add_f64 v[58:59], v[58:59], -v[36:37]
	v_add_f64 v[36:37], v[36:37], -v[40:41]
	v_add_f64 v[32:33], v[32:33], v[58:59]
	v_add_f64 v[34:35], v[36:37], v[34:35]
	;; [unrolled: 1-line block ×4, first 2 shown]
	v_fma_f64 v[36:37], v[34:35], s[10:11], v[28:29]
	s_mov_b32 s10, 0x623fde64
	s_mov_b32 s11, 0x3ec71dee
	v_add_f64 v[40:41], v[40:41], -v[34:35]
	v_mul_f64 v[58:59], v[34:35], v[34:35]
	v_fma_f64 v[36:37], v[34:35], v[36:37], s[10:11]
	s_mov_b32 s10, 0x7c89e6b0
	s_mov_b32 s11, 0x3efa0199
	v_add_f64 v[32:33], v[32:33], v[40:41]
	v_fma_f64 v[40:41], v[34:35], v[34:35], -v[58:59]
	v_fma_f64 v[36:37], v[34:35], v[36:37], s[10:11]
	s_mov_b32 s10, 0x14761f6e
	s_mov_b32 s11, 0x3f2a01a0
	v_add_f64 v[60:61], v[32:33], v[32:33]
	v_fma_f64 v[36:37], v[34:35], v[36:37], s[10:11]
	s_mov_b32 s10, 0x1852b7b0
	s_mov_b32 s11, 0x3f56c16c
	v_fma_f64 v[40:41], v[34:35], v[60:61], v[40:41]
	v_fma_f64 v[36:37], v[34:35], v[36:37], s[10:11]
	s_mov_b32 s10, 0x55555511
	s_mov_b32 s11, 0x3fc55555
	v_add_f64 v[60:61], v[58:59], v[40:41]
	v_fma_f64 v[36:37], v[34:35], v[36:37], s[38:39]
	v_add_f64 v[58:59], v[60:61], -v[58:59]
	v_fma_f64 v[36:37], v[34:35], v[36:37], s[92:93]
	v_add_f64 v[40:41], v[40:41], -v[58:59]
	v_fma_f64 v[36:37], v[34:35], v[36:37], s[10:11]
	s_mov_b32 s10, 11
	s_mov_b32 s11, 0x3fe00000
	v_fma_f64 v[36:37], v[34:35], v[36:37], s[10:11]
	s_mov_b32 s10, 0xc751c08c
	s_mov_b32 s11, 0x3ef5e089
	v_mul_f64 v[62:63], v[60:61], v[36:37]
	v_fma_f64 v[58:59], v[60:61], v[36:37], -v[62:63]
	v_fma_f64 v[36:37], v[40:41], v[36:37], v[58:59]
	v_add_f64 v[40:41], v[62:63], v[36:37]
	v_add_f64 v[58:59], v[34:35], v[40:41]
	v_add_f64 v[60:61], v[40:41], -v[62:63]
	v_add_f64 v[34:35], v[58:59], -v[34:35]
	v_add_f64 v[36:37], v[36:37], -v[60:61]
	v_add_f64 v[60:61], v[30:31], v[30:31]
	v_add_f64 v[34:35], v[40:41], -v[34:35]
	v_add_f64 v[32:33], v[32:33], v[36:37]
	v_add_f64 v[32:33], v[32:33], v[34:35]
	;; [unrolled: 1-line block ×3, first 2 shown]
	v_add_f64 v[36:37], v[34:35], 1.0
	v_add_f64 v[40:41], v[34:35], -v[58:59]
	v_add_f64 v[58:59], v[36:37], -1.0
	v_add_f64 v[32:33], v[32:33], -v[40:41]
	v_add_f64 v[34:35], v[34:35], -v[58:59]
	v_add_f64 v[32:33], v[32:33], v[34:35]
	v_add_f64 v[34:35], v[36:37], v[32:33]
	v_ldexp_f64 v[38:39], v[34:35], v5
	v_add_f64 v[34:35], v[34:35], -v[36:37]
	v_rcp_f64_e32 v[40:41], v[38:39]
	v_add_f64 v[32:33], v[32:33], -v[34:35]
	v_ldexp_f64 v[32:33], v[32:33], v5
	v_fma_f64 v[58:59], -v[38:39], v[40:41], 1.0
	v_fma_f64 v[40:41], v[58:59], v[40:41], v[40:41]
	v_fma_f64 v[58:59], -v[38:39], v[40:41], 1.0
	v_fma_f64 v[36:37], v[58:59], v[40:41], v[40:41]
	v_mul_f64 v[40:41], v[13:14], v[13:14]
	v_mul_f64 v[34:35], v[38:39], v[36:37]
	v_fma_f64 v[62:63], v[13:14], v[13:14], -v[40:41]
	v_fma_f64 v[58:59], v[36:37], v[38:39], -v[34:35]
	v_fma_f64 v[60:61], v[13:14], v[60:61], v[62:63]
	v_fma_f64 v[58:59], v[36:37], v[32:33], v[58:59]
	v_add_f64 v[40:41], v[40:41], v[60:61]
	v_add_f64 v[62:63], v[34:35], v[58:59]
	v_fma_f64 v[64:65], v[40:41], s[10:11], v[26:27]
	s_mov_b32 s10, 0x90a8aae0
	s_mov_b32 s11, 0x3f17746f
	v_add_f64 v[60:61], -v[62:63], 1.0
	v_add_f64 v[34:35], v[62:63], -v[34:35]
	v_fma_f64 v[64:65], v[40:41], v[64:65], s[10:11]
	s_mov_b32 s10, 0xa6fbf144
	s_mov_b32 s11, 0xbefbb44d
	v_add_f64 v[66:67], -v[60:61], 1.0
	v_add_f64 v[34:35], v[34:35], -v[58:59]
	v_add_f64 v[58:59], v[66:67], -v[62:63]
	v_fma_f64 v[62:63], v[40:41], v[64:65], s[10:11]
	s_mov_b32 s10, 0xa7943acf
	s_mov_b32 s11, 0x3f21e634
	v_add_f64 v[34:35], v[34:35], v[58:59]
	v_fma_f64 v[58:59], v[40:41], v[62:63], s[10:11]
	s_mov_b32 s10, 0xdeb68feb
	s_mov_b32 s11, 0x3f2d250f
	v_add_f64 v[62:63], v[60:61], v[34:35]
	v_fma_f64 v[58:59], v[40:41], v[58:59], s[10:11]
	s_mov_b32 s10, 0xb58c4d95
	s_mov_b32 s11, 0x3f437fd9
	v_mul_f64 v[64:65], v[36:37], v[62:63]
	v_fma_f64 v[58:59], v[40:41], v[58:59], s[10:11]
	s_mov_b32 s10, 0x15120e2c
	s_mov_b32 s11, 0x3f57d5af
	v_add_f64 v[60:61], v[60:61], -v[62:63]
	v_mul_f64 v[66:67], v[38:39], v[64:65]
	v_fma_f64 v[58:59], v[40:41], v[58:59], s[10:11]
	s_mov_b32 s10, 0xe09491df
	s_mov_b32 s11, 0x3f6d6d93
	v_add_f64 v[34:35], v[34:35], v[60:61]
	v_fma_f64 v[68:69], v[64:65], v[38:39], -v[66:67]
	v_fma_f64 v[58:59], v[40:41], v[58:59], s[10:11]
	s_mov_b32 s10, 0x2033784d
	s_mov_b32 s11, 0x3f8226e1
	v_fma_f64 v[68:69], v[64:65], v[32:33], v[68:69]
	v_fma_f64 v[58:59], v[40:41], v[58:59], s[10:11]
	s_mov_b32 s10, 0x9ac36ae2
	s_mov_b32 s11, 0x3f9664f4
	v_add_f64 v[70:71], v[66:67], v[68:69]
	v_fma_f64 v[58:59], v[40:41], v[58:59], s[10:11]
	s_mov_b32 s10, 0x1b451c21
	s_mov_b32 s11, 0x3faba1ba
	v_add_f64 v[72:73], v[62:63], -v[70:71]
	v_fma_f64 v[58:59], v[40:41], v[58:59], s[10:11]
	s_mov_b32 s10, 0x111185b7
	s_mov_b32 s11, 0x3fc11111
	v_add_f64 v[60:61], v[70:71], -v[66:67]
	v_add_f64 v[62:63], v[62:63], -v[72:73]
	v_fma_f64 v[58:59], v[40:41], v[58:59], s[10:11]
	s_mov_b32 s10, 0x555554ee
	s_mov_b32 s11, 0x3fd55555
	v_add_f64 v[60:61], v[60:61], -v[68:69]
	v_add_f64 v[62:63], v[62:63], -v[70:71]
	v_fma_f64 v[58:59], v[40:41], v[58:59], s[10:11]
	s_mov_b32 s10, 0x8fb9f87e
	s_mov_b32 s11, 0x408633ce
	v_cmp_nge_f64_e64 vcc, |v[7:8]|, s[10:11]
	s_mov_b32 s10, 0
	s_mov_b32 s11, 0x3e400000
	v_add_f64 v[34:35], v[34:35], v[62:63]
	v_mul_f64 v[40:41], v[40:41], v[58:59]
	v_add_f64 v[58:59], v[36:37], v[64:65]
	v_add_f64 v[34:35], v[60:61], v[34:35]
	v_mul_f64 v[60:61], v[13:14], v[40:41]
	v_add_f64 v[62:63], v[58:59], -v[36:37]
	v_add_f64 v[34:35], v[72:73], v[34:35]
	v_add_f64 v[66:67], v[13:14], v[60:61]
	v_add_f64 v[62:63], v[64:65], -v[62:63]
	v_mul_f64 v[34:35], v[36:37], v[34:35]
	v_fma_f64 v[36:37], v[13:14], v[40:41], -v[60:61]
	v_add_f64 v[13:14], v[66:67], -v[13:14]
	v_add_f64 v[34:35], v[62:63], v[34:35]
	v_add_f64 v[30:31], v[30:31], v[36:37]
	v_add_f64 v[13:14], v[60:61], -v[13:14]
	v_add_f64 v[36:37], v[58:59], v[34:35]
	v_add_f64 v[13:14], v[30:31], v[13:14]
	v_ldexp_f64 v[30:31], v[36:37], -2
	v_add_f64 v[36:37], v[36:37], -v[58:59]
	v_add_f64 v[40:41], v[66:67], v[13:14]
	v_add_f64 v[60:61], v[38:39], -v[30:31]
	v_add_f64 v[34:35], v[34:35], -v[36:37]
	v_rcp_f64_e32 v[62:63], v[40:41]
	v_add_f64 v[38:39], v[38:39], -v[60:61]
	v_ldexp_f64 v[34:35], v[34:35], -2
	v_add_f64 v[30:31], v[38:39], -v[30:31]
	v_fma_f64 v[36:37], -v[40:41], v[62:63], 1.0
	v_add_f64 v[30:31], v[32:33], v[30:31]
	v_fma_f64 v[32:33], v[36:37], v[62:63], v[62:63]
	v_add_f64 v[30:31], v[30:31], -v[34:35]
	v_fma_f64 v[34:35], -v[40:41], v[32:33], 1.0
	v_add_f64 v[30:31], v[60:61], v[30:31]
	v_fma_f64 v[32:33], v[34:35], v[32:33], v[32:33]
	v_cndmask_b32_e32 v5, v54, v31, vcc
	v_cndmask_b32_e32 v22, 0, v30, vcc
	v_cmp_lt_f64_e64 vcc, |v[7:8]|, s[10:11]
	v_and_b32_e32 v8, 0x7fffffff, v8
	s_mov_b32 s10, 0
	v_add_f64 v[30:31], v[40:41], -v[66:67]
	v_mul_f64 v[34:35], v[40:41], v[32:33]
	s_brev_b32 s11, 8
	v_cndmask_b32_e32 v5, v5, v8, vcc
	v_cndmask_b32_e32 v7, v22, v7, vcc
	v_bfi_b32 v8, s75, v5, v16
	v_fma_f64 v[36:37], v[7:8], v[7:8], 1.0
	v_add_f64 v[13:14], v[13:14], -v[30:31]
	v_fma_f64 v[30:31], v[32:33], v[40:41], -v[34:35]
	v_and_b32_e32 v16, 0x80000000, v6
	v_cmp_gt_f64_e32 vcc, s[10:11], v[36:37]
	v_cmp_eq_u32_e64 s[10:11], 0, v15
	v_fma_f64 v[13:14], v[32:33], v[13:14], v[30:31]
	v_cndmask_b32_e32 v5, 0, v55, vcc
	v_ldexp_f64 v[36:37], v[36:37], v5
	v_add_f64 v[38:39], v[34:35], v[13:14]
	v_cndmask_b32_e32 v22, 0, v56, vcc
	v_rsq_f64_e32 v[30:31], v[36:37]
	v_add_f64 v[58:59], -v[38:39], 1.0
	v_add_f64 v[34:35], v[38:39], -v[34:35]
	v_cmp_class_f64_e32 vcc, v[36:37], v51
	v_add_f64 v[62:63], -v[58:59], 1.0
	v_add_f64 v[13:14], v[34:35], -v[13:14]
	v_mul_f64 v[60:61], v[36:37], v[30:31]
	v_mul_f64 v[30:31], v[30:31], 0.5
	v_add_f64 v[38:39], v[62:63], -v[38:39]
	v_fma_f64 v[34:35], -v[30:31], v[60:61], 0.5
	v_add_f64 v[13:14], v[13:14], v[38:39]
	v_fma_f64 v[60:61], v[60:61], v[34:35], v[60:61]
	v_fma_f64 v[30:31], v[30:31], v[34:35], v[30:31]
	v_add_f64 v[13:14], v[58:59], v[13:14]
	v_fma_f64 v[34:35], -v[60:61], v[60:61], v[36:37]
	v_mul_f64 v[13:14], v[32:33], v[13:14]
	v_fma_f64 v[34:35], v[34:35], v[30:31], v[60:61]
	v_add_f64 v[13:14], v[32:33], v[13:14]
	v_fma_f64 v[38:39], -v[34:35], v[34:35], v[36:37]
	v_xor_b32_e32 v14, 0x80000000, v14
	v_cndmask_b32_e64 v14, v14, v41, s[10:11]
	v_cndmask_b32_e64 v13, v13, v40, s[10:11]
	v_xor_b32_e32 v14, v14, v16
	v_fma_f64 v[15:16], v[13:14], v[13:14], 1.0
	v_fma_f64 v[5:6], v[38:39], v[30:31], v[34:35]
	v_mul_f64 v[30:31], v[7:8], v[15:16]
	v_ldexp_f64 v[5:6], v[5:6], v22
	v_fma_f64 v[30:31], v[7:8], v[30:31], 1.0
	v_cndmask_b32_e32 v6, v6, v37, vcc
	v_cndmask_b32_e32 v5, v5, v36, vcc
	v_mul_f64 v[5:6], v[5:6], v[15:16]
	v_div_scale_f64 v[15:16], s[10:11], v[30:31], v[30:31], v[13:14]
	v_mul_f64 v[5:6], v[7:8], v[5:6]
	v_div_scale_f64 v[7:8], s[10:11], v[30:31], v[30:31], v[5:6]
	v_div_scale_f64 v[40:41], s[10:11], v[13:14], v[30:31], v[13:14]
	v_rcp_f64_e32 v[34:35], v[15:16]
	v_rcp_f64_e32 v[32:33], v[7:8]
	v_fma_f64 v[38:39], -v[15:16], v[34:35], 1.0
	v_fma_f64 v[34:35], v[34:35], v[38:39], v[34:35]
	v_fma_f64 v[36:37], -v[7:8], v[32:33], 1.0
	v_fma_f64 v[58:59], -v[15:16], v[34:35], 1.0
	v_fma_f64 v[32:33], v[32:33], v[36:37], v[32:33]
	v_div_scale_f64 v[36:37], vcc, v[5:6], v[30:31], v[5:6]
	v_fma_f64 v[34:35], v[34:35], v[58:59], v[34:35]
	v_fma_f64 v[38:39], -v[7:8], v[32:33], 1.0
	v_mul_f64 v[58:59], v[40:41], v[34:35]
	v_fma_f64 v[32:33], v[32:33], v[38:39], v[32:33]
	v_fma_f64 v[15:16], -v[15:16], v[58:59], v[40:41]
	v_mul_f64 v[38:39], v[36:37], v[32:33]
	v_fma_f64 v[7:8], -v[7:8], v[38:39], v[36:37]
	v_div_fmas_f64 v[7:8], v[7:8], v[32:33], v[38:39]
	s_mov_b64 vcc, s[10:11]
	v_div_fmas_f64 v[32:33], v[15:16], v[34:35], v[58:59]
	v_div_fixup_f64 v[15:16], v[7:8], v[30:31], v[5:6]
                                        ; implicit-def: $vgpr5_vgpr6
	v_div_fixup_f64 v[13:14], v[32:33], v[30:31], v[13:14]
.LBB99_134:                             ;   in Loop: Header=BB99_4 Depth=1
	s_andn2_saveexec_b64 s[10:11], s[68:69]
	s_cbranch_execz .LBB99_155
; %bb.135:                              ;   in Loop: Header=BB99_4 Depth=1
	v_cmp_nlt_f64_e64 s[68:69], |v[5:6]|, s[44:45]
                                        ; implicit-def: $vgpr40
                                        ; implicit-def: $vgpr36_vgpr37
                                        ; implicit-def: $vgpr38_vgpr39
	s_and_saveexec_b64 s[70:71], s[68:69]
	s_xor_b64 s[70:71], exec, s[70:71]
	s_cbranch_execz .LBB99_144
; %bb.136:                              ;   in Loop: Header=BB99_4 Depth=1
	v_trig_preop_f64 v[13:14], |v[5:6]|, 0
	v_ldexp_f64 v[30:31], |v[5:6]|, s79
	v_cmp_ge_f64_e64 vcc, |v[5:6]|, s[46:47]
	v_trig_preop_f64 v[32:33], |v[5:6]|, 1
	v_and_b32_e32 v15, 0x7fffffff, v6
	v_trig_preop_f64 v[40:41], |v[5:6]|, 2
	s_mov_b32 s22, s50
	s_mov_b32 s55, s27
	v_cndmask_b32_e32 v31, v15, v31, vcc
	v_cndmask_b32_e32 v30, v5, v30, vcc
	v_mul_f64 v[34:35], v[13:14], v[30:31]
	v_mul_f64 v[36:37], v[32:33], v[30:31]
	;; [unrolled: 1-line block ×3, first 2 shown]
	v_fma_f64 v[13:14], v[13:14], v[30:31], -v[34:35]
	v_fma_f64 v[32:33], v[32:33], v[30:31], -v[36:37]
	;; [unrolled: 1-line block ×3, first 2 shown]
	v_add_f64 v[38:39], v[36:37], v[13:14]
	v_add_f64 v[58:59], v[38:39], -v[36:37]
	v_add_f64 v[64:65], v[34:35], v[38:39]
	v_add_f64 v[60:61], v[38:39], -v[58:59]
	v_add_f64 v[13:14], v[13:14], -v[58:59]
	v_add_f64 v[58:59], v[62:63], v[32:33]
	v_add_f64 v[34:35], v[64:65], -v[34:35]
	v_add_f64 v[36:37], v[36:37], -v[60:61]
	v_ldexp_f64 v[60:61], v[64:65], -2
	v_add_f64 v[66:67], v[58:59], -v[62:63]
	v_add_f64 v[34:35], v[38:39], -v[34:35]
	v_add_f64 v[13:14], v[13:14], v[36:37]
	v_fract_f64_e32 v[36:37], v[60:61]
	v_cmp_neq_f64_e64 vcc, |v[60:61]|, s[48:49]
	v_add_f64 v[32:33], v[32:33], -v[66:67]
	v_add_f64 v[38:39], v[58:59], v[13:14]
	v_ldexp_f64 v[36:37], v[36:37], 2
	v_add_f64 v[60:61], v[34:35], v[38:39]
	v_cndmask_b32_e32 v37, 0, v37, vcc
	v_cndmask_b32_e32 v36, 0, v36, vcc
	v_add_f64 v[68:69], v[38:39], -v[58:59]
	v_add_f64 v[64:65], v[60:61], v[36:37]
	v_add_f64 v[34:35], v[60:61], -v[34:35]
	v_add_f64 v[70:71], v[38:39], -v[68:69]
	;; [unrolled: 1-line block ×3, first 2 shown]
	v_cmp_gt_f64_e32 vcc, 0, v[64:65]
	v_add_f64 v[64:65], v[58:59], -v[66:67]
	v_add_f64 v[34:35], v[38:39], -v[34:35]
	;; [unrolled: 1-line block ×3, first 2 shown]
	v_cndmask_b32_e32 v22, 0, v52, vcc
	v_add_f64 v[36:37], v[36:37], v[21:22]
	v_add_f64 v[64:65], v[62:63], -v[64:65]
	v_add_f64 v[13:14], v[13:14], v[58:59]
	v_add_f64 v[72:73], v[60:61], v[36:37]
	;; [unrolled: 1-line block ×3, first 2 shown]
	v_cvt_i32_f64_e32 v15, v[72:73]
	v_add_f64 v[13:14], v[32:33], v[13:14]
	v_cvt_f64_i32_e32 v[66:67], v15
	v_add_f64 v[36:37], v[36:37], -v[66:67]
	v_add_f64 v[13:14], v[30:31], v[13:14]
	v_add_f64 v[32:33], v[60:61], v[36:37]
	;; [unrolled: 1-line block ×3, first 2 shown]
	v_add_f64 v[30:31], v[32:33], -v[36:37]
	v_cmp_le_f64_e32 vcc, 0.5, v[32:33]
	v_add_f64 v[30:31], v[60:61], -v[30:31]
	v_cndmask_b32_e32 v22, 0, v53, vcc
	v_addc_co_u32_e32 v40, vcc, 0, v15, vcc
	v_add_f64 v[13:14], v[13:14], v[30:31]
	v_add_f64 v[30:31], v[32:33], -v[21:22]
	v_add_f64 v[32:33], v[30:31], v[13:14]
	v_mul_f64 v[34:35], v[32:33], s[22:23]
	v_add_f64 v[30:31], v[32:33], -v[30:31]
	v_fma_f64 v[36:37], v[32:33], s[22:23], -v[34:35]
	v_add_f64 v[13:14], v[13:14], -v[30:31]
	v_fma_f64 v[30:31], v[32:33], s[54:55], v[36:37]
	v_fma_f64 v[13:14], v[13:14], s[22:23], v[30:31]
	v_add_f64 v[36:37], v[34:35], v[13:14]
	v_add_f64 v[30:31], v[36:37], -v[34:35]
	v_add_f64 v[38:39], v[13:14], -v[30:31]
	s_andn2_saveexec_b64 s[70:71], s[70:71]
	s_cbranch_execz .LBB99_146
	s_branch .LBB99_145
.LBB99_137:                             ;   in Loop: Header=BB99_4 Depth=1
	s_andn2_saveexec_b64 s[60:61], s[60:61]
	s_cbranch_execz .LBB99_159
.LBB99_138:                             ;   in Loop: Header=BB99_4 Depth=1
	v_and_or_b32 v13, v16, s78, v15
	v_cmp_ne_u32_e32 vcc, 0, v13
	s_and_saveexec_b64 s[10:11], vcc
	s_xor_b64 s[10:11], exec, s[10:11]
	s_cbranch_execz .LBB99_140
; %bb.139:                              ;   in Loop: Header=BB99_4 Depth=1
	v_mul_f64 v[7:8], v[5:6], -v[7:8]
	v_cmp_eq_f64_e32 vcc, 0, v[5:6]
	v_cndmask_b32_e32 v14, v8, v6, vcc
	v_cndmask_b32_e32 v13, v7, v5, vcc
                                        ; implicit-def: $vgpr5_vgpr6
.LBB99_140:                             ;   in Loop: Header=BB99_4 Depth=1
	s_andn2_saveexec_b64 s[66:67], s[10:11]
	s_cbranch_execz .LBB99_167
; %bb.141:                              ;   in Loop: Header=BB99_4 Depth=1
	v_cmp_neq_f64_e64 s[10:11], |v[5:6]|, s[48:49]
	s_and_saveexec_b64 s[68:69], s[10:11]
	s_cbranch_execz .LBB99_166
; %bb.142:                              ;   in Loop: Header=BB99_4 Depth=1
	v_trig_preop_f64 v[38:39], |v[5:6]|, 0
	v_trig_preop_f64 v[36:37], |v[5:6]|, 1
	;; [unrolled: 1-line block ×3, first 2 shown]
	v_cmp_nlt_f64_e64 s[10:11], |v[5:6]|, s[44:45]
	v_ldexp_f64 v[40:41], |v[5:6]|, s79
	v_and_b32_e32 v59, 0x7fffffff, v6
                                        ; implicit-def: $vgpr58
                                        ; implicit-def: $vgpr32_vgpr33
                                        ; implicit-def: $vgpr34_vgpr35
	s_and_saveexec_b64 s[70:71], s[10:11]
	s_xor_b64 s[70:71], exec, s[70:71]
	s_cbranch_execz .LBB99_148
; %bb.143:                              ;   in Loop: Header=BB99_4 Depth=1
	v_cmp_ge_f64_e64 vcc, |v[5:6]|, s[46:47]
	s_mov_b32 s22, s50
	s_mov_b32 s55, s27
	v_cndmask_b32_e32 v8, v59, v41, vcc
	v_cndmask_b32_e32 v7, v5, v40, vcc
	v_mul_f64 v[13:14], v[38:39], v[7:8]
	v_mul_f64 v[32:33], v[36:37], v[7:8]
	;; [unrolled: 1-line block ×3, first 2 shown]
	v_fma_f64 v[34:35], v[38:39], v[7:8], -v[13:14]
	v_fma_f64 v[68:69], v[36:37], v[7:8], -v[32:33]
	v_fma_f64 v[7:8], v[30:31], v[7:8], -v[66:67]
	v_add_f64 v[60:61], v[32:33], v[34:35]
	v_add_f64 v[62:63], v[60:61], -v[32:33]
	v_add_f64 v[70:71], v[13:14], v[60:61]
	v_add_f64 v[64:65], v[60:61], -v[62:63]
	v_add_f64 v[34:35], v[34:35], -v[62:63]
	v_add_f64 v[62:63], v[66:67], v[68:69]
	v_add_f64 v[13:14], v[70:71], -v[13:14]
	v_add_f64 v[32:33], v[32:33], -v[64:65]
	v_ldexp_f64 v[64:65], v[70:71], -2
	v_add_f64 v[72:73], v[62:63], -v[66:67]
	v_add_f64 v[13:14], v[60:61], -v[13:14]
	v_add_f64 v[32:33], v[34:35], v[32:33]
	v_fract_f64_e32 v[34:35], v[64:65]
	v_cmp_neq_f64_e64 vcc, |v[64:65]|, s[48:49]
	v_add_f64 v[68:69], v[68:69], -v[72:73]
	v_add_f64 v[60:61], v[62:63], v[32:33]
	v_ldexp_f64 v[34:35], v[34:35], 2
	v_add_f64 v[64:65], v[13:14], v[60:61]
	v_cndmask_b32_e32 v35, 0, v35, vcc
	v_cndmask_b32_e32 v34, 0, v34, vcc
	v_add_f64 v[74:75], v[60:61], -v[62:63]
	v_add_f64 v[70:71], v[64:65], v[34:35]
	v_add_f64 v[13:14], v[64:65], -v[13:14]
	v_add_f64 v[76:77], v[60:61], -v[74:75]
	;; [unrolled: 1-line block ×3, first 2 shown]
	v_cmp_gt_f64_e32 vcc, 0, v[70:71]
	v_add_f64 v[70:71], v[62:63], -v[72:73]
	v_add_f64 v[13:14], v[60:61], -v[13:14]
	;; [unrolled: 1-line block ×3, first 2 shown]
	v_cndmask_b32_e32 v22, 0, v52, vcc
	v_add_f64 v[34:35], v[34:35], v[21:22]
	v_add_f64 v[70:71], v[66:67], -v[70:71]
	v_add_f64 v[32:33], v[32:33], v[62:63]
	v_add_f64 v[78:79], v[64:65], v[34:35]
	;; [unrolled: 1-line block ×3, first 2 shown]
	v_cvt_i32_f64_e32 v58, v[78:79]
	v_add_f64 v[32:33], v[68:69], v[32:33]
	v_cvt_f64_i32_e32 v[72:73], v58
	v_add_f64 v[34:35], v[34:35], -v[72:73]
	v_add_f64 v[7:8], v[7:8], v[32:33]
	v_add_f64 v[62:63], v[64:65], v[34:35]
	;; [unrolled: 1-line block ×3, first 2 shown]
	v_add_f64 v[32:33], v[62:63], -v[34:35]
	v_cmp_le_f64_e32 vcc, 0.5, v[62:63]
	v_add_f64 v[13:14], v[64:65], -v[32:33]
	v_cndmask_b32_e32 v22, 0, v53, vcc
	v_addc_co_u32_e32 v58, vcc, 0, v58, vcc
	v_add_f64 v[7:8], v[7:8], v[13:14]
	v_add_f64 v[13:14], v[62:63], -v[21:22]
	v_add_f64 v[32:33], v[13:14], v[7:8]
	v_mul_f64 v[34:35], v[32:33], s[22:23]
	v_add_f64 v[13:14], v[32:33], -v[13:14]
	v_fma_f64 v[60:61], v[32:33], s[22:23], -v[34:35]
	v_add_f64 v[7:8], v[7:8], -v[13:14]
	v_fma_f64 v[13:14], v[32:33], s[54:55], v[60:61]
	v_fma_f64 v[7:8], v[7:8], s[22:23], v[13:14]
	v_add_f64 v[32:33], v[34:35], v[7:8]
	v_add_f64 v[13:14], v[32:33], -v[34:35]
	v_add_f64 v[34:35], v[7:8], -v[13:14]
	s_andn2_saveexec_b64 s[70:71], s[70:71]
	s_cbranch_execz .LBB99_150
	s_branch .LBB99_149
.LBB99_144:                             ;   in Loop: Header=BB99_4 Depth=1
	s_andn2_saveexec_b64 s[70:71], s[70:71]
	s_cbranch_execz .LBB99_146
.LBB99_145:                             ;   in Loop: Header=BB99_4 Depth=1
	v_mul_f64 v[13:14], |v[5:6]|, s[24:25]
	s_mov_b32 s26, s52
	v_rndne_f64_e32 v[13:14], v[13:14]
	v_fma_f64 v[30:31], v[13:14], s[50:51], |v[5:6]|
	v_mul_f64 v[32:33], v[13:14], s[52:53]
	v_cvt_i32_f64_e32 v40, v[13:14]
	v_add_f64 v[34:35], v[30:31], v[32:33]
	v_add_f64 v[36:37], v[30:31], -v[34:35]
	v_fma_f64 v[30:31], v[13:14], s[52:53], v[30:31]
	v_add_f64 v[36:37], v[36:37], v[32:33]
	v_add_f64 v[34:35], v[34:35], -v[30:31]
	v_fma_f64 v[32:33], v[13:14], s[26:27], v[32:33]
	;; [unrolled: 3-line block ×3, first 2 shown]
	v_add_f64 v[36:37], v[30:31], v[32:33]
	v_add_f64 v[30:31], v[36:37], -v[30:31]
	v_add_f64 v[38:39], v[32:33], -v[30:31]
.LBB99_146:                             ;   in Loop: Header=BB99_4 Depth=1
	s_or_b64 exec, exec, s[70:71]
                                        ; implicit-def: $vgpr15
                                        ; implicit-def: $vgpr13_vgpr14
                                        ; implicit-def: $vgpr30_vgpr31
	s_and_saveexec_b64 s[70:71], s[68:69]
	s_xor_b64 s[68:69], exec, s[70:71]
	s_cbranch_execz .LBB99_152
; %bb.147:                              ;   in Loop: Header=BB99_4 Depth=1
	v_trig_preop_f64 v[13:14], |v[5:6]|, 0
	v_ldexp_f64 v[30:31], |v[5:6]|, s79
	v_cmp_ge_f64_e64 vcc, |v[5:6]|, s[46:47]
	v_trig_preop_f64 v[32:33], |v[5:6]|, 1
	v_and_b32_e32 v15, 0x7fffffff, v6
	v_trig_preop_f64 v[62:63], |v[5:6]|, 2
	s_mov_b32 s22, s50
	s_mov_b32 s55, s27
	v_cndmask_b32_e32 v31, v15, v31, vcc
	v_cndmask_b32_e32 v30, v5, v30, vcc
	v_mul_f64 v[34:35], v[13:14], v[30:31]
	v_mul_f64 v[58:59], v[32:33], v[30:31]
	;; [unrolled: 1-line block ×3, first 2 shown]
	v_fma_f64 v[13:14], v[13:14], v[30:31], -v[34:35]
	v_fma_f64 v[32:33], v[32:33], v[30:31], -v[58:59]
	;; [unrolled: 1-line block ×3, first 2 shown]
	v_add_f64 v[60:61], v[58:59], v[13:14]
	v_add_f64 v[64:65], v[60:61], -v[58:59]
	v_add_f64 v[70:71], v[34:35], v[60:61]
	v_add_f64 v[66:67], v[60:61], -v[64:65]
	v_add_f64 v[13:14], v[13:14], -v[64:65]
	v_add_f64 v[64:65], v[68:69], v[32:33]
	v_add_f64 v[34:35], v[70:71], -v[34:35]
	v_add_f64 v[58:59], v[58:59], -v[66:67]
	v_ldexp_f64 v[66:67], v[70:71], -2
	v_add_f64 v[72:73], v[64:65], -v[68:69]
	v_add_f64 v[34:35], v[60:61], -v[34:35]
	v_add_f64 v[13:14], v[13:14], v[58:59]
	v_fract_f64_e32 v[58:59], v[66:67]
	v_cmp_neq_f64_e64 vcc, |v[66:67]|, s[48:49]
	v_add_f64 v[32:33], v[32:33], -v[72:73]
	v_add_f64 v[60:61], v[64:65], v[13:14]
	v_ldexp_f64 v[58:59], v[58:59], 2
	v_add_f64 v[66:67], v[34:35], v[60:61]
	v_cndmask_b32_e32 v59, 0, v59, vcc
	v_cndmask_b32_e32 v58, 0, v58, vcc
	v_add_f64 v[74:75], v[60:61], -v[64:65]
	v_add_f64 v[70:71], v[66:67], v[58:59]
	v_add_f64 v[34:35], v[66:67], -v[34:35]
	v_add_f64 v[76:77], v[60:61], -v[74:75]
	;; [unrolled: 1-line block ×3, first 2 shown]
	v_cmp_gt_f64_e32 vcc, 0, v[70:71]
	v_add_f64 v[70:71], v[64:65], -v[72:73]
	v_add_f64 v[34:35], v[60:61], -v[34:35]
	;; [unrolled: 1-line block ×3, first 2 shown]
	v_cndmask_b32_e32 v22, 0, v52, vcc
	v_add_f64 v[58:59], v[58:59], v[21:22]
	v_add_f64 v[70:71], v[68:69], -v[70:71]
	v_add_f64 v[13:14], v[13:14], v[64:65]
	v_add_f64 v[78:79], v[66:67], v[58:59]
	;; [unrolled: 1-line block ×3, first 2 shown]
	v_cvt_i32_f64_e32 v15, v[78:79]
	v_add_f64 v[13:14], v[32:33], v[13:14]
	v_cvt_f64_i32_e32 v[72:73], v15
	v_add_f64 v[58:59], v[58:59], -v[72:73]
	v_add_f64 v[13:14], v[30:31], v[13:14]
	v_add_f64 v[32:33], v[66:67], v[58:59]
	;; [unrolled: 1-line block ×3, first 2 shown]
	v_add_f64 v[30:31], v[32:33], -v[58:59]
	v_cmp_le_f64_e32 vcc, 0.5, v[32:33]
	v_add_f64 v[30:31], v[66:67], -v[30:31]
	v_cndmask_b32_e32 v22, 0, v53, vcc
	v_addc_co_u32_e32 v15, vcc, 0, v15, vcc
	v_add_f64 v[13:14], v[13:14], v[30:31]
	v_add_f64 v[30:31], v[32:33], -v[21:22]
	v_add_f64 v[32:33], v[30:31], v[13:14]
	v_mul_f64 v[34:35], v[32:33], s[22:23]
	v_add_f64 v[30:31], v[32:33], -v[30:31]
	v_fma_f64 v[58:59], v[32:33], s[22:23], -v[34:35]
	v_add_f64 v[13:14], v[13:14], -v[30:31]
	v_fma_f64 v[30:31], v[32:33], s[54:55], v[58:59]
	v_fma_f64 v[30:31], v[13:14], s[22:23], v[30:31]
	v_add_f64 v[13:14], v[34:35], v[30:31]
	v_add_f64 v[32:33], v[13:14], -v[34:35]
	v_add_f64 v[30:31], v[30:31], -v[32:33]
	s_andn2_saveexec_b64 s[68:69], s[68:69]
	s_cbranch_execnz .LBB99_153
	s_branch .LBB99_154
.LBB99_148:                             ;   in Loop: Header=BB99_4 Depth=1
	s_andn2_saveexec_b64 s[70:71], s[70:71]
	s_cbranch_execz .LBB99_150
.LBB99_149:                             ;   in Loop: Header=BB99_4 Depth=1
	v_mul_f64 v[7:8], |v[5:6]|, s[24:25]
	s_mov_b32 s26, s52
	v_rndne_f64_e32 v[7:8], v[7:8]
	v_fma_f64 v[13:14], v[7:8], s[50:51], |v[5:6]|
	v_mul_f64 v[32:33], v[7:8], s[52:53]
	v_cvt_i32_f64_e32 v58, v[7:8]
	v_add_f64 v[34:35], v[13:14], v[32:33]
	v_add_f64 v[60:61], v[13:14], -v[34:35]
	v_fma_f64 v[13:14], v[7:8], s[52:53], v[13:14]
	v_add_f64 v[60:61], v[60:61], v[32:33]
	v_add_f64 v[34:35], v[34:35], -v[13:14]
	v_fma_f64 v[32:33], v[7:8], s[26:27], v[32:33]
	;; [unrolled: 3-line block ×3, first 2 shown]
	v_add_f64 v[32:33], v[13:14], v[34:35]
	v_add_f64 v[13:14], v[32:33], -v[13:14]
	v_add_f64 v[34:35], v[34:35], -v[13:14]
.LBB99_150:                             ;   in Loop: Header=BB99_4 Depth=1
	s_or_b64 exec, exec, s[70:71]
                                        ; implicit-def: $vgpr22
                                        ; implicit-def: $vgpr7_vgpr8
                                        ; implicit-def: $vgpr13_vgpr14
	s_and_saveexec_b64 s[70:71], s[10:11]
	s_xor_b64 s[10:11], exec, s[70:71]
	s_cbranch_execz .LBB99_163
; %bb.151:                              ;   in Loop: Header=BB99_4 Depth=1
	v_cmp_ge_f64_e64 vcc, |v[5:6]|, s[46:47]
	s_mov_b32 s22, s50
	s_mov_b32 s55, s27
	v_cndmask_b32_e32 v8, v59, v41, vcc
	v_cndmask_b32_e32 v7, v5, v40, vcc
	v_mul_f64 v[13:14], v[38:39], v[7:8]
	v_mul_f64 v[40:41], v[36:37], v[7:8]
	;; [unrolled: 1-line block ×3, first 2 shown]
	v_fma_f64 v[38:39], v[38:39], v[7:8], -v[13:14]
	v_fma_f64 v[36:37], v[36:37], v[7:8], -v[40:41]
	;; [unrolled: 1-line block ×3, first 2 shown]
	v_add_f64 v[59:60], v[40:41], v[38:39]
	v_add_f64 v[61:62], v[59:60], -v[40:41]
	v_add_f64 v[67:68], v[13:14], v[59:60]
	v_add_f64 v[63:64], v[59:60], -v[61:62]
	v_add_f64 v[38:39], v[38:39], -v[61:62]
	v_add_f64 v[61:62], v[65:66], v[36:37]
	v_add_f64 v[13:14], v[67:68], -v[13:14]
	v_add_f64 v[40:41], v[40:41], -v[63:64]
	v_ldexp_f64 v[63:64], v[67:68], -2
	v_add_f64 v[69:70], v[61:62], -v[65:66]
	v_add_f64 v[13:14], v[59:60], -v[13:14]
	v_add_f64 v[38:39], v[38:39], v[40:41]
	v_fract_f64_e32 v[40:41], v[63:64]
	v_cmp_neq_f64_e64 vcc, |v[63:64]|, s[48:49]
	v_add_f64 v[36:37], v[36:37], -v[69:70]
	v_add_f64 v[59:60], v[61:62], v[38:39]
	v_ldexp_f64 v[40:41], v[40:41], 2
	v_add_f64 v[63:64], v[13:14], v[59:60]
	v_cndmask_b32_e32 v41, 0, v41, vcc
	v_cndmask_b32_e32 v40, 0, v40, vcc
	v_add_f64 v[71:72], v[59:60], -v[61:62]
	v_add_f64 v[67:68], v[63:64], v[40:41]
	v_add_f64 v[13:14], v[63:64], -v[13:14]
	v_add_f64 v[73:74], v[59:60], -v[71:72]
	;; [unrolled: 1-line block ×3, first 2 shown]
	v_cmp_gt_f64_e32 vcc, 0, v[67:68]
	v_add_f64 v[67:68], v[61:62], -v[69:70]
	v_add_f64 v[13:14], v[59:60], -v[13:14]
	;; [unrolled: 1-line block ×3, first 2 shown]
	v_cndmask_b32_e32 v22, 0, v52, vcc
	v_add_f64 v[40:41], v[40:41], v[21:22]
	v_add_f64 v[67:68], v[65:66], -v[67:68]
	v_add_f64 v[38:39], v[38:39], v[61:62]
	v_add_f64 v[75:76], v[63:64], v[40:41]
	;; [unrolled: 1-line block ×3, first 2 shown]
	v_cvt_i32_f64_e32 v71, v[75:76]
	v_add_f64 v[30:31], v[36:37], v[38:39]
	v_cvt_f64_i32_e32 v[69:70], v71
	v_add_f64 v[40:41], v[40:41], -v[69:70]
	v_add_f64 v[7:8], v[7:8], v[30:31]
	v_add_f64 v[36:37], v[63:64], v[40:41]
	;; [unrolled: 1-line block ×3, first 2 shown]
	v_add_f64 v[30:31], v[36:37], -v[40:41]
	v_cmp_le_f64_e32 vcc, 0.5, v[36:37]
	v_add_f64 v[13:14], v[63:64], -v[30:31]
	v_cndmask_b32_e32 v22, 0, v53, vcc
	v_add_f64 v[7:8], v[7:8], v[13:14]
	v_add_f64 v[13:14], v[36:37], -v[21:22]
	v_addc_co_u32_e32 v22, vcc, 0, v71, vcc
	v_add_f64 v[30:31], v[13:14], v[7:8]
	v_mul_f64 v[36:37], v[30:31], s[22:23]
	v_add_f64 v[13:14], v[30:31], -v[13:14]
	v_fma_f64 v[38:39], v[30:31], s[22:23], -v[36:37]
	v_add_f64 v[7:8], v[7:8], -v[13:14]
	v_fma_f64 v[13:14], v[30:31], s[54:55], v[38:39]
	v_fma_f64 v[13:14], v[7:8], s[22:23], v[13:14]
	v_add_f64 v[7:8], v[36:37], v[13:14]
	v_add_f64 v[30:31], v[7:8], -v[36:37]
	v_add_f64 v[13:14], v[13:14], -v[30:31]
	s_andn2_saveexec_b64 s[10:11], s[10:11]
	s_cbranch_execnz .LBB99_164
	s_branch .LBB99_165
.LBB99_152:                             ;   in Loop: Header=BB99_4 Depth=1
	s_andn2_saveexec_b64 s[68:69], s[68:69]
	s_cbranch_execz .LBB99_154
.LBB99_153:                             ;   in Loop: Header=BB99_4 Depth=1
	v_mul_f64 v[13:14], |v[5:6]|, s[24:25]
	s_mov_b32 s26, s52
	v_rndne_f64_e32 v[32:33], v[13:14]
	v_fma_f64 v[13:14], v[32:33], s[50:51], |v[5:6]|
	v_mul_f64 v[30:31], v[32:33], s[52:53]
	v_cvt_i32_f64_e32 v15, v[32:33]
	v_fma_f64 v[60:61], v[32:33], s[52:53], v[13:14]
	v_add_f64 v[34:35], v[13:14], v[30:31]
	v_add_f64 v[58:59], v[13:14], -v[34:35]
	v_add_f64 v[34:35], v[34:35], -v[60:61]
	v_add_f64 v[13:14], v[58:59], v[30:31]
	v_fma_f64 v[30:31], v[32:33], s[26:27], v[30:31]
	v_add_f64 v[13:14], v[34:35], v[13:14]
	v_add_f64 v[13:14], v[13:14], -v[30:31]
	v_fma_f64 v[30:31], v[32:33], s[28:29], v[13:14]
	v_add_f64 v[13:14], v[60:61], v[30:31]
	v_add_f64 v[34:35], v[13:14], -v[60:61]
	v_add_f64 v[30:31], v[30:31], -v[34:35]
.LBB99_154:                             ;   in Loop: Header=BB99_4 Depth=1
	s_or_b64 exec, exec, s[68:69]
	v_mul_f64 v[58:59], v[36:37], v[36:37]
	v_mul_f64 v[66:67], v[38:39], 0.5
	s_mov_b32 s12, s14
	v_and_b32_e32 v5, 1, v40
	v_cmp_eq_u32_e32 vcc, 0, v5
	s_mov_b32 s68, 0x3b39803f
	s_mov_b32 s69, 0xbc7abc9e
	;; [unrolled: 1-line block ×3, first 2 shown]
	v_mul_f64 v[32:33], v[58:59], 0.5
	v_mul_f64 v[62:63], v[58:59], v[58:59]
	s_mov_b32 s93, s15
	v_add_f64 v[60:61], -v[32:33], 1.0
	v_add_f64 v[34:35], -v[60:61], 1.0
	v_add_f64 v[32:33], v[34:35], -v[32:33]
	v_mov_b32_e32 v34, s82
	v_mov_b32_e32 v35, s83
	v_fma_f64 v[64:65], v[58:59], s[84:85], v[34:35]
	v_fma_f64 v[32:33], v[36:37], -v[38:39], v[32:33]
	v_fma_f64 v[64:65], v[58:59], v[64:65], s[86:87]
	v_fma_f64 v[64:65], v[58:59], v[64:65], s[88:89]
	;; [unrolled: 1-line block ×5, first 2 shown]
	v_mul_f64 v[64:65], v[36:37], -v[58:59]
	v_add_f64 v[60:61], v[60:61], v[32:33]
	v_mov_b32_e32 v32, s94
	v_mov_b32_e32 v33, s95
	v_fma_f64 v[62:63], v[58:59], s[30:31], v[32:33]
	v_fma_f64 v[62:63], v[58:59], v[62:63], s[34:35]
	;; [unrolled: 1-line block ×5, first 2 shown]
	v_fma_f64 v[38:39], v[58:59], v[62:63], -v[38:39]
	v_fma_f64 v[38:39], v[64:65], s[12:13], v[38:39]
	v_add_f64 v[36:37], v[36:37], -v[38:39]
	v_cndmask_b32_e32 v5, v60, v36, vcc
	v_lshlrev_b32_e32 v36, 30, v40
	v_cndmask_b32_e32 v22, v61, v37, vcc
	v_xor_b32_e32 v6, v36, v6
	v_mul_f64 v[36:37], |v[7:8]|, s[62:63]
	v_and_b32_e32 v6, 0x80000000, v6
	v_xor_b32_e32 v6, v22, v6
	v_mul_f64 v[5:6], v[5:6], 4.0
	v_rndne_f64_e32 v[36:37], v[36:37]
	v_fma_f64 v[38:39], v[36:37], s[64:65], -|v[7:8]|
	v_cvt_i32_f64_e32 v22, v[36:37]
	v_fma_f64 v[38:39], v[36:37], s[68:69], v[38:39]
	s_mov_b32 s68, 0x6a5dcb37
	s_mov_b32 s69, 0x3e5ade15
	v_fma_f64 v[40:41], v[38:39], s[68:69], v[28:29]
	s_mov_b32 s68, 0x623fde64
	s_mov_b32 s69, 0x3ec71dee
	;; [unrolled: 3-line block ×6, first 2 shown]
	v_fma_f64 v[40:41], v[38:39], v[40:41], s[38:39]
	v_fma_f64 v[40:41], v[38:39], v[40:41], s[92:93]
	;; [unrolled: 1-line block ×3, first 2 shown]
	s_mov_b32 s68, 11
	s_mov_b32 s69, 0x3fe00000
	v_fma_f64 v[40:41], v[38:39], v[40:41], s[68:69]
	s_mov_b32 s68, 0
	s_mov_b32 s69, 0x4090cc00
	v_cmp_ngt_f64_e64 vcc, |v[7:8]|, s[68:69]
	v_fma_f64 v[40:41], v[38:39], v[40:41], 1.0
	v_fma_f64 v[38:39], v[38:39], v[40:41], 1.0
	v_ldexp_f64 v[36:37], v[38:39], v22
	v_bfi_b32 v22, s75, v53, v16
	v_and_b32_e32 v16, 1, v15
	v_lshlrev_b32_e32 v15, 30, v15
	v_and_b32_e32 v15, 0x80000000, v15
	v_cndmask_b32_e32 v8, 0, v37, vcc
	v_cndmask_b32_e32 v7, 0, v36, vcc
	v_mul_f64 v[36:37], v[13:14], v[13:14]
	v_cmp_eq_u32_e32 vcc, 0, v16
	v_mul_f64 v[38:39], v[36:37], 0.5
	v_fma_f64 v[34:35], v[36:37], s[84:85], v[34:35]
	v_fma_f64 v[32:33], v[36:37], s[30:31], v[32:33]
	v_add_f64 v[40:41], -v[38:39], 1.0
	v_fma_f64 v[34:35], v[36:37], v[34:35], s[86:87]
	v_fma_f64 v[32:33], v[36:37], v[32:33], s[34:35]
	v_add_f64 v[58:59], -v[40:41], 1.0
	v_fma_f64 v[34:35], v[36:37], v[34:35], s[88:89]
	v_fma_f64 v[32:33], v[36:37], v[32:33], s[36:37]
	v_add_f64 v[38:39], v[58:59], -v[38:39]
	v_fma_f64 v[34:35], v[36:37], v[34:35], s[90:91]
	v_mul_f64 v[58:59], v[36:37], v[36:37]
	v_fma_f64 v[32:33], v[36:37], v[32:33], s[80:81]
	v_fma_f64 v[38:39], v[13:14], -v[30:31], v[38:39]
	v_fma_f64 v[34:35], v[36:37], v[34:35], s[14:15]
	v_fma_f64 v[34:35], v[58:59], v[34:35], v[38:39]
	v_mul_f64 v[38:39], v[13:14], -v[36:37]
	v_add_f64 v[34:35], v[40:41], v[34:35]
	v_mul_f64 v[40:41], v[30:31], 0.5
	v_fma_f64 v[32:33], v[38:39], v[32:33], v[40:41]
	v_fma_f64 v[30:31], v[36:37], v[32:33], -v[30:31]
	v_fma_f64 v[30:31], v[38:39], s[12:13], v[30:31]
	v_add_f64 v[13:14], v[13:14], -v[30:31]
	v_xor_b32_e32 v14, 0x80000000, v14
	v_cndmask_b32_e32 v14, v14, v35, vcc
	v_cndmask_b32_e32 v13, v13, v34, vcc
	v_xor_b32_e32 v14, v14, v15
	v_mul_f64 v[5:6], v[5:6], v[13:14]
	v_mov_b32_e32 v15, v21
	v_mov_b32_e32 v16, v22
	v_mul_f64 v[5:6], v[7:8], v[5:6]
	v_mul_f64 v[13:14], v[7:8], v[5:6]
.LBB99_155:                             ;   in Loop: Header=BB99_4 Depth=1
	s_or_b64 exec, exec, s[10:11]
                                        ; implicit-def: $vgpr5_vgpr6
.LBB99_156:                             ;   in Loop: Header=BB99_4 Depth=1
	s_andn2_saveexec_b64 s[10:11], s[66:67]
	s_cbranch_execz .LBB99_158
; %bb.157:                              ;   in Loop: Header=BB99_4 Depth=1
	v_add_f64 v[13:14], v[5:6], -v[5:6]
	v_mov_b32_e32 v16, v14
	v_mov_b32_e32 v15, v13
.LBB99_158:                             ;   in Loop: Header=BB99_4 Depth=1
	s_or_b64 exec, exec, s[10:11]
                                        ; implicit-def: $vgpr5_vgpr6
	s_andn2_saveexec_b64 s[60:61], s[60:61]
	s_cbranch_execnz .LBB99_138
.LBB99_159:                             ;   in Loop: Header=BB99_4 Depth=1
	s_or_b64 exec, exec, s[60:61]
	s_and_saveexec_b64 s[10:11], s[0:1]
	s_xor_b64 s[0:1], exec, s[10:11]
	s_cbranch_execz .LBB99_168
.LBB99_160:                             ;   in Loop: Header=BB99_4 Depth=1
	v_mov_b32_e32 v6, s72
	v_add_co_u32_e32 v5, vcc, s33, v23
	v_xor_b32_e32 v4, 0x80000000, v4
	v_addc_co_u32_e32 v6, vcc, 0, v6, vcc
	global_store_dwordx4 v[5:6], v[1:4], off
	s_or_b64 exec, exec, s[0:1]
	s_and_saveexec_b64 s[0:1], s[2:3]
	s_cbranch_execnz .LBB99_169
.LBB99_161:                             ;   in Loop: Header=BB99_4 Depth=1
	s_or_b64 exec, exec, s[0:1]
	s_and_saveexec_b64 s[0:1], s[6:7]
	s_cbranch_execz .LBB99_170
.LBB99_162:                             ;   in Loop: Header=BB99_4 Depth=1
	v_mov_b32_e32 v2, s72
	v_add_co_u32_e32 v1, vcc, s33, v48
	v_xor_b32_e32 v20, 0x80000000, v20
	v_addc_co_u32_e32 v2, vcc, v2, v47, vcc
	global_store_dwordx4 v[1:2], v[17:20], off offset:-8
	s_or_b64 exec, exec, s[0:1]
	s_and_saveexec_b64 s[0:1], s[8:9]
	s_cbranch_execz .LBB99_3
	s_branch .LBB99_171
.LBB99_163:                             ;   in Loop: Header=BB99_4 Depth=1
	s_andn2_saveexec_b64 s[10:11], s[10:11]
	s_cbranch_execz .LBB99_165
.LBB99_164:                             ;   in Loop: Header=BB99_4 Depth=1
	v_mul_f64 v[7:8], |v[5:6]|, s[24:25]
	s_mov_b32 s26, s52
	v_rndne_f64_e32 v[30:31], v[7:8]
	v_fma_f64 v[7:8], v[30:31], s[50:51], |v[5:6]|
	v_mul_f64 v[13:14], v[30:31], s[52:53]
	v_cvt_i32_f64_e32 v22, v[30:31]
	v_fma_f64 v[40:41], v[30:31], s[52:53], v[7:8]
	v_add_f64 v[36:37], v[7:8], v[13:14]
	v_add_f64 v[38:39], v[7:8], -v[36:37]
	v_add_f64 v[36:37], v[36:37], -v[40:41]
	v_add_f64 v[7:8], v[38:39], v[13:14]
	v_fma_f64 v[13:14], v[30:31], s[26:27], v[13:14]
	v_add_f64 v[7:8], v[36:37], v[7:8]
	v_add_f64 v[7:8], v[7:8], -v[13:14]
	v_fma_f64 v[13:14], v[30:31], s[28:29], v[7:8]
	v_add_f64 v[7:8], v[40:41], v[13:14]
	v_add_f64 v[36:37], v[7:8], -v[40:41]
	v_add_f64 v[13:14], v[13:14], -v[36:37]
.LBB99_165:                             ;   in Loop: Header=BB99_4 Depth=1
	s_or_b64 exec, exec, s[10:11]
	v_mul_f64 v[30:31], v[32:33], v[32:33]
	v_mov_b32_e32 v59, s82
	v_mov_b32_e32 v60, s83
	v_mul_f64 v[63:64], v[34:35], 0.5
	s_mov_b32 s12, s14
	v_mul_f64 v[36:37], v[30:31], 0.5
	v_fma_f64 v[61:62], v[30:31], s[84:85], v[59:60]
	v_add_f64 v[38:39], -v[36:37], 1.0
	v_fma_f64 v[61:62], v[30:31], v[61:62], s[86:87]
	v_add_f64 v[40:41], -v[38:39], 1.0
	v_fma_f64 v[61:62], v[30:31], v[61:62], s[88:89]
	v_add_f64 v[36:37], v[40:41], -v[36:37]
	v_fma_f64 v[61:62], v[30:31], v[61:62], s[90:91]
	v_mul_f64 v[40:41], v[30:31], v[30:31]
	v_fma_f64 v[36:37], v[32:33], -v[34:35], v[36:37]
	v_fma_f64 v[61:62], v[30:31], v[61:62], s[14:15]
	v_fma_f64 v[36:37], v[40:41], v[61:62], v[36:37]
	v_mul_f64 v[61:62], v[32:33], -v[30:31]
	v_add_f64 v[36:37], v[38:39], v[36:37]
	v_mov_b32_e32 v38, s94
	v_mov_b32_e32 v39, s95
	v_fma_f64 v[40:41], v[30:31], s[30:31], v[38:39]
	v_fma_f64 v[40:41], v[30:31], v[40:41], s[34:35]
	;; [unrolled: 1-line block ×5, first 2 shown]
	v_fma_f64 v[30:31], v[30:31], v[40:41], -v[34:35]
	v_fma_f64 v[30:31], v[61:62], s[12:13], v[30:31]
	v_add_f64 v[30:31], v[32:33], -v[30:31]
	v_and_b32_e32 v32, 1, v58
	v_cmp_eq_u32_e32 vcc, 0, v32
	v_lshlrev_b32_e32 v32, 30, v58
	v_xor_b32_e32 v32, v32, v6
	v_and_b32_e32 v32, 0x80000000, v32
	v_cndmask_b32_e32 v30, v36, v30, vcc
	v_cndmask_b32_e32 v31, v37, v31, vcc
	v_cmp_class_f64_e64 vcc, v[5:6], s77
	v_xor_b32_e32 v31, v31, v32
	v_cndmask_b32_e32 v5, 0, v30, vcc
	v_cndmask_b32_e32 v6, v57, v31, vcc
	v_mul_f64 v[30:31], v[7:8], v[7:8]
	v_mul_f64 v[32:33], v[30:31], 0.5
	v_fma_f64 v[40:41], v[30:31], s[84:85], v[59:60]
	v_add_f64 v[34:35], -v[32:33], 1.0
	v_fma_f64 v[40:41], v[30:31], v[40:41], s[86:87]
	v_add_f64 v[36:37], -v[34:35], 1.0
	v_fma_f64 v[40:41], v[30:31], v[40:41], s[88:89]
	v_add_f64 v[32:33], v[36:37], -v[32:33]
	v_fma_f64 v[40:41], v[30:31], v[40:41], s[90:91]
	v_mul_f64 v[36:37], v[30:31], v[30:31]
	v_fma_f64 v[32:33], v[7:8], -v[13:14], v[32:33]
	v_fma_f64 v[40:41], v[30:31], v[40:41], s[14:15]
	v_fma_f64 v[32:33], v[36:37], v[40:41], v[32:33]
	v_mul_f64 v[36:37], v[7:8], -v[30:31]
	v_add_f64 v[32:33], v[34:35], v[32:33]
	v_fma_f64 v[34:35], v[30:31], s[30:31], v[38:39]
	v_mul_f64 v[38:39], v[13:14], 0.5
	v_fma_f64 v[34:35], v[30:31], v[34:35], s[34:35]
	v_fma_f64 v[34:35], v[30:31], v[34:35], s[36:37]
	;; [unrolled: 1-line block ×4, first 2 shown]
	v_fma_f64 v[13:14], v[30:31], v[34:35], -v[13:14]
	v_fma_f64 v[13:14], v[36:37], s[12:13], v[13:14]
	v_add_f64 v[7:8], v[7:8], -v[13:14]
	v_and_b32_e32 v13, 1, v22
	v_cmp_eq_u32_e64 s[10:11], 0, v13
	v_lshlrev_b32_e32 v13, 30, v22
	v_and_b32_e32 v13, 0x80000000, v13
	v_xor_b32_e32 v8, 0x80000000, v8
	v_cndmask_b32_e64 v8, v8, v33, s[10:11]
	v_cndmask_b32_e64 v7, v7, v32, s[10:11]
	v_xor_b32_e32 v8, v8, v13
	v_cndmask_b32_e32 v7, 0, v7, vcc
	v_cndmask_b32_e32 v8, v57, v8, vcc
	v_mul_f64 v[5:6], v[5:6], v[7:8]
.LBB99_166:                             ;   in Loop: Header=BB99_4 Depth=1
	s_or_b64 exec, exec, s[68:69]
	v_bfi_b32 v22, s75, 0, v6
	v_mov_b32_e32 v13, v21
	v_add_u32_e32 v16, -2.0, v16
	v_mov_b32_e32 v14, v22
.LBB99_167:                             ;   in Loop: Header=BB99_4 Depth=1
	s_or_b64 exec, exec, s[66:67]
	s_or_b64 exec, exec, s[60:61]
	s_and_saveexec_b64 s[10:11], s[0:1]
	s_xor_b64 s[0:1], exec, s[10:11]
	s_cbranch_execnz .LBB99_160
.LBB99_168:                             ;   in Loop: Header=BB99_4 Depth=1
	s_or_b64 exec, exec, s[0:1]
	s_and_saveexec_b64 s[0:1], s[2:3]
	s_cbranch_execz .LBB99_161
.LBB99_169:                             ;   in Loop: Header=BB99_4 Depth=1
	v_mov_b32_e32 v2, s72
	v_add_co_u32_e32 v1, vcc, s33, v46
	v_xor_b32_e32 v12, 0x80000000, v12
	v_addc_co_u32_e32 v2, vcc, 0, v2, vcc
	global_store_dwordx4 v[1:2], v[9:12], off
	s_or_b64 exec, exec, s[0:1]
	s_and_saveexec_b64 s[0:1], s[6:7]
	s_cbranch_execnz .LBB99_162
.LBB99_170:                             ;   in Loop: Header=BB99_4 Depth=1
	s_or_b64 exec, exec, s[0:1]
	s_and_saveexec_b64 s[0:1], s[8:9]
	s_cbranch_execz .LBB99_3
.LBB99_171:                             ;   in Loop: Header=BB99_4 Depth=1
	v_mov_b32_e32 v2, s72
	v_add_co_u32_e32 v1, vcc, s33, v24
	v_xor_b32_e32 v16, 0x80000000, v16
	v_addc_co_u32_e32 v2, vcc, v2, v25, vcc
	global_store_dwordx4 v[1:2], v[13:16], off offset:-8
	s_branch .LBB99_3
.LBB99_172:
	s_cbranch_execz .LBB99_174
	s_branch .LBB99_329
.LBB99_173:
.LBB99_174:
	v_mov_b32_e32 v1, 0x10000
	v_mov_b32_e32 v2, 0
	v_cmp_lt_i64_e32 vcc, s[16:17], v[1:2]
	v_mov_b32_e32 v22, 0
	s_and_b64 s[0:1], vcc, exec
	s_cselect_b32 s3, s17, 0
	s_cselect_b32 s2, s16, 0x10000
	v_lshlrev_b32_e32 v1, 2, v0
	v_mov_b32_e32 v2, v22
	v_cmp_gt_i64_e32 vcc, s[2:3], v[1:2]
	s_and_saveexec_b64 s[0:1], vcc
	s_cbranch_execz .LBB99_329
; %bb.175:
	s_load_dword s0, s[4:5], 0xd3c
	v_readlane_b32 s4, v81, 2
	v_readlane_b32 s5, v81, 3
	v_lshlrev_b32_e32 v2, 6, v0
	s_mov_b32 s12, 0x54442d18
	s_waitcnt lgkmcnt(0)
	s_and_b32 s33, s0, 0xffff
	v_readlane_b32 s0, v81, 0
	v_readlane_b32 s1, v81, 1
	s_add_u32 s0, s0, s4
	s_addc_u32 s1, s1, s5
	v_mov_b32_e32 v3, s1
	v_add_co_u32_e32 v24, vcc, s0, v2
	s_mov_b32 s6, 0x6dc9c883
	s_mov_b32 s14, 0x33145c00
	;; [unrolled: 1-line block ×26, first 2 shown]
	v_mov_b32_e32 v1, v22
	v_addc_co_u32_e32 v25, vcc, 0, v3, vcc
	s_lshl_b32 s28, s33, 6
	s_mov_b32 s13, 0xbff921fb
	s_mov_b32 s7, 0x3fe45f30
	s_mov_b32 s15, 0xbc91a626
	s_mov_b32 s11, 0xb97b839a
	s_mov_b32 s23, 0xbfe62e42
	s_mov_b32 s21, 0xbff71547
	s_mov_b32 s51, 0x3e5ade15
	s_mov_b32 s53, 0x3ec71dee
	s_mov_b32 s55, 0x3efa0199
	s_mov_b32 s57, 0x3f2a01a0
	s_mov_b32 s59, 0x3f56c16c
	s_mov_b32 s25, 0x3f811111
	s_mov_b32 s37, 0x3fa55555
	s_mov_b32 s65, 0x3fc55555
	s_mov_b32 s67, 0x3fe00000
	v_mov_b32_e32 v42, 0x260
	s_mov_b32 s71, 0x3e21eeb6
	s_mov_b32 s73, 0xbda907db
	;; [unrolled: 1-line block ×9, first 2 shown]
	v_mov_b32_e32 v43, 0x40100000
	v_mov_b32_e32 v44, 0x3ff00000
	;; [unrolled: 1-line block ×10, first 2 shown]
	s_brev_b32 s29, -2
	s_mov_b32 s30, 0x7ff00000
	s_movk_i32 s31, 0x1f8
	s_mov_b32 s34, 0x40360000
	s_movk_i32 s35, 0xff80
	s_mov_b32 s42, 0xfffff
	s_mov_b64 s[88:89], 0
	s_mov_b32 s91, 0x41d00000
	s_mov_b32 s93, 0x7b000000
	;; [unrolled: 1-line block ×12, first 2 shown]
	s_branch .LBB99_180
.LBB99_176:                             ;   in Loop: Header=BB99_180 Depth=1
	s_or_b64 exec, exec, s[0:1]
	v_mul_f64 v[30:31], v[4:5], v[4:5]
	v_mul_f64 v[34:35], v[32:33], v[32:33]
	v_mov_b32_e32 v36, s80
	v_mov_b32_e32 v37, s81
	;; [unrolled: 1-line block ×4, first 2 shown]
	v_mul_f64 v[60:61], v[10:11], 0.5
	v_mul_f64 v[68:69], v[40:41], 0.5
	v_fma_f64 v[38:39], v[30:31], s[82:83], v[36:37]
	v_fma_f64 v[36:37], v[34:35], s[82:83], v[36:37]
	;; [unrolled: 1-line block ×3, first 2 shown]
	v_mul_f64 v[54:55], v[30:31], 0.5
	v_fma_f64 v[50:51], v[34:35], s[72:73], v[50:51]
	v_mul_f64 v[56:57], v[34:35], 0.5
	v_mul_f64 v[62:63], v[4:5], -v[30:31]
	v_mul_f64 v[70:71], v[32:33], -v[34:35]
	v_fma_f64 v[38:39], v[30:31], v[38:39], s[84:85]
	v_fma_f64 v[36:37], v[34:35], v[36:37], s[84:85]
	;; [unrolled: 1-line block ×3, first 2 shown]
	v_add_f64 v[58:59], -v[54:55], 1.0
	v_fma_f64 v[50:51], v[34:35], v[50:51], s[74:75]
	v_add_f64 v[64:65], -v[56:57], 1.0
	s_mov_b32 s26, s36
	v_cmp_class_f64_e64 s[0:1], v[2:3], s31
	v_fma_f64 v[38:39], v[30:31], v[38:39], s[86:87]
	v_fma_f64 v[36:37], v[34:35], v[36:37], s[86:87]
	;; [unrolled: 1-line block ×3, first 2 shown]
	v_add_f64 v[66:67], -v[58:59], 1.0
	v_fma_f64 v[50:51], v[34:35], v[50:51], s[76:77]
	v_add_f64 v[72:73], -v[64:65], 1.0
	v_fma_f64 v[38:39], v[30:31], v[38:39], s[24:25]
	v_fma_f64 v[36:37], v[34:35], v[36:37], s[24:25]
	;; [unrolled: 1-line block ×3, first 2 shown]
	v_add_f64 v[54:55], v[66:67], -v[54:55]
	v_fma_f64 v[50:51], v[34:35], v[50:51], s[78:79]
	v_add_f64 v[56:57], v[72:73], -v[56:57]
	v_fma_f64 v[38:39], v[62:63], v[38:39], v[60:61]
	v_fma_f64 v[36:37], v[70:71], v[36:37], v[68:69]
	v_mul_f64 v[60:61], v[30:31], v[30:31]
	v_fma_f64 v[52:53], v[30:31], v[52:53], s[36:37]
	v_fma_f64 v[54:55], v[4:5], -v[10:11], v[54:55]
	v_fma_f64 v[10:11], v[30:31], v[38:39], -v[10:11]
	v_fma_f64 v[36:37], v[34:35], v[36:37], -v[40:41]
	v_mul_f64 v[30:31], v[34:35], v[34:35]
	v_fma_f64 v[34:35], v[34:35], v[50:51], s[36:37]
	v_fma_f64 v[38:39], v[32:33], -v[40:41], v[56:57]
	v_fma_f64 v[40:41], v[60:61], v[52:53], v[54:55]
	v_and_b32_e32 v50, 1, v49
	v_lshlrev_b32_e32 v49, 30, v49
	v_fma_f64 v[10:11], v[62:63], s[26:27], v[10:11]
	v_fma_f64 v[36:37], v[70:71], s[26:27], v[36:37]
	v_cmp_eq_u32_e32 vcc, 0, v50
	v_fma_f64 v[30:31], v[30:31], v[34:35], v[38:39]
	v_add_f64 v[34:35], v[58:59], v[40:41]
	v_and_b32_e32 v38, 1, v23
	v_lshlrev_b32_e32 v23, 30, v23
	v_add_f64 v[4:5], v[4:5], -v[10:11]
	v_add_f64 v[10:11], v[32:33], -v[36:37]
	v_xor_b32_e32 v39, v49, v3
	v_and_b32_e32 v23, 0x80000000, v23
	v_add_f64 v[30:31], v[64:65], v[30:31]
	v_and_b32_e32 v32, 0x80000000, v39
	v_cndmask_b32_e32 v4, v34, v4, vcc
	v_cndmask_b32_e32 v2, v35, v5, vcc
	v_xor_b32_e32 v3, 0x80000000, v11
	v_cmp_eq_u32_e32 vcc, 0, v38
	v_cndmask_b32_e32 v3, v3, v31, vcc
	v_cndmask_b32_e32 v5, v10, v30, vcc
	v_xor_b32_e32 v10, v2, v32
	v_xor_b32_e32 v11, v3, v23
	v_cndmask_b32_e64 v2, 0, v4, s[0:1]
	v_cndmask_b32_e64 v3, v48, v10, s[0:1]
	;; [unrolled: 1-line block ×4, first 2 shown]
	v_mul_f64 v[2:3], v[2:3], v[4:5]
.LBB99_177:                             ;   in Loop: Header=BB99_180 Depth=1
	s_or_b64 exec, exec, s[48:49]
	v_bfi_b32 v23, s29, 0, v3
	v_mov_b32_e32 v10, v22
	v_add_u32_e32 v13, -2.0, v13
	v_mov_b32_e32 v11, v23
.LBB99_178:                             ;   in Loop: Header=BB99_180 Depth=1
	s_or_b64 exec, exec, s[46:47]
.LBB99_179:                             ;   in Loop: Header=BB99_180 Depth=1
	s_or_b64 exec, exec, s[38:39]
	v_add_co_u32_e32 v0, vcc, s33, v0
	v_addc_co_u32_e32 v1, vcc, 0, v1, vcc
	v_lshlrev_b64 v[2:3], 2, v[0:1]
	v_xor_b32_e32 v21, 0x80000000, v21
	v_cmp_le_i64_e32 vcc, s[2:3], v[2:3]
	v_xor_b32_e32 v9, 0x80000000, v9
	v_xor_b32_e32 v13, 0x80000000, v13
	;; [unrolled: 1-line block ×3, first 2 shown]
	global_store_dwordx4 v[24:25], v[6:9], off
	global_store_dwordx4 v[24:25], v[14:17], off offset:16
	global_store_dwordx4 v[24:25], v[18:21], off offset:32
	;; [unrolled: 1-line block ×3, first 2 shown]
	s_or_b64 s[88:89], vcc, s[88:89]
	v_add_co_u32_e32 v24, vcc, s28, v24
	v_addc_co_u32_e32 v25, vcc, 0, v25, vcc
	s_andn2_b64 exec, exec, s[88:89]
	s_cbranch_execz .LBB99_329
.LBB99_180:                             ; =>This Inner Loop Header: Depth=1
	global_load_dwordx4 v[14:17], v[24:25], off
	global_load_dwordx4 v[18:21], v[24:25], off offset:16
	global_load_dwordx4 v[2:5], v[24:25], off offset:48
	;; [unrolled: 1-line block ×3, first 2 shown]
	s_waitcnt vmcnt(3)
	v_xor_b32_e32 v9, 0x80000000, v17
	v_and_b32_e32 v23, 0x7fffffff, v9
	v_mov_b32_e32 v8, v16
	v_cmp_gt_u32_e32 vcc, s30, v23
	s_and_saveexec_b64 s[0:1], vcc
	s_xor_b64 s[38:39], exec, s[0:1]
	s_cbranch_execz .LBB99_202
; %bb.181:                              ;   in Loop: Header=BB99_180 Depth=1
	v_cmp_class_f64_e64 s[0:1], v[14:15], s31
                                        ; implicit-def: $vgpr6_vgpr7
	s_and_saveexec_b64 s[46:47], s[0:1]
	s_xor_b64 s[46:47], exec, s[46:47]
	s_cbranch_execz .LBB99_199
; %bb.182:                              ;   in Loop: Header=BB99_180 Depth=1
	v_cmp_gt_u32_e32 vcc, s34, v23
                                        ; implicit-def: $vgpr6_vgpr7
	s_and_saveexec_b64 s[0:1], vcc
	s_xor_b64 s[48:49], exec, s[0:1]
	s_cbranch_execz .LBB99_188
; %bb.183:                              ;   in Loop: Header=BB99_180 Depth=1
	v_cmp_nlt_f64_e64 s[0:1], |v[14:15]|, s[90:91]
                                        ; implicit-def: $vgpr23
                                        ; implicit-def: $vgpr6_vgpr7
                                        ; implicit-def: $vgpr8_vgpr9
	s_and_saveexec_b64 s[68:69], s[0:1]
	s_xor_b64 s[0:1], exec, s[68:69]
	s_cbranch_execz .LBB99_185
; %bb.184:                              ;   in Loop: Header=BB99_180 Depth=1
	v_trig_preop_f64 v[6:7], |v[14:15]|, 0
	v_ldexp_f64 v[8:9], |v[14:15]|, s35
	v_cmp_ge_f64_e64 vcc, |v[14:15]|, s[92:93]
	v_trig_preop_f64 v[30:31], |v[14:15]|, 1
	v_and_b32_e32 v23, 0x7fffffff, v15
	v_trig_preop_f64 v[38:39], |v[14:15]|, 2
	s_mov_b32 s4, s12
	s_mov_b32 s17, s9
	v_cndmask_b32_e32 v9, v23, v9, vcc
	v_cndmask_b32_e32 v8, v14, v8, vcc
	v_mul_f64 v[32:33], v[6:7], v[8:9]
	v_mul_f64 v[34:35], v[30:31], v[8:9]
	;; [unrolled: 1-line block ×3, first 2 shown]
	v_fma_f64 v[6:7], v[6:7], v[8:9], -v[32:33]
	v_fma_f64 v[30:31], v[30:31], v[8:9], -v[34:35]
	;; [unrolled: 1-line block ×3, first 2 shown]
	v_add_f64 v[36:37], v[34:35], v[6:7]
	v_add_f64 v[40:41], v[36:37], -v[34:35]
	v_add_f64 v[53:54], v[32:33], v[36:37]
	v_add_f64 v[49:50], v[36:37], -v[40:41]
	v_add_f64 v[6:7], v[6:7], -v[40:41]
	v_add_f64 v[40:41], v[51:52], v[30:31]
	v_add_f64 v[32:33], v[53:54], -v[32:33]
	v_add_f64 v[34:35], v[34:35], -v[49:50]
	v_ldexp_f64 v[49:50], v[53:54], -2
	v_add_f64 v[55:56], v[40:41], -v[51:52]
	v_add_f64 v[32:33], v[36:37], -v[32:33]
	v_add_f64 v[6:7], v[6:7], v[34:35]
	v_fract_f64_e32 v[34:35], v[49:50]
	v_cmp_neq_f64_e64 vcc, |v[49:50]|, s[94:95]
	v_add_f64 v[30:31], v[30:31], -v[55:56]
	v_add_f64 v[36:37], v[40:41], v[6:7]
	v_ldexp_f64 v[34:35], v[34:35], 2
	v_add_f64 v[49:50], v[32:33], v[36:37]
	v_cndmask_b32_e32 v35, 0, v35, vcc
	v_cndmask_b32_e32 v34, 0, v34, vcc
	v_add_f64 v[57:58], v[36:37], -v[40:41]
	v_add_f64 v[53:54], v[49:50], v[34:35]
	v_add_f64 v[32:33], v[49:50], -v[32:33]
	v_add_f64 v[59:60], v[36:37], -v[57:58]
	;; [unrolled: 1-line block ×3, first 2 shown]
	v_cmp_gt_f64_e32 vcc, 0, v[53:54]
	v_add_f64 v[53:54], v[40:41], -v[55:56]
	v_add_f64 v[32:33], v[36:37], -v[32:33]
	;; [unrolled: 1-line block ×3, first 2 shown]
	v_cndmask_b32_e32 v23, 0, v43, vcc
	v_add_f64 v[34:35], v[34:35], v[22:23]
	v_add_f64 v[53:54], v[51:52], -v[53:54]
	v_add_f64 v[6:7], v[6:7], v[40:41]
	v_add_f64 v[61:62], v[49:50], v[34:35]
	;; [unrolled: 1-line block ×3, first 2 shown]
	v_cvt_i32_f64_e32 v57, v[61:62]
	v_add_f64 v[6:7], v[30:31], v[6:7]
	v_cvt_f64_i32_e32 v[55:56], v57
	v_add_f64 v[34:35], v[34:35], -v[55:56]
	v_add_f64 v[6:7], v[8:9], v[6:7]
	v_add_f64 v[30:31], v[49:50], v[34:35]
	;; [unrolled: 1-line block ×3, first 2 shown]
	v_add_f64 v[8:9], v[30:31], -v[34:35]
	v_cmp_le_f64_e32 vcc, 0.5, v[30:31]
	v_add_f64 v[8:9], v[49:50], -v[8:9]
	v_cndmask_b32_e32 v23, 0, v44, vcc
	v_add_f64 v[6:7], v[6:7], v[8:9]
	v_add_f64 v[8:9], v[30:31], -v[22:23]
	v_addc_co_u32_e32 v23, vcc, 0, v57, vcc
	v_add_f64 v[30:31], v[8:9], v[6:7]
	v_mul_f64 v[32:33], v[30:31], s[4:5]
	v_add_f64 v[8:9], v[30:31], -v[8:9]
	v_fma_f64 v[34:35], v[30:31], s[4:5], -v[32:33]
	v_add_f64 v[6:7], v[6:7], -v[8:9]
	v_fma_f64 v[8:9], v[30:31], s[16:17], v[34:35]
	v_fma_f64 v[8:9], v[6:7], s[4:5], v[8:9]
	v_add_f64 v[6:7], v[32:33], v[8:9]
	v_add_f64 v[30:31], v[6:7], -v[32:33]
	v_add_f64 v[8:9], v[8:9], -v[30:31]
.LBB99_185:                             ;   in Loop: Header=BB99_180 Depth=1
	s_andn2_saveexec_b64 s[0:1], s[0:1]
	s_cbranch_execz .LBB99_187
; %bb.186:                              ;   in Loop: Header=BB99_180 Depth=1
	v_mul_f64 v[6:7], |v[14:15]|, s[6:7]
	s_mov_b32 s8, s14
	v_rndne_f64_e32 v[30:31], v[6:7]
	v_fma_f64 v[6:7], v[30:31], s[12:13], |v[14:15]|
	v_mul_f64 v[8:9], v[30:31], s[14:15]
	v_cvt_i32_f64_e32 v23, v[30:31]
	v_fma_f64 v[36:37], v[30:31], s[14:15], v[6:7]
	v_add_f64 v[32:33], v[6:7], v[8:9]
	v_add_f64 v[34:35], v[6:7], -v[32:33]
	v_add_f64 v[32:33], v[32:33], -v[36:37]
	v_add_f64 v[6:7], v[34:35], v[8:9]
	v_fma_f64 v[8:9], v[30:31], s[8:9], v[8:9]
	v_add_f64 v[6:7], v[32:33], v[6:7]
	v_add_f64 v[6:7], v[6:7], -v[8:9]
	v_fma_f64 v[8:9], v[30:31], s[10:11], v[6:7]
	v_add_f64 v[6:7], v[36:37], v[8:9]
	v_add_f64 v[32:33], v[6:7], -v[36:37]
	v_add_f64 v[8:9], v[8:9], -v[32:33]
.LBB99_187:                             ;   in Loop: Header=BB99_180 Depth=1
	s_or_b64 exec, exec, s[0:1]
	v_add_f64 v[30:31], |v[16:17]|, s[22:23]
	s_mov_b32 s40, s22
	s_mov_b32 s0, 0x3b39803f
	;; [unrolled: 1-line block ×7, first 2 shown]
	v_add_f64 v[32:33], v[30:31], -|v[16:17]|
	v_and_b32_e32 v15, 0x80000000, v15
	v_add_f64 v[34:35], v[32:33], -v[30:31]
	v_add_f64 v[32:33], v[32:33], s[40:41]
	v_add_f64 v[34:35], |v[16:17]|, v[34:35]
	v_add_f64 v[32:33], v[34:35], -v[32:33]
	v_add_f64 v[32:33], v[32:33], s[0:1]
	s_mov_b32 s0, 0xf278e000
	s_mov_b32 s1, 0xbd53de6a
	v_add_f64 v[34:35], v[30:31], v[32:33]
	v_mul_f64 v[36:37], v[34:35], s[44:45]
	v_add_f64 v[30:31], v[30:31], -v[34:35]
	v_rndne_f64_e32 v[36:37], v[36:37]
	v_add_f64 v[30:31], v[32:33], v[30:31]
	v_fma_f64 v[32:33], v[36:37], s[18:19], v[34:35]
	v_mul_f64 v[34:35], v[36:37], s[0:1]
	s_mov_b32 s0, 0xf97b57a0
	s_mov_b32 s1, 0xbac9cc01
	v_cvt_i32_f64_e32 v14, v[36:37]
	v_add_f64 v[38:39], v[30:31], v[32:33]
	v_add_f64 v[40:41], v[38:39], v[34:35]
	v_add_f64 v[32:33], v[32:33], -v[38:39]
	v_add_f64 v[38:39], v[38:39], -v[40:41]
	v_add_f64 v[30:31], v[30:31], v[32:33]
	v_add_f64 v[32:33], v[38:39], v[34:35]
	;; [unrolled: 1-line block ×3, first 2 shown]
	v_mul_f64 v[32:33], v[36:37], s[0:1]
	s_mov_b32 s0, 0xc751c08c
	s_mov_b32 s1, 0x3ef5e089
	v_add_f64 v[34:35], v[40:41], v[30:31]
	v_add_f64 v[38:39], v[34:35], v[32:33]
	v_add_f64 v[40:41], v[40:41], -v[34:35]
	v_add_f64 v[34:35], v[34:35], -v[38:39]
	v_add_f64 v[30:31], v[30:31], v[40:41]
	v_add_f64 v[32:33], v[34:35], v[32:33]
	;; [unrolled: 1-line block ×4, first 2 shown]
	v_fma_f64 v[34:35], v[32:33], s[50:51], v[28:29]
	v_add_f64 v[38:39], v[38:39], -v[32:33]
	v_mul_f64 v[40:41], v[32:33], v[32:33]
	v_fma_f64 v[34:35], v[32:33], v[34:35], s[52:53]
	v_add_f64 v[30:31], v[30:31], v[38:39]
	v_fma_f64 v[38:39], v[32:33], v[32:33], -v[40:41]
	v_fma_f64 v[34:35], v[32:33], v[34:35], s[54:55]
	v_add_f64 v[49:50], v[30:31], v[30:31]
	v_fma_f64 v[34:35], v[32:33], v[34:35], s[56:57]
	v_fma_f64 v[38:39], v[32:33], v[49:50], v[38:39]
	;; [unrolled: 1-line block ×3, first 2 shown]
	v_add_f64 v[49:50], v[40:41], v[38:39]
	v_fma_f64 v[34:35], v[32:33], v[34:35], s[60:61]
	v_add_f64 v[40:41], v[49:50], -v[40:41]
	v_fma_f64 v[34:35], v[32:33], v[34:35], s[62:63]
	v_add_f64 v[38:39], v[38:39], -v[40:41]
	v_fma_f64 v[34:35], v[32:33], v[34:35], s[64:65]
	v_fma_f64 v[34:35], v[32:33], v[34:35], s[66:67]
	v_mul_f64 v[51:52], v[49:50], v[34:35]
	v_fma_f64 v[40:41], v[49:50], v[34:35], -v[51:52]
	v_fma_f64 v[34:35], v[38:39], v[34:35], v[40:41]
	v_add_f64 v[38:39], v[51:52], v[34:35]
	v_add_f64 v[40:41], v[32:33], v[38:39]
	v_add_f64 v[49:50], v[38:39], -v[51:52]
	v_add_f64 v[32:33], v[40:41], -v[32:33]
	;; [unrolled: 1-line block ×3, first 2 shown]
	v_add_f64 v[49:50], v[8:9], v[8:9]
	v_add_f64 v[32:33], v[38:39], -v[32:33]
	v_add_f64 v[30:31], v[30:31], v[34:35]
	v_add_f64 v[30:31], v[30:31], v[32:33]
	;; [unrolled: 1-line block ×3, first 2 shown]
	v_add_f64 v[34:35], v[32:33], 1.0
	v_add_f64 v[38:39], v[32:33], -v[40:41]
	v_add_f64 v[40:41], v[34:35], -1.0
	v_add_f64 v[30:31], v[30:31], -v[38:39]
	v_add_f64 v[32:33], v[32:33], -v[40:41]
	v_add_f64 v[30:31], v[30:31], v[32:33]
	v_add_f64 v[32:33], v[34:35], v[30:31]
	v_ldexp_f64 v[36:37], v[32:33], v14
	v_add_f64 v[32:33], v[32:33], -v[34:35]
	v_rcp_f64_e32 v[38:39], v[36:37]
	v_add_f64 v[30:31], v[30:31], -v[32:33]
	v_ldexp_f64 v[30:31], v[30:31], v14
	v_fma_f64 v[40:41], -v[36:37], v[38:39], 1.0
	v_fma_f64 v[38:39], v[40:41], v[38:39], v[38:39]
	v_fma_f64 v[40:41], -v[36:37], v[38:39], 1.0
	v_fma_f64 v[34:35], v[40:41], v[38:39], v[38:39]
	v_mul_f64 v[38:39], v[6:7], v[6:7]
	v_mul_f64 v[32:33], v[36:37], v[34:35]
	v_fma_f64 v[51:52], v[6:7], v[6:7], -v[38:39]
	v_fma_f64 v[40:41], v[34:35], v[36:37], -v[32:33]
	v_fma_f64 v[49:50], v[6:7], v[49:50], v[51:52]
	v_fma_f64 v[40:41], v[34:35], v[30:31], v[40:41]
	v_add_f64 v[38:39], v[38:39], v[49:50]
	v_add_f64 v[51:52], v[32:33], v[40:41]
	v_fma_f64 v[53:54], v[38:39], s[0:1], v[26:27]
	s_mov_b32 s0, 0x90a8aae0
	s_mov_b32 s1, 0x3f17746f
	v_add_f64 v[49:50], -v[51:52], 1.0
	v_add_f64 v[32:33], v[51:52], -v[32:33]
	v_fma_f64 v[53:54], v[38:39], v[53:54], s[0:1]
	s_mov_b32 s0, 0xa6fbf144
	s_mov_b32 s1, 0xbefbb44d
	v_add_f64 v[55:56], -v[49:50], 1.0
	v_add_f64 v[32:33], v[32:33], -v[40:41]
	v_add_f64 v[40:41], v[55:56], -v[51:52]
	v_fma_f64 v[51:52], v[38:39], v[53:54], s[0:1]
	s_mov_b32 s0, 0xa7943acf
	s_mov_b32 s1, 0x3f21e634
	v_add_f64 v[32:33], v[32:33], v[40:41]
	v_fma_f64 v[40:41], v[38:39], v[51:52], s[0:1]
	s_mov_b32 s0, 0xdeb68feb
	s_mov_b32 s1, 0x3f2d250f
	v_add_f64 v[51:52], v[49:50], v[32:33]
	v_fma_f64 v[40:41], v[38:39], v[40:41], s[0:1]
	s_mov_b32 s0, 0xb58c4d95
	s_mov_b32 s1, 0x3f437fd9
	v_mul_f64 v[53:54], v[34:35], v[51:52]
	v_fma_f64 v[40:41], v[38:39], v[40:41], s[0:1]
	s_mov_b32 s0, 0x15120e2c
	s_mov_b32 s1, 0x3f57d5af
	v_add_f64 v[49:50], v[49:50], -v[51:52]
	v_mul_f64 v[55:56], v[36:37], v[53:54]
	v_fma_f64 v[40:41], v[38:39], v[40:41], s[0:1]
	s_mov_b32 s0, 0xe09491df
	s_mov_b32 s1, 0x3f6d6d93
	v_add_f64 v[32:33], v[32:33], v[49:50]
	v_fma_f64 v[57:58], v[53:54], v[36:37], -v[55:56]
	v_fma_f64 v[40:41], v[38:39], v[40:41], s[0:1]
	s_mov_b32 s0, 0x2033784d
	s_mov_b32 s1, 0x3f8226e1
	v_fma_f64 v[57:58], v[53:54], v[30:31], v[57:58]
	v_fma_f64 v[40:41], v[38:39], v[40:41], s[0:1]
	s_mov_b32 s0, 0x9ac36ae2
	s_mov_b32 s1, 0x3f9664f4
	v_add_f64 v[59:60], v[55:56], v[57:58]
	v_fma_f64 v[40:41], v[38:39], v[40:41], s[0:1]
	s_mov_b32 s0, 0x1b451c21
	s_mov_b32 s1, 0x3faba1ba
	v_add_f64 v[61:62], v[51:52], -v[59:60]
	v_fma_f64 v[40:41], v[38:39], v[40:41], s[0:1]
	s_mov_b32 s0, 0x111185b7
	s_mov_b32 s1, 0x3fc11111
	v_add_f64 v[49:50], v[59:60], -v[55:56]
	v_add_f64 v[51:52], v[51:52], -v[61:62]
	v_fma_f64 v[40:41], v[38:39], v[40:41], s[0:1]
	s_mov_b32 s0, 0x555554ee
	s_mov_b32 s1, 0x3fd55555
	v_add_f64 v[49:50], v[49:50], -v[57:58]
	v_add_f64 v[51:52], v[51:52], -v[59:60]
	v_fma_f64 v[40:41], v[38:39], v[40:41], s[0:1]
	s_mov_b32 s0, 0x8fb9f87e
	s_mov_b32 s1, 0x408633ce
	v_cmp_nge_f64_e64 vcc, |v[16:17]|, s[0:1]
	s_mov_b32 s0, 0
	s_mov_b32 s1, 0x3e400000
	v_add_f64 v[32:33], v[32:33], v[51:52]
	v_mul_f64 v[38:39], v[38:39], v[40:41]
	v_add_f64 v[40:41], v[34:35], v[53:54]
	v_add_f64 v[32:33], v[49:50], v[32:33]
	v_mul_f64 v[49:50], v[6:7], v[38:39]
	v_add_f64 v[51:52], v[40:41], -v[34:35]
	v_add_f64 v[32:33], v[61:62], v[32:33]
	v_add_f64 v[55:56], v[6:7], v[49:50]
	v_add_f64 v[51:52], v[53:54], -v[51:52]
	v_mul_f64 v[32:33], v[34:35], v[32:33]
	v_fma_f64 v[34:35], v[6:7], v[38:39], -v[49:50]
	v_add_f64 v[6:7], v[55:56], -v[6:7]
	v_add_f64 v[32:33], v[51:52], v[32:33]
	v_add_f64 v[8:9], v[8:9], v[34:35]
	v_add_f64 v[6:7], v[49:50], -v[6:7]
	v_add_f64 v[34:35], v[40:41], v[32:33]
	v_add_f64 v[6:7], v[8:9], v[6:7]
	v_ldexp_f64 v[8:9], v[34:35], -2
	v_add_f64 v[34:35], v[34:35], -v[40:41]
	v_add_f64 v[38:39], v[55:56], v[6:7]
	v_add_f64 v[49:50], v[36:37], -v[8:9]
	v_add_f64 v[32:33], v[32:33], -v[34:35]
	v_rcp_f64_e32 v[51:52], v[38:39]
	v_add_f64 v[36:37], v[36:37], -v[49:50]
	v_ldexp_f64 v[32:33], v[32:33], -2
	v_add_f64 v[8:9], v[36:37], -v[8:9]
	v_fma_f64 v[34:35], -v[38:39], v[51:52], 1.0
	v_add_f64 v[8:9], v[30:31], v[8:9]
	v_fma_f64 v[30:31], v[34:35], v[51:52], v[51:52]
	v_and_b32_e32 v35, 0x7fffffff, v17
	v_add_f64 v[8:9], v[8:9], -v[32:33]
	v_fma_f64 v[32:33], -v[38:39], v[30:31], 1.0
	v_add_f64 v[8:9], v[49:50], v[8:9]
	v_fma_f64 v[30:31], v[32:33], v[30:31], v[30:31]
	v_cndmask_b32_e32 v14, v45, v9, vcc
	v_cndmask_b32_e32 v34, 0, v8, vcc
	v_cmp_lt_f64_e64 vcc, |v[16:17]|, s[0:1]
	v_xor_b32_e32 v17, 0x80000000, v17
	s_mov_b32 s0, 0
	v_add_f64 v[8:9], v[38:39], -v[55:56]
	v_mul_f64 v[32:33], v[38:39], v[30:31]
	s_brev_b32 s1, 8
	v_cndmask_b32_e32 v14, v14, v35, vcc
	v_cndmask_b32_e32 v16, v34, v16, vcc
	v_bfi_b32 v17, s29, v14, v17
	v_fma_f64 v[34:35], v[16:17], v[16:17], 1.0
	v_add_f64 v[6:7], v[6:7], -v[8:9]
	v_fma_f64 v[8:9], v[30:31], v[38:39], -v[32:33]
	v_cmp_gt_f64_e32 vcc, s[0:1], v[34:35]
	v_fma_f64 v[6:7], v[30:31], v[6:7], v[8:9]
	v_cndmask_b32_e32 v14, 0, v46, vcc
	v_ldexp_f64 v[34:35], v[34:35], v14
	v_add_f64 v[36:37], v[32:33], v[6:7]
	v_and_b32_e32 v14, 1, v23
	v_cmp_eq_u32_e64 s[0:1], 0, v14
	v_cndmask_b32_e32 v23, 0, v47, vcc
	v_rsq_f64_e32 v[8:9], v[34:35]
	v_add_f64 v[40:41], -v[36:37], 1.0
	v_add_f64 v[32:33], v[36:37], -v[32:33]
	v_cmp_class_f64_e32 vcc, v[34:35], v42
	v_add_f64 v[51:52], -v[40:41], 1.0
	v_add_f64 v[6:7], v[32:33], -v[6:7]
	v_mul_f64 v[49:50], v[34:35], v[8:9]
	v_mul_f64 v[8:9], v[8:9], 0.5
	v_add_f64 v[36:37], v[51:52], -v[36:37]
	v_fma_f64 v[32:33], -v[8:9], v[49:50], 0.5
	v_add_f64 v[6:7], v[6:7], v[36:37]
	v_fma_f64 v[49:50], v[49:50], v[32:33], v[49:50]
	v_fma_f64 v[8:9], v[8:9], v[32:33], v[8:9]
	v_add_f64 v[6:7], v[40:41], v[6:7]
	v_fma_f64 v[32:33], -v[49:50], v[49:50], v[34:35]
	v_mul_f64 v[6:7], v[30:31], v[6:7]
	v_fma_f64 v[32:33], v[32:33], v[8:9], v[49:50]
	v_add_f64 v[6:7], v[30:31], v[6:7]
	v_fma_f64 v[36:37], -v[32:33], v[32:33], v[34:35]
	v_xor_b32_e32 v7, 0x80000000, v7
	v_cndmask_b32_e64 v7, v7, v39, s[0:1]
	v_cndmask_b32_e64 v6, v6, v38, s[0:1]
	v_xor_b32_e32 v7, v7, v15
	v_fma_f64 v[14:15], v[6:7], v[6:7], 1.0
	v_fma_f64 v[8:9], v[36:37], v[8:9], v[32:33]
	v_mul_f64 v[30:31], v[16:17], v[14:15]
	v_ldexp_f64 v[8:9], v[8:9], v23
	v_cndmask_b32_e32 v9, v9, v35, vcc
	v_cndmask_b32_e32 v8, v8, v34, vcc
	v_mul_f64 v[8:9], v[8:9], v[14:15]
	v_fma_f64 v[14:15], v[16:17], v[30:31], 1.0
	v_mul_f64 v[8:9], v[16:17], v[8:9]
	v_div_scale_f64 v[30:31], s[0:1], v[14:15], v[14:15], v[6:7]
	v_div_scale_f64 v[16:17], s[0:1], v[14:15], v[14:15], v[8:9]
	;; [unrolled: 1-line block ×3, first 2 shown]
	v_rcp_f64_e32 v[34:35], v[30:31]
	v_rcp_f64_e32 v[32:33], v[16:17]
	v_fma_f64 v[38:39], -v[30:31], v[34:35], 1.0
	v_fma_f64 v[36:37], -v[16:17], v[32:33], 1.0
	v_fma_f64 v[34:35], v[34:35], v[38:39], v[34:35]
	v_fma_f64 v[32:33], v[32:33], v[36:37], v[32:33]
	v_div_scale_f64 v[36:37], vcc, v[8:9], v[14:15], v[8:9]
	v_fma_f64 v[49:50], -v[30:31], v[34:35], 1.0
	v_fma_f64 v[38:39], -v[16:17], v[32:33], 1.0
	v_fma_f64 v[34:35], v[34:35], v[49:50], v[34:35]
	v_fma_f64 v[32:33], v[32:33], v[38:39], v[32:33]
	v_mul_f64 v[49:50], v[40:41], v[34:35]
	v_mul_f64 v[38:39], v[36:37], v[32:33]
	v_fma_f64 v[30:31], -v[30:31], v[49:50], v[40:41]
	v_fma_f64 v[16:17], -v[16:17], v[38:39], v[36:37]
	v_div_fmas_f64 v[16:17], v[16:17], v[32:33], v[38:39]
	s_mov_b64 vcc, s[0:1]
	v_div_fmas_f64 v[30:31], v[30:31], v[34:35], v[49:50]
	v_div_fixup_f64 v[8:9], v[16:17], v[14:15], v[8:9]
	v_div_fixup_f64 v[6:7], v[30:31], v[14:15], v[6:7]
                                        ; implicit-def: $vgpr14_vgpr15
.LBB99_188:                             ;   in Loop: Header=BB99_180 Depth=1
	s_andn2_saveexec_b64 s[0:1], s[48:49]
	s_cbranch_execz .LBB99_191
; %bb.189:                              ;   in Loop: Header=BB99_180 Depth=1
	v_cmp_nlt_f64_e64 s[48:49], |v[14:15]|, s[90:91]
                                        ; implicit-def: $vgpr34
                                        ; implicit-def: $vgpr6_vgpr7
                                        ; implicit-def: $vgpr8_vgpr9
	s_and_saveexec_b64 s[68:69], s[48:49]
	s_xor_b64 s[68:69], exec, s[68:69]
	s_cbranch_execz .LBB99_192
; %bb.190:                              ;   in Loop: Header=BB99_180 Depth=1
	v_trig_preop_f64 v[6:7], |v[14:15]|, 0
	v_ldexp_f64 v[8:9], |v[14:15]|, s35
	v_cmp_ge_f64_e64 vcc, |v[14:15]|, s[92:93]
	v_trig_preop_f64 v[30:31], |v[14:15]|, 1
	v_and_b32_e32 v23, 0x7fffffff, v15
	v_trig_preop_f64 v[38:39], |v[14:15]|, 2
	s_mov_b32 s4, s12
	s_mov_b32 s17, s9
	v_cndmask_b32_e32 v9, v23, v9, vcc
	v_cndmask_b32_e32 v8, v14, v8, vcc
	v_mul_f64 v[32:33], v[6:7], v[8:9]
	v_mul_f64 v[34:35], v[30:31], v[8:9]
	;; [unrolled: 1-line block ×3, first 2 shown]
	v_fma_f64 v[6:7], v[6:7], v[8:9], -v[32:33]
	v_fma_f64 v[30:31], v[30:31], v[8:9], -v[34:35]
	;; [unrolled: 1-line block ×3, first 2 shown]
	v_add_f64 v[36:37], v[34:35], v[6:7]
	v_add_f64 v[40:41], v[36:37], -v[34:35]
	v_add_f64 v[53:54], v[32:33], v[36:37]
	v_add_f64 v[49:50], v[36:37], -v[40:41]
	v_add_f64 v[6:7], v[6:7], -v[40:41]
	v_add_f64 v[40:41], v[51:52], v[30:31]
	v_add_f64 v[32:33], v[53:54], -v[32:33]
	v_add_f64 v[34:35], v[34:35], -v[49:50]
	v_ldexp_f64 v[49:50], v[53:54], -2
	v_add_f64 v[55:56], v[40:41], -v[51:52]
	v_add_f64 v[32:33], v[36:37], -v[32:33]
	v_add_f64 v[6:7], v[6:7], v[34:35]
	v_fract_f64_e32 v[34:35], v[49:50]
	v_cmp_neq_f64_e64 vcc, |v[49:50]|, s[94:95]
	v_add_f64 v[30:31], v[30:31], -v[55:56]
	v_add_f64 v[36:37], v[40:41], v[6:7]
	v_ldexp_f64 v[34:35], v[34:35], 2
	v_add_f64 v[49:50], v[32:33], v[36:37]
	v_cndmask_b32_e32 v35, 0, v35, vcc
	v_cndmask_b32_e32 v34, 0, v34, vcc
	v_add_f64 v[57:58], v[36:37], -v[40:41]
	v_add_f64 v[53:54], v[49:50], v[34:35]
	v_add_f64 v[32:33], v[49:50], -v[32:33]
	v_add_f64 v[59:60], v[36:37], -v[57:58]
	;; [unrolled: 1-line block ×3, first 2 shown]
	v_cmp_gt_f64_e32 vcc, 0, v[53:54]
	v_add_f64 v[53:54], v[40:41], -v[55:56]
	v_add_f64 v[32:33], v[36:37], -v[32:33]
	;; [unrolled: 1-line block ×3, first 2 shown]
	v_cndmask_b32_e32 v23, 0, v43, vcc
	v_add_f64 v[34:35], v[34:35], v[22:23]
	v_add_f64 v[53:54], v[51:52], -v[53:54]
	v_add_f64 v[6:7], v[6:7], v[40:41]
	v_add_f64 v[61:62], v[49:50], v[34:35]
	;; [unrolled: 1-line block ×3, first 2 shown]
	v_cvt_i32_f64_e32 v57, v[61:62]
	v_add_f64 v[6:7], v[30:31], v[6:7]
	v_cvt_f64_i32_e32 v[55:56], v57
	v_add_f64 v[34:35], v[34:35], -v[55:56]
	v_add_f64 v[6:7], v[8:9], v[6:7]
	v_add_f64 v[30:31], v[49:50], v[34:35]
	;; [unrolled: 1-line block ×3, first 2 shown]
	v_add_f64 v[8:9], v[30:31], -v[34:35]
	v_cmp_le_f64_e32 vcc, 0.5, v[30:31]
	v_add_f64 v[8:9], v[49:50], -v[8:9]
	v_cndmask_b32_e32 v23, 0, v44, vcc
	v_add_f64 v[6:7], v[6:7], v[8:9]
	v_add_f64 v[8:9], v[30:31], -v[22:23]
	v_add_f64 v[30:31], v[8:9], v[6:7]
	v_mul_f64 v[32:33], v[30:31], s[4:5]
	v_add_f64 v[8:9], v[30:31], -v[8:9]
	v_fma_f64 v[34:35], v[30:31], s[4:5], -v[32:33]
	v_add_f64 v[6:7], v[6:7], -v[8:9]
	v_fma_f64 v[8:9], v[30:31], s[16:17], v[34:35]
	v_addc_co_u32_e32 v34, vcc, 0, v57, vcc
	v_fma_f64 v[8:9], v[6:7], s[4:5], v[8:9]
	v_add_f64 v[6:7], v[32:33], v[8:9]
	v_add_f64 v[30:31], v[6:7], -v[32:33]
	v_add_f64 v[8:9], v[8:9], -v[30:31]
	s_andn2_saveexec_b64 s[68:69], s[68:69]
	s_cbranch_execz .LBB99_194
	s_branch .LBB99_193
.LBB99_191:                             ;   in Loop: Header=BB99_180 Depth=1
	s_or_b64 exec, exec, s[0:1]
                                        ; implicit-def: $vgpr14_vgpr15
	s_andn2_saveexec_b64 s[0:1], s[46:47]
	s_cbranch_execnz .LBB99_200
	s_branch .LBB99_201
.LBB99_192:                             ;   in Loop: Header=BB99_180 Depth=1
	s_andn2_saveexec_b64 s[68:69], s[68:69]
	s_cbranch_execz .LBB99_194
.LBB99_193:                             ;   in Loop: Header=BB99_180 Depth=1
	v_mul_f64 v[6:7], |v[14:15]|, s[6:7]
	s_mov_b32 s8, s14
	v_rndne_f64_e32 v[30:31], v[6:7]
	v_fma_f64 v[6:7], v[30:31], s[12:13], |v[14:15]|
	v_mul_f64 v[8:9], v[30:31], s[14:15]
	v_fma_f64 v[36:37], v[30:31], s[14:15], v[6:7]
	v_add_f64 v[32:33], v[6:7], v[8:9]
	v_add_f64 v[34:35], v[6:7], -v[32:33]
	v_add_f64 v[32:33], v[32:33], -v[36:37]
	v_add_f64 v[6:7], v[34:35], v[8:9]
	v_fma_f64 v[8:9], v[30:31], s[8:9], v[8:9]
	v_cvt_i32_f64_e32 v34, v[30:31]
	v_add_f64 v[6:7], v[32:33], v[6:7]
	v_add_f64 v[6:7], v[6:7], -v[8:9]
	v_fma_f64 v[8:9], v[30:31], s[10:11], v[6:7]
	v_add_f64 v[6:7], v[36:37], v[8:9]
	v_add_f64 v[32:33], v[6:7], -v[36:37]
	v_add_f64 v[8:9], v[8:9], -v[32:33]
.LBB99_194:                             ;   in Loop: Header=BB99_180 Depth=1
	s_or_b64 exec, exec, s[68:69]
                                        ; implicit-def: $vgpr23
                                        ; implicit-def: $vgpr30_vgpr31
                                        ; implicit-def: $vgpr32_vgpr33
	s_and_saveexec_b64 s[68:69], s[48:49]
	s_xor_b64 s[48:49], exec, s[68:69]
	s_cbranch_execz .LBB99_196
; %bb.195:                              ;   in Loop: Header=BB99_180 Depth=1
	v_trig_preop_f64 v[30:31], |v[14:15]|, 0
	v_ldexp_f64 v[32:33], |v[14:15]|, s35
	v_cmp_ge_f64_e64 vcc, |v[14:15]|, s[92:93]
	v_trig_preop_f64 v[35:36], |v[14:15]|, 1
	v_and_b32_e32 v23, 0x7fffffff, v15
	v_trig_preop_f64 v[51:52], |v[14:15]|, 2
	s_mov_b32 s4, s12
	s_mov_b32 s17, s9
	v_cndmask_b32_e32 v33, v23, v33, vcc
	v_cndmask_b32_e32 v32, v14, v32, vcc
	v_mul_f64 v[37:38], v[30:31], v[32:33]
	v_mul_f64 v[39:40], v[35:36], v[32:33]
	;; [unrolled: 1-line block ×3, first 2 shown]
	v_fma_f64 v[30:31], v[30:31], v[32:33], -v[37:38]
	v_fma_f64 v[35:36], v[35:36], v[32:33], -v[39:40]
	;; [unrolled: 1-line block ×3, first 2 shown]
	v_add_f64 v[49:50], v[39:40], v[30:31]
	v_add_f64 v[53:54], v[49:50], -v[39:40]
	v_add_f64 v[59:60], v[37:38], v[49:50]
	v_add_f64 v[55:56], v[49:50], -v[53:54]
	v_add_f64 v[30:31], v[30:31], -v[53:54]
	v_add_f64 v[53:54], v[57:58], v[35:36]
	v_add_f64 v[37:38], v[59:60], -v[37:38]
	v_add_f64 v[39:40], v[39:40], -v[55:56]
	v_ldexp_f64 v[55:56], v[59:60], -2
	v_add_f64 v[61:62], v[53:54], -v[57:58]
	v_add_f64 v[37:38], v[49:50], -v[37:38]
	v_add_f64 v[30:31], v[30:31], v[39:40]
	v_fract_f64_e32 v[39:40], v[55:56]
	v_cmp_neq_f64_e64 vcc, |v[55:56]|, s[94:95]
	v_add_f64 v[35:36], v[35:36], -v[61:62]
	v_add_f64 v[49:50], v[53:54], v[30:31]
	v_ldexp_f64 v[39:40], v[39:40], 2
	v_add_f64 v[55:56], v[37:38], v[49:50]
	v_cndmask_b32_e32 v40, 0, v40, vcc
	v_cndmask_b32_e32 v39, 0, v39, vcc
	v_add_f64 v[63:64], v[49:50], -v[53:54]
	v_add_f64 v[59:60], v[55:56], v[39:40]
	v_add_f64 v[37:38], v[55:56], -v[37:38]
	v_add_f64 v[65:66], v[49:50], -v[63:64]
	;; [unrolled: 1-line block ×3, first 2 shown]
	v_cmp_gt_f64_e32 vcc, 0, v[59:60]
	v_add_f64 v[59:60], v[53:54], -v[61:62]
	v_add_f64 v[37:38], v[49:50], -v[37:38]
	;; [unrolled: 1-line block ×3, first 2 shown]
	v_cndmask_b32_e32 v23, 0, v43, vcc
	v_add_f64 v[39:40], v[39:40], v[22:23]
	v_add_f64 v[59:60], v[57:58], -v[59:60]
	v_add_f64 v[30:31], v[30:31], v[53:54]
	v_add_f64 v[67:68], v[55:56], v[39:40]
	;; [unrolled: 1-line block ×3, first 2 shown]
	v_cvt_i32_f64_e32 v41, v[67:68]
	v_add_f64 v[30:31], v[35:36], v[30:31]
	v_cvt_f64_i32_e32 v[61:62], v41
	v_add_f64 v[39:40], v[39:40], -v[61:62]
	v_add_f64 v[30:31], v[32:33], v[30:31]
	v_add_f64 v[35:36], v[55:56], v[39:40]
	;; [unrolled: 1-line block ×3, first 2 shown]
	v_add_f64 v[32:33], v[35:36], -v[39:40]
	v_cmp_le_f64_e32 vcc, 0.5, v[35:36]
	v_add_f64 v[32:33], v[55:56], -v[32:33]
	v_cndmask_b32_e32 v23, 0, v44, vcc
	v_add_f64 v[30:31], v[30:31], v[32:33]
	v_add_f64 v[32:33], v[35:36], -v[22:23]
	v_addc_co_u32_e32 v23, vcc, 0, v41, vcc
	v_add_f64 v[35:36], v[32:33], v[30:31]
	v_mul_f64 v[37:38], v[35:36], s[4:5]
	v_add_f64 v[32:33], v[35:36], -v[32:33]
	v_fma_f64 v[39:40], v[35:36], s[4:5], -v[37:38]
	v_add_f64 v[30:31], v[30:31], -v[32:33]
	v_fma_f64 v[32:33], v[35:36], s[16:17], v[39:40]
	v_fma_f64 v[32:33], v[30:31], s[4:5], v[32:33]
	v_add_f64 v[30:31], v[37:38], v[32:33]
	v_add_f64 v[35:36], v[30:31], -v[37:38]
	v_add_f64 v[32:33], v[32:33], -v[35:36]
	s_andn2_saveexec_b64 s[48:49], s[48:49]
	s_cbranch_execnz .LBB99_197
	s_branch .LBB99_198
.LBB99_196:                             ;   in Loop: Header=BB99_180 Depth=1
	s_andn2_saveexec_b64 s[48:49], s[48:49]
	s_cbranch_execz .LBB99_198
.LBB99_197:                             ;   in Loop: Header=BB99_180 Depth=1
	v_mul_f64 v[30:31], |v[14:15]|, s[6:7]
	s_mov_b32 s8, s14
	v_rndne_f64_e32 v[35:36], v[30:31]
	v_fma_f64 v[30:31], v[35:36], s[12:13], |v[14:15]|
	v_mul_f64 v[32:33], v[35:36], s[14:15]
	v_cvt_i32_f64_e32 v23, v[35:36]
	v_fma_f64 v[49:50], v[35:36], s[14:15], v[30:31]
	v_add_f64 v[37:38], v[30:31], v[32:33]
	v_add_f64 v[39:40], v[30:31], -v[37:38]
	v_add_f64 v[37:38], v[37:38], -v[49:50]
	v_add_f64 v[30:31], v[39:40], v[32:33]
	v_fma_f64 v[32:33], v[35:36], s[8:9], v[32:33]
	v_add_f64 v[30:31], v[37:38], v[30:31]
	v_add_f64 v[30:31], v[30:31], -v[32:33]
	v_fma_f64 v[32:33], v[35:36], s[10:11], v[30:31]
	v_add_f64 v[30:31], v[49:50], v[32:33]
	v_add_f64 v[37:38], v[30:31], -v[49:50]
	v_add_f64 v[32:33], v[32:33], -v[37:38]
.LBB99_198:                             ;   in Loop: Header=BB99_180 Depth=1
	s_or_b64 exec, exec, s[48:49]
	v_mul_f64 v[35:36], |v[16:17]|, s[20:21]
	s_mov_b32 s48, 0x3b39803f
	s_mov_b32 s49, 0xbc7abc9e
	v_mul_f64 v[49:50], v[6:7], v[6:7]
	v_mov_b32_e32 v53, s80
	v_mov_b32_e32 v54, s81
	v_mul_f64 v[55:56], v[30:31], v[30:31]
	v_mov_b32_e32 v51, s70
	v_rndne_f64_e32 v[35:36], v[35:36]
	v_mov_b32_e32 v52, s71
	v_mul_f64 v[57:58], v[8:9], 0.5
	v_fma_f64 v[59:60], v[49:50], s[82:83], v[53:54]
	v_fma_f64 v[61:62], v[49:50], s[72:73], v[51:52]
	v_mul_f64 v[63:64], v[49:50], 0.5
	v_fma_f64 v[53:54], v[55:56], s[82:83], v[53:54]
	v_mul_f64 v[67:68], v[55:56], 0.5
	v_fma_f64 v[37:38], v[35:36], s[22:23], -|v[16:17]|
	v_fma_f64 v[51:52], v[55:56], s[72:73], v[51:52]
	s_mov_b32 s61, s25
	v_fma_f64 v[59:60], v[49:50], v[59:60], s[84:85]
	v_fma_f64 v[61:62], v[49:50], v[61:62], s[74:75]
	v_add_f64 v[69:70], -v[63:64], 1.0
	v_fma_f64 v[53:54], v[55:56], v[53:54], s[84:85]
	v_mul_f64 v[71:72], v[6:7], -v[49:50]
	v_fma_f64 v[37:38], v[35:36], s[48:49], v[37:38]
	v_add_f64 v[73:74], -v[67:68], 1.0
	v_fma_f64 v[51:52], v[55:56], v[51:52], s[74:75]
	v_fma_f64 v[59:60], v[49:50], v[59:60], s[86:87]
	;; [unrolled: 1-line block ×3, first 2 shown]
	v_add_f64 v[75:76], -v[69:70], 1.0
	v_fma_f64 v[53:54], v[55:56], v[53:54], s[86:87]
	v_mul_f64 v[65:66], v[32:33], 0.5
	v_fma_f64 v[39:40], v[37:38], s[50:51], v[28:29]
	v_mul_f64 v[77:78], v[30:31], -v[55:56]
	s_mov_b32 s63, s37
	v_fma_f64 v[59:60], v[49:50], v[59:60], s[24:25]
	v_add_f64 v[79:80], -v[73:74], 1.0
	v_fma_f64 v[51:52], v[55:56], v[51:52], s[76:77]
	v_fma_f64 v[53:54], v[55:56], v[53:54], s[24:25]
	;; [unrolled: 1-line block ×4, first 2 shown]
	v_add_f64 v[63:64], v[75:76], -v[63:64]
	s_mov_b32 s26, s36
	v_fma_f64 v[57:58], v[71:72], v[59:60], v[57:58]
	v_mul_f64 v[59:60], v[49:50], v[49:50]
	v_add_f64 v[67:68], v[79:80], -v[67:68]
	v_fma_f64 v[53:54], v[77:78], v[53:54], v[65:66]
	v_fma_f64 v[51:52], v[55:56], v[51:52], s[78:79]
	;; [unrolled: 1-line block ×4, first 2 shown]
	v_fma_f64 v[63:64], v[6:7], -v[8:9], v[63:64]
	v_fma_f64 v[8:9], v[49:50], v[57:58], -v[8:9]
	v_mul_f64 v[49:50], v[55:56], v[55:56]
	v_lshlrev_b32_e32 v14, 30, v34
	v_fma_f64 v[53:54], v[55:56], v[53:54], -v[32:33]
	v_fma_f64 v[51:52], v[55:56], v[51:52], s[36:37]
	v_fma_f64 v[39:40], v[37:38], v[39:40], s[56:57]
	v_fma_f64 v[32:33], v[30:31], -v[32:33], v[67:68]
	v_fma_f64 v[55:56], v[59:60], v[61:62], v[63:64]
	v_fma_f64 v[8:9], v[71:72], s[26:27], v[8:9]
	v_xor_b32_e32 v57, v14, v15
	v_and_b32_e32 v41, 1, v34
	v_fma_f64 v[14:15], v[77:78], s[26:27], v[53:54]
	v_cmp_eq_u32_e32 vcc, 0, v41
	v_fma_f64 v[39:40], v[37:38], v[39:40], s[58:59]
	v_fma_f64 v[32:33], v[49:50], v[51:52], v[32:33]
	v_add_f64 v[49:50], v[69:70], v[55:56]
	v_add_f64 v[6:7], v[6:7], -v[8:9]
	v_cvt_i32_f64_e32 v35, v[35:36]
	v_and_b32_e32 v34, 1, v23
	v_add_f64 v[14:15], v[30:31], -v[14:15]
	v_lshlrev_b32_e32 v23, 30, v23
	v_fma_f64 v[39:40], v[37:38], v[39:40], s[60:61]
	v_add_f64 v[30:31], v[73:74], v[32:33]
	s_mov_b32 s48, 0
	v_cndmask_b32_e32 v7, v50, v7, vcc
	v_cndmask_b32_e32 v6, v49, v6, vcc
	v_cmp_eq_u32_e32 vcc, 0, v34
	v_xor_b32_e32 v15, 0x80000000, v15
	v_and_b32_e32 v23, 0x80000000, v23
	v_fma_f64 v[39:40], v[37:38], v[39:40], s[62:63]
	v_cndmask_b32_e32 v15, v15, v31, vcc
	s_mov_b32 s49, 0x4090cc00
	v_cndmask_b32_e32 v14, v14, v30, vcc
	v_xor_b32_e32 v15, v15, v23
	v_cmp_ngt_f64_e64 vcc, |v[16:17]|, s[48:49]
	v_fma_f64 v[39:40], v[37:38], v[39:40], s[64:65]
	v_fma_f64 v[39:40], v[37:38], v[39:40], s[66:67]
	v_fma_f64 v[8:9], v[37:38], v[39:40], 1.0
	v_and_b32_e32 v39, 0x80000000, v57
	v_xor_b32_e32 v7, v7, v39
	v_mul_f64 v[6:7], v[6:7], 4.0
	v_fma_f64 v[8:9], v[37:38], v[8:9], 1.0
	v_mul_f64 v[6:7], v[6:7], v[14:15]
	v_ldexp_f64 v[8:9], v[8:9], v35
	v_cndmask_b32_e32 v9, 0, v9, vcc
	v_cndmask_b32_e32 v8, 0, v8, vcc
	v_mul_f64 v[6:7], v[8:9], v[6:7]
	v_mul_f64 v[6:7], v[8:9], v[6:7]
	v_xor_b32_e32 v8, 0x80000000, v17
	v_bfi_b32 v23, s29, v44, v8
	v_mov_b32_e32 v8, v22
	v_mov_b32_e32 v9, v23
	s_or_b64 exec, exec, s[0:1]
                                        ; implicit-def: $vgpr14_vgpr15
.LBB99_199:                             ;   in Loop: Header=BB99_180 Depth=1
	s_andn2_saveexec_b64 s[0:1], s[46:47]
	s_cbranch_execz .LBB99_201
.LBB99_200:                             ;   in Loop: Header=BB99_180 Depth=1
	v_add_f64 v[6:7], v[14:15], -v[14:15]
	v_mov_b32_e32 v9, v7
	v_mov_b32_e32 v8, v6
.LBB99_201:                             ;   in Loop: Header=BB99_180 Depth=1
	s_or_b64 exec, exec, s[0:1]
                                        ; implicit-def: $vgpr14_vgpr15
.LBB99_202:                             ;   in Loop: Header=BB99_180 Depth=1
	s_andn2_saveexec_b64 s[38:39], s[38:39]
	s_cbranch_execz .LBB99_218
; %bb.203:                              ;   in Loop: Header=BB99_180 Depth=1
	v_and_or_b32 v6, v9, s42, v8
	v_cmp_ne_u32_e32 vcc, 0, v6
	s_and_saveexec_b64 s[0:1], vcc
	s_xor_b64 s[0:1], exec, s[0:1]
	s_cbranch_execz .LBB99_205
; %bb.204:                              ;   in Loop: Header=BB99_180 Depth=1
	v_mul_f64 v[6:7], v[14:15], -v[16:17]
	v_cmp_eq_f64_e32 vcc, 0, v[14:15]
	v_cndmask_b32_e32 v7, v7, v15, vcc
	v_cndmask_b32_e32 v6, v6, v14, vcc
                                        ; implicit-def: $vgpr14_vgpr15
.LBB99_205:                             ;   in Loop: Header=BB99_180 Depth=1
	s_andn2_saveexec_b64 s[46:47], s[0:1]
	s_cbranch_execz .LBB99_217
; %bb.206:                              ;   in Loop: Header=BB99_180 Depth=1
	v_cmp_neq_f64_e64 s[0:1], |v[14:15]|, s[94:95]
	s_and_saveexec_b64 s[48:49], s[0:1]
	s_cbranch_execz .LBB99_216
; %bb.207:                              ;   in Loop: Header=BB99_180 Depth=1
	v_trig_preop_f64 v[36:37], |v[14:15]|, 0
	v_trig_preop_f64 v[34:35], |v[14:15]|, 1
	v_trig_preop_f64 v[30:31], |v[14:15]|, 2
	v_cmp_nlt_f64_e64 s[0:1], |v[14:15]|, s[90:91]
	v_ldexp_f64 v[38:39], |v[14:15]|, s35
	v_and_b32_e32 v50, 0x7fffffff, v15
                                        ; implicit-def: $vgpr49
                                        ; implicit-def: $vgpr6_vgpr7
                                        ; implicit-def: $vgpr16_vgpr17
	s_and_saveexec_b64 s[68:69], s[0:1]
	s_xor_b64 s[68:69], exec, s[68:69]
	s_cbranch_execz .LBB99_209
; %bb.208:                              ;   in Loop: Header=BB99_180 Depth=1
	v_cmp_ge_f64_e64 vcc, |v[14:15]|, s[92:93]
	s_mov_b32 s4, s12
	s_mov_b32 s17, s9
	v_cndmask_b32_e32 v7, v50, v39, vcc
	v_cndmask_b32_e32 v6, v14, v38, vcc
	v_mul_f64 v[16:17], v[36:37], v[6:7]
	v_mul_f64 v[32:33], v[34:35], v[6:7]
	;; [unrolled: 1-line block ×3, first 2 shown]
	v_fma_f64 v[40:41], v[36:37], v[6:7], -v[16:17]
	v_fma_f64 v[59:60], v[34:35], v[6:7], -v[32:33]
	;; [unrolled: 1-line block ×3, first 2 shown]
	v_add_f64 v[51:52], v[32:33], v[40:41]
	v_add_f64 v[53:54], v[51:52], -v[32:33]
	v_add_f64 v[61:62], v[16:17], v[51:52]
	v_add_f64 v[55:56], v[51:52], -v[53:54]
	v_add_f64 v[40:41], v[40:41], -v[53:54]
	v_add_f64 v[53:54], v[57:58], v[59:60]
	v_add_f64 v[16:17], v[61:62], -v[16:17]
	v_add_f64 v[32:33], v[32:33], -v[55:56]
	v_ldexp_f64 v[55:56], v[61:62], -2
	v_add_f64 v[63:64], v[53:54], -v[57:58]
	v_add_f64 v[16:17], v[51:52], -v[16:17]
	v_add_f64 v[32:33], v[40:41], v[32:33]
	v_fract_f64_e32 v[40:41], v[55:56]
	v_cmp_neq_f64_e64 vcc, |v[55:56]|, s[94:95]
	v_add_f64 v[59:60], v[59:60], -v[63:64]
	v_add_f64 v[51:52], v[53:54], v[32:33]
	v_ldexp_f64 v[40:41], v[40:41], 2
	v_add_f64 v[55:56], v[16:17], v[51:52]
	v_cndmask_b32_e32 v41, 0, v41, vcc
	v_cndmask_b32_e32 v40, 0, v40, vcc
	v_add_f64 v[65:66], v[51:52], -v[53:54]
	v_add_f64 v[61:62], v[55:56], v[40:41]
	v_add_f64 v[16:17], v[55:56], -v[16:17]
	v_add_f64 v[67:68], v[51:52], -v[65:66]
	;; [unrolled: 1-line block ×3, first 2 shown]
	v_cmp_gt_f64_e32 vcc, 0, v[61:62]
	v_add_f64 v[61:62], v[53:54], -v[63:64]
	v_add_f64 v[16:17], v[51:52], -v[16:17]
	v_add_f64 v[53:54], v[53:54], -v[67:68]
	v_cndmask_b32_e32 v23, 0, v43, vcc
	v_add_f64 v[40:41], v[40:41], v[22:23]
	v_add_f64 v[61:62], v[57:58], -v[61:62]
	v_add_f64 v[32:33], v[32:33], v[53:54]
	v_add_f64 v[69:70], v[55:56], v[40:41]
	;; [unrolled: 1-line block ×3, first 2 shown]
	v_cvt_i32_f64_e32 v49, v[69:70]
	v_add_f64 v[32:33], v[59:60], v[32:33]
	v_cvt_f64_i32_e32 v[63:64], v49
	v_add_f64 v[40:41], v[40:41], -v[63:64]
	v_add_f64 v[6:7], v[6:7], v[32:33]
	v_add_f64 v[53:54], v[55:56], v[40:41]
	;; [unrolled: 1-line block ×3, first 2 shown]
	v_add_f64 v[32:33], v[53:54], -v[40:41]
	v_cmp_le_f64_e32 vcc, 0.5, v[53:54]
	v_add_f64 v[16:17], v[55:56], -v[32:33]
	v_cndmask_b32_e32 v23, 0, v44, vcc
	v_addc_co_u32_e32 v49, vcc, 0, v49, vcc
	v_add_f64 v[6:7], v[6:7], v[16:17]
	v_add_f64 v[16:17], v[53:54], -v[22:23]
	v_add_f64 v[32:33], v[16:17], v[6:7]
	v_mul_f64 v[40:41], v[32:33], s[4:5]
	v_add_f64 v[16:17], v[32:33], -v[16:17]
	v_fma_f64 v[51:52], v[32:33], s[4:5], -v[40:41]
	v_add_f64 v[6:7], v[6:7], -v[16:17]
	v_fma_f64 v[16:17], v[32:33], s[16:17], v[51:52]
	v_fma_f64 v[16:17], v[6:7], s[4:5], v[16:17]
	v_add_f64 v[6:7], v[40:41], v[16:17]
	v_add_f64 v[32:33], v[6:7], -v[40:41]
	v_add_f64 v[16:17], v[16:17], -v[32:33]
	s_andn2_saveexec_b64 s[68:69], s[68:69]
	s_cbranch_execz .LBB99_211
	s_branch .LBB99_210
.LBB99_209:                             ;   in Loop: Header=BB99_180 Depth=1
	s_andn2_saveexec_b64 s[68:69], s[68:69]
	s_cbranch_execz .LBB99_211
.LBB99_210:                             ;   in Loop: Header=BB99_180 Depth=1
	v_mul_f64 v[6:7], |v[14:15]|, s[6:7]
	s_mov_b32 s8, s14
	v_rndne_f64_e32 v[32:33], v[6:7]
	v_fma_f64 v[6:7], v[32:33], s[12:13], |v[14:15]|
	v_mul_f64 v[16:17], v[32:33], s[14:15]
	v_cvt_i32_f64_e32 v49, v[32:33]
	v_fma_f64 v[53:54], v[32:33], s[14:15], v[6:7]
	v_add_f64 v[40:41], v[6:7], v[16:17]
	v_add_f64 v[51:52], v[6:7], -v[40:41]
	v_add_f64 v[40:41], v[40:41], -v[53:54]
	v_add_f64 v[6:7], v[51:52], v[16:17]
	v_fma_f64 v[16:17], v[32:33], s[8:9], v[16:17]
	v_add_f64 v[6:7], v[40:41], v[6:7]
	v_add_f64 v[6:7], v[6:7], -v[16:17]
	v_fma_f64 v[16:17], v[32:33], s[10:11], v[6:7]
	v_add_f64 v[6:7], v[53:54], v[16:17]
	v_add_f64 v[40:41], v[6:7], -v[53:54]
	v_add_f64 v[16:17], v[16:17], -v[40:41]
.LBB99_211:                             ;   in Loop: Header=BB99_180 Depth=1
	s_or_b64 exec, exec, s[68:69]
                                        ; implicit-def: $vgpr23
                                        ; implicit-def: $vgpr32_vgpr33
                                        ; implicit-def: $vgpr40_vgpr41
	s_and_saveexec_b64 s[68:69], s[0:1]
	s_xor_b64 s[0:1], exec, s[68:69]
	s_cbranch_execz .LBB99_213
; %bb.212:                              ;   in Loop: Header=BB99_180 Depth=1
	v_cmp_ge_f64_e64 vcc, |v[14:15]|, s[92:93]
	s_mov_b32 s4, s12
	s_mov_b32 s17, s9
	v_cndmask_b32_e32 v33, v50, v39, vcc
	v_cndmask_b32_e32 v32, v14, v38, vcc
	v_mul_f64 v[38:39], v[36:37], v[32:33]
	v_mul_f64 v[40:41], v[34:35], v[32:33]
	;; [unrolled: 1-line block ×3, first 2 shown]
	v_fma_f64 v[36:37], v[36:37], v[32:33], -v[38:39]
	v_fma_f64 v[34:35], v[34:35], v[32:33], -v[40:41]
	v_fma_f64 v[30:31], v[30:31], v[32:33], -v[56:57]
	v_add_f64 v[50:51], v[40:41], v[36:37]
	v_add_f64 v[52:53], v[50:51], -v[40:41]
	v_add_f64 v[58:59], v[38:39], v[50:51]
	v_add_f64 v[54:55], v[50:51], -v[52:53]
	v_add_f64 v[36:37], v[36:37], -v[52:53]
	v_add_f64 v[52:53], v[56:57], v[34:35]
	v_add_f64 v[38:39], v[58:59], -v[38:39]
	v_add_f64 v[40:41], v[40:41], -v[54:55]
	v_ldexp_f64 v[54:55], v[58:59], -2
	v_add_f64 v[60:61], v[52:53], -v[56:57]
	v_add_f64 v[38:39], v[50:51], -v[38:39]
	v_add_f64 v[36:37], v[36:37], v[40:41]
	v_fract_f64_e32 v[40:41], v[54:55]
	v_cmp_neq_f64_e64 vcc, |v[54:55]|, s[94:95]
	v_add_f64 v[34:35], v[34:35], -v[60:61]
	v_add_f64 v[50:51], v[52:53], v[36:37]
	v_ldexp_f64 v[40:41], v[40:41], 2
	v_add_f64 v[54:55], v[38:39], v[50:51]
	v_cndmask_b32_e32 v41, 0, v41, vcc
	v_cndmask_b32_e32 v40, 0, v40, vcc
	v_add_f64 v[62:63], v[50:51], -v[52:53]
	v_add_f64 v[58:59], v[54:55], v[40:41]
	v_add_f64 v[32:33], v[54:55], -v[38:39]
	v_add_f64 v[64:65], v[50:51], -v[62:63]
	;; [unrolled: 1-line block ×3, first 2 shown]
	v_cmp_gt_f64_e32 vcc, 0, v[58:59]
	v_add_f64 v[58:59], v[52:53], -v[60:61]
	v_add_f64 v[32:33], v[50:51], -v[32:33]
	;; [unrolled: 1-line block ×3, first 2 shown]
	v_cndmask_b32_e32 v23, 0, v43, vcc
	v_add_f64 v[40:41], v[40:41], v[22:23]
	v_add_f64 v[58:59], v[56:57], -v[58:59]
	v_add_f64 v[36:37], v[36:37], v[52:53]
	v_add_f64 v[66:67], v[54:55], v[40:41]
	;; [unrolled: 1-line block ×3, first 2 shown]
	v_cvt_i32_f64_e32 v62, v[66:67]
	v_add_f64 v[34:35], v[34:35], v[36:37]
	v_cvt_f64_i32_e32 v[60:61], v62
	v_add_f64 v[40:41], v[40:41], -v[60:61]
	v_add_f64 v[30:31], v[30:31], v[34:35]
	v_add_f64 v[36:37], v[54:55], v[40:41]
	;; [unrolled: 1-line block ×3, first 2 shown]
	v_add_f64 v[34:35], v[36:37], -v[40:41]
	v_cmp_le_f64_e32 vcc, 0.5, v[36:37]
	v_add_f64 v[32:33], v[54:55], -v[34:35]
	v_cndmask_b32_e32 v23, 0, v44, vcc
	v_add_f64 v[30:31], v[30:31], v[32:33]
	v_add_f64 v[32:33], v[36:37], -v[22:23]
	v_addc_co_u32_e32 v23, vcc, 0, v62, vcc
	v_add_f64 v[34:35], v[32:33], v[30:31]
	v_mul_f64 v[36:37], v[34:35], s[4:5]
	v_add_f64 v[32:33], v[34:35], -v[32:33]
	v_fma_f64 v[38:39], v[34:35], s[4:5], -v[36:37]
	v_add_f64 v[30:31], v[30:31], -v[32:33]
	v_fma_f64 v[32:33], v[34:35], s[16:17], v[38:39]
	v_fma_f64 v[30:31], v[30:31], s[4:5], v[32:33]
	v_add_f64 v[32:33], v[36:37], v[30:31]
	v_add_f64 v[34:35], v[32:33], -v[36:37]
	v_add_f64 v[40:41], v[30:31], -v[34:35]
	s_andn2_saveexec_b64 s[0:1], s[0:1]
	s_cbranch_execnz .LBB99_214
	s_branch .LBB99_215
.LBB99_213:                             ;   in Loop: Header=BB99_180 Depth=1
	s_andn2_saveexec_b64 s[0:1], s[0:1]
	s_cbranch_execz .LBB99_215
.LBB99_214:                             ;   in Loop: Header=BB99_180 Depth=1
	v_mul_f64 v[30:31], |v[14:15]|, s[6:7]
	s_mov_b32 s8, s14
	v_rndne_f64_e32 v[30:31], v[30:31]
	v_fma_f64 v[32:33], v[30:31], s[12:13], |v[14:15]|
	v_mul_f64 v[34:35], v[30:31], s[14:15]
	v_cvt_i32_f64_e32 v23, v[30:31]
	v_fma_f64 v[40:41], v[30:31], s[14:15], v[32:33]
	v_add_f64 v[36:37], v[32:33], v[34:35]
	v_add_f64 v[38:39], v[32:33], -v[36:37]
	v_add_f64 v[36:37], v[36:37], -v[40:41]
	v_add_f64 v[32:33], v[38:39], v[34:35]
	v_fma_f64 v[34:35], v[30:31], s[8:9], v[34:35]
	v_add_f64 v[32:33], v[36:37], v[32:33]
	v_add_f64 v[32:33], v[32:33], -v[34:35]
	v_fma_f64 v[34:35], v[30:31], s[10:11], v[32:33]
	v_add_f64 v[32:33], v[40:41], v[34:35]
	v_add_f64 v[36:37], v[32:33], -v[40:41]
	v_add_f64 v[40:41], v[34:35], -v[36:37]
.LBB99_215:                             ;   in Loop: Header=BB99_180 Depth=1
	s_or_b64 exec, exec, s[0:1]
	v_mul_f64 v[30:31], v[6:7], v[6:7]
	v_mul_f64 v[34:35], v[32:33], v[32:33]
	v_mov_b32_e32 v36, s80
	v_mov_b32_e32 v37, s81
	;; [unrolled: 1-line block ×4, first 2 shown]
	v_mul_f64 v[60:61], v[16:17], 0.5
	v_mul_f64 v[68:69], v[40:41], 0.5
	v_fma_f64 v[38:39], v[30:31], s[82:83], v[36:37]
	v_fma_f64 v[36:37], v[34:35], s[82:83], v[36:37]
	v_fma_f64 v[52:53], v[30:31], s[72:73], v[50:51]
	v_mul_f64 v[54:55], v[30:31], 0.5
	v_fma_f64 v[50:51], v[34:35], s[72:73], v[50:51]
	v_mul_f64 v[56:57], v[34:35], 0.5
	v_mul_f64 v[62:63], v[6:7], -v[30:31]
	v_mul_f64 v[70:71], v[32:33], -v[34:35]
	v_fma_f64 v[38:39], v[30:31], v[38:39], s[84:85]
	v_fma_f64 v[36:37], v[34:35], v[36:37], s[84:85]
	;; [unrolled: 1-line block ×3, first 2 shown]
	v_add_f64 v[58:59], -v[54:55], 1.0
	v_fma_f64 v[50:51], v[34:35], v[50:51], s[74:75]
	v_add_f64 v[64:65], -v[56:57], 1.0
	s_mov_b32 s26, s36
	v_cmp_class_f64_e64 s[0:1], v[14:15], s31
	v_fma_f64 v[38:39], v[30:31], v[38:39], s[86:87]
	v_fma_f64 v[36:37], v[34:35], v[36:37], s[86:87]
	;; [unrolled: 1-line block ×3, first 2 shown]
	v_add_f64 v[66:67], -v[58:59], 1.0
	v_fma_f64 v[50:51], v[34:35], v[50:51], s[76:77]
	v_add_f64 v[72:73], -v[64:65], 1.0
	v_fma_f64 v[38:39], v[30:31], v[38:39], s[24:25]
	v_fma_f64 v[36:37], v[34:35], v[36:37], s[24:25]
	;; [unrolled: 1-line block ×3, first 2 shown]
	v_add_f64 v[54:55], v[66:67], -v[54:55]
	v_fma_f64 v[50:51], v[34:35], v[50:51], s[78:79]
	v_add_f64 v[56:57], v[72:73], -v[56:57]
	v_fma_f64 v[38:39], v[62:63], v[38:39], v[60:61]
	v_fma_f64 v[36:37], v[70:71], v[36:37], v[68:69]
	v_mul_f64 v[60:61], v[30:31], v[30:31]
	v_fma_f64 v[52:53], v[30:31], v[52:53], s[36:37]
	v_fma_f64 v[54:55], v[6:7], -v[16:17], v[54:55]
	v_fma_f64 v[16:17], v[30:31], v[38:39], -v[16:17]
	v_fma_f64 v[36:37], v[34:35], v[36:37], -v[40:41]
	v_mul_f64 v[30:31], v[34:35], v[34:35]
	v_fma_f64 v[34:35], v[34:35], v[50:51], s[36:37]
	v_fma_f64 v[38:39], v[32:33], -v[40:41], v[56:57]
	v_fma_f64 v[40:41], v[60:61], v[52:53], v[54:55]
	v_and_b32_e32 v50, 1, v49
	v_lshlrev_b32_e32 v49, 30, v49
	v_fma_f64 v[16:17], v[62:63], s[26:27], v[16:17]
	v_fma_f64 v[36:37], v[70:71], s[26:27], v[36:37]
	v_cmp_eq_u32_e32 vcc, 0, v50
	v_fma_f64 v[30:31], v[30:31], v[34:35], v[38:39]
	v_add_f64 v[34:35], v[58:59], v[40:41]
	v_and_b32_e32 v38, 1, v23
	v_lshlrev_b32_e32 v23, 30, v23
	v_add_f64 v[6:7], v[6:7], -v[16:17]
	v_add_f64 v[16:17], v[32:33], -v[36:37]
	v_xor_b32_e32 v39, v49, v15
	v_and_b32_e32 v23, 0x80000000, v23
	v_add_f64 v[30:31], v[64:65], v[30:31]
	v_and_b32_e32 v32, 0x80000000, v39
	v_cndmask_b32_e32 v6, v34, v6, vcc
	v_cndmask_b32_e32 v7, v35, v7, vcc
	v_xor_b32_e32 v14, 0x80000000, v17
	v_cmp_eq_u32_e32 vcc, 0, v38
	v_cndmask_b32_e32 v14, v14, v31, vcc
	v_cndmask_b32_e32 v15, v16, v30, vcc
	v_xor_b32_e32 v7, v7, v32
	v_xor_b32_e32 v16, v14, v23
	v_cndmask_b32_e64 v6, 0, v6, s[0:1]
	v_cndmask_b32_e64 v7, v48, v7, s[0:1]
	;; [unrolled: 1-line block ×4, first 2 shown]
	v_mul_f64 v[14:15], v[6:7], v[14:15]
.LBB99_216:                             ;   in Loop: Header=BB99_180 Depth=1
	s_or_b64 exec, exec, s[48:49]
	v_bfi_b32 v23, s29, 0, v15
	v_mov_b32_e32 v6, v22
	v_add_u32_e32 v9, -2.0, v9
	v_mov_b32_e32 v7, v23
.LBB99_217:                             ;   in Loop: Header=BB99_180 Depth=1
	s_or_b64 exec, exec, s[46:47]
.LBB99_218:                             ;   in Loop: Header=BB99_180 Depth=1
	s_or_b64 exec, exec, s[38:39]
	s_waitcnt vmcnt(2)
	v_xor_b32_e32 v17, 0x80000000, v21
	v_and_b32_e32 v23, 0x7fffffff, v17
	v_mov_b32_e32 v16, v20
	v_cmp_gt_u32_e32 vcc, s30, v23
	s_and_saveexec_b64 s[0:1], vcc
	s_xor_b64 s[38:39], exec, s[0:1]
	s_cbranch_execz .LBB99_240
; %bb.219:                              ;   in Loop: Header=BB99_180 Depth=1
	v_cmp_class_f64_e64 s[0:1], v[18:19], s31
                                        ; implicit-def: $vgpr14_vgpr15
	s_and_saveexec_b64 s[46:47], s[0:1]
	s_xor_b64 s[46:47], exec, s[46:47]
	s_cbranch_execz .LBB99_237
; %bb.220:                              ;   in Loop: Header=BB99_180 Depth=1
	v_cmp_gt_u32_e32 vcc, s34, v23
                                        ; implicit-def: $vgpr14_vgpr15
	s_and_saveexec_b64 s[0:1], vcc
	s_xor_b64 s[48:49], exec, s[0:1]
	s_cbranch_execz .LBB99_226
; %bb.221:                              ;   in Loop: Header=BB99_180 Depth=1
	v_cmp_nlt_f64_e64 s[0:1], |v[18:19]|, s[90:91]
                                        ; implicit-def: $vgpr23
                                        ; implicit-def: $vgpr14_vgpr15
                                        ; implicit-def: $vgpr16_vgpr17
	s_and_saveexec_b64 s[68:69], s[0:1]
	s_xor_b64 s[0:1], exec, s[68:69]
	s_cbranch_execz .LBB99_223
; %bb.222:                              ;   in Loop: Header=BB99_180 Depth=1
	v_trig_preop_f64 v[14:15], |v[18:19]|, 0
	v_ldexp_f64 v[16:17], |v[18:19]|, s35
	v_cmp_ge_f64_e64 vcc, |v[18:19]|, s[92:93]
	v_trig_preop_f64 v[30:31], |v[18:19]|, 1
	v_and_b32_e32 v23, 0x7fffffff, v19
	v_trig_preop_f64 v[38:39], |v[18:19]|, 2
	s_mov_b32 s4, s12
	s_mov_b32 s17, s9
	v_cndmask_b32_e32 v17, v23, v17, vcc
	v_cndmask_b32_e32 v16, v18, v16, vcc
	v_mul_f64 v[32:33], v[14:15], v[16:17]
	v_mul_f64 v[34:35], v[30:31], v[16:17]
	;; [unrolled: 1-line block ×3, first 2 shown]
	v_fma_f64 v[14:15], v[14:15], v[16:17], -v[32:33]
	v_fma_f64 v[30:31], v[30:31], v[16:17], -v[34:35]
	;; [unrolled: 1-line block ×3, first 2 shown]
	v_add_f64 v[36:37], v[34:35], v[14:15]
	v_add_f64 v[40:41], v[36:37], -v[34:35]
	v_add_f64 v[53:54], v[32:33], v[36:37]
	v_add_f64 v[49:50], v[36:37], -v[40:41]
	v_add_f64 v[14:15], v[14:15], -v[40:41]
	v_add_f64 v[40:41], v[51:52], v[30:31]
	v_add_f64 v[32:33], v[53:54], -v[32:33]
	v_add_f64 v[34:35], v[34:35], -v[49:50]
	v_ldexp_f64 v[49:50], v[53:54], -2
	v_add_f64 v[55:56], v[40:41], -v[51:52]
	v_add_f64 v[32:33], v[36:37], -v[32:33]
	v_add_f64 v[14:15], v[14:15], v[34:35]
	v_fract_f64_e32 v[34:35], v[49:50]
	v_cmp_neq_f64_e64 vcc, |v[49:50]|, s[94:95]
	v_add_f64 v[30:31], v[30:31], -v[55:56]
	v_add_f64 v[36:37], v[40:41], v[14:15]
	v_ldexp_f64 v[34:35], v[34:35], 2
	v_add_f64 v[49:50], v[32:33], v[36:37]
	v_cndmask_b32_e32 v35, 0, v35, vcc
	v_cndmask_b32_e32 v34, 0, v34, vcc
	v_add_f64 v[57:58], v[36:37], -v[40:41]
	v_add_f64 v[53:54], v[49:50], v[34:35]
	v_add_f64 v[32:33], v[49:50], -v[32:33]
	v_add_f64 v[59:60], v[36:37], -v[57:58]
	;; [unrolled: 1-line block ×3, first 2 shown]
	v_cmp_gt_f64_e32 vcc, 0, v[53:54]
	v_add_f64 v[53:54], v[40:41], -v[55:56]
	v_add_f64 v[32:33], v[36:37], -v[32:33]
	;; [unrolled: 1-line block ×3, first 2 shown]
	v_cndmask_b32_e32 v23, 0, v43, vcc
	v_add_f64 v[34:35], v[34:35], v[22:23]
	v_add_f64 v[53:54], v[51:52], -v[53:54]
	v_add_f64 v[14:15], v[14:15], v[40:41]
	v_add_f64 v[61:62], v[49:50], v[34:35]
	;; [unrolled: 1-line block ×3, first 2 shown]
	v_cvt_i32_f64_e32 v57, v[61:62]
	v_add_f64 v[14:15], v[30:31], v[14:15]
	v_cvt_f64_i32_e32 v[55:56], v57
	v_add_f64 v[34:35], v[34:35], -v[55:56]
	v_add_f64 v[14:15], v[16:17], v[14:15]
	v_add_f64 v[30:31], v[49:50], v[34:35]
	;; [unrolled: 1-line block ×3, first 2 shown]
	v_add_f64 v[16:17], v[30:31], -v[34:35]
	v_cmp_le_f64_e32 vcc, 0.5, v[30:31]
	v_add_f64 v[16:17], v[49:50], -v[16:17]
	v_cndmask_b32_e32 v23, 0, v44, vcc
	v_add_f64 v[14:15], v[14:15], v[16:17]
	v_add_f64 v[16:17], v[30:31], -v[22:23]
	v_addc_co_u32_e32 v23, vcc, 0, v57, vcc
	v_add_f64 v[30:31], v[16:17], v[14:15]
	v_mul_f64 v[32:33], v[30:31], s[4:5]
	v_add_f64 v[16:17], v[30:31], -v[16:17]
	v_fma_f64 v[34:35], v[30:31], s[4:5], -v[32:33]
	v_add_f64 v[14:15], v[14:15], -v[16:17]
	v_fma_f64 v[16:17], v[30:31], s[16:17], v[34:35]
	v_fma_f64 v[16:17], v[14:15], s[4:5], v[16:17]
	v_add_f64 v[14:15], v[32:33], v[16:17]
	v_add_f64 v[30:31], v[14:15], -v[32:33]
	v_add_f64 v[16:17], v[16:17], -v[30:31]
.LBB99_223:                             ;   in Loop: Header=BB99_180 Depth=1
	s_andn2_saveexec_b64 s[0:1], s[0:1]
	s_cbranch_execz .LBB99_225
; %bb.224:                              ;   in Loop: Header=BB99_180 Depth=1
	v_mul_f64 v[14:15], |v[18:19]|, s[6:7]
	s_mov_b32 s8, s14
	v_rndne_f64_e32 v[30:31], v[14:15]
	v_fma_f64 v[14:15], v[30:31], s[12:13], |v[18:19]|
	v_mul_f64 v[16:17], v[30:31], s[14:15]
	v_cvt_i32_f64_e32 v23, v[30:31]
	v_fma_f64 v[36:37], v[30:31], s[14:15], v[14:15]
	v_add_f64 v[32:33], v[14:15], v[16:17]
	v_add_f64 v[34:35], v[14:15], -v[32:33]
	v_add_f64 v[32:33], v[32:33], -v[36:37]
	v_add_f64 v[14:15], v[34:35], v[16:17]
	v_fma_f64 v[16:17], v[30:31], s[8:9], v[16:17]
	v_add_f64 v[14:15], v[32:33], v[14:15]
	v_add_f64 v[14:15], v[14:15], -v[16:17]
	v_fma_f64 v[16:17], v[30:31], s[10:11], v[14:15]
	v_add_f64 v[14:15], v[36:37], v[16:17]
	v_add_f64 v[32:33], v[14:15], -v[36:37]
	v_add_f64 v[16:17], v[16:17], -v[32:33]
.LBB99_225:                             ;   in Loop: Header=BB99_180 Depth=1
	s_or_b64 exec, exec, s[0:1]
	v_add_f64 v[30:31], |v[20:21]|, s[22:23]
	s_mov_b32 s40, s22
	s_mov_b32 s0, 0x3b39803f
	;; [unrolled: 1-line block ×7, first 2 shown]
	v_add_f64 v[32:33], v[30:31], -|v[20:21]|
	v_and_b32_e32 v19, 0x80000000, v19
	v_add_f64 v[34:35], v[32:33], -v[30:31]
	v_add_f64 v[32:33], v[32:33], s[40:41]
	v_add_f64 v[34:35], |v[20:21]|, v[34:35]
	v_add_f64 v[32:33], v[34:35], -v[32:33]
	v_add_f64 v[32:33], v[32:33], s[0:1]
	s_mov_b32 s0, 0xf278e000
	s_mov_b32 s1, 0xbd53de6a
	v_add_f64 v[34:35], v[30:31], v[32:33]
	v_mul_f64 v[36:37], v[34:35], s[44:45]
	v_add_f64 v[30:31], v[30:31], -v[34:35]
	v_rndne_f64_e32 v[36:37], v[36:37]
	v_add_f64 v[30:31], v[32:33], v[30:31]
	v_fma_f64 v[32:33], v[36:37], s[18:19], v[34:35]
	v_mul_f64 v[34:35], v[36:37], s[0:1]
	s_mov_b32 s0, 0xf97b57a0
	s_mov_b32 s1, 0xbac9cc01
	v_cvt_i32_f64_e32 v18, v[36:37]
	v_add_f64 v[38:39], v[30:31], v[32:33]
	v_add_f64 v[40:41], v[38:39], v[34:35]
	v_add_f64 v[32:33], v[32:33], -v[38:39]
	v_add_f64 v[38:39], v[38:39], -v[40:41]
	v_add_f64 v[30:31], v[30:31], v[32:33]
	v_add_f64 v[32:33], v[38:39], v[34:35]
	;; [unrolled: 1-line block ×3, first 2 shown]
	v_mul_f64 v[32:33], v[36:37], s[0:1]
	s_mov_b32 s0, 0xc751c08c
	s_mov_b32 s1, 0x3ef5e089
	v_add_f64 v[34:35], v[40:41], v[30:31]
	v_add_f64 v[38:39], v[34:35], v[32:33]
	v_add_f64 v[40:41], v[40:41], -v[34:35]
	v_add_f64 v[34:35], v[34:35], -v[38:39]
	v_add_f64 v[30:31], v[30:31], v[40:41]
	v_add_f64 v[32:33], v[34:35], v[32:33]
	;; [unrolled: 1-line block ×4, first 2 shown]
	v_fma_f64 v[34:35], v[32:33], s[50:51], v[28:29]
	v_add_f64 v[38:39], v[38:39], -v[32:33]
	v_mul_f64 v[40:41], v[32:33], v[32:33]
	v_fma_f64 v[34:35], v[32:33], v[34:35], s[52:53]
	v_add_f64 v[30:31], v[30:31], v[38:39]
	v_fma_f64 v[38:39], v[32:33], v[32:33], -v[40:41]
	v_fma_f64 v[34:35], v[32:33], v[34:35], s[54:55]
	v_add_f64 v[49:50], v[30:31], v[30:31]
	v_fma_f64 v[34:35], v[32:33], v[34:35], s[56:57]
	v_fma_f64 v[38:39], v[32:33], v[49:50], v[38:39]
	;; [unrolled: 1-line block ×3, first 2 shown]
	v_add_f64 v[49:50], v[40:41], v[38:39]
	v_fma_f64 v[34:35], v[32:33], v[34:35], s[60:61]
	v_add_f64 v[40:41], v[49:50], -v[40:41]
	v_fma_f64 v[34:35], v[32:33], v[34:35], s[62:63]
	v_add_f64 v[38:39], v[38:39], -v[40:41]
	v_fma_f64 v[34:35], v[32:33], v[34:35], s[64:65]
	v_fma_f64 v[34:35], v[32:33], v[34:35], s[66:67]
	v_mul_f64 v[51:52], v[49:50], v[34:35]
	v_fma_f64 v[40:41], v[49:50], v[34:35], -v[51:52]
	v_fma_f64 v[34:35], v[38:39], v[34:35], v[40:41]
	v_add_f64 v[38:39], v[51:52], v[34:35]
	v_add_f64 v[40:41], v[32:33], v[38:39]
	v_add_f64 v[49:50], v[38:39], -v[51:52]
	v_add_f64 v[32:33], v[40:41], -v[32:33]
	;; [unrolled: 1-line block ×3, first 2 shown]
	v_add_f64 v[49:50], v[16:17], v[16:17]
	v_add_f64 v[32:33], v[38:39], -v[32:33]
	v_add_f64 v[30:31], v[30:31], v[34:35]
	v_add_f64 v[30:31], v[30:31], v[32:33]
	;; [unrolled: 1-line block ×3, first 2 shown]
	v_add_f64 v[34:35], v[32:33], 1.0
	v_add_f64 v[38:39], v[32:33], -v[40:41]
	v_add_f64 v[40:41], v[34:35], -1.0
	v_add_f64 v[30:31], v[30:31], -v[38:39]
	v_add_f64 v[32:33], v[32:33], -v[40:41]
	v_add_f64 v[30:31], v[30:31], v[32:33]
	v_add_f64 v[32:33], v[34:35], v[30:31]
	v_ldexp_f64 v[36:37], v[32:33], v18
	v_add_f64 v[32:33], v[32:33], -v[34:35]
	v_rcp_f64_e32 v[38:39], v[36:37]
	v_add_f64 v[30:31], v[30:31], -v[32:33]
	v_ldexp_f64 v[30:31], v[30:31], v18
	v_fma_f64 v[40:41], -v[36:37], v[38:39], 1.0
	v_fma_f64 v[38:39], v[40:41], v[38:39], v[38:39]
	v_fma_f64 v[40:41], -v[36:37], v[38:39], 1.0
	v_fma_f64 v[34:35], v[40:41], v[38:39], v[38:39]
	v_mul_f64 v[38:39], v[14:15], v[14:15]
	v_mul_f64 v[32:33], v[36:37], v[34:35]
	v_fma_f64 v[51:52], v[14:15], v[14:15], -v[38:39]
	v_fma_f64 v[40:41], v[34:35], v[36:37], -v[32:33]
	v_fma_f64 v[49:50], v[14:15], v[49:50], v[51:52]
	v_fma_f64 v[40:41], v[34:35], v[30:31], v[40:41]
	v_add_f64 v[38:39], v[38:39], v[49:50]
	v_add_f64 v[51:52], v[32:33], v[40:41]
	v_fma_f64 v[53:54], v[38:39], s[0:1], v[26:27]
	s_mov_b32 s0, 0x90a8aae0
	s_mov_b32 s1, 0x3f17746f
	v_add_f64 v[49:50], -v[51:52], 1.0
	v_add_f64 v[32:33], v[51:52], -v[32:33]
	v_fma_f64 v[53:54], v[38:39], v[53:54], s[0:1]
	s_mov_b32 s0, 0xa6fbf144
	s_mov_b32 s1, 0xbefbb44d
	v_add_f64 v[55:56], -v[49:50], 1.0
	v_add_f64 v[32:33], v[32:33], -v[40:41]
	v_add_f64 v[40:41], v[55:56], -v[51:52]
	v_fma_f64 v[51:52], v[38:39], v[53:54], s[0:1]
	s_mov_b32 s0, 0xa7943acf
	s_mov_b32 s1, 0x3f21e634
	v_add_f64 v[32:33], v[32:33], v[40:41]
	v_fma_f64 v[40:41], v[38:39], v[51:52], s[0:1]
	s_mov_b32 s0, 0xdeb68feb
	s_mov_b32 s1, 0x3f2d250f
	v_add_f64 v[51:52], v[49:50], v[32:33]
	v_fma_f64 v[40:41], v[38:39], v[40:41], s[0:1]
	s_mov_b32 s0, 0xb58c4d95
	s_mov_b32 s1, 0x3f437fd9
	v_mul_f64 v[53:54], v[34:35], v[51:52]
	v_fma_f64 v[40:41], v[38:39], v[40:41], s[0:1]
	s_mov_b32 s0, 0x15120e2c
	s_mov_b32 s1, 0x3f57d5af
	v_add_f64 v[49:50], v[49:50], -v[51:52]
	v_mul_f64 v[55:56], v[36:37], v[53:54]
	v_fma_f64 v[40:41], v[38:39], v[40:41], s[0:1]
	s_mov_b32 s0, 0xe09491df
	s_mov_b32 s1, 0x3f6d6d93
	v_add_f64 v[32:33], v[32:33], v[49:50]
	v_fma_f64 v[57:58], v[53:54], v[36:37], -v[55:56]
	v_fma_f64 v[40:41], v[38:39], v[40:41], s[0:1]
	s_mov_b32 s0, 0x2033784d
	s_mov_b32 s1, 0x3f8226e1
	v_fma_f64 v[57:58], v[53:54], v[30:31], v[57:58]
	v_fma_f64 v[40:41], v[38:39], v[40:41], s[0:1]
	s_mov_b32 s0, 0x9ac36ae2
	s_mov_b32 s1, 0x3f9664f4
	v_add_f64 v[59:60], v[55:56], v[57:58]
	v_fma_f64 v[40:41], v[38:39], v[40:41], s[0:1]
	s_mov_b32 s0, 0x1b451c21
	s_mov_b32 s1, 0x3faba1ba
	v_add_f64 v[61:62], v[51:52], -v[59:60]
	v_fma_f64 v[40:41], v[38:39], v[40:41], s[0:1]
	s_mov_b32 s0, 0x111185b7
	s_mov_b32 s1, 0x3fc11111
	v_add_f64 v[49:50], v[59:60], -v[55:56]
	v_add_f64 v[51:52], v[51:52], -v[61:62]
	v_fma_f64 v[40:41], v[38:39], v[40:41], s[0:1]
	s_mov_b32 s0, 0x555554ee
	s_mov_b32 s1, 0x3fd55555
	v_add_f64 v[49:50], v[49:50], -v[57:58]
	v_add_f64 v[51:52], v[51:52], -v[59:60]
	v_fma_f64 v[40:41], v[38:39], v[40:41], s[0:1]
	s_mov_b32 s0, 0x8fb9f87e
	s_mov_b32 s1, 0x408633ce
	v_cmp_nge_f64_e64 vcc, |v[20:21]|, s[0:1]
	s_mov_b32 s0, 0
	s_mov_b32 s1, 0x3e400000
	v_add_f64 v[32:33], v[32:33], v[51:52]
	v_mul_f64 v[38:39], v[38:39], v[40:41]
	v_add_f64 v[40:41], v[34:35], v[53:54]
	v_add_f64 v[32:33], v[49:50], v[32:33]
	v_mul_f64 v[49:50], v[14:15], v[38:39]
	v_add_f64 v[51:52], v[40:41], -v[34:35]
	v_add_f64 v[32:33], v[61:62], v[32:33]
	v_add_f64 v[55:56], v[14:15], v[49:50]
	v_add_f64 v[51:52], v[53:54], -v[51:52]
	v_mul_f64 v[32:33], v[34:35], v[32:33]
	v_fma_f64 v[34:35], v[14:15], v[38:39], -v[49:50]
	v_add_f64 v[14:15], v[55:56], -v[14:15]
	v_add_f64 v[32:33], v[51:52], v[32:33]
	v_add_f64 v[16:17], v[16:17], v[34:35]
	v_add_f64 v[14:15], v[49:50], -v[14:15]
	v_add_f64 v[34:35], v[40:41], v[32:33]
	v_add_f64 v[14:15], v[16:17], v[14:15]
	v_ldexp_f64 v[16:17], v[34:35], -2
	v_add_f64 v[34:35], v[34:35], -v[40:41]
	v_add_f64 v[38:39], v[55:56], v[14:15]
	v_add_f64 v[49:50], v[36:37], -v[16:17]
	v_add_f64 v[32:33], v[32:33], -v[34:35]
	v_rcp_f64_e32 v[51:52], v[38:39]
	v_add_f64 v[36:37], v[36:37], -v[49:50]
	v_ldexp_f64 v[32:33], v[32:33], -2
	v_add_f64 v[16:17], v[36:37], -v[16:17]
	v_fma_f64 v[34:35], -v[38:39], v[51:52], 1.0
	v_add_f64 v[16:17], v[30:31], v[16:17]
	v_fma_f64 v[30:31], v[34:35], v[51:52], v[51:52]
	v_and_b32_e32 v35, 0x7fffffff, v21
	v_add_f64 v[16:17], v[16:17], -v[32:33]
	v_fma_f64 v[32:33], -v[38:39], v[30:31], 1.0
	v_add_f64 v[16:17], v[49:50], v[16:17]
	v_fma_f64 v[30:31], v[32:33], v[30:31], v[30:31]
	v_cndmask_b32_e32 v18, v45, v17, vcc
	v_cndmask_b32_e32 v34, 0, v16, vcc
	v_cmp_lt_f64_e64 vcc, |v[20:21]|, s[0:1]
	v_xor_b32_e32 v21, 0x80000000, v21
	s_mov_b32 s0, 0
	v_add_f64 v[16:17], v[38:39], -v[55:56]
	v_mul_f64 v[32:33], v[38:39], v[30:31]
	s_brev_b32 s1, 8
	v_cndmask_b32_e32 v18, v18, v35, vcc
	v_cndmask_b32_e32 v20, v34, v20, vcc
	v_bfi_b32 v21, s29, v18, v21
	v_fma_f64 v[34:35], v[20:21], v[20:21], 1.0
	v_add_f64 v[14:15], v[14:15], -v[16:17]
	v_fma_f64 v[16:17], v[30:31], v[38:39], -v[32:33]
	v_cmp_gt_f64_e32 vcc, s[0:1], v[34:35]
	v_fma_f64 v[14:15], v[30:31], v[14:15], v[16:17]
	v_cndmask_b32_e32 v18, 0, v46, vcc
	v_ldexp_f64 v[34:35], v[34:35], v18
	v_add_f64 v[36:37], v[32:33], v[14:15]
	v_and_b32_e32 v18, 1, v23
	v_cmp_eq_u32_e64 s[0:1], 0, v18
	v_cndmask_b32_e32 v23, 0, v47, vcc
	v_rsq_f64_e32 v[16:17], v[34:35]
	v_add_f64 v[40:41], -v[36:37], 1.0
	v_add_f64 v[32:33], v[36:37], -v[32:33]
	v_cmp_class_f64_e32 vcc, v[34:35], v42
	v_add_f64 v[51:52], -v[40:41], 1.0
	v_add_f64 v[14:15], v[32:33], -v[14:15]
	v_mul_f64 v[49:50], v[34:35], v[16:17]
	v_mul_f64 v[16:17], v[16:17], 0.5
	v_add_f64 v[36:37], v[51:52], -v[36:37]
	v_fma_f64 v[32:33], -v[16:17], v[49:50], 0.5
	v_add_f64 v[14:15], v[14:15], v[36:37]
	v_fma_f64 v[49:50], v[49:50], v[32:33], v[49:50]
	v_fma_f64 v[16:17], v[16:17], v[32:33], v[16:17]
	v_add_f64 v[14:15], v[40:41], v[14:15]
	v_fma_f64 v[32:33], -v[49:50], v[49:50], v[34:35]
	v_mul_f64 v[14:15], v[30:31], v[14:15]
	v_fma_f64 v[32:33], v[32:33], v[16:17], v[49:50]
	v_add_f64 v[14:15], v[30:31], v[14:15]
	v_fma_f64 v[36:37], -v[32:33], v[32:33], v[34:35]
	v_xor_b32_e32 v15, 0x80000000, v15
	v_cndmask_b32_e64 v15, v15, v39, s[0:1]
	v_cndmask_b32_e64 v14, v14, v38, s[0:1]
	v_xor_b32_e32 v15, v15, v19
	v_fma_f64 v[18:19], v[14:15], v[14:15], 1.0
	v_fma_f64 v[16:17], v[36:37], v[16:17], v[32:33]
	v_mul_f64 v[30:31], v[20:21], v[18:19]
	v_ldexp_f64 v[16:17], v[16:17], v23
	v_cndmask_b32_e32 v17, v17, v35, vcc
	v_cndmask_b32_e32 v16, v16, v34, vcc
	v_mul_f64 v[16:17], v[16:17], v[18:19]
	v_fma_f64 v[18:19], v[20:21], v[30:31], 1.0
	v_mul_f64 v[16:17], v[20:21], v[16:17]
	v_div_scale_f64 v[30:31], s[0:1], v[18:19], v[18:19], v[14:15]
	v_div_scale_f64 v[20:21], s[0:1], v[18:19], v[18:19], v[16:17]
	;; [unrolled: 1-line block ×3, first 2 shown]
	v_rcp_f64_e32 v[34:35], v[30:31]
	v_rcp_f64_e32 v[32:33], v[20:21]
	v_fma_f64 v[38:39], -v[30:31], v[34:35], 1.0
	v_fma_f64 v[36:37], -v[20:21], v[32:33], 1.0
	v_fma_f64 v[34:35], v[34:35], v[38:39], v[34:35]
	v_fma_f64 v[32:33], v[32:33], v[36:37], v[32:33]
	v_div_scale_f64 v[36:37], vcc, v[16:17], v[18:19], v[16:17]
	v_fma_f64 v[49:50], -v[30:31], v[34:35], 1.0
	v_fma_f64 v[38:39], -v[20:21], v[32:33], 1.0
	v_fma_f64 v[34:35], v[34:35], v[49:50], v[34:35]
	v_fma_f64 v[32:33], v[32:33], v[38:39], v[32:33]
	v_mul_f64 v[49:50], v[40:41], v[34:35]
	v_mul_f64 v[38:39], v[36:37], v[32:33]
	v_fma_f64 v[30:31], -v[30:31], v[49:50], v[40:41]
	v_fma_f64 v[20:21], -v[20:21], v[38:39], v[36:37]
	v_div_fmas_f64 v[20:21], v[20:21], v[32:33], v[38:39]
	s_mov_b64 vcc, s[0:1]
	v_div_fmas_f64 v[30:31], v[30:31], v[34:35], v[49:50]
	v_div_fixup_f64 v[16:17], v[20:21], v[18:19], v[16:17]
	v_div_fixup_f64 v[14:15], v[30:31], v[18:19], v[14:15]
                                        ; implicit-def: $vgpr18_vgpr19
.LBB99_226:                             ;   in Loop: Header=BB99_180 Depth=1
	s_andn2_saveexec_b64 s[0:1], s[48:49]
	s_cbranch_execz .LBB99_236
; %bb.227:                              ;   in Loop: Header=BB99_180 Depth=1
	v_cmp_nlt_f64_e64 s[48:49], |v[18:19]|, s[90:91]
                                        ; implicit-def: $vgpr34
                                        ; implicit-def: $vgpr14_vgpr15
                                        ; implicit-def: $vgpr16_vgpr17
	s_and_saveexec_b64 s[68:69], s[48:49]
	s_xor_b64 s[68:69], exec, s[68:69]
	s_cbranch_execz .LBB99_229
; %bb.228:                              ;   in Loop: Header=BB99_180 Depth=1
	v_trig_preop_f64 v[14:15], |v[18:19]|, 0
	v_ldexp_f64 v[16:17], |v[18:19]|, s35
	v_cmp_ge_f64_e64 vcc, |v[18:19]|, s[92:93]
	v_trig_preop_f64 v[30:31], |v[18:19]|, 1
	v_and_b32_e32 v23, 0x7fffffff, v19
	v_trig_preop_f64 v[38:39], |v[18:19]|, 2
	s_mov_b32 s4, s12
	s_mov_b32 s17, s9
	v_cndmask_b32_e32 v17, v23, v17, vcc
	v_cndmask_b32_e32 v16, v18, v16, vcc
	v_mul_f64 v[32:33], v[14:15], v[16:17]
	v_mul_f64 v[34:35], v[30:31], v[16:17]
	;; [unrolled: 1-line block ×3, first 2 shown]
	v_fma_f64 v[14:15], v[14:15], v[16:17], -v[32:33]
	v_fma_f64 v[30:31], v[30:31], v[16:17], -v[34:35]
	;; [unrolled: 1-line block ×3, first 2 shown]
	v_add_f64 v[36:37], v[34:35], v[14:15]
	v_add_f64 v[40:41], v[36:37], -v[34:35]
	v_add_f64 v[53:54], v[32:33], v[36:37]
	v_add_f64 v[49:50], v[36:37], -v[40:41]
	v_add_f64 v[14:15], v[14:15], -v[40:41]
	v_add_f64 v[40:41], v[51:52], v[30:31]
	v_add_f64 v[32:33], v[53:54], -v[32:33]
	v_add_f64 v[34:35], v[34:35], -v[49:50]
	v_ldexp_f64 v[49:50], v[53:54], -2
	v_add_f64 v[55:56], v[40:41], -v[51:52]
	v_add_f64 v[32:33], v[36:37], -v[32:33]
	v_add_f64 v[14:15], v[14:15], v[34:35]
	v_fract_f64_e32 v[34:35], v[49:50]
	v_cmp_neq_f64_e64 vcc, |v[49:50]|, s[94:95]
	v_add_f64 v[30:31], v[30:31], -v[55:56]
	v_add_f64 v[36:37], v[40:41], v[14:15]
	v_ldexp_f64 v[34:35], v[34:35], 2
	v_add_f64 v[49:50], v[32:33], v[36:37]
	v_cndmask_b32_e32 v35, 0, v35, vcc
	v_cndmask_b32_e32 v34, 0, v34, vcc
	v_add_f64 v[57:58], v[36:37], -v[40:41]
	v_add_f64 v[53:54], v[49:50], v[34:35]
	v_add_f64 v[32:33], v[49:50], -v[32:33]
	v_add_f64 v[59:60], v[36:37], -v[57:58]
	;; [unrolled: 1-line block ×3, first 2 shown]
	v_cmp_gt_f64_e32 vcc, 0, v[53:54]
	v_add_f64 v[53:54], v[40:41], -v[55:56]
	v_add_f64 v[32:33], v[36:37], -v[32:33]
	;; [unrolled: 1-line block ×3, first 2 shown]
	v_cndmask_b32_e32 v23, 0, v43, vcc
	v_add_f64 v[34:35], v[34:35], v[22:23]
	v_add_f64 v[53:54], v[51:52], -v[53:54]
	v_add_f64 v[14:15], v[14:15], v[40:41]
	v_add_f64 v[61:62], v[49:50], v[34:35]
	;; [unrolled: 1-line block ×3, first 2 shown]
	v_cvt_i32_f64_e32 v57, v[61:62]
	v_add_f64 v[14:15], v[30:31], v[14:15]
	v_cvt_f64_i32_e32 v[55:56], v57
	v_add_f64 v[34:35], v[34:35], -v[55:56]
	v_add_f64 v[14:15], v[16:17], v[14:15]
	v_add_f64 v[30:31], v[49:50], v[34:35]
	;; [unrolled: 1-line block ×3, first 2 shown]
	v_add_f64 v[16:17], v[30:31], -v[34:35]
	v_cmp_le_f64_e32 vcc, 0.5, v[30:31]
	v_add_f64 v[16:17], v[49:50], -v[16:17]
	v_cndmask_b32_e32 v23, 0, v44, vcc
	v_add_f64 v[14:15], v[14:15], v[16:17]
	v_add_f64 v[16:17], v[30:31], -v[22:23]
	v_add_f64 v[30:31], v[16:17], v[14:15]
	v_mul_f64 v[32:33], v[30:31], s[4:5]
	v_add_f64 v[16:17], v[30:31], -v[16:17]
	v_fma_f64 v[34:35], v[30:31], s[4:5], -v[32:33]
	v_add_f64 v[14:15], v[14:15], -v[16:17]
	v_fma_f64 v[16:17], v[30:31], s[16:17], v[34:35]
	v_addc_co_u32_e32 v34, vcc, 0, v57, vcc
	v_fma_f64 v[16:17], v[14:15], s[4:5], v[16:17]
	v_add_f64 v[14:15], v[32:33], v[16:17]
	v_add_f64 v[30:31], v[14:15], -v[32:33]
	v_add_f64 v[16:17], v[16:17], -v[30:31]
	s_andn2_saveexec_b64 s[68:69], s[68:69]
	s_cbranch_execz .LBB99_231
	s_branch .LBB99_230
.LBB99_229:                             ;   in Loop: Header=BB99_180 Depth=1
	s_andn2_saveexec_b64 s[68:69], s[68:69]
	s_cbranch_execz .LBB99_231
.LBB99_230:                             ;   in Loop: Header=BB99_180 Depth=1
	v_mul_f64 v[14:15], |v[18:19]|, s[6:7]
	s_mov_b32 s8, s14
	v_rndne_f64_e32 v[30:31], v[14:15]
	v_fma_f64 v[14:15], v[30:31], s[12:13], |v[18:19]|
	v_mul_f64 v[16:17], v[30:31], s[14:15]
	v_fma_f64 v[36:37], v[30:31], s[14:15], v[14:15]
	v_add_f64 v[32:33], v[14:15], v[16:17]
	v_add_f64 v[34:35], v[14:15], -v[32:33]
	v_add_f64 v[32:33], v[32:33], -v[36:37]
	v_add_f64 v[14:15], v[34:35], v[16:17]
	v_fma_f64 v[16:17], v[30:31], s[8:9], v[16:17]
	v_cvt_i32_f64_e32 v34, v[30:31]
	v_add_f64 v[14:15], v[32:33], v[14:15]
	v_add_f64 v[14:15], v[14:15], -v[16:17]
	v_fma_f64 v[16:17], v[30:31], s[10:11], v[14:15]
	v_add_f64 v[14:15], v[36:37], v[16:17]
	v_add_f64 v[32:33], v[14:15], -v[36:37]
	v_add_f64 v[16:17], v[16:17], -v[32:33]
.LBB99_231:                             ;   in Loop: Header=BB99_180 Depth=1
	s_or_b64 exec, exec, s[68:69]
                                        ; implicit-def: $vgpr23
                                        ; implicit-def: $vgpr30_vgpr31
                                        ; implicit-def: $vgpr32_vgpr33
	s_and_saveexec_b64 s[68:69], s[48:49]
	s_xor_b64 s[48:49], exec, s[68:69]
	s_cbranch_execz .LBB99_233
; %bb.232:                              ;   in Loop: Header=BB99_180 Depth=1
	v_trig_preop_f64 v[30:31], |v[18:19]|, 0
	v_ldexp_f64 v[32:33], |v[18:19]|, s35
	v_cmp_ge_f64_e64 vcc, |v[18:19]|, s[92:93]
	v_trig_preop_f64 v[35:36], |v[18:19]|, 1
	v_and_b32_e32 v23, 0x7fffffff, v19
	v_trig_preop_f64 v[51:52], |v[18:19]|, 2
	s_mov_b32 s4, s12
	s_mov_b32 s17, s9
	v_cndmask_b32_e32 v33, v23, v33, vcc
	v_cndmask_b32_e32 v32, v18, v32, vcc
	v_mul_f64 v[37:38], v[30:31], v[32:33]
	v_mul_f64 v[39:40], v[35:36], v[32:33]
	;; [unrolled: 1-line block ×3, first 2 shown]
	v_fma_f64 v[30:31], v[30:31], v[32:33], -v[37:38]
	v_fma_f64 v[35:36], v[35:36], v[32:33], -v[39:40]
	v_fma_f64 v[32:33], v[51:52], v[32:33], -v[57:58]
	v_add_f64 v[49:50], v[39:40], v[30:31]
	v_add_f64 v[53:54], v[49:50], -v[39:40]
	v_add_f64 v[59:60], v[37:38], v[49:50]
	v_add_f64 v[55:56], v[49:50], -v[53:54]
	v_add_f64 v[30:31], v[30:31], -v[53:54]
	v_add_f64 v[53:54], v[57:58], v[35:36]
	v_add_f64 v[37:38], v[59:60], -v[37:38]
	v_add_f64 v[39:40], v[39:40], -v[55:56]
	v_ldexp_f64 v[55:56], v[59:60], -2
	v_add_f64 v[61:62], v[53:54], -v[57:58]
	v_add_f64 v[37:38], v[49:50], -v[37:38]
	v_add_f64 v[30:31], v[30:31], v[39:40]
	v_fract_f64_e32 v[39:40], v[55:56]
	v_cmp_neq_f64_e64 vcc, |v[55:56]|, s[94:95]
	v_add_f64 v[35:36], v[35:36], -v[61:62]
	v_add_f64 v[49:50], v[53:54], v[30:31]
	v_ldexp_f64 v[39:40], v[39:40], 2
	v_add_f64 v[55:56], v[37:38], v[49:50]
	v_cndmask_b32_e32 v40, 0, v40, vcc
	v_cndmask_b32_e32 v39, 0, v39, vcc
	v_add_f64 v[63:64], v[49:50], -v[53:54]
	v_add_f64 v[59:60], v[55:56], v[39:40]
	v_add_f64 v[37:38], v[55:56], -v[37:38]
	v_add_f64 v[65:66], v[49:50], -v[63:64]
	;; [unrolled: 1-line block ×3, first 2 shown]
	v_cmp_gt_f64_e32 vcc, 0, v[59:60]
	v_add_f64 v[59:60], v[53:54], -v[61:62]
	v_add_f64 v[37:38], v[49:50], -v[37:38]
	;; [unrolled: 1-line block ×3, first 2 shown]
	v_cndmask_b32_e32 v23, 0, v43, vcc
	v_add_f64 v[39:40], v[39:40], v[22:23]
	v_add_f64 v[59:60], v[57:58], -v[59:60]
	v_add_f64 v[30:31], v[30:31], v[53:54]
	v_add_f64 v[67:68], v[55:56], v[39:40]
	;; [unrolled: 1-line block ×3, first 2 shown]
	v_cvt_i32_f64_e32 v41, v[67:68]
	v_add_f64 v[30:31], v[35:36], v[30:31]
	v_cvt_f64_i32_e32 v[61:62], v41
	v_add_f64 v[39:40], v[39:40], -v[61:62]
	v_add_f64 v[30:31], v[32:33], v[30:31]
	v_add_f64 v[35:36], v[55:56], v[39:40]
	;; [unrolled: 1-line block ×3, first 2 shown]
	v_add_f64 v[32:33], v[35:36], -v[39:40]
	v_cmp_le_f64_e32 vcc, 0.5, v[35:36]
	v_add_f64 v[32:33], v[55:56], -v[32:33]
	v_cndmask_b32_e32 v23, 0, v44, vcc
	v_add_f64 v[30:31], v[30:31], v[32:33]
	v_add_f64 v[32:33], v[35:36], -v[22:23]
	v_addc_co_u32_e32 v23, vcc, 0, v41, vcc
	v_add_f64 v[35:36], v[32:33], v[30:31]
	v_mul_f64 v[37:38], v[35:36], s[4:5]
	v_add_f64 v[32:33], v[35:36], -v[32:33]
	v_fma_f64 v[39:40], v[35:36], s[4:5], -v[37:38]
	v_add_f64 v[30:31], v[30:31], -v[32:33]
	v_fma_f64 v[32:33], v[35:36], s[16:17], v[39:40]
	v_fma_f64 v[32:33], v[30:31], s[4:5], v[32:33]
	v_add_f64 v[30:31], v[37:38], v[32:33]
	v_add_f64 v[35:36], v[30:31], -v[37:38]
	v_add_f64 v[32:33], v[32:33], -v[35:36]
	s_andn2_saveexec_b64 s[48:49], s[48:49]
	s_cbranch_execnz .LBB99_234
	s_branch .LBB99_235
.LBB99_233:                             ;   in Loop: Header=BB99_180 Depth=1
	s_andn2_saveexec_b64 s[48:49], s[48:49]
	s_cbranch_execz .LBB99_235
.LBB99_234:                             ;   in Loop: Header=BB99_180 Depth=1
	v_mul_f64 v[30:31], |v[18:19]|, s[6:7]
	s_mov_b32 s8, s14
	v_rndne_f64_e32 v[35:36], v[30:31]
	v_fma_f64 v[30:31], v[35:36], s[12:13], |v[18:19]|
	v_mul_f64 v[32:33], v[35:36], s[14:15]
	v_cvt_i32_f64_e32 v23, v[35:36]
	v_fma_f64 v[49:50], v[35:36], s[14:15], v[30:31]
	v_add_f64 v[37:38], v[30:31], v[32:33]
	v_add_f64 v[39:40], v[30:31], -v[37:38]
	v_add_f64 v[37:38], v[37:38], -v[49:50]
	v_add_f64 v[30:31], v[39:40], v[32:33]
	v_fma_f64 v[32:33], v[35:36], s[8:9], v[32:33]
	v_add_f64 v[30:31], v[37:38], v[30:31]
	v_add_f64 v[30:31], v[30:31], -v[32:33]
	v_fma_f64 v[32:33], v[35:36], s[10:11], v[30:31]
	v_add_f64 v[30:31], v[49:50], v[32:33]
	v_add_f64 v[37:38], v[30:31], -v[49:50]
	v_add_f64 v[32:33], v[32:33], -v[37:38]
.LBB99_235:                             ;   in Loop: Header=BB99_180 Depth=1
	s_or_b64 exec, exec, s[48:49]
	v_mul_f64 v[35:36], |v[20:21]|, s[20:21]
	s_mov_b32 s48, 0x3b39803f
	s_mov_b32 s49, 0xbc7abc9e
	v_mul_f64 v[49:50], v[14:15], v[14:15]
	v_mov_b32_e32 v53, s80
	v_mov_b32_e32 v54, s81
	v_mul_f64 v[55:56], v[30:31], v[30:31]
	v_mov_b32_e32 v51, s70
	v_rndne_f64_e32 v[35:36], v[35:36]
	v_mov_b32_e32 v52, s71
	v_mul_f64 v[57:58], v[16:17], 0.5
	v_fma_f64 v[59:60], v[49:50], s[82:83], v[53:54]
	v_fma_f64 v[61:62], v[49:50], s[72:73], v[51:52]
	v_mul_f64 v[63:64], v[49:50], 0.5
	v_fma_f64 v[53:54], v[55:56], s[82:83], v[53:54]
	v_mul_f64 v[67:68], v[55:56], 0.5
	v_fma_f64 v[37:38], v[35:36], s[22:23], -|v[20:21]|
	v_fma_f64 v[51:52], v[55:56], s[72:73], v[51:52]
	s_mov_b32 s61, s25
	v_fma_f64 v[59:60], v[49:50], v[59:60], s[84:85]
	v_fma_f64 v[61:62], v[49:50], v[61:62], s[74:75]
	v_add_f64 v[69:70], -v[63:64], 1.0
	v_fma_f64 v[53:54], v[55:56], v[53:54], s[84:85]
	v_mul_f64 v[71:72], v[14:15], -v[49:50]
	v_fma_f64 v[37:38], v[35:36], s[48:49], v[37:38]
	v_add_f64 v[73:74], -v[67:68], 1.0
	v_fma_f64 v[51:52], v[55:56], v[51:52], s[74:75]
	v_fma_f64 v[59:60], v[49:50], v[59:60], s[86:87]
	;; [unrolled: 1-line block ×3, first 2 shown]
	v_add_f64 v[75:76], -v[69:70], 1.0
	v_fma_f64 v[53:54], v[55:56], v[53:54], s[86:87]
	v_mul_f64 v[65:66], v[32:33], 0.5
	v_fma_f64 v[39:40], v[37:38], s[50:51], v[28:29]
	v_mul_f64 v[77:78], v[30:31], -v[55:56]
	s_mov_b32 s63, s37
	v_fma_f64 v[59:60], v[49:50], v[59:60], s[24:25]
	v_add_f64 v[79:80], -v[73:74], 1.0
	v_fma_f64 v[51:52], v[55:56], v[51:52], s[76:77]
	v_fma_f64 v[53:54], v[55:56], v[53:54], s[24:25]
	;; [unrolled: 1-line block ×4, first 2 shown]
	v_add_f64 v[63:64], v[75:76], -v[63:64]
	s_mov_b32 s26, s36
	v_fma_f64 v[57:58], v[71:72], v[59:60], v[57:58]
	v_mul_f64 v[59:60], v[49:50], v[49:50]
	v_add_f64 v[67:68], v[79:80], -v[67:68]
	v_fma_f64 v[53:54], v[77:78], v[53:54], v[65:66]
	v_fma_f64 v[51:52], v[55:56], v[51:52], s[78:79]
	;; [unrolled: 1-line block ×4, first 2 shown]
	v_fma_f64 v[63:64], v[14:15], -v[16:17], v[63:64]
	v_fma_f64 v[16:17], v[49:50], v[57:58], -v[16:17]
	v_mul_f64 v[49:50], v[55:56], v[55:56]
	v_lshlrev_b32_e32 v18, 30, v34
	v_fma_f64 v[53:54], v[55:56], v[53:54], -v[32:33]
	v_fma_f64 v[51:52], v[55:56], v[51:52], s[36:37]
	v_fma_f64 v[39:40], v[37:38], v[39:40], s[56:57]
	v_fma_f64 v[32:33], v[30:31], -v[32:33], v[67:68]
	v_fma_f64 v[55:56], v[59:60], v[61:62], v[63:64]
	v_fma_f64 v[16:17], v[71:72], s[26:27], v[16:17]
	v_xor_b32_e32 v57, v18, v19
	v_and_b32_e32 v41, 1, v34
	v_fma_f64 v[18:19], v[77:78], s[26:27], v[53:54]
	v_cmp_eq_u32_e32 vcc, 0, v41
	v_fma_f64 v[39:40], v[37:38], v[39:40], s[58:59]
	v_fma_f64 v[32:33], v[49:50], v[51:52], v[32:33]
	v_add_f64 v[49:50], v[69:70], v[55:56]
	v_add_f64 v[14:15], v[14:15], -v[16:17]
	v_cvt_i32_f64_e32 v35, v[35:36]
	v_and_b32_e32 v34, 1, v23
	v_add_f64 v[18:19], v[30:31], -v[18:19]
	v_lshlrev_b32_e32 v23, 30, v23
	v_fma_f64 v[39:40], v[37:38], v[39:40], s[60:61]
	v_add_f64 v[30:31], v[73:74], v[32:33]
	s_mov_b32 s48, 0
	v_cndmask_b32_e32 v15, v50, v15, vcc
	v_cndmask_b32_e32 v14, v49, v14, vcc
	v_cmp_eq_u32_e32 vcc, 0, v34
	v_xor_b32_e32 v19, 0x80000000, v19
	v_and_b32_e32 v23, 0x80000000, v23
	v_fma_f64 v[39:40], v[37:38], v[39:40], s[62:63]
	v_cndmask_b32_e32 v19, v19, v31, vcc
	s_mov_b32 s49, 0x4090cc00
	v_cndmask_b32_e32 v18, v18, v30, vcc
	v_xor_b32_e32 v19, v19, v23
	v_cmp_ngt_f64_e64 vcc, |v[20:21]|, s[48:49]
	v_fma_f64 v[39:40], v[37:38], v[39:40], s[64:65]
	v_fma_f64 v[39:40], v[37:38], v[39:40], s[66:67]
	v_fma_f64 v[16:17], v[37:38], v[39:40], 1.0
	v_and_b32_e32 v39, 0x80000000, v57
	v_xor_b32_e32 v15, v15, v39
	v_mul_f64 v[14:15], v[14:15], 4.0
	v_fma_f64 v[16:17], v[37:38], v[16:17], 1.0
	v_mul_f64 v[14:15], v[14:15], v[18:19]
	v_ldexp_f64 v[16:17], v[16:17], v35
	v_cndmask_b32_e32 v17, 0, v17, vcc
	v_cndmask_b32_e32 v16, 0, v16, vcc
	v_mul_f64 v[14:15], v[16:17], v[14:15]
	v_mul_f64 v[14:15], v[16:17], v[14:15]
	v_xor_b32_e32 v16, 0x80000000, v21
	v_bfi_b32 v23, s29, v44, v16
	v_mov_b32_e32 v16, v22
	v_mov_b32_e32 v17, v23
.LBB99_236:                             ;   in Loop: Header=BB99_180 Depth=1
	s_or_b64 exec, exec, s[0:1]
                                        ; implicit-def: $vgpr18_vgpr19
.LBB99_237:                             ;   in Loop: Header=BB99_180 Depth=1
	s_andn2_saveexec_b64 s[0:1], s[46:47]
	s_cbranch_execz .LBB99_239
; %bb.238:                              ;   in Loop: Header=BB99_180 Depth=1
	v_add_f64 v[14:15], v[18:19], -v[18:19]
	v_mov_b32_e32 v17, v15
	v_mov_b32_e32 v16, v14
.LBB99_239:                             ;   in Loop: Header=BB99_180 Depth=1
	s_or_b64 exec, exec, s[0:1]
                                        ; implicit-def: $vgpr18_vgpr19
.LBB99_240:                             ;   in Loop: Header=BB99_180 Depth=1
	s_andn2_saveexec_b64 s[38:39], s[38:39]
	s_cbranch_execz .LBB99_256
; %bb.241:                              ;   in Loop: Header=BB99_180 Depth=1
	v_and_or_b32 v14, v17, s42, v16
	v_cmp_ne_u32_e32 vcc, 0, v14
	s_and_saveexec_b64 s[0:1], vcc
	s_xor_b64 s[0:1], exec, s[0:1]
	s_cbranch_execz .LBB99_243
; %bb.242:                              ;   in Loop: Header=BB99_180 Depth=1
	v_mul_f64 v[14:15], v[18:19], -v[20:21]
	v_cmp_eq_f64_e32 vcc, 0, v[18:19]
	v_cndmask_b32_e32 v15, v15, v19, vcc
	v_cndmask_b32_e32 v14, v14, v18, vcc
                                        ; implicit-def: $vgpr18_vgpr19
.LBB99_243:                             ;   in Loop: Header=BB99_180 Depth=1
	s_andn2_saveexec_b64 s[46:47], s[0:1]
	s_cbranch_execz .LBB99_255
; %bb.244:                              ;   in Loop: Header=BB99_180 Depth=1
	v_cmp_neq_f64_e64 s[0:1], |v[18:19]|, s[94:95]
	s_and_saveexec_b64 s[48:49], s[0:1]
	s_cbranch_execz .LBB99_254
; %bb.245:                              ;   in Loop: Header=BB99_180 Depth=1
	v_trig_preop_f64 v[36:37], |v[18:19]|, 0
	v_trig_preop_f64 v[34:35], |v[18:19]|, 1
	;; [unrolled: 1-line block ×3, first 2 shown]
	v_cmp_nlt_f64_e64 s[0:1], |v[18:19]|, s[90:91]
	v_ldexp_f64 v[38:39], |v[18:19]|, s35
	v_and_b32_e32 v50, 0x7fffffff, v19
                                        ; implicit-def: $vgpr49
                                        ; implicit-def: $vgpr14_vgpr15
                                        ; implicit-def: $vgpr20_vgpr21
	s_and_saveexec_b64 s[68:69], s[0:1]
	s_xor_b64 s[68:69], exec, s[68:69]
	s_cbranch_execz .LBB99_247
; %bb.246:                              ;   in Loop: Header=BB99_180 Depth=1
	v_cmp_ge_f64_e64 vcc, |v[18:19]|, s[92:93]
	s_mov_b32 s4, s12
	s_mov_b32 s17, s9
	v_cndmask_b32_e32 v15, v50, v39, vcc
	v_cndmask_b32_e32 v14, v18, v38, vcc
	v_mul_f64 v[20:21], v[36:37], v[14:15]
	v_mul_f64 v[32:33], v[34:35], v[14:15]
	;; [unrolled: 1-line block ×3, first 2 shown]
	v_fma_f64 v[40:41], v[36:37], v[14:15], -v[20:21]
	v_fma_f64 v[59:60], v[34:35], v[14:15], -v[32:33]
	;; [unrolled: 1-line block ×3, first 2 shown]
	v_add_f64 v[51:52], v[32:33], v[40:41]
	v_add_f64 v[53:54], v[51:52], -v[32:33]
	v_add_f64 v[61:62], v[20:21], v[51:52]
	v_add_f64 v[55:56], v[51:52], -v[53:54]
	v_add_f64 v[40:41], v[40:41], -v[53:54]
	v_add_f64 v[53:54], v[57:58], v[59:60]
	v_add_f64 v[20:21], v[61:62], -v[20:21]
	v_add_f64 v[32:33], v[32:33], -v[55:56]
	v_ldexp_f64 v[55:56], v[61:62], -2
	v_add_f64 v[63:64], v[53:54], -v[57:58]
	v_add_f64 v[20:21], v[51:52], -v[20:21]
	v_add_f64 v[32:33], v[40:41], v[32:33]
	v_fract_f64_e32 v[40:41], v[55:56]
	v_cmp_neq_f64_e64 vcc, |v[55:56]|, s[94:95]
	v_add_f64 v[59:60], v[59:60], -v[63:64]
	v_add_f64 v[51:52], v[53:54], v[32:33]
	v_ldexp_f64 v[40:41], v[40:41], 2
	v_add_f64 v[55:56], v[20:21], v[51:52]
	v_cndmask_b32_e32 v41, 0, v41, vcc
	v_cndmask_b32_e32 v40, 0, v40, vcc
	v_add_f64 v[65:66], v[51:52], -v[53:54]
	v_add_f64 v[61:62], v[55:56], v[40:41]
	v_add_f64 v[20:21], v[55:56], -v[20:21]
	v_add_f64 v[67:68], v[51:52], -v[65:66]
	;; [unrolled: 1-line block ×3, first 2 shown]
	v_cmp_gt_f64_e32 vcc, 0, v[61:62]
	v_add_f64 v[61:62], v[53:54], -v[63:64]
	v_add_f64 v[20:21], v[51:52], -v[20:21]
	;; [unrolled: 1-line block ×3, first 2 shown]
	v_cndmask_b32_e32 v23, 0, v43, vcc
	v_add_f64 v[40:41], v[40:41], v[22:23]
	v_add_f64 v[61:62], v[57:58], -v[61:62]
	v_add_f64 v[32:33], v[32:33], v[53:54]
	v_add_f64 v[69:70], v[55:56], v[40:41]
	;; [unrolled: 1-line block ×3, first 2 shown]
	v_cvt_i32_f64_e32 v49, v[69:70]
	v_add_f64 v[32:33], v[59:60], v[32:33]
	v_cvt_f64_i32_e32 v[63:64], v49
	v_add_f64 v[40:41], v[40:41], -v[63:64]
	v_add_f64 v[14:15], v[14:15], v[32:33]
	v_add_f64 v[53:54], v[55:56], v[40:41]
	;; [unrolled: 1-line block ×3, first 2 shown]
	v_add_f64 v[32:33], v[53:54], -v[40:41]
	v_cmp_le_f64_e32 vcc, 0.5, v[53:54]
	v_add_f64 v[20:21], v[55:56], -v[32:33]
	v_cndmask_b32_e32 v23, 0, v44, vcc
	v_addc_co_u32_e32 v49, vcc, 0, v49, vcc
	v_add_f64 v[14:15], v[14:15], v[20:21]
	v_add_f64 v[20:21], v[53:54], -v[22:23]
	v_add_f64 v[32:33], v[20:21], v[14:15]
	v_mul_f64 v[40:41], v[32:33], s[4:5]
	v_add_f64 v[20:21], v[32:33], -v[20:21]
	v_fma_f64 v[51:52], v[32:33], s[4:5], -v[40:41]
	v_add_f64 v[14:15], v[14:15], -v[20:21]
	v_fma_f64 v[20:21], v[32:33], s[16:17], v[51:52]
	v_fma_f64 v[20:21], v[14:15], s[4:5], v[20:21]
	v_add_f64 v[14:15], v[40:41], v[20:21]
	v_add_f64 v[32:33], v[14:15], -v[40:41]
	v_add_f64 v[20:21], v[20:21], -v[32:33]
	s_andn2_saveexec_b64 s[68:69], s[68:69]
	s_cbranch_execz .LBB99_249
	s_branch .LBB99_248
.LBB99_247:                             ;   in Loop: Header=BB99_180 Depth=1
	s_andn2_saveexec_b64 s[68:69], s[68:69]
	s_cbranch_execz .LBB99_249
.LBB99_248:                             ;   in Loop: Header=BB99_180 Depth=1
	v_mul_f64 v[14:15], |v[18:19]|, s[6:7]
	s_mov_b32 s8, s14
	v_rndne_f64_e32 v[32:33], v[14:15]
	v_fma_f64 v[14:15], v[32:33], s[12:13], |v[18:19]|
	v_mul_f64 v[20:21], v[32:33], s[14:15]
	v_cvt_i32_f64_e32 v49, v[32:33]
	v_fma_f64 v[53:54], v[32:33], s[14:15], v[14:15]
	v_add_f64 v[40:41], v[14:15], v[20:21]
	v_add_f64 v[51:52], v[14:15], -v[40:41]
	v_add_f64 v[40:41], v[40:41], -v[53:54]
	v_add_f64 v[14:15], v[51:52], v[20:21]
	v_fma_f64 v[20:21], v[32:33], s[8:9], v[20:21]
	v_add_f64 v[14:15], v[40:41], v[14:15]
	v_add_f64 v[14:15], v[14:15], -v[20:21]
	v_fma_f64 v[20:21], v[32:33], s[10:11], v[14:15]
	v_add_f64 v[14:15], v[53:54], v[20:21]
	v_add_f64 v[40:41], v[14:15], -v[53:54]
	v_add_f64 v[20:21], v[20:21], -v[40:41]
.LBB99_249:                             ;   in Loop: Header=BB99_180 Depth=1
	s_or_b64 exec, exec, s[68:69]
                                        ; implicit-def: $vgpr23
                                        ; implicit-def: $vgpr32_vgpr33
                                        ; implicit-def: $vgpr40_vgpr41
	s_and_saveexec_b64 s[68:69], s[0:1]
	s_xor_b64 s[0:1], exec, s[68:69]
	s_cbranch_execz .LBB99_251
; %bb.250:                              ;   in Loop: Header=BB99_180 Depth=1
	v_cmp_ge_f64_e64 vcc, |v[18:19]|, s[92:93]
	s_mov_b32 s4, s12
	s_mov_b32 s17, s9
	v_cndmask_b32_e32 v33, v50, v39, vcc
	v_cndmask_b32_e32 v32, v18, v38, vcc
	v_mul_f64 v[38:39], v[36:37], v[32:33]
	v_mul_f64 v[40:41], v[34:35], v[32:33]
	;; [unrolled: 1-line block ×3, first 2 shown]
	v_fma_f64 v[36:37], v[36:37], v[32:33], -v[38:39]
	v_fma_f64 v[34:35], v[34:35], v[32:33], -v[40:41]
	;; [unrolled: 1-line block ×3, first 2 shown]
	v_add_f64 v[50:51], v[40:41], v[36:37]
	v_add_f64 v[52:53], v[50:51], -v[40:41]
	v_add_f64 v[58:59], v[38:39], v[50:51]
	v_add_f64 v[54:55], v[50:51], -v[52:53]
	v_add_f64 v[36:37], v[36:37], -v[52:53]
	v_add_f64 v[52:53], v[56:57], v[34:35]
	v_add_f64 v[38:39], v[58:59], -v[38:39]
	v_add_f64 v[40:41], v[40:41], -v[54:55]
	v_ldexp_f64 v[54:55], v[58:59], -2
	v_add_f64 v[60:61], v[52:53], -v[56:57]
	v_add_f64 v[38:39], v[50:51], -v[38:39]
	v_add_f64 v[36:37], v[36:37], v[40:41]
	v_fract_f64_e32 v[40:41], v[54:55]
	v_cmp_neq_f64_e64 vcc, |v[54:55]|, s[94:95]
	v_add_f64 v[34:35], v[34:35], -v[60:61]
	v_add_f64 v[50:51], v[52:53], v[36:37]
	v_ldexp_f64 v[40:41], v[40:41], 2
	v_add_f64 v[54:55], v[38:39], v[50:51]
	v_cndmask_b32_e32 v41, 0, v41, vcc
	v_cndmask_b32_e32 v40, 0, v40, vcc
	v_add_f64 v[62:63], v[50:51], -v[52:53]
	v_add_f64 v[58:59], v[54:55], v[40:41]
	v_add_f64 v[32:33], v[54:55], -v[38:39]
	v_add_f64 v[64:65], v[50:51], -v[62:63]
	v_add_f64 v[36:37], v[36:37], -v[62:63]
	v_cmp_gt_f64_e32 vcc, 0, v[58:59]
	v_add_f64 v[58:59], v[52:53], -v[60:61]
	v_add_f64 v[32:33], v[50:51], -v[32:33]
	;; [unrolled: 1-line block ×3, first 2 shown]
	v_cndmask_b32_e32 v23, 0, v43, vcc
	v_add_f64 v[40:41], v[40:41], v[22:23]
	v_add_f64 v[58:59], v[56:57], -v[58:59]
	v_add_f64 v[36:37], v[36:37], v[52:53]
	v_add_f64 v[66:67], v[54:55], v[40:41]
	;; [unrolled: 1-line block ×3, first 2 shown]
	v_cvt_i32_f64_e32 v62, v[66:67]
	v_add_f64 v[34:35], v[34:35], v[36:37]
	v_cvt_f64_i32_e32 v[60:61], v62
	v_add_f64 v[40:41], v[40:41], -v[60:61]
	v_add_f64 v[30:31], v[30:31], v[34:35]
	v_add_f64 v[36:37], v[54:55], v[40:41]
	;; [unrolled: 1-line block ×3, first 2 shown]
	v_add_f64 v[34:35], v[36:37], -v[40:41]
	v_cmp_le_f64_e32 vcc, 0.5, v[36:37]
	v_add_f64 v[32:33], v[54:55], -v[34:35]
	v_cndmask_b32_e32 v23, 0, v44, vcc
	v_add_f64 v[30:31], v[30:31], v[32:33]
	v_add_f64 v[32:33], v[36:37], -v[22:23]
	v_addc_co_u32_e32 v23, vcc, 0, v62, vcc
	v_add_f64 v[34:35], v[32:33], v[30:31]
	v_mul_f64 v[36:37], v[34:35], s[4:5]
	v_add_f64 v[32:33], v[34:35], -v[32:33]
	v_fma_f64 v[38:39], v[34:35], s[4:5], -v[36:37]
	v_add_f64 v[30:31], v[30:31], -v[32:33]
	v_fma_f64 v[32:33], v[34:35], s[16:17], v[38:39]
	v_fma_f64 v[30:31], v[30:31], s[4:5], v[32:33]
	v_add_f64 v[32:33], v[36:37], v[30:31]
	v_add_f64 v[34:35], v[32:33], -v[36:37]
	v_add_f64 v[40:41], v[30:31], -v[34:35]
	s_andn2_saveexec_b64 s[0:1], s[0:1]
	s_cbranch_execnz .LBB99_252
	s_branch .LBB99_253
.LBB99_251:                             ;   in Loop: Header=BB99_180 Depth=1
	s_andn2_saveexec_b64 s[0:1], s[0:1]
	s_cbranch_execz .LBB99_253
.LBB99_252:                             ;   in Loop: Header=BB99_180 Depth=1
	v_mul_f64 v[30:31], |v[18:19]|, s[6:7]
	s_mov_b32 s8, s14
	v_rndne_f64_e32 v[30:31], v[30:31]
	v_fma_f64 v[32:33], v[30:31], s[12:13], |v[18:19]|
	v_mul_f64 v[34:35], v[30:31], s[14:15]
	v_cvt_i32_f64_e32 v23, v[30:31]
	v_fma_f64 v[40:41], v[30:31], s[14:15], v[32:33]
	v_add_f64 v[36:37], v[32:33], v[34:35]
	v_add_f64 v[38:39], v[32:33], -v[36:37]
	v_add_f64 v[36:37], v[36:37], -v[40:41]
	v_add_f64 v[32:33], v[38:39], v[34:35]
	v_fma_f64 v[34:35], v[30:31], s[8:9], v[34:35]
	v_add_f64 v[32:33], v[36:37], v[32:33]
	v_add_f64 v[32:33], v[32:33], -v[34:35]
	v_fma_f64 v[34:35], v[30:31], s[10:11], v[32:33]
	v_add_f64 v[32:33], v[40:41], v[34:35]
	v_add_f64 v[36:37], v[32:33], -v[40:41]
	v_add_f64 v[40:41], v[34:35], -v[36:37]
.LBB99_253:                             ;   in Loop: Header=BB99_180 Depth=1
	s_or_b64 exec, exec, s[0:1]
	v_mul_f64 v[30:31], v[14:15], v[14:15]
	v_mul_f64 v[34:35], v[32:33], v[32:33]
	v_mov_b32_e32 v36, s80
	v_mov_b32_e32 v37, s81
	v_mov_b32_e32 v50, s70
	v_mov_b32_e32 v51, s71
	v_mul_f64 v[60:61], v[20:21], 0.5
	v_mul_f64 v[68:69], v[40:41], 0.5
	v_fma_f64 v[38:39], v[30:31], s[82:83], v[36:37]
	v_fma_f64 v[36:37], v[34:35], s[82:83], v[36:37]
	;; [unrolled: 1-line block ×3, first 2 shown]
	v_mul_f64 v[54:55], v[30:31], 0.5
	v_fma_f64 v[50:51], v[34:35], s[72:73], v[50:51]
	v_mul_f64 v[56:57], v[34:35], 0.5
	v_mul_f64 v[62:63], v[14:15], -v[30:31]
	v_mul_f64 v[70:71], v[32:33], -v[34:35]
	v_fma_f64 v[38:39], v[30:31], v[38:39], s[84:85]
	v_fma_f64 v[36:37], v[34:35], v[36:37], s[84:85]
	;; [unrolled: 1-line block ×3, first 2 shown]
	v_add_f64 v[58:59], -v[54:55], 1.0
	v_fma_f64 v[50:51], v[34:35], v[50:51], s[74:75]
	v_add_f64 v[64:65], -v[56:57], 1.0
	s_mov_b32 s26, s36
	v_cmp_class_f64_e64 s[0:1], v[18:19], s31
	v_fma_f64 v[38:39], v[30:31], v[38:39], s[86:87]
	v_fma_f64 v[36:37], v[34:35], v[36:37], s[86:87]
	;; [unrolled: 1-line block ×3, first 2 shown]
	v_add_f64 v[66:67], -v[58:59], 1.0
	v_fma_f64 v[50:51], v[34:35], v[50:51], s[76:77]
	v_add_f64 v[72:73], -v[64:65], 1.0
	v_fma_f64 v[38:39], v[30:31], v[38:39], s[24:25]
	v_fma_f64 v[36:37], v[34:35], v[36:37], s[24:25]
	;; [unrolled: 1-line block ×3, first 2 shown]
	v_add_f64 v[54:55], v[66:67], -v[54:55]
	v_fma_f64 v[50:51], v[34:35], v[50:51], s[78:79]
	v_add_f64 v[56:57], v[72:73], -v[56:57]
	v_fma_f64 v[38:39], v[62:63], v[38:39], v[60:61]
	v_fma_f64 v[36:37], v[70:71], v[36:37], v[68:69]
	v_mul_f64 v[60:61], v[30:31], v[30:31]
	v_fma_f64 v[52:53], v[30:31], v[52:53], s[36:37]
	v_fma_f64 v[54:55], v[14:15], -v[20:21], v[54:55]
	v_fma_f64 v[20:21], v[30:31], v[38:39], -v[20:21]
	v_fma_f64 v[36:37], v[34:35], v[36:37], -v[40:41]
	v_mul_f64 v[30:31], v[34:35], v[34:35]
	v_fma_f64 v[34:35], v[34:35], v[50:51], s[36:37]
	v_fma_f64 v[38:39], v[32:33], -v[40:41], v[56:57]
	v_fma_f64 v[40:41], v[60:61], v[52:53], v[54:55]
	v_and_b32_e32 v50, 1, v49
	v_lshlrev_b32_e32 v49, 30, v49
	v_fma_f64 v[20:21], v[62:63], s[26:27], v[20:21]
	v_fma_f64 v[36:37], v[70:71], s[26:27], v[36:37]
	v_cmp_eq_u32_e32 vcc, 0, v50
	v_fma_f64 v[30:31], v[30:31], v[34:35], v[38:39]
	v_add_f64 v[34:35], v[58:59], v[40:41]
	v_and_b32_e32 v38, 1, v23
	v_lshlrev_b32_e32 v23, 30, v23
	v_add_f64 v[14:15], v[14:15], -v[20:21]
	v_add_f64 v[20:21], v[32:33], -v[36:37]
	v_xor_b32_e32 v39, v49, v19
	v_and_b32_e32 v23, 0x80000000, v23
	v_add_f64 v[30:31], v[64:65], v[30:31]
	v_and_b32_e32 v32, 0x80000000, v39
	v_cndmask_b32_e32 v14, v34, v14, vcc
	v_cndmask_b32_e32 v15, v35, v15, vcc
	v_xor_b32_e32 v18, 0x80000000, v21
	v_cmp_eq_u32_e32 vcc, 0, v38
	v_cndmask_b32_e32 v18, v18, v31, vcc
	v_cndmask_b32_e32 v19, v20, v30, vcc
	v_xor_b32_e32 v15, v15, v32
	v_xor_b32_e32 v20, v18, v23
	v_cndmask_b32_e64 v14, 0, v14, s[0:1]
	v_cndmask_b32_e64 v15, v48, v15, s[0:1]
	v_cndmask_b32_e64 v18, 0, v19, s[0:1]
	v_cndmask_b32_e64 v19, v48, v20, s[0:1]
	v_mul_f64 v[18:19], v[14:15], v[18:19]
.LBB99_254:                             ;   in Loop: Header=BB99_180 Depth=1
	s_or_b64 exec, exec, s[48:49]
	v_bfi_b32 v23, s29, 0, v19
	v_mov_b32_e32 v14, v22
	v_add_u32_e32 v17, -2.0, v17
	v_mov_b32_e32 v15, v23
.LBB99_255:                             ;   in Loop: Header=BB99_180 Depth=1
	s_or_b64 exec, exec, s[46:47]
.LBB99_256:                             ;   in Loop: Header=BB99_180 Depth=1
	s_or_b64 exec, exec, s[38:39]
	s_waitcnt vmcnt(0)
	v_xor_b32_e32 v21, 0x80000000, v13
	v_and_b32_e32 v23, 0x7fffffff, v21
	v_mov_b32_e32 v20, v12
	v_cmp_gt_u32_e32 vcc, s30, v23
	s_and_saveexec_b64 s[0:1], vcc
	s_xor_b64 s[38:39], exec, s[0:1]
	s_cbranch_execz .LBB99_278
; %bb.257:                              ;   in Loop: Header=BB99_180 Depth=1
	v_cmp_class_f64_e64 s[0:1], v[10:11], s31
                                        ; implicit-def: $vgpr18_vgpr19
	s_and_saveexec_b64 s[46:47], s[0:1]
	s_xor_b64 s[46:47], exec, s[46:47]
	s_cbranch_execz .LBB99_275
; %bb.258:                              ;   in Loop: Header=BB99_180 Depth=1
	v_cmp_gt_u32_e32 vcc, s34, v23
                                        ; implicit-def: $vgpr18_vgpr19
	s_and_saveexec_b64 s[0:1], vcc
	s_xor_b64 s[48:49], exec, s[0:1]
	s_cbranch_execz .LBB99_264
; %bb.259:                              ;   in Loop: Header=BB99_180 Depth=1
	v_cmp_nlt_f64_e64 s[0:1], |v[10:11]|, s[90:91]
                                        ; implicit-def: $vgpr23
                                        ; implicit-def: $vgpr18_vgpr19
                                        ; implicit-def: $vgpr20_vgpr21
	s_and_saveexec_b64 s[68:69], s[0:1]
	s_xor_b64 s[0:1], exec, s[68:69]
	s_cbranch_execz .LBB99_261
; %bb.260:                              ;   in Loop: Header=BB99_180 Depth=1
	v_trig_preop_f64 v[18:19], |v[10:11]|, 0
	v_ldexp_f64 v[20:21], |v[10:11]|, s35
	v_cmp_ge_f64_e64 vcc, |v[10:11]|, s[92:93]
	v_trig_preop_f64 v[30:31], |v[10:11]|, 1
	v_and_b32_e32 v23, 0x7fffffff, v11
	v_trig_preop_f64 v[38:39], |v[10:11]|, 2
	s_mov_b32 s4, s12
	s_mov_b32 s17, s9
	v_cndmask_b32_e32 v21, v23, v21, vcc
	v_cndmask_b32_e32 v20, v10, v20, vcc
	v_mul_f64 v[32:33], v[18:19], v[20:21]
	v_mul_f64 v[34:35], v[30:31], v[20:21]
	;; [unrolled: 1-line block ×3, first 2 shown]
	v_fma_f64 v[18:19], v[18:19], v[20:21], -v[32:33]
	v_fma_f64 v[30:31], v[30:31], v[20:21], -v[34:35]
	;; [unrolled: 1-line block ×3, first 2 shown]
	v_add_f64 v[36:37], v[34:35], v[18:19]
	v_add_f64 v[40:41], v[36:37], -v[34:35]
	v_add_f64 v[53:54], v[32:33], v[36:37]
	v_add_f64 v[49:50], v[36:37], -v[40:41]
	v_add_f64 v[18:19], v[18:19], -v[40:41]
	v_add_f64 v[40:41], v[51:52], v[30:31]
	v_add_f64 v[32:33], v[53:54], -v[32:33]
	v_add_f64 v[34:35], v[34:35], -v[49:50]
	v_ldexp_f64 v[49:50], v[53:54], -2
	v_add_f64 v[55:56], v[40:41], -v[51:52]
	v_add_f64 v[32:33], v[36:37], -v[32:33]
	v_add_f64 v[18:19], v[18:19], v[34:35]
	v_fract_f64_e32 v[34:35], v[49:50]
	v_cmp_neq_f64_e64 vcc, |v[49:50]|, s[94:95]
	v_add_f64 v[30:31], v[30:31], -v[55:56]
	v_add_f64 v[36:37], v[40:41], v[18:19]
	v_ldexp_f64 v[34:35], v[34:35], 2
	v_add_f64 v[49:50], v[32:33], v[36:37]
	v_cndmask_b32_e32 v35, 0, v35, vcc
	v_cndmask_b32_e32 v34, 0, v34, vcc
	v_add_f64 v[57:58], v[36:37], -v[40:41]
	v_add_f64 v[53:54], v[49:50], v[34:35]
	v_add_f64 v[32:33], v[49:50], -v[32:33]
	v_add_f64 v[59:60], v[36:37], -v[57:58]
	v_add_f64 v[18:19], v[18:19], -v[57:58]
	v_cmp_gt_f64_e32 vcc, 0, v[53:54]
	v_add_f64 v[53:54], v[40:41], -v[55:56]
	v_add_f64 v[32:33], v[36:37], -v[32:33]
	;; [unrolled: 1-line block ×3, first 2 shown]
	v_cndmask_b32_e32 v23, 0, v43, vcc
	v_add_f64 v[34:35], v[34:35], v[22:23]
	v_add_f64 v[53:54], v[51:52], -v[53:54]
	v_add_f64 v[18:19], v[18:19], v[40:41]
	v_add_f64 v[61:62], v[49:50], v[34:35]
	;; [unrolled: 1-line block ×3, first 2 shown]
	v_cvt_i32_f64_e32 v57, v[61:62]
	v_add_f64 v[18:19], v[30:31], v[18:19]
	v_cvt_f64_i32_e32 v[55:56], v57
	v_add_f64 v[34:35], v[34:35], -v[55:56]
	v_add_f64 v[18:19], v[20:21], v[18:19]
	v_add_f64 v[30:31], v[49:50], v[34:35]
	;; [unrolled: 1-line block ×3, first 2 shown]
	v_add_f64 v[20:21], v[30:31], -v[34:35]
	v_cmp_le_f64_e32 vcc, 0.5, v[30:31]
	v_add_f64 v[20:21], v[49:50], -v[20:21]
	v_cndmask_b32_e32 v23, 0, v44, vcc
	v_add_f64 v[18:19], v[18:19], v[20:21]
	v_add_f64 v[20:21], v[30:31], -v[22:23]
	v_addc_co_u32_e32 v23, vcc, 0, v57, vcc
	v_add_f64 v[30:31], v[20:21], v[18:19]
	v_mul_f64 v[32:33], v[30:31], s[4:5]
	v_add_f64 v[20:21], v[30:31], -v[20:21]
	v_fma_f64 v[34:35], v[30:31], s[4:5], -v[32:33]
	v_add_f64 v[18:19], v[18:19], -v[20:21]
	v_fma_f64 v[20:21], v[30:31], s[16:17], v[34:35]
	v_fma_f64 v[20:21], v[18:19], s[4:5], v[20:21]
	v_add_f64 v[18:19], v[32:33], v[20:21]
	v_add_f64 v[30:31], v[18:19], -v[32:33]
	v_add_f64 v[20:21], v[20:21], -v[30:31]
.LBB99_261:                             ;   in Loop: Header=BB99_180 Depth=1
	s_andn2_saveexec_b64 s[0:1], s[0:1]
	s_cbranch_execz .LBB99_263
; %bb.262:                              ;   in Loop: Header=BB99_180 Depth=1
	v_mul_f64 v[18:19], |v[10:11]|, s[6:7]
	s_mov_b32 s8, s14
	v_rndne_f64_e32 v[30:31], v[18:19]
	v_fma_f64 v[18:19], v[30:31], s[12:13], |v[10:11]|
	v_mul_f64 v[20:21], v[30:31], s[14:15]
	v_cvt_i32_f64_e32 v23, v[30:31]
	v_fma_f64 v[36:37], v[30:31], s[14:15], v[18:19]
	v_add_f64 v[32:33], v[18:19], v[20:21]
	v_add_f64 v[34:35], v[18:19], -v[32:33]
	v_add_f64 v[32:33], v[32:33], -v[36:37]
	v_add_f64 v[18:19], v[34:35], v[20:21]
	v_fma_f64 v[20:21], v[30:31], s[8:9], v[20:21]
	v_add_f64 v[18:19], v[32:33], v[18:19]
	v_add_f64 v[18:19], v[18:19], -v[20:21]
	v_fma_f64 v[20:21], v[30:31], s[10:11], v[18:19]
	v_add_f64 v[18:19], v[36:37], v[20:21]
	v_add_f64 v[32:33], v[18:19], -v[36:37]
	v_add_f64 v[20:21], v[20:21], -v[32:33]
.LBB99_263:                             ;   in Loop: Header=BB99_180 Depth=1
	s_or_b64 exec, exec, s[0:1]
	v_add_f64 v[30:31], |v[12:13]|, s[22:23]
	s_mov_b32 s40, s22
	s_mov_b32 s0, 0x3b39803f
	;; [unrolled: 1-line block ×7, first 2 shown]
	v_add_f64 v[32:33], v[30:31], -|v[12:13]|
	v_and_b32_e32 v23, 1, v23
	v_add_f64 v[34:35], v[32:33], -v[30:31]
	v_add_f64 v[32:33], v[32:33], s[40:41]
	v_add_f64 v[34:35], |v[12:13]|, v[34:35]
	v_add_f64 v[32:33], v[34:35], -v[32:33]
	v_add_f64 v[32:33], v[32:33], s[0:1]
	s_mov_b32 s0, 0xf278e000
	s_mov_b32 s1, 0xbd53de6a
	v_add_f64 v[34:35], v[30:31], v[32:33]
	v_mul_f64 v[36:37], v[34:35], s[44:45]
	v_add_f64 v[30:31], v[30:31], -v[34:35]
	v_rndne_f64_e32 v[36:37], v[36:37]
	v_add_f64 v[30:31], v[32:33], v[30:31]
	v_fma_f64 v[32:33], v[36:37], s[18:19], v[34:35]
	v_mul_f64 v[34:35], v[36:37], s[0:1]
	s_mov_b32 s0, 0xf97b57a0
	s_mov_b32 s1, 0xbac9cc01
	v_cvt_i32_f64_e32 v10, v[36:37]
	v_add_f64 v[38:39], v[30:31], v[32:33]
	v_add_f64 v[40:41], v[38:39], v[34:35]
	v_add_f64 v[32:33], v[32:33], -v[38:39]
	v_add_f64 v[38:39], v[38:39], -v[40:41]
	v_add_f64 v[30:31], v[30:31], v[32:33]
	v_add_f64 v[32:33], v[38:39], v[34:35]
	;; [unrolled: 1-line block ×3, first 2 shown]
	v_mul_f64 v[32:33], v[36:37], s[0:1]
	s_mov_b32 s0, 0xc751c08c
	s_mov_b32 s1, 0x3ef5e089
	v_add_f64 v[34:35], v[40:41], v[30:31]
	v_add_f64 v[38:39], v[34:35], v[32:33]
	v_add_f64 v[40:41], v[40:41], -v[34:35]
	v_add_f64 v[34:35], v[34:35], -v[38:39]
	v_add_f64 v[30:31], v[30:31], v[40:41]
	v_add_f64 v[32:33], v[34:35], v[32:33]
	;; [unrolled: 1-line block ×4, first 2 shown]
	v_fma_f64 v[34:35], v[32:33], s[50:51], v[28:29]
	v_add_f64 v[38:39], v[38:39], -v[32:33]
	v_mul_f64 v[40:41], v[32:33], v[32:33]
	v_fma_f64 v[34:35], v[32:33], v[34:35], s[52:53]
	v_add_f64 v[30:31], v[30:31], v[38:39]
	v_fma_f64 v[38:39], v[32:33], v[32:33], -v[40:41]
	v_fma_f64 v[34:35], v[32:33], v[34:35], s[54:55]
	v_add_f64 v[49:50], v[30:31], v[30:31]
	v_fma_f64 v[34:35], v[32:33], v[34:35], s[56:57]
	v_fma_f64 v[38:39], v[32:33], v[49:50], v[38:39]
	;; [unrolled: 1-line block ×3, first 2 shown]
	v_add_f64 v[49:50], v[40:41], v[38:39]
	v_fma_f64 v[34:35], v[32:33], v[34:35], s[60:61]
	v_add_f64 v[40:41], v[49:50], -v[40:41]
	v_fma_f64 v[34:35], v[32:33], v[34:35], s[62:63]
	v_add_f64 v[38:39], v[38:39], -v[40:41]
	v_fma_f64 v[34:35], v[32:33], v[34:35], s[64:65]
	v_fma_f64 v[34:35], v[32:33], v[34:35], s[66:67]
	v_mul_f64 v[51:52], v[49:50], v[34:35]
	v_fma_f64 v[40:41], v[49:50], v[34:35], -v[51:52]
	v_fma_f64 v[34:35], v[38:39], v[34:35], v[40:41]
	v_add_f64 v[38:39], v[51:52], v[34:35]
	v_add_f64 v[40:41], v[32:33], v[38:39]
	v_add_f64 v[49:50], v[38:39], -v[51:52]
	v_add_f64 v[32:33], v[40:41], -v[32:33]
	;; [unrolled: 1-line block ×3, first 2 shown]
	v_add_f64 v[49:50], v[20:21], v[20:21]
	v_add_f64 v[32:33], v[38:39], -v[32:33]
	v_add_f64 v[30:31], v[30:31], v[34:35]
	v_add_f64 v[30:31], v[30:31], v[32:33]
	;; [unrolled: 1-line block ×3, first 2 shown]
	v_add_f64 v[34:35], v[32:33], 1.0
	v_add_f64 v[38:39], v[32:33], -v[40:41]
	v_add_f64 v[40:41], v[34:35], -1.0
	v_add_f64 v[30:31], v[30:31], -v[38:39]
	v_add_f64 v[32:33], v[32:33], -v[40:41]
	v_add_f64 v[30:31], v[30:31], v[32:33]
	v_add_f64 v[32:33], v[34:35], v[30:31]
	v_ldexp_f64 v[36:37], v[32:33], v10
	v_add_f64 v[32:33], v[32:33], -v[34:35]
	v_rcp_f64_e32 v[38:39], v[36:37]
	v_add_f64 v[30:31], v[30:31], -v[32:33]
	v_ldexp_f64 v[30:31], v[30:31], v10
	v_fma_f64 v[40:41], -v[36:37], v[38:39], 1.0
	v_fma_f64 v[38:39], v[40:41], v[38:39], v[38:39]
	v_fma_f64 v[40:41], -v[36:37], v[38:39], 1.0
	v_fma_f64 v[34:35], v[40:41], v[38:39], v[38:39]
	v_mul_f64 v[38:39], v[18:19], v[18:19]
	v_mul_f64 v[32:33], v[36:37], v[34:35]
	v_fma_f64 v[51:52], v[18:19], v[18:19], -v[38:39]
	v_fma_f64 v[40:41], v[34:35], v[36:37], -v[32:33]
	v_fma_f64 v[49:50], v[18:19], v[49:50], v[51:52]
	v_fma_f64 v[40:41], v[34:35], v[30:31], v[40:41]
	v_add_f64 v[38:39], v[38:39], v[49:50]
	v_add_f64 v[51:52], v[32:33], v[40:41]
	v_fma_f64 v[53:54], v[38:39], s[0:1], v[26:27]
	s_mov_b32 s0, 0x90a8aae0
	s_mov_b32 s1, 0x3f17746f
	v_add_f64 v[49:50], -v[51:52], 1.0
	v_add_f64 v[32:33], v[51:52], -v[32:33]
	v_fma_f64 v[53:54], v[38:39], v[53:54], s[0:1]
	s_mov_b32 s0, 0xa6fbf144
	s_mov_b32 s1, 0xbefbb44d
	v_add_f64 v[55:56], -v[49:50], 1.0
	v_add_f64 v[32:33], v[32:33], -v[40:41]
	v_add_f64 v[40:41], v[55:56], -v[51:52]
	v_fma_f64 v[51:52], v[38:39], v[53:54], s[0:1]
	s_mov_b32 s0, 0xa7943acf
	s_mov_b32 s1, 0x3f21e634
	v_add_f64 v[32:33], v[32:33], v[40:41]
	v_fma_f64 v[40:41], v[38:39], v[51:52], s[0:1]
	s_mov_b32 s0, 0xdeb68feb
	s_mov_b32 s1, 0x3f2d250f
	v_add_f64 v[51:52], v[49:50], v[32:33]
	v_fma_f64 v[40:41], v[38:39], v[40:41], s[0:1]
	s_mov_b32 s0, 0xb58c4d95
	s_mov_b32 s1, 0x3f437fd9
	v_mul_f64 v[53:54], v[34:35], v[51:52]
	v_fma_f64 v[40:41], v[38:39], v[40:41], s[0:1]
	s_mov_b32 s0, 0x15120e2c
	s_mov_b32 s1, 0x3f57d5af
	v_add_f64 v[49:50], v[49:50], -v[51:52]
	v_mul_f64 v[55:56], v[36:37], v[53:54]
	v_fma_f64 v[40:41], v[38:39], v[40:41], s[0:1]
	s_mov_b32 s0, 0xe09491df
	s_mov_b32 s1, 0x3f6d6d93
	v_add_f64 v[32:33], v[32:33], v[49:50]
	v_fma_f64 v[57:58], v[53:54], v[36:37], -v[55:56]
	v_fma_f64 v[40:41], v[38:39], v[40:41], s[0:1]
	s_mov_b32 s0, 0x2033784d
	s_mov_b32 s1, 0x3f8226e1
	v_fma_f64 v[57:58], v[53:54], v[30:31], v[57:58]
	v_fma_f64 v[40:41], v[38:39], v[40:41], s[0:1]
	s_mov_b32 s0, 0x9ac36ae2
	s_mov_b32 s1, 0x3f9664f4
	v_add_f64 v[59:60], v[55:56], v[57:58]
	v_fma_f64 v[40:41], v[38:39], v[40:41], s[0:1]
	s_mov_b32 s0, 0x1b451c21
	s_mov_b32 s1, 0x3faba1ba
	v_add_f64 v[61:62], v[51:52], -v[59:60]
	v_fma_f64 v[40:41], v[38:39], v[40:41], s[0:1]
	s_mov_b32 s0, 0x111185b7
	s_mov_b32 s1, 0x3fc11111
	v_add_f64 v[49:50], v[59:60], -v[55:56]
	v_add_f64 v[51:52], v[51:52], -v[61:62]
	v_fma_f64 v[40:41], v[38:39], v[40:41], s[0:1]
	s_mov_b32 s0, 0x555554ee
	s_mov_b32 s1, 0x3fd55555
	v_add_f64 v[49:50], v[49:50], -v[57:58]
	v_add_f64 v[51:52], v[51:52], -v[59:60]
	v_fma_f64 v[40:41], v[38:39], v[40:41], s[0:1]
	s_mov_b32 s0, 0x8fb9f87e
	s_mov_b32 s1, 0x408633ce
	v_cmp_nge_f64_e64 vcc, |v[12:13]|, s[0:1]
	s_mov_b32 s0, 0
	s_mov_b32 s1, 0x3e400000
	v_add_f64 v[32:33], v[32:33], v[51:52]
	v_mul_f64 v[38:39], v[38:39], v[40:41]
	v_add_f64 v[40:41], v[34:35], v[53:54]
	v_add_f64 v[32:33], v[49:50], v[32:33]
	v_mul_f64 v[49:50], v[18:19], v[38:39]
	v_add_f64 v[51:52], v[40:41], -v[34:35]
	v_add_f64 v[32:33], v[61:62], v[32:33]
	v_add_f64 v[55:56], v[18:19], v[49:50]
	v_add_f64 v[51:52], v[53:54], -v[51:52]
	v_mul_f64 v[32:33], v[34:35], v[32:33]
	v_fma_f64 v[34:35], v[18:19], v[38:39], -v[49:50]
	v_add_f64 v[18:19], v[55:56], -v[18:19]
	v_add_f64 v[32:33], v[51:52], v[32:33]
	v_add_f64 v[20:21], v[20:21], v[34:35]
	v_add_f64 v[18:19], v[49:50], -v[18:19]
	v_add_f64 v[34:35], v[40:41], v[32:33]
	v_add_f64 v[18:19], v[20:21], v[18:19]
	v_ldexp_f64 v[20:21], v[34:35], -2
	v_add_f64 v[34:35], v[34:35], -v[40:41]
	v_add_f64 v[38:39], v[55:56], v[18:19]
	v_add_f64 v[49:50], v[36:37], -v[20:21]
	v_add_f64 v[32:33], v[32:33], -v[34:35]
	v_rcp_f64_e32 v[51:52], v[38:39]
	v_add_f64 v[36:37], v[36:37], -v[49:50]
	v_ldexp_f64 v[32:33], v[32:33], -2
	v_add_f64 v[20:21], v[36:37], -v[20:21]
	v_fma_f64 v[34:35], -v[38:39], v[51:52], 1.0
	v_add_f64 v[20:21], v[30:31], v[20:21]
	v_fma_f64 v[30:31], v[34:35], v[51:52], v[51:52]
	v_and_b32_e32 v35, 0x7fffffff, v13
	v_add_f64 v[20:21], v[20:21], -v[32:33]
	v_fma_f64 v[32:33], -v[38:39], v[30:31], 1.0
	v_add_f64 v[20:21], v[49:50], v[20:21]
	v_fma_f64 v[30:31], v[32:33], v[30:31], v[30:31]
	v_cndmask_b32_e32 v10, v45, v21, vcc
	v_cndmask_b32_e32 v34, 0, v20, vcc
	v_cmp_lt_f64_e64 vcc, |v[12:13]|, s[0:1]
	v_xor_b32_e32 v13, 0x80000000, v13
	s_mov_b32 s0, 0
	v_add_f64 v[20:21], v[38:39], -v[55:56]
	v_mul_f64 v[32:33], v[38:39], v[30:31]
	s_brev_b32 s1, 8
	v_cndmask_b32_e32 v10, v10, v35, vcc
	v_cndmask_b32_e32 v12, v34, v12, vcc
	v_bfi_b32 v13, s29, v10, v13
	v_fma_f64 v[34:35], v[12:13], v[12:13], 1.0
	v_add_f64 v[18:19], v[18:19], -v[20:21]
	v_fma_f64 v[20:21], v[30:31], v[38:39], -v[32:33]
	v_cmp_gt_f64_e32 vcc, s[0:1], v[34:35]
	v_cmp_eq_u32_e64 s[0:1], 0, v23
	v_fma_f64 v[18:19], v[30:31], v[18:19], v[20:21]
	v_cndmask_b32_e32 v10, 0, v46, vcc
	v_ldexp_f64 v[34:35], v[34:35], v10
	v_add_f64 v[36:37], v[32:33], v[18:19]
	v_cndmask_b32_e32 v23, 0, v47, vcc
	v_rsq_f64_e32 v[20:21], v[34:35]
	v_add_f64 v[40:41], -v[36:37], 1.0
	v_add_f64 v[32:33], v[36:37], -v[32:33]
	v_cmp_class_f64_e32 vcc, v[34:35], v42
	v_add_f64 v[51:52], -v[40:41], 1.0
	v_add_f64 v[18:19], v[32:33], -v[18:19]
	v_mul_f64 v[49:50], v[34:35], v[20:21]
	v_mul_f64 v[20:21], v[20:21], 0.5
	v_add_f64 v[36:37], v[51:52], -v[36:37]
	v_fma_f64 v[32:33], -v[20:21], v[49:50], 0.5
	v_add_f64 v[18:19], v[18:19], v[36:37]
	v_fma_f64 v[49:50], v[49:50], v[32:33], v[49:50]
	v_fma_f64 v[20:21], v[20:21], v[32:33], v[20:21]
	v_add_f64 v[18:19], v[40:41], v[18:19]
	v_fma_f64 v[32:33], -v[49:50], v[49:50], v[34:35]
	v_mul_f64 v[18:19], v[30:31], v[18:19]
	v_fma_f64 v[32:33], v[32:33], v[20:21], v[49:50]
	v_add_f64 v[18:19], v[30:31], v[18:19]
	v_and_b32_e32 v30, 0x80000000, v11
	v_fma_f64 v[36:37], -v[32:33], v[32:33], v[34:35]
	v_xor_b32_e32 v19, 0x80000000, v19
	v_cndmask_b32_e64 v19, v19, v39, s[0:1]
	v_cndmask_b32_e64 v18, v18, v38, s[0:1]
	v_xor_b32_e32 v19, v19, v30
	v_fma_f64 v[10:11], v[36:37], v[20:21], v[32:33]
	v_fma_f64 v[20:21], v[18:19], v[18:19], 1.0
	v_ldexp_f64 v[10:11], v[10:11], v23
	v_mul_f64 v[30:31], v[12:13], v[20:21]
	v_cndmask_b32_e32 v11, v11, v35, vcc
	v_cndmask_b32_e32 v10, v10, v34, vcc
	v_mul_f64 v[10:11], v[10:11], v[20:21]
	v_fma_f64 v[30:31], v[12:13], v[30:31], 1.0
	v_mul_f64 v[10:11], v[12:13], v[10:11]
	v_div_scale_f64 v[20:21], s[0:1], v[30:31], v[30:31], v[18:19]
	v_div_scale_f64 v[12:13], s[0:1], v[30:31], v[30:31], v[10:11]
	;; [unrolled: 1-line block ×3, first 2 shown]
	v_rcp_f64_e32 v[34:35], v[20:21]
	v_rcp_f64_e32 v[32:33], v[12:13]
	v_fma_f64 v[38:39], -v[20:21], v[34:35], 1.0
	v_fma_f64 v[36:37], -v[12:13], v[32:33], 1.0
	v_fma_f64 v[34:35], v[34:35], v[38:39], v[34:35]
	v_fma_f64 v[32:33], v[32:33], v[36:37], v[32:33]
	v_div_scale_f64 v[36:37], vcc, v[10:11], v[30:31], v[10:11]
	v_fma_f64 v[49:50], -v[20:21], v[34:35], 1.0
	v_fma_f64 v[38:39], -v[12:13], v[32:33], 1.0
	v_fma_f64 v[34:35], v[34:35], v[49:50], v[34:35]
	v_fma_f64 v[32:33], v[32:33], v[38:39], v[32:33]
	v_mul_f64 v[49:50], v[40:41], v[34:35]
	v_mul_f64 v[38:39], v[36:37], v[32:33]
	v_fma_f64 v[20:21], -v[20:21], v[49:50], v[40:41]
	v_fma_f64 v[12:13], -v[12:13], v[38:39], v[36:37]
	v_div_fmas_f64 v[12:13], v[12:13], v[32:33], v[38:39]
	s_mov_b64 vcc, s[0:1]
	v_div_fmas_f64 v[32:33], v[20:21], v[34:35], v[49:50]
	v_div_fixup_f64 v[20:21], v[12:13], v[30:31], v[10:11]
                                        ; implicit-def: $vgpr10_vgpr11
	v_div_fixup_f64 v[18:19], v[32:33], v[30:31], v[18:19]
.LBB99_264:                             ;   in Loop: Header=BB99_180 Depth=1
	s_andn2_saveexec_b64 s[0:1], s[48:49]
	s_cbranch_execz .LBB99_274
; %bb.265:                              ;   in Loop: Header=BB99_180 Depth=1
	v_cmp_nlt_f64_e64 s[48:49], |v[10:11]|, s[90:91]
                                        ; implicit-def: $vgpr34
                                        ; implicit-def: $vgpr18_vgpr19
                                        ; implicit-def: $vgpr20_vgpr21
	s_and_saveexec_b64 s[68:69], s[48:49]
	s_xor_b64 s[68:69], exec, s[68:69]
	s_cbranch_execz .LBB99_267
; %bb.266:                              ;   in Loop: Header=BB99_180 Depth=1
	v_trig_preop_f64 v[18:19], |v[10:11]|, 0
	v_ldexp_f64 v[20:21], |v[10:11]|, s35
	v_cmp_ge_f64_e64 vcc, |v[10:11]|, s[92:93]
	v_trig_preop_f64 v[30:31], |v[10:11]|, 1
	v_and_b32_e32 v23, 0x7fffffff, v11
	v_trig_preop_f64 v[38:39], |v[10:11]|, 2
	s_mov_b32 s4, s12
	s_mov_b32 s17, s9
	v_cndmask_b32_e32 v21, v23, v21, vcc
	v_cndmask_b32_e32 v20, v10, v20, vcc
	v_mul_f64 v[32:33], v[18:19], v[20:21]
	v_mul_f64 v[34:35], v[30:31], v[20:21]
	;; [unrolled: 1-line block ×3, first 2 shown]
	v_fma_f64 v[18:19], v[18:19], v[20:21], -v[32:33]
	v_fma_f64 v[30:31], v[30:31], v[20:21], -v[34:35]
	;; [unrolled: 1-line block ×3, first 2 shown]
	v_add_f64 v[36:37], v[34:35], v[18:19]
	v_add_f64 v[40:41], v[36:37], -v[34:35]
	v_add_f64 v[53:54], v[32:33], v[36:37]
	v_add_f64 v[49:50], v[36:37], -v[40:41]
	v_add_f64 v[18:19], v[18:19], -v[40:41]
	v_add_f64 v[40:41], v[51:52], v[30:31]
	v_add_f64 v[32:33], v[53:54], -v[32:33]
	v_add_f64 v[34:35], v[34:35], -v[49:50]
	v_ldexp_f64 v[49:50], v[53:54], -2
	v_add_f64 v[55:56], v[40:41], -v[51:52]
	v_add_f64 v[32:33], v[36:37], -v[32:33]
	v_add_f64 v[18:19], v[18:19], v[34:35]
	v_fract_f64_e32 v[34:35], v[49:50]
	v_cmp_neq_f64_e64 vcc, |v[49:50]|, s[94:95]
	v_add_f64 v[30:31], v[30:31], -v[55:56]
	v_add_f64 v[36:37], v[40:41], v[18:19]
	v_ldexp_f64 v[34:35], v[34:35], 2
	v_add_f64 v[49:50], v[32:33], v[36:37]
	v_cndmask_b32_e32 v35, 0, v35, vcc
	v_cndmask_b32_e32 v34, 0, v34, vcc
	v_add_f64 v[57:58], v[36:37], -v[40:41]
	v_add_f64 v[53:54], v[49:50], v[34:35]
	v_add_f64 v[32:33], v[49:50], -v[32:33]
	v_add_f64 v[59:60], v[36:37], -v[57:58]
	;; [unrolled: 1-line block ×3, first 2 shown]
	v_cmp_gt_f64_e32 vcc, 0, v[53:54]
	v_add_f64 v[53:54], v[40:41], -v[55:56]
	v_add_f64 v[32:33], v[36:37], -v[32:33]
	;; [unrolled: 1-line block ×3, first 2 shown]
	v_cndmask_b32_e32 v23, 0, v43, vcc
	v_add_f64 v[34:35], v[34:35], v[22:23]
	v_add_f64 v[53:54], v[51:52], -v[53:54]
	v_add_f64 v[18:19], v[18:19], v[40:41]
	v_add_f64 v[61:62], v[49:50], v[34:35]
	;; [unrolled: 1-line block ×3, first 2 shown]
	v_cvt_i32_f64_e32 v57, v[61:62]
	v_add_f64 v[18:19], v[30:31], v[18:19]
	v_cvt_f64_i32_e32 v[55:56], v57
	v_add_f64 v[34:35], v[34:35], -v[55:56]
	v_add_f64 v[18:19], v[20:21], v[18:19]
	v_add_f64 v[30:31], v[49:50], v[34:35]
	;; [unrolled: 1-line block ×3, first 2 shown]
	v_add_f64 v[20:21], v[30:31], -v[34:35]
	v_cmp_le_f64_e32 vcc, 0.5, v[30:31]
	v_add_f64 v[20:21], v[49:50], -v[20:21]
	v_cndmask_b32_e32 v23, 0, v44, vcc
	v_add_f64 v[18:19], v[18:19], v[20:21]
	v_add_f64 v[20:21], v[30:31], -v[22:23]
	v_add_f64 v[30:31], v[20:21], v[18:19]
	v_mul_f64 v[32:33], v[30:31], s[4:5]
	v_add_f64 v[20:21], v[30:31], -v[20:21]
	v_fma_f64 v[34:35], v[30:31], s[4:5], -v[32:33]
	v_add_f64 v[18:19], v[18:19], -v[20:21]
	v_fma_f64 v[20:21], v[30:31], s[16:17], v[34:35]
	v_addc_co_u32_e32 v34, vcc, 0, v57, vcc
	v_fma_f64 v[20:21], v[18:19], s[4:5], v[20:21]
	v_add_f64 v[18:19], v[32:33], v[20:21]
	v_add_f64 v[30:31], v[18:19], -v[32:33]
	v_add_f64 v[20:21], v[20:21], -v[30:31]
	s_andn2_saveexec_b64 s[68:69], s[68:69]
	s_cbranch_execz .LBB99_269
	s_branch .LBB99_268
.LBB99_267:                             ;   in Loop: Header=BB99_180 Depth=1
	s_andn2_saveexec_b64 s[68:69], s[68:69]
	s_cbranch_execz .LBB99_269
.LBB99_268:                             ;   in Loop: Header=BB99_180 Depth=1
	v_mul_f64 v[18:19], |v[10:11]|, s[6:7]
	s_mov_b32 s8, s14
	v_rndne_f64_e32 v[30:31], v[18:19]
	v_fma_f64 v[18:19], v[30:31], s[12:13], |v[10:11]|
	v_mul_f64 v[20:21], v[30:31], s[14:15]
	v_fma_f64 v[36:37], v[30:31], s[14:15], v[18:19]
	v_add_f64 v[32:33], v[18:19], v[20:21]
	v_add_f64 v[34:35], v[18:19], -v[32:33]
	v_add_f64 v[32:33], v[32:33], -v[36:37]
	v_add_f64 v[18:19], v[34:35], v[20:21]
	v_fma_f64 v[20:21], v[30:31], s[8:9], v[20:21]
	v_cvt_i32_f64_e32 v34, v[30:31]
	v_add_f64 v[18:19], v[32:33], v[18:19]
	v_add_f64 v[18:19], v[18:19], -v[20:21]
	v_fma_f64 v[20:21], v[30:31], s[10:11], v[18:19]
	v_add_f64 v[18:19], v[36:37], v[20:21]
	v_add_f64 v[32:33], v[18:19], -v[36:37]
	v_add_f64 v[20:21], v[20:21], -v[32:33]
.LBB99_269:                             ;   in Loop: Header=BB99_180 Depth=1
	s_or_b64 exec, exec, s[68:69]
                                        ; implicit-def: $vgpr23
                                        ; implicit-def: $vgpr30_vgpr31
                                        ; implicit-def: $vgpr32_vgpr33
	s_and_saveexec_b64 s[68:69], s[48:49]
	s_xor_b64 s[48:49], exec, s[68:69]
	s_cbranch_execz .LBB99_271
; %bb.270:                              ;   in Loop: Header=BB99_180 Depth=1
	v_trig_preop_f64 v[30:31], |v[10:11]|, 0
	v_ldexp_f64 v[32:33], |v[10:11]|, s35
	v_cmp_ge_f64_e64 vcc, |v[10:11]|, s[92:93]
	v_trig_preop_f64 v[35:36], |v[10:11]|, 1
	v_and_b32_e32 v23, 0x7fffffff, v11
	v_trig_preop_f64 v[51:52], |v[10:11]|, 2
	s_mov_b32 s4, s12
	s_mov_b32 s17, s9
	v_cndmask_b32_e32 v33, v23, v33, vcc
	v_cndmask_b32_e32 v32, v10, v32, vcc
	v_mul_f64 v[37:38], v[30:31], v[32:33]
	v_mul_f64 v[39:40], v[35:36], v[32:33]
	;; [unrolled: 1-line block ×3, first 2 shown]
	v_fma_f64 v[30:31], v[30:31], v[32:33], -v[37:38]
	v_fma_f64 v[35:36], v[35:36], v[32:33], -v[39:40]
	;; [unrolled: 1-line block ×3, first 2 shown]
	v_add_f64 v[49:50], v[39:40], v[30:31]
	v_add_f64 v[53:54], v[49:50], -v[39:40]
	v_add_f64 v[59:60], v[37:38], v[49:50]
	v_add_f64 v[55:56], v[49:50], -v[53:54]
	v_add_f64 v[30:31], v[30:31], -v[53:54]
	v_add_f64 v[53:54], v[57:58], v[35:36]
	v_add_f64 v[37:38], v[59:60], -v[37:38]
	v_add_f64 v[39:40], v[39:40], -v[55:56]
	v_ldexp_f64 v[55:56], v[59:60], -2
	v_add_f64 v[61:62], v[53:54], -v[57:58]
	v_add_f64 v[37:38], v[49:50], -v[37:38]
	v_add_f64 v[30:31], v[30:31], v[39:40]
	v_fract_f64_e32 v[39:40], v[55:56]
	v_cmp_neq_f64_e64 vcc, |v[55:56]|, s[94:95]
	v_add_f64 v[35:36], v[35:36], -v[61:62]
	v_add_f64 v[49:50], v[53:54], v[30:31]
	v_ldexp_f64 v[39:40], v[39:40], 2
	v_add_f64 v[55:56], v[37:38], v[49:50]
	v_cndmask_b32_e32 v40, 0, v40, vcc
	v_cndmask_b32_e32 v39, 0, v39, vcc
	v_add_f64 v[63:64], v[49:50], -v[53:54]
	v_add_f64 v[59:60], v[55:56], v[39:40]
	v_add_f64 v[37:38], v[55:56], -v[37:38]
	v_add_f64 v[65:66], v[49:50], -v[63:64]
	;; [unrolled: 1-line block ×3, first 2 shown]
	v_cmp_gt_f64_e32 vcc, 0, v[59:60]
	v_add_f64 v[59:60], v[53:54], -v[61:62]
	v_add_f64 v[37:38], v[49:50], -v[37:38]
	;; [unrolled: 1-line block ×3, first 2 shown]
	v_cndmask_b32_e32 v23, 0, v43, vcc
	v_add_f64 v[39:40], v[39:40], v[22:23]
	v_add_f64 v[59:60], v[57:58], -v[59:60]
	v_add_f64 v[30:31], v[30:31], v[53:54]
	v_add_f64 v[67:68], v[55:56], v[39:40]
	;; [unrolled: 1-line block ×3, first 2 shown]
	v_cvt_i32_f64_e32 v41, v[67:68]
	v_add_f64 v[30:31], v[35:36], v[30:31]
	v_cvt_f64_i32_e32 v[61:62], v41
	v_add_f64 v[39:40], v[39:40], -v[61:62]
	v_add_f64 v[30:31], v[32:33], v[30:31]
	v_add_f64 v[35:36], v[55:56], v[39:40]
	;; [unrolled: 1-line block ×3, first 2 shown]
	v_add_f64 v[32:33], v[35:36], -v[39:40]
	v_cmp_le_f64_e32 vcc, 0.5, v[35:36]
	v_add_f64 v[32:33], v[55:56], -v[32:33]
	v_cndmask_b32_e32 v23, 0, v44, vcc
	v_add_f64 v[30:31], v[30:31], v[32:33]
	v_add_f64 v[32:33], v[35:36], -v[22:23]
	v_addc_co_u32_e32 v23, vcc, 0, v41, vcc
	v_add_f64 v[35:36], v[32:33], v[30:31]
	v_mul_f64 v[37:38], v[35:36], s[4:5]
	v_add_f64 v[32:33], v[35:36], -v[32:33]
	v_fma_f64 v[39:40], v[35:36], s[4:5], -v[37:38]
	v_add_f64 v[30:31], v[30:31], -v[32:33]
	v_fma_f64 v[32:33], v[35:36], s[16:17], v[39:40]
	v_fma_f64 v[32:33], v[30:31], s[4:5], v[32:33]
	v_add_f64 v[30:31], v[37:38], v[32:33]
	v_add_f64 v[35:36], v[30:31], -v[37:38]
	v_add_f64 v[32:33], v[32:33], -v[35:36]
	s_andn2_saveexec_b64 s[48:49], s[48:49]
	s_cbranch_execnz .LBB99_272
	s_branch .LBB99_273
.LBB99_271:                             ;   in Loop: Header=BB99_180 Depth=1
	s_andn2_saveexec_b64 s[48:49], s[48:49]
	s_cbranch_execz .LBB99_273
.LBB99_272:                             ;   in Loop: Header=BB99_180 Depth=1
	v_mul_f64 v[30:31], |v[10:11]|, s[6:7]
	s_mov_b32 s8, s14
	v_rndne_f64_e32 v[35:36], v[30:31]
	v_fma_f64 v[30:31], v[35:36], s[12:13], |v[10:11]|
	v_mul_f64 v[32:33], v[35:36], s[14:15]
	v_cvt_i32_f64_e32 v23, v[35:36]
	v_fma_f64 v[49:50], v[35:36], s[14:15], v[30:31]
	v_add_f64 v[37:38], v[30:31], v[32:33]
	v_add_f64 v[39:40], v[30:31], -v[37:38]
	v_add_f64 v[37:38], v[37:38], -v[49:50]
	v_add_f64 v[30:31], v[39:40], v[32:33]
	v_fma_f64 v[32:33], v[35:36], s[8:9], v[32:33]
	v_add_f64 v[30:31], v[37:38], v[30:31]
	v_add_f64 v[30:31], v[30:31], -v[32:33]
	v_fma_f64 v[32:33], v[35:36], s[10:11], v[30:31]
	v_add_f64 v[30:31], v[49:50], v[32:33]
	v_add_f64 v[37:38], v[30:31], -v[49:50]
	v_add_f64 v[32:33], v[32:33], -v[37:38]
.LBB99_273:                             ;   in Loop: Header=BB99_180 Depth=1
	s_or_b64 exec, exec, s[48:49]
	v_mul_f64 v[35:36], |v[12:13]|, s[20:21]
	s_mov_b32 s48, 0x3b39803f
	s_mov_b32 s49, 0xbc7abc9e
	v_mul_f64 v[49:50], v[18:19], v[18:19]
	v_mov_b32_e32 v53, s80
	v_mov_b32_e32 v54, s81
	v_mul_f64 v[55:56], v[30:31], v[30:31]
	v_mov_b32_e32 v51, s70
	v_rndne_f64_e32 v[35:36], v[35:36]
	v_mov_b32_e32 v52, s71
	v_mul_f64 v[57:58], v[20:21], 0.5
	v_fma_f64 v[59:60], v[49:50], s[82:83], v[53:54]
	v_fma_f64 v[61:62], v[49:50], s[72:73], v[51:52]
	v_mul_f64 v[63:64], v[49:50], 0.5
	v_fma_f64 v[53:54], v[55:56], s[82:83], v[53:54]
	v_mul_f64 v[67:68], v[55:56], 0.5
	v_fma_f64 v[37:38], v[35:36], s[22:23], -|v[12:13]|
	v_fma_f64 v[51:52], v[55:56], s[72:73], v[51:52]
	s_mov_b32 s61, s25
	v_fma_f64 v[59:60], v[49:50], v[59:60], s[84:85]
	v_fma_f64 v[61:62], v[49:50], v[61:62], s[74:75]
	v_add_f64 v[69:70], -v[63:64], 1.0
	v_fma_f64 v[53:54], v[55:56], v[53:54], s[84:85]
	v_mul_f64 v[71:72], v[18:19], -v[49:50]
	v_fma_f64 v[37:38], v[35:36], s[48:49], v[37:38]
	v_add_f64 v[73:74], -v[67:68], 1.0
	v_fma_f64 v[51:52], v[55:56], v[51:52], s[74:75]
	v_fma_f64 v[59:60], v[49:50], v[59:60], s[86:87]
	;; [unrolled: 1-line block ×3, first 2 shown]
	v_add_f64 v[75:76], -v[69:70], 1.0
	v_fma_f64 v[53:54], v[55:56], v[53:54], s[86:87]
	v_mul_f64 v[65:66], v[32:33], 0.5
	v_fma_f64 v[39:40], v[37:38], s[50:51], v[28:29]
	v_mul_f64 v[77:78], v[30:31], -v[55:56]
	s_mov_b32 s63, s37
	v_fma_f64 v[59:60], v[49:50], v[59:60], s[24:25]
	v_add_f64 v[79:80], -v[73:74], 1.0
	v_fma_f64 v[51:52], v[55:56], v[51:52], s[76:77]
	v_fma_f64 v[53:54], v[55:56], v[53:54], s[24:25]
	;; [unrolled: 1-line block ×4, first 2 shown]
	v_add_f64 v[63:64], v[75:76], -v[63:64]
	s_mov_b32 s26, s36
	v_fma_f64 v[57:58], v[71:72], v[59:60], v[57:58]
	v_mul_f64 v[59:60], v[49:50], v[49:50]
	v_add_f64 v[67:68], v[79:80], -v[67:68]
	v_fma_f64 v[53:54], v[77:78], v[53:54], v[65:66]
	v_fma_f64 v[51:52], v[55:56], v[51:52], s[78:79]
	v_fma_f64 v[39:40], v[37:38], v[39:40], s[54:55]
	v_fma_f64 v[61:62], v[49:50], v[61:62], s[36:37]
	v_fma_f64 v[63:64], v[18:19], -v[20:21], v[63:64]
	v_fma_f64 v[20:21], v[49:50], v[57:58], -v[20:21]
	v_mul_f64 v[49:50], v[55:56], v[55:56]
	v_lshlrev_b32_e32 v10, 30, v34
	v_fma_f64 v[53:54], v[55:56], v[53:54], -v[32:33]
	v_fma_f64 v[51:52], v[55:56], v[51:52], s[36:37]
	v_fma_f64 v[39:40], v[37:38], v[39:40], s[56:57]
	v_fma_f64 v[32:33], v[30:31], -v[32:33], v[67:68]
	v_fma_f64 v[55:56], v[59:60], v[61:62], v[63:64]
	v_fma_f64 v[20:21], v[71:72], s[26:27], v[20:21]
	v_xor_b32_e32 v57, v10, v11
	v_and_b32_e32 v41, 1, v34
	v_fma_f64 v[10:11], v[77:78], s[26:27], v[53:54]
	v_cmp_eq_u32_e32 vcc, 0, v41
	v_fma_f64 v[39:40], v[37:38], v[39:40], s[58:59]
	v_fma_f64 v[32:33], v[49:50], v[51:52], v[32:33]
	v_add_f64 v[49:50], v[69:70], v[55:56]
	v_add_f64 v[18:19], v[18:19], -v[20:21]
	v_cvt_i32_f64_e32 v35, v[35:36]
	v_and_b32_e32 v34, 1, v23
	v_add_f64 v[10:11], v[30:31], -v[10:11]
	v_lshlrev_b32_e32 v23, 30, v23
	v_fma_f64 v[39:40], v[37:38], v[39:40], s[60:61]
	v_add_f64 v[30:31], v[73:74], v[32:33]
	s_mov_b32 s48, 0
	v_cndmask_b32_e32 v19, v50, v19, vcc
	v_cndmask_b32_e32 v18, v49, v18, vcc
	v_cmp_eq_u32_e32 vcc, 0, v34
	v_xor_b32_e32 v11, 0x80000000, v11
	v_and_b32_e32 v23, 0x80000000, v23
	v_fma_f64 v[39:40], v[37:38], v[39:40], s[62:63]
	v_cndmask_b32_e32 v11, v11, v31, vcc
	s_mov_b32 s49, 0x4090cc00
	v_cndmask_b32_e32 v10, v10, v30, vcc
	v_xor_b32_e32 v11, v11, v23
	v_cmp_ngt_f64_e64 vcc, |v[12:13]|, s[48:49]
	v_fma_f64 v[39:40], v[37:38], v[39:40], s[64:65]
	v_fma_f64 v[39:40], v[37:38], v[39:40], s[66:67]
	v_fma_f64 v[20:21], v[37:38], v[39:40], 1.0
	v_and_b32_e32 v39, 0x80000000, v57
	v_xor_b32_e32 v19, v19, v39
	v_mul_f64 v[18:19], v[18:19], 4.0
	v_fma_f64 v[20:21], v[37:38], v[20:21], 1.0
	v_mul_f64 v[10:11], v[18:19], v[10:11]
	v_ldexp_f64 v[20:21], v[20:21], v35
	v_cndmask_b32_e32 v19, 0, v21, vcc
	v_cndmask_b32_e32 v18, 0, v20, vcc
	v_mul_f64 v[10:11], v[18:19], v[10:11]
	v_mul_f64 v[18:19], v[18:19], v[10:11]
	v_xor_b32_e32 v10, 0x80000000, v13
	v_bfi_b32 v23, s29, v44, v10
	v_mov_b32_e32 v20, v22
	v_mov_b32_e32 v21, v23
.LBB99_274:                             ;   in Loop: Header=BB99_180 Depth=1
	s_or_b64 exec, exec, s[0:1]
                                        ; implicit-def: $vgpr10_vgpr11
.LBB99_275:                             ;   in Loop: Header=BB99_180 Depth=1
	s_andn2_saveexec_b64 s[0:1], s[46:47]
	s_cbranch_execz .LBB99_277
; %bb.276:                              ;   in Loop: Header=BB99_180 Depth=1
	v_add_f64 v[18:19], v[10:11], -v[10:11]
	v_mov_b32_e32 v21, v19
	v_mov_b32_e32 v20, v18
.LBB99_277:                             ;   in Loop: Header=BB99_180 Depth=1
	s_or_b64 exec, exec, s[0:1]
                                        ; implicit-def: $vgpr10_vgpr11
.LBB99_278:                             ;   in Loop: Header=BB99_180 Depth=1
	s_andn2_saveexec_b64 s[38:39], s[38:39]
	s_cbranch_execz .LBB99_294
; %bb.279:                              ;   in Loop: Header=BB99_180 Depth=1
	v_and_or_b32 v18, v21, s42, v20
	v_cmp_ne_u32_e32 vcc, 0, v18
	s_and_saveexec_b64 s[0:1], vcc
	s_xor_b64 s[0:1], exec, s[0:1]
	s_cbranch_execz .LBB99_281
; %bb.280:                              ;   in Loop: Header=BB99_180 Depth=1
	v_mul_f64 v[12:13], v[10:11], -v[12:13]
	v_cmp_eq_f64_e32 vcc, 0, v[10:11]
	v_cndmask_b32_e32 v19, v13, v11, vcc
	v_cndmask_b32_e32 v18, v12, v10, vcc
                                        ; implicit-def: $vgpr10_vgpr11
.LBB99_281:                             ;   in Loop: Header=BB99_180 Depth=1
	s_andn2_saveexec_b64 s[46:47], s[0:1]
	s_cbranch_execz .LBB99_293
; %bb.282:                              ;   in Loop: Header=BB99_180 Depth=1
	v_cmp_neq_f64_e64 s[0:1], |v[10:11]|, s[94:95]
	s_and_saveexec_b64 s[48:49], s[0:1]
	s_cbranch_execz .LBB99_292
; %bb.283:                              ;   in Loop: Header=BB99_180 Depth=1
	v_trig_preop_f64 v[36:37], |v[10:11]|, 0
	v_trig_preop_f64 v[34:35], |v[10:11]|, 1
	;; [unrolled: 1-line block ×3, first 2 shown]
	v_cmp_nlt_f64_e64 s[0:1], |v[10:11]|, s[90:91]
	v_ldexp_f64 v[38:39], |v[10:11]|, s35
	v_and_b32_e32 v50, 0x7fffffff, v11
                                        ; implicit-def: $vgpr49
                                        ; implicit-def: $vgpr12_vgpr13
                                        ; implicit-def: $vgpr18_vgpr19
	s_and_saveexec_b64 s[68:69], s[0:1]
	s_xor_b64 s[68:69], exec, s[68:69]
	s_cbranch_execz .LBB99_285
; %bb.284:                              ;   in Loop: Header=BB99_180 Depth=1
	v_cmp_ge_f64_e64 vcc, |v[10:11]|, s[92:93]
	s_mov_b32 s4, s12
	s_mov_b32 s17, s9
	v_cndmask_b32_e32 v13, v50, v39, vcc
	v_cndmask_b32_e32 v12, v10, v38, vcc
	v_mul_f64 v[18:19], v[36:37], v[12:13]
	v_mul_f64 v[32:33], v[34:35], v[12:13]
	;; [unrolled: 1-line block ×3, first 2 shown]
	v_fma_f64 v[40:41], v[36:37], v[12:13], -v[18:19]
	v_fma_f64 v[59:60], v[34:35], v[12:13], -v[32:33]
	;; [unrolled: 1-line block ×3, first 2 shown]
	v_add_f64 v[51:52], v[32:33], v[40:41]
	v_add_f64 v[53:54], v[51:52], -v[32:33]
	v_add_f64 v[61:62], v[18:19], v[51:52]
	v_add_f64 v[55:56], v[51:52], -v[53:54]
	v_add_f64 v[40:41], v[40:41], -v[53:54]
	v_add_f64 v[53:54], v[57:58], v[59:60]
	v_add_f64 v[18:19], v[61:62], -v[18:19]
	v_add_f64 v[32:33], v[32:33], -v[55:56]
	v_ldexp_f64 v[55:56], v[61:62], -2
	v_add_f64 v[63:64], v[53:54], -v[57:58]
	v_add_f64 v[18:19], v[51:52], -v[18:19]
	v_add_f64 v[32:33], v[40:41], v[32:33]
	v_fract_f64_e32 v[40:41], v[55:56]
	v_cmp_neq_f64_e64 vcc, |v[55:56]|, s[94:95]
	v_add_f64 v[59:60], v[59:60], -v[63:64]
	v_add_f64 v[51:52], v[53:54], v[32:33]
	v_ldexp_f64 v[40:41], v[40:41], 2
	v_add_f64 v[55:56], v[18:19], v[51:52]
	v_cndmask_b32_e32 v41, 0, v41, vcc
	v_cndmask_b32_e32 v40, 0, v40, vcc
	v_add_f64 v[65:66], v[51:52], -v[53:54]
	v_add_f64 v[61:62], v[55:56], v[40:41]
	v_add_f64 v[18:19], v[55:56], -v[18:19]
	v_add_f64 v[67:68], v[51:52], -v[65:66]
	;; [unrolled: 1-line block ×3, first 2 shown]
	v_cmp_gt_f64_e32 vcc, 0, v[61:62]
	v_add_f64 v[61:62], v[53:54], -v[63:64]
	v_add_f64 v[18:19], v[51:52], -v[18:19]
	;; [unrolled: 1-line block ×3, first 2 shown]
	v_cndmask_b32_e32 v23, 0, v43, vcc
	v_add_f64 v[40:41], v[40:41], v[22:23]
	v_add_f64 v[61:62], v[57:58], -v[61:62]
	v_add_f64 v[32:33], v[32:33], v[53:54]
	v_add_f64 v[69:70], v[55:56], v[40:41]
	;; [unrolled: 1-line block ×3, first 2 shown]
	v_cvt_i32_f64_e32 v49, v[69:70]
	v_add_f64 v[32:33], v[59:60], v[32:33]
	v_cvt_f64_i32_e32 v[63:64], v49
	v_add_f64 v[40:41], v[40:41], -v[63:64]
	v_add_f64 v[12:13], v[12:13], v[32:33]
	v_add_f64 v[53:54], v[55:56], v[40:41]
	;; [unrolled: 1-line block ×3, first 2 shown]
	v_add_f64 v[32:33], v[53:54], -v[40:41]
	v_cmp_le_f64_e32 vcc, 0.5, v[53:54]
	v_add_f64 v[18:19], v[55:56], -v[32:33]
	v_cndmask_b32_e32 v23, 0, v44, vcc
	v_addc_co_u32_e32 v49, vcc, 0, v49, vcc
	v_add_f64 v[12:13], v[12:13], v[18:19]
	v_add_f64 v[18:19], v[53:54], -v[22:23]
	v_add_f64 v[32:33], v[18:19], v[12:13]
	v_mul_f64 v[40:41], v[32:33], s[4:5]
	v_add_f64 v[18:19], v[32:33], -v[18:19]
	v_fma_f64 v[51:52], v[32:33], s[4:5], -v[40:41]
	v_add_f64 v[12:13], v[12:13], -v[18:19]
	v_fma_f64 v[18:19], v[32:33], s[16:17], v[51:52]
	v_fma_f64 v[18:19], v[12:13], s[4:5], v[18:19]
	v_add_f64 v[12:13], v[40:41], v[18:19]
	v_add_f64 v[32:33], v[12:13], -v[40:41]
	v_add_f64 v[18:19], v[18:19], -v[32:33]
	s_andn2_saveexec_b64 s[68:69], s[68:69]
	s_cbranch_execz .LBB99_287
	s_branch .LBB99_286
.LBB99_285:                             ;   in Loop: Header=BB99_180 Depth=1
	s_andn2_saveexec_b64 s[68:69], s[68:69]
	s_cbranch_execz .LBB99_287
.LBB99_286:                             ;   in Loop: Header=BB99_180 Depth=1
	v_mul_f64 v[12:13], |v[10:11]|, s[6:7]
	s_mov_b32 s8, s14
	v_rndne_f64_e32 v[32:33], v[12:13]
	v_fma_f64 v[12:13], v[32:33], s[12:13], |v[10:11]|
	v_mul_f64 v[18:19], v[32:33], s[14:15]
	v_cvt_i32_f64_e32 v49, v[32:33]
	v_fma_f64 v[53:54], v[32:33], s[14:15], v[12:13]
	v_add_f64 v[40:41], v[12:13], v[18:19]
	v_add_f64 v[51:52], v[12:13], -v[40:41]
	v_add_f64 v[40:41], v[40:41], -v[53:54]
	v_add_f64 v[12:13], v[51:52], v[18:19]
	v_fma_f64 v[18:19], v[32:33], s[8:9], v[18:19]
	v_add_f64 v[12:13], v[40:41], v[12:13]
	v_add_f64 v[12:13], v[12:13], -v[18:19]
	v_fma_f64 v[18:19], v[32:33], s[10:11], v[12:13]
	v_add_f64 v[12:13], v[53:54], v[18:19]
	v_add_f64 v[40:41], v[12:13], -v[53:54]
	v_add_f64 v[18:19], v[18:19], -v[40:41]
.LBB99_287:                             ;   in Loop: Header=BB99_180 Depth=1
	s_or_b64 exec, exec, s[68:69]
                                        ; implicit-def: $vgpr23
                                        ; implicit-def: $vgpr32_vgpr33
                                        ; implicit-def: $vgpr40_vgpr41
	s_and_saveexec_b64 s[68:69], s[0:1]
	s_xor_b64 s[0:1], exec, s[68:69]
	s_cbranch_execz .LBB99_289
; %bb.288:                              ;   in Loop: Header=BB99_180 Depth=1
	v_cmp_ge_f64_e64 vcc, |v[10:11]|, s[92:93]
	s_mov_b32 s4, s12
	s_mov_b32 s17, s9
	v_cndmask_b32_e32 v33, v50, v39, vcc
	v_cndmask_b32_e32 v32, v10, v38, vcc
	v_mul_f64 v[38:39], v[36:37], v[32:33]
	v_mul_f64 v[40:41], v[34:35], v[32:33]
	;; [unrolled: 1-line block ×3, first 2 shown]
	v_fma_f64 v[36:37], v[36:37], v[32:33], -v[38:39]
	v_fma_f64 v[34:35], v[34:35], v[32:33], -v[40:41]
	v_fma_f64 v[30:31], v[30:31], v[32:33], -v[56:57]
	v_add_f64 v[50:51], v[40:41], v[36:37]
	v_add_f64 v[52:53], v[50:51], -v[40:41]
	v_add_f64 v[58:59], v[38:39], v[50:51]
	v_add_f64 v[54:55], v[50:51], -v[52:53]
	v_add_f64 v[36:37], v[36:37], -v[52:53]
	v_add_f64 v[52:53], v[56:57], v[34:35]
	v_add_f64 v[38:39], v[58:59], -v[38:39]
	v_add_f64 v[40:41], v[40:41], -v[54:55]
	v_ldexp_f64 v[54:55], v[58:59], -2
	v_add_f64 v[60:61], v[52:53], -v[56:57]
	v_add_f64 v[38:39], v[50:51], -v[38:39]
	v_add_f64 v[36:37], v[36:37], v[40:41]
	v_fract_f64_e32 v[40:41], v[54:55]
	v_cmp_neq_f64_e64 vcc, |v[54:55]|, s[94:95]
	v_add_f64 v[34:35], v[34:35], -v[60:61]
	v_add_f64 v[50:51], v[52:53], v[36:37]
	v_ldexp_f64 v[40:41], v[40:41], 2
	v_add_f64 v[54:55], v[38:39], v[50:51]
	v_cndmask_b32_e32 v41, 0, v41, vcc
	v_cndmask_b32_e32 v40, 0, v40, vcc
	v_add_f64 v[62:63], v[50:51], -v[52:53]
	v_add_f64 v[58:59], v[54:55], v[40:41]
	v_add_f64 v[32:33], v[54:55], -v[38:39]
	v_add_f64 v[64:65], v[50:51], -v[62:63]
	;; [unrolled: 1-line block ×3, first 2 shown]
	v_cmp_gt_f64_e32 vcc, 0, v[58:59]
	v_add_f64 v[58:59], v[52:53], -v[60:61]
	v_add_f64 v[32:33], v[50:51], -v[32:33]
	;; [unrolled: 1-line block ×3, first 2 shown]
	v_cndmask_b32_e32 v23, 0, v43, vcc
	v_add_f64 v[40:41], v[40:41], v[22:23]
	v_add_f64 v[58:59], v[56:57], -v[58:59]
	v_add_f64 v[36:37], v[36:37], v[52:53]
	v_add_f64 v[66:67], v[54:55], v[40:41]
	;; [unrolled: 1-line block ×3, first 2 shown]
	v_cvt_i32_f64_e32 v62, v[66:67]
	v_add_f64 v[34:35], v[34:35], v[36:37]
	v_cvt_f64_i32_e32 v[60:61], v62
	v_add_f64 v[40:41], v[40:41], -v[60:61]
	v_add_f64 v[30:31], v[30:31], v[34:35]
	v_add_f64 v[36:37], v[54:55], v[40:41]
	v_add_f64 v[30:31], v[32:33], v[30:31]
	v_add_f64 v[34:35], v[36:37], -v[40:41]
	v_cmp_le_f64_e32 vcc, 0.5, v[36:37]
	v_add_f64 v[32:33], v[54:55], -v[34:35]
	v_cndmask_b32_e32 v23, 0, v44, vcc
	v_add_f64 v[30:31], v[30:31], v[32:33]
	v_add_f64 v[32:33], v[36:37], -v[22:23]
	v_addc_co_u32_e32 v23, vcc, 0, v62, vcc
	v_add_f64 v[34:35], v[32:33], v[30:31]
	v_mul_f64 v[36:37], v[34:35], s[4:5]
	v_add_f64 v[32:33], v[34:35], -v[32:33]
	v_fma_f64 v[38:39], v[34:35], s[4:5], -v[36:37]
	v_add_f64 v[30:31], v[30:31], -v[32:33]
	v_fma_f64 v[32:33], v[34:35], s[16:17], v[38:39]
	v_fma_f64 v[30:31], v[30:31], s[4:5], v[32:33]
	v_add_f64 v[32:33], v[36:37], v[30:31]
	v_add_f64 v[34:35], v[32:33], -v[36:37]
	v_add_f64 v[40:41], v[30:31], -v[34:35]
	s_andn2_saveexec_b64 s[0:1], s[0:1]
	s_cbranch_execnz .LBB99_290
	s_branch .LBB99_291
.LBB99_289:                             ;   in Loop: Header=BB99_180 Depth=1
	s_andn2_saveexec_b64 s[0:1], s[0:1]
	s_cbranch_execz .LBB99_291
.LBB99_290:                             ;   in Loop: Header=BB99_180 Depth=1
	v_mul_f64 v[30:31], |v[10:11]|, s[6:7]
	s_mov_b32 s8, s14
	v_rndne_f64_e32 v[30:31], v[30:31]
	v_fma_f64 v[32:33], v[30:31], s[12:13], |v[10:11]|
	v_mul_f64 v[34:35], v[30:31], s[14:15]
	v_cvt_i32_f64_e32 v23, v[30:31]
	v_fma_f64 v[40:41], v[30:31], s[14:15], v[32:33]
	v_add_f64 v[36:37], v[32:33], v[34:35]
	v_add_f64 v[38:39], v[32:33], -v[36:37]
	v_add_f64 v[36:37], v[36:37], -v[40:41]
	v_add_f64 v[32:33], v[38:39], v[34:35]
	v_fma_f64 v[34:35], v[30:31], s[8:9], v[34:35]
	v_add_f64 v[32:33], v[36:37], v[32:33]
	v_add_f64 v[32:33], v[32:33], -v[34:35]
	v_fma_f64 v[34:35], v[30:31], s[10:11], v[32:33]
	v_add_f64 v[32:33], v[40:41], v[34:35]
	v_add_f64 v[36:37], v[32:33], -v[40:41]
	v_add_f64 v[40:41], v[34:35], -v[36:37]
.LBB99_291:                             ;   in Loop: Header=BB99_180 Depth=1
	s_or_b64 exec, exec, s[0:1]
	v_mul_f64 v[30:31], v[12:13], v[12:13]
	v_mul_f64 v[34:35], v[32:33], v[32:33]
	v_mov_b32_e32 v36, s80
	v_mov_b32_e32 v37, s81
	;; [unrolled: 1-line block ×4, first 2 shown]
	v_mul_f64 v[60:61], v[18:19], 0.5
	v_mul_f64 v[68:69], v[40:41], 0.5
	v_fma_f64 v[38:39], v[30:31], s[82:83], v[36:37]
	v_fma_f64 v[36:37], v[34:35], s[82:83], v[36:37]
	;; [unrolled: 1-line block ×3, first 2 shown]
	v_mul_f64 v[54:55], v[30:31], 0.5
	v_fma_f64 v[50:51], v[34:35], s[72:73], v[50:51]
	v_mul_f64 v[56:57], v[34:35], 0.5
	v_mul_f64 v[62:63], v[12:13], -v[30:31]
	v_mul_f64 v[70:71], v[32:33], -v[34:35]
	v_fma_f64 v[38:39], v[30:31], v[38:39], s[84:85]
	v_fma_f64 v[36:37], v[34:35], v[36:37], s[84:85]
	;; [unrolled: 1-line block ×3, first 2 shown]
	v_add_f64 v[58:59], -v[54:55], 1.0
	v_fma_f64 v[50:51], v[34:35], v[50:51], s[74:75]
	v_add_f64 v[64:65], -v[56:57], 1.0
	s_mov_b32 s26, s36
	v_cmp_class_f64_e64 s[0:1], v[10:11], s31
	v_fma_f64 v[38:39], v[30:31], v[38:39], s[86:87]
	v_fma_f64 v[36:37], v[34:35], v[36:37], s[86:87]
	;; [unrolled: 1-line block ×3, first 2 shown]
	v_add_f64 v[66:67], -v[58:59], 1.0
	v_fma_f64 v[50:51], v[34:35], v[50:51], s[76:77]
	v_add_f64 v[72:73], -v[64:65], 1.0
	v_fma_f64 v[38:39], v[30:31], v[38:39], s[24:25]
	v_fma_f64 v[36:37], v[34:35], v[36:37], s[24:25]
	;; [unrolled: 1-line block ×3, first 2 shown]
	v_add_f64 v[54:55], v[66:67], -v[54:55]
	v_fma_f64 v[50:51], v[34:35], v[50:51], s[78:79]
	v_add_f64 v[56:57], v[72:73], -v[56:57]
	v_fma_f64 v[38:39], v[62:63], v[38:39], v[60:61]
	v_fma_f64 v[36:37], v[70:71], v[36:37], v[68:69]
	v_mul_f64 v[60:61], v[30:31], v[30:31]
	v_fma_f64 v[52:53], v[30:31], v[52:53], s[36:37]
	v_fma_f64 v[54:55], v[12:13], -v[18:19], v[54:55]
	v_fma_f64 v[18:19], v[30:31], v[38:39], -v[18:19]
	v_fma_f64 v[36:37], v[34:35], v[36:37], -v[40:41]
	v_mul_f64 v[30:31], v[34:35], v[34:35]
	v_fma_f64 v[34:35], v[34:35], v[50:51], s[36:37]
	v_fma_f64 v[38:39], v[32:33], -v[40:41], v[56:57]
	v_fma_f64 v[40:41], v[60:61], v[52:53], v[54:55]
	v_and_b32_e32 v50, 1, v49
	v_lshlrev_b32_e32 v49, 30, v49
	v_fma_f64 v[18:19], v[62:63], s[26:27], v[18:19]
	v_fma_f64 v[36:37], v[70:71], s[26:27], v[36:37]
	v_cmp_eq_u32_e32 vcc, 0, v50
	v_fma_f64 v[30:31], v[30:31], v[34:35], v[38:39]
	v_add_f64 v[34:35], v[58:59], v[40:41]
	v_and_b32_e32 v38, 1, v23
	v_lshlrev_b32_e32 v23, 30, v23
	v_add_f64 v[12:13], v[12:13], -v[18:19]
	v_add_f64 v[18:19], v[32:33], -v[36:37]
	v_xor_b32_e32 v39, v49, v11
	v_and_b32_e32 v23, 0x80000000, v23
	v_add_f64 v[30:31], v[64:65], v[30:31]
	v_and_b32_e32 v32, 0x80000000, v39
	v_cndmask_b32_e32 v12, v34, v12, vcc
	v_cndmask_b32_e32 v10, v35, v13, vcc
	v_xor_b32_e32 v11, 0x80000000, v19
	v_cmp_eq_u32_e32 vcc, 0, v38
	v_cndmask_b32_e32 v11, v11, v31, vcc
	v_cndmask_b32_e32 v13, v18, v30, vcc
	v_xor_b32_e32 v18, v10, v32
	v_xor_b32_e32 v19, v11, v23
	v_cndmask_b32_e64 v10, 0, v12, s[0:1]
	v_cndmask_b32_e64 v11, v48, v18, s[0:1]
	;; [unrolled: 1-line block ×4, first 2 shown]
	v_mul_f64 v[10:11], v[10:11], v[12:13]
.LBB99_292:                             ;   in Loop: Header=BB99_180 Depth=1
	s_or_b64 exec, exec, s[48:49]
	v_bfi_b32 v23, s29, 0, v11
	v_mov_b32_e32 v18, v22
	v_add_u32_e32 v21, -2.0, v21
	v_mov_b32_e32 v19, v23
.LBB99_293:                             ;   in Loop: Header=BB99_180 Depth=1
	s_or_b64 exec, exec, s[46:47]
.LBB99_294:                             ;   in Loop: Header=BB99_180 Depth=1
	s_or_b64 exec, exec, s[38:39]
	v_xor_b32_e32 v13, 0x80000000, v5
	v_and_b32_e32 v23, 0x7fffffff, v13
	v_mov_b32_e32 v12, v4
	v_cmp_gt_u32_e32 vcc, s30, v23
	s_and_saveexec_b64 s[0:1], vcc
	s_xor_b64 s[38:39], exec, s[0:1]
	s_cbranch_execz .LBB99_316
; %bb.295:                              ;   in Loop: Header=BB99_180 Depth=1
	v_cmp_class_f64_e64 s[0:1], v[2:3], s31
                                        ; implicit-def: $vgpr10_vgpr11
	s_and_saveexec_b64 s[46:47], s[0:1]
	s_xor_b64 s[46:47], exec, s[46:47]
	s_cbranch_execz .LBB99_313
; %bb.296:                              ;   in Loop: Header=BB99_180 Depth=1
	v_cmp_gt_u32_e32 vcc, s34, v23
                                        ; implicit-def: $vgpr10_vgpr11
	s_and_saveexec_b64 s[0:1], vcc
	s_xor_b64 s[48:49], exec, s[0:1]
	s_cbranch_execz .LBB99_302
; %bb.297:                              ;   in Loop: Header=BB99_180 Depth=1
	v_cmp_nlt_f64_e64 s[0:1], |v[2:3]|, s[90:91]
                                        ; implicit-def: $vgpr23
                                        ; implicit-def: $vgpr10_vgpr11
                                        ; implicit-def: $vgpr12_vgpr13
	s_and_saveexec_b64 s[68:69], s[0:1]
	s_xor_b64 s[0:1], exec, s[68:69]
	s_cbranch_execz .LBB99_299
; %bb.298:                              ;   in Loop: Header=BB99_180 Depth=1
	v_trig_preop_f64 v[10:11], |v[2:3]|, 0
	v_ldexp_f64 v[12:13], |v[2:3]|, s35
	v_cmp_ge_f64_e64 vcc, |v[2:3]|, s[92:93]
	v_trig_preop_f64 v[30:31], |v[2:3]|, 1
	v_and_b32_e32 v23, 0x7fffffff, v3
	v_trig_preop_f64 v[38:39], |v[2:3]|, 2
	s_mov_b32 s4, s12
	s_mov_b32 s17, s9
	v_cndmask_b32_e32 v13, v23, v13, vcc
	v_cndmask_b32_e32 v12, v2, v12, vcc
	v_mul_f64 v[32:33], v[10:11], v[12:13]
	v_mul_f64 v[34:35], v[30:31], v[12:13]
	;; [unrolled: 1-line block ×3, first 2 shown]
	v_fma_f64 v[10:11], v[10:11], v[12:13], -v[32:33]
	v_fma_f64 v[30:31], v[30:31], v[12:13], -v[34:35]
	;; [unrolled: 1-line block ×3, first 2 shown]
	v_add_f64 v[36:37], v[34:35], v[10:11]
	v_add_f64 v[40:41], v[36:37], -v[34:35]
	v_add_f64 v[53:54], v[32:33], v[36:37]
	v_add_f64 v[49:50], v[36:37], -v[40:41]
	v_add_f64 v[10:11], v[10:11], -v[40:41]
	v_add_f64 v[40:41], v[51:52], v[30:31]
	v_add_f64 v[32:33], v[53:54], -v[32:33]
	v_add_f64 v[34:35], v[34:35], -v[49:50]
	v_ldexp_f64 v[49:50], v[53:54], -2
	v_add_f64 v[55:56], v[40:41], -v[51:52]
	v_add_f64 v[32:33], v[36:37], -v[32:33]
	v_add_f64 v[10:11], v[10:11], v[34:35]
	v_fract_f64_e32 v[34:35], v[49:50]
	v_cmp_neq_f64_e64 vcc, |v[49:50]|, s[94:95]
	v_add_f64 v[30:31], v[30:31], -v[55:56]
	v_add_f64 v[36:37], v[40:41], v[10:11]
	v_ldexp_f64 v[34:35], v[34:35], 2
	v_add_f64 v[49:50], v[32:33], v[36:37]
	v_cndmask_b32_e32 v35, 0, v35, vcc
	v_cndmask_b32_e32 v34, 0, v34, vcc
	v_add_f64 v[57:58], v[36:37], -v[40:41]
	v_add_f64 v[53:54], v[49:50], v[34:35]
	v_add_f64 v[32:33], v[49:50], -v[32:33]
	v_add_f64 v[59:60], v[36:37], -v[57:58]
	;; [unrolled: 1-line block ×3, first 2 shown]
	v_cmp_gt_f64_e32 vcc, 0, v[53:54]
	v_add_f64 v[53:54], v[40:41], -v[55:56]
	v_add_f64 v[32:33], v[36:37], -v[32:33]
	;; [unrolled: 1-line block ×3, first 2 shown]
	v_cndmask_b32_e32 v23, 0, v43, vcc
	v_add_f64 v[34:35], v[34:35], v[22:23]
	v_add_f64 v[53:54], v[51:52], -v[53:54]
	v_add_f64 v[10:11], v[10:11], v[40:41]
	v_add_f64 v[61:62], v[49:50], v[34:35]
	;; [unrolled: 1-line block ×3, first 2 shown]
	v_cvt_i32_f64_e32 v57, v[61:62]
	v_add_f64 v[10:11], v[30:31], v[10:11]
	v_cvt_f64_i32_e32 v[55:56], v57
	v_add_f64 v[34:35], v[34:35], -v[55:56]
	v_add_f64 v[10:11], v[12:13], v[10:11]
	v_add_f64 v[30:31], v[49:50], v[34:35]
	;; [unrolled: 1-line block ×3, first 2 shown]
	v_add_f64 v[12:13], v[30:31], -v[34:35]
	v_cmp_le_f64_e32 vcc, 0.5, v[30:31]
	v_add_f64 v[12:13], v[49:50], -v[12:13]
	v_cndmask_b32_e32 v23, 0, v44, vcc
	v_add_f64 v[10:11], v[10:11], v[12:13]
	v_add_f64 v[12:13], v[30:31], -v[22:23]
	v_addc_co_u32_e32 v23, vcc, 0, v57, vcc
	v_add_f64 v[30:31], v[12:13], v[10:11]
	v_mul_f64 v[32:33], v[30:31], s[4:5]
	v_add_f64 v[12:13], v[30:31], -v[12:13]
	v_fma_f64 v[34:35], v[30:31], s[4:5], -v[32:33]
	v_add_f64 v[10:11], v[10:11], -v[12:13]
	v_fma_f64 v[12:13], v[30:31], s[16:17], v[34:35]
	v_fma_f64 v[12:13], v[10:11], s[4:5], v[12:13]
	v_add_f64 v[10:11], v[32:33], v[12:13]
	v_add_f64 v[30:31], v[10:11], -v[32:33]
	v_add_f64 v[12:13], v[12:13], -v[30:31]
.LBB99_299:                             ;   in Loop: Header=BB99_180 Depth=1
	s_andn2_saveexec_b64 s[0:1], s[0:1]
	s_cbranch_execz .LBB99_301
; %bb.300:                              ;   in Loop: Header=BB99_180 Depth=1
	v_mul_f64 v[10:11], |v[2:3]|, s[6:7]
	s_mov_b32 s8, s14
	v_rndne_f64_e32 v[30:31], v[10:11]
	v_fma_f64 v[10:11], v[30:31], s[12:13], |v[2:3]|
	v_mul_f64 v[12:13], v[30:31], s[14:15]
	v_cvt_i32_f64_e32 v23, v[30:31]
	v_fma_f64 v[36:37], v[30:31], s[14:15], v[10:11]
	v_add_f64 v[32:33], v[10:11], v[12:13]
	v_add_f64 v[34:35], v[10:11], -v[32:33]
	v_add_f64 v[32:33], v[32:33], -v[36:37]
	v_add_f64 v[10:11], v[34:35], v[12:13]
	v_fma_f64 v[12:13], v[30:31], s[8:9], v[12:13]
	v_add_f64 v[10:11], v[32:33], v[10:11]
	v_add_f64 v[10:11], v[10:11], -v[12:13]
	v_fma_f64 v[12:13], v[30:31], s[10:11], v[10:11]
	v_add_f64 v[10:11], v[36:37], v[12:13]
	v_add_f64 v[32:33], v[10:11], -v[36:37]
	v_add_f64 v[12:13], v[12:13], -v[32:33]
.LBB99_301:                             ;   in Loop: Header=BB99_180 Depth=1
	s_or_b64 exec, exec, s[0:1]
	v_add_f64 v[30:31], |v[4:5]|, s[22:23]
	s_mov_b32 s40, s22
	s_mov_b32 s0, 0x3b39803f
	s_mov_b32 s1, 0xbc7abc9e
	s_mov_b32 s44, s20
	s_mov_b32 s19, s23
	s_mov_b32 s61, s25
	s_mov_b32 s63, s37
	v_add_f64 v[32:33], v[30:31], -|v[4:5]|
	v_and_b32_e32 v23, 1, v23
	v_add_f64 v[34:35], v[32:33], -v[30:31]
	v_add_f64 v[32:33], v[32:33], s[40:41]
	v_add_f64 v[34:35], |v[4:5]|, v[34:35]
	v_add_f64 v[32:33], v[34:35], -v[32:33]
	v_add_f64 v[32:33], v[32:33], s[0:1]
	s_mov_b32 s0, 0xf278e000
	s_mov_b32 s1, 0xbd53de6a
	v_add_f64 v[34:35], v[30:31], v[32:33]
	v_mul_f64 v[36:37], v[34:35], s[44:45]
	v_add_f64 v[30:31], v[30:31], -v[34:35]
	v_rndne_f64_e32 v[36:37], v[36:37]
	v_add_f64 v[30:31], v[32:33], v[30:31]
	v_fma_f64 v[32:33], v[36:37], s[18:19], v[34:35]
	v_mul_f64 v[34:35], v[36:37], s[0:1]
	s_mov_b32 s0, 0xf97b57a0
	s_mov_b32 s1, 0xbac9cc01
	v_cvt_i32_f64_e32 v2, v[36:37]
	v_add_f64 v[38:39], v[30:31], v[32:33]
	v_add_f64 v[40:41], v[38:39], v[34:35]
	v_add_f64 v[32:33], v[32:33], -v[38:39]
	v_add_f64 v[38:39], v[38:39], -v[40:41]
	v_add_f64 v[30:31], v[30:31], v[32:33]
	v_add_f64 v[32:33], v[38:39], v[34:35]
	;; [unrolled: 1-line block ×3, first 2 shown]
	v_mul_f64 v[32:33], v[36:37], s[0:1]
	s_mov_b32 s0, 0xc751c08c
	s_mov_b32 s1, 0x3ef5e089
	v_add_f64 v[34:35], v[40:41], v[30:31]
	v_add_f64 v[38:39], v[34:35], v[32:33]
	v_add_f64 v[40:41], v[40:41], -v[34:35]
	v_add_f64 v[34:35], v[34:35], -v[38:39]
	v_add_f64 v[30:31], v[30:31], v[40:41]
	v_add_f64 v[32:33], v[34:35], v[32:33]
	;; [unrolled: 1-line block ×4, first 2 shown]
	v_fma_f64 v[34:35], v[32:33], s[50:51], v[28:29]
	v_add_f64 v[38:39], v[38:39], -v[32:33]
	v_mul_f64 v[40:41], v[32:33], v[32:33]
	v_fma_f64 v[34:35], v[32:33], v[34:35], s[52:53]
	v_add_f64 v[30:31], v[30:31], v[38:39]
	v_fma_f64 v[38:39], v[32:33], v[32:33], -v[40:41]
	v_fma_f64 v[34:35], v[32:33], v[34:35], s[54:55]
	v_add_f64 v[49:50], v[30:31], v[30:31]
	v_fma_f64 v[34:35], v[32:33], v[34:35], s[56:57]
	v_fma_f64 v[38:39], v[32:33], v[49:50], v[38:39]
	;; [unrolled: 1-line block ×3, first 2 shown]
	v_add_f64 v[49:50], v[40:41], v[38:39]
	v_fma_f64 v[34:35], v[32:33], v[34:35], s[60:61]
	v_add_f64 v[40:41], v[49:50], -v[40:41]
	v_fma_f64 v[34:35], v[32:33], v[34:35], s[62:63]
	v_add_f64 v[38:39], v[38:39], -v[40:41]
	v_fma_f64 v[34:35], v[32:33], v[34:35], s[64:65]
	v_fma_f64 v[34:35], v[32:33], v[34:35], s[66:67]
	v_mul_f64 v[51:52], v[49:50], v[34:35]
	v_fma_f64 v[40:41], v[49:50], v[34:35], -v[51:52]
	v_fma_f64 v[34:35], v[38:39], v[34:35], v[40:41]
	v_add_f64 v[38:39], v[51:52], v[34:35]
	v_add_f64 v[40:41], v[32:33], v[38:39]
	v_add_f64 v[49:50], v[38:39], -v[51:52]
	v_add_f64 v[32:33], v[40:41], -v[32:33]
	;; [unrolled: 1-line block ×3, first 2 shown]
	v_add_f64 v[49:50], v[12:13], v[12:13]
	v_add_f64 v[32:33], v[38:39], -v[32:33]
	v_add_f64 v[30:31], v[30:31], v[34:35]
	v_add_f64 v[30:31], v[30:31], v[32:33]
	;; [unrolled: 1-line block ×3, first 2 shown]
	v_add_f64 v[34:35], v[32:33], 1.0
	v_add_f64 v[38:39], v[32:33], -v[40:41]
	v_add_f64 v[40:41], v[34:35], -1.0
	v_add_f64 v[30:31], v[30:31], -v[38:39]
	v_add_f64 v[32:33], v[32:33], -v[40:41]
	v_add_f64 v[30:31], v[30:31], v[32:33]
	v_add_f64 v[32:33], v[34:35], v[30:31]
	v_ldexp_f64 v[36:37], v[32:33], v2
	v_add_f64 v[32:33], v[32:33], -v[34:35]
	v_rcp_f64_e32 v[38:39], v[36:37]
	v_add_f64 v[30:31], v[30:31], -v[32:33]
	v_ldexp_f64 v[30:31], v[30:31], v2
	v_fma_f64 v[40:41], -v[36:37], v[38:39], 1.0
	v_fma_f64 v[38:39], v[40:41], v[38:39], v[38:39]
	v_fma_f64 v[40:41], -v[36:37], v[38:39], 1.0
	v_fma_f64 v[34:35], v[40:41], v[38:39], v[38:39]
	v_mul_f64 v[38:39], v[10:11], v[10:11]
	v_mul_f64 v[32:33], v[36:37], v[34:35]
	v_fma_f64 v[51:52], v[10:11], v[10:11], -v[38:39]
	v_fma_f64 v[40:41], v[34:35], v[36:37], -v[32:33]
	v_fma_f64 v[49:50], v[10:11], v[49:50], v[51:52]
	v_fma_f64 v[40:41], v[34:35], v[30:31], v[40:41]
	v_add_f64 v[38:39], v[38:39], v[49:50]
	v_add_f64 v[51:52], v[32:33], v[40:41]
	v_fma_f64 v[53:54], v[38:39], s[0:1], v[26:27]
	s_mov_b32 s0, 0x90a8aae0
	s_mov_b32 s1, 0x3f17746f
	v_add_f64 v[49:50], -v[51:52], 1.0
	v_add_f64 v[32:33], v[51:52], -v[32:33]
	v_fma_f64 v[53:54], v[38:39], v[53:54], s[0:1]
	s_mov_b32 s0, 0xa6fbf144
	s_mov_b32 s1, 0xbefbb44d
	v_add_f64 v[55:56], -v[49:50], 1.0
	v_add_f64 v[32:33], v[32:33], -v[40:41]
	v_add_f64 v[40:41], v[55:56], -v[51:52]
	v_fma_f64 v[51:52], v[38:39], v[53:54], s[0:1]
	s_mov_b32 s0, 0xa7943acf
	s_mov_b32 s1, 0x3f21e634
	v_add_f64 v[32:33], v[32:33], v[40:41]
	v_fma_f64 v[40:41], v[38:39], v[51:52], s[0:1]
	s_mov_b32 s0, 0xdeb68feb
	s_mov_b32 s1, 0x3f2d250f
	v_add_f64 v[51:52], v[49:50], v[32:33]
	v_fma_f64 v[40:41], v[38:39], v[40:41], s[0:1]
	s_mov_b32 s0, 0xb58c4d95
	s_mov_b32 s1, 0x3f437fd9
	v_mul_f64 v[53:54], v[34:35], v[51:52]
	v_fma_f64 v[40:41], v[38:39], v[40:41], s[0:1]
	s_mov_b32 s0, 0x15120e2c
	s_mov_b32 s1, 0x3f57d5af
	v_add_f64 v[49:50], v[49:50], -v[51:52]
	v_mul_f64 v[55:56], v[36:37], v[53:54]
	v_fma_f64 v[40:41], v[38:39], v[40:41], s[0:1]
	s_mov_b32 s0, 0xe09491df
	s_mov_b32 s1, 0x3f6d6d93
	v_add_f64 v[32:33], v[32:33], v[49:50]
	v_fma_f64 v[57:58], v[53:54], v[36:37], -v[55:56]
	v_fma_f64 v[40:41], v[38:39], v[40:41], s[0:1]
	s_mov_b32 s0, 0x2033784d
	s_mov_b32 s1, 0x3f8226e1
	v_fma_f64 v[57:58], v[53:54], v[30:31], v[57:58]
	v_fma_f64 v[40:41], v[38:39], v[40:41], s[0:1]
	s_mov_b32 s0, 0x9ac36ae2
	s_mov_b32 s1, 0x3f9664f4
	v_add_f64 v[59:60], v[55:56], v[57:58]
	v_fma_f64 v[40:41], v[38:39], v[40:41], s[0:1]
	s_mov_b32 s0, 0x1b451c21
	s_mov_b32 s1, 0x3faba1ba
	v_add_f64 v[61:62], v[51:52], -v[59:60]
	v_fma_f64 v[40:41], v[38:39], v[40:41], s[0:1]
	s_mov_b32 s0, 0x111185b7
	s_mov_b32 s1, 0x3fc11111
	v_add_f64 v[49:50], v[59:60], -v[55:56]
	v_add_f64 v[51:52], v[51:52], -v[61:62]
	v_fma_f64 v[40:41], v[38:39], v[40:41], s[0:1]
	s_mov_b32 s0, 0x555554ee
	s_mov_b32 s1, 0x3fd55555
	v_add_f64 v[49:50], v[49:50], -v[57:58]
	v_add_f64 v[51:52], v[51:52], -v[59:60]
	v_fma_f64 v[40:41], v[38:39], v[40:41], s[0:1]
	s_mov_b32 s0, 0x8fb9f87e
	s_mov_b32 s1, 0x408633ce
	v_cmp_nge_f64_e64 vcc, |v[4:5]|, s[0:1]
	s_mov_b32 s0, 0
	s_mov_b32 s1, 0x3e400000
	v_add_f64 v[32:33], v[32:33], v[51:52]
	v_mul_f64 v[38:39], v[38:39], v[40:41]
	v_add_f64 v[40:41], v[34:35], v[53:54]
	v_add_f64 v[32:33], v[49:50], v[32:33]
	v_mul_f64 v[49:50], v[10:11], v[38:39]
	v_add_f64 v[51:52], v[40:41], -v[34:35]
	v_add_f64 v[32:33], v[61:62], v[32:33]
	v_add_f64 v[55:56], v[10:11], v[49:50]
	v_add_f64 v[51:52], v[53:54], -v[51:52]
	v_mul_f64 v[32:33], v[34:35], v[32:33]
	v_fma_f64 v[34:35], v[10:11], v[38:39], -v[49:50]
	v_add_f64 v[10:11], v[55:56], -v[10:11]
	v_add_f64 v[32:33], v[51:52], v[32:33]
	v_add_f64 v[12:13], v[12:13], v[34:35]
	v_add_f64 v[10:11], v[49:50], -v[10:11]
	v_add_f64 v[34:35], v[40:41], v[32:33]
	v_add_f64 v[10:11], v[12:13], v[10:11]
	v_ldexp_f64 v[12:13], v[34:35], -2
	v_add_f64 v[34:35], v[34:35], -v[40:41]
	v_add_f64 v[38:39], v[55:56], v[10:11]
	v_add_f64 v[49:50], v[36:37], -v[12:13]
	v_add_f64 v[32:33], v[32:33], -v[34:35]
	v_rcp_f64_e32 v[51:52], v[38:39]
	v_add_f64 v[36:37], v[36:37], -v[49:50]
	v_ldexp_f64 v[32:33], v[32:33], -2
	v_add_f64 v[12:13], v[36:37], -v[12:13]
	v_fma_f64 v[34:35], -v[38:39], v[51:52], 1.0
	v_add_f64 v[12:13], v[30:31], v[12:13]
	v_fma_f64 v[30:31], v[34:35], v[51:52], v[51:52]
	v_and_b32_e32 v35, 0x7fffffff, v5
	v_add_f64 v[12:13], v[12:13], -v[32:33]
	v_fma_f64 v[32:33], -v[38:39], v[30:31], 1.0
	v_add_f64 v[12:13], v[49:50], v[12:13]
	v_fma_f64 v[30:31], v[32:33], v[30:31], v[30:31]
	v_cndmask_b32_e32 v2, v45, v13, vcc
	v_cndmask_b32_e32 v34, 0, v12, vcc
	v_cmp_lt_f64_e64 vcc, |v[4:5]|, s[0:1]
	v_xor_b32_e32 v5, 0x80000000, v5
	s_mov_b32 s0, 0
	v_add_f64 v[12:13], v[38:39], -v[55:56]
	v_mul_f64 v[32:33], v[38:39], v[30:31]
	s_brev_b32 s1, 8
	v_cndmask_b32_e32 v2, v2, v35, vcc
	v_cndmask_b32_e32 v4, v34, v4, vcc
	v_bfi_b32 v5, s29, v2, v5
	v_fma_f64 v[34:35], v[4:5], v[4:5], 1.0
	v_add_f64 v[10:11], v[10:11], -v[12:13]
	v_fma_f64 v[12:13], v[30:31], v[38:39], -v[32:33]
	v_cmp_gt_f64_e32 vcc, s[0:1], v[34:35]
	v_cmp_eq_u32_e64 s[0:1], 0, v23
	v_fma_f64 v[10:11], v[30:31], v[10:11], v[12:13]
	v_cndmask_b32_e32 v2, 0, v46, vcc
	v_ldexp_f64 v[34:35], v[34:35], v2
	v_add_f64 v[36:37], v[32:33], v[10:11]
	v_cndmask_b32_e32 v23, 0, v47, vcc
	v_rsq_f64_e32 v[12:13], v[34:35]
	v_add_f64 v[40:41], -v[36:37], 1.0
	v_add_f64 v[32:33], v[36:37], -v[32:33]
	v_cmp_class_f64_e32 vcc, v[34:35], v42
	v_add_f64 v[51:52], -v[40:41], 1.0
	v_add_f64 v[10:11], v[32:33], -v[10:11]
	v_mul_f64 v[49:50], v[34:35], v[12:13]
	v_mul_f64 v[12:13], v[12:13], 0.5
	v_add_f64 v[36:37], v[51:52], -v[36:37]
	v_fma_f64 v[32:33], -v[12:13], v[49:50], 0.5
	v_add_f64 v[10:11], v[10:11], v[36:37]
	v_fma_f64 v[49:50], v[49:50], v[32:33], v[49:50]
	v_fma_f64 v[12:13], v[12:13], v[32:33], v[12:13]
	v_add_f64 v[10:11], v[40:41], v[10:11]
	v_fma_f64 v[32:33], -v[49:50], v[49:50], v[34:35]
	v_mul_f64 v[10:11], v[30:31], v[10:11]
	v_fma_f64 v[32:33], v[32:33], v[12:13], v[49:50]
	v_add_f64 v[10:11], v[30:31], v[10:11]
	v_and_b32_e32 v30, 0x80000000, v3
	v_fma_f64 v[36:37], -v[32:33], v[32:33], v[34:35]
	v_xor_b32_e32 v11, 0x80000000, v11
	v_cndmask_b32_e64 v11, v11, v39, s[0:1]
	v_cndmask_b32_e64 v10, v10, v38, s[0:1]
	v_xor_b32_e32 v11, v11, v30
	v_fma_f64 v[2:3], v[36:37], v[12:13], v[32:33]
	v_fma_f64 v[12:13], v[10:11], v[10:11], 1.0
	v_ldexp_f64 v[2:3], v[2:3], v23
	v_mul_f64 v[30:31], v[4:5], v[12:13]
	v_cndmask_b32_e32 v3, v3, v35, vcc
	v_cndmask_b32_e32 v2, v2, v34, vcc
	v_mul_f64 v[2:3], v[2:3], v[12:13]
	v_fma_f64 v[30:31], v[4:5], v[30:31], 1.0
	v_mul_f64 v[2:3], v[4:5], v[2:3]
	v_div_scale_f64 v[12:13], s[0:1], v[30:31], v[30:31], v[10:11]
	v_div_scale_f64 v[4:5], s[0:1], v[30:31], v[30:31], v[2:3]
	;; [unrolled: 1-line block ×3, first 2 shown]
	v_rcp_f64_e32 v[34:35], v[12:13]
	v_rcp_f64_e32 v[32:33], v[4:5]
	v_fma_f64 v[38:39], -v[12:13], v[34:35], 1.0
	v_fma_f64 v[36:37], -v[4:5], v[32:33], 1.0
	v_fma_f64 v[34:35], v[34:35], v[38:39], v[34:35]
	v_fma_f64 v[32:33], v[32:33], v[36:37], v[32:33]
	v_div_scale_f64 v[36:37], vcc, v[2:3], v[30:31], v[2:3]
	v_fma_f64 v[49:50], -v[12:13], v[34:35], 1.0
	v_fma_f64 v[38:39], -v[4:5], v[32:33], 1.0
	v_fma_f64 v[34:35], v[34:35], v[49:50], v[34:35]
	v_fma_f64 v[32:33], v[32:33], v[38:39], v[32:33]
	v_mul_f64 v[49:50], v[40:41], v[34:35]
	v_mul_f64 v[38:39], v[36:37], v[32:33]
	v_fma_f64 v[12:13], -v[12:13], v[49:50], v[40:41]
	v_fma_f64 v[4:5], -v[4:5], v[38:39], v[36:37]
	v_div_fmas_f64 v[4:5], v[4:5], v[32:33], v[38:39]
	s_mov_b64 vcc, s[0:1]
	v_div_fmas_f64 v[32:33], v[12:13], v[34:35], v[49:50]
	v_div_fixup_f64 v[12:13], v[4:5], v[30:31], v[2:3]
                                        ; implicit-def: $vgpr2_vgpr3
	v_div_fixup_f64 v[10:11], v[32:33], v[30:31], v[10:11]
.LBB99_302:                             ;   in Loop: Header=BB99_180 Depth=1
	s_andn2_saveexec_b64 s[0:1], s[48:49]
	s_cbranch_execz .LBB99_312
; %bb.303:                              ;   in Loop: Header=BB99_180 Depth=1
	v_cmp_nlt_f64_e64 s[48:49], |v[2:3]|, s[90:91]
                                        ; implicit-def: $vgpr34
                                        ; implicit-def: $vgpr10_vgpr11
                                        ; implicit-def: $vgpr12_vgpr13
	s_and_saveexec_b64 s[68:69], s[48:49]
	s_xor_b64 s[68:69], exec, s[68:69]
	s_cbranch_execz .LBB99_305
; %bb.304:                              ;   in Loop: Header=BB99_180 Depth=1
	v_trig_preop_f64 v[10:11], |v[2:3]|, 0
	v_ldexp_f64 v[12:13], |v[2:3]|, s35
	v_cmp_ge_f64_e64 vcc, |v[2:3]|, s[92:93]
	v_trig_preop_f64 v[30:31], |v[2:3]|, 1
	v_and_b32_e32 v23, 0x7fffffff, v3
	v_trig_preop_f64 v[38:39], |v[2:3]|, 2
	s_mov_b32 s4, s12
	s_mov_b32 s17, s9
	v_cndmask_b32_e32 v13, v23, v13, vcc
	v_cndmask_b32_e32 v12, v2, v12, vcc
	v_mul_f64 v[32:33], v[10:11], v[12:13]
	v_mul_f64 v[34:35], v[30:31], v[12:13]
	;; [unrolled: 1-line block ×3, first 2 shown]
	v_fma_f64 v[10:11], v[10:11], v[12:13], -v[32:33]
	v_fma_f64 v[30:31], v[30:31], v[12:13], -v[34:35]
	;; [unrolled: 1-line block ×3, first 2 shown]
	v_add_f64 v[36:37], v[34:35], v[10:11]
	v_add_f64 v[40:41], v[36:37], -v[34:35]
	v_add_f64 v[53:54], v[32:33], v[36:37]
	v_add_f64 v[49:50], v[36:37], -v[40:41]
	v_add_f64 v[10:11], v[10:11], -v[40:41]
	v_add_f64 v[40:41], v[51:52], v[30:31]
	v_add_f64 v[32:33], v[53:54], -v[32:33]
	v_add_f64 v[34:35], v[34:35], -v[49:50]
	v_ldexp_f64 v[49:50], v[53:54], -2
	v_add_f64 v[55:56], v[40:41], -v[51:52]
	v_add_f64 v[32:33], v[36:37], -v[32:33]
	v_add_f64 v[10:11], v[10:11], v[34:35]
	v_fract_f64_e32 v[34:35], v[49:50]
	v_cmp_neq_f64_e64 vcc, |v[49:50]|, s[94:95]
	v_add_f64 v[30:31], v[30:31], -v[55:56]
	v_add_f64 v[36:37], v[40:41], v[10:11]
	v_ldexp_f64 v[34:35], v[34:35], 2
	v_add_f64 v[49:50], v[32:33], v[36:37]
	v_cndmask_b32_e32 v35, 0, v35, vcc
	v_cndmask_b32_e32 v34, 0, v34, vcc
	v_add_f64 v[57:58], v[36:37], -v[40:41]
	v_add_f64 v[53:54], v[49:50], v[34:35]
	v_add_f64 v[32:33], v[49:50], -v[32:33]
	v_add_f64 v[59:60], v[36:37], -v[57:58]
	;; [unrolled: 1-line block ×3, first 2 shown]
	v_cmp_gt_f64_e32 vcc, 0, v[53:54]
	v_add_f64 v[53:54], v[40:41], -v[55:56]
	v_add_f64 v[32:33], v[36:37], -v[32:33]
	;; [unrolled: 1-line block ×3, first 2 shown]
	v_cndmask_b32_e32 v23, 0, v43, vcc
	v_add_f64 v[34:35], v[34:35], v[22:23]
	v_add_f64 v[53:54], v[51:52], -v[53:54]
	v_add_f64 v[10:11], v[10:11], v[40:41]
	v_add_f64 v[61:62], v[49:50], v[34:35]
	v_add_f64 v[30:31], v[30:31], v[53:54]
	v_cvt_i32_f64_e32 v57, v[61:62]
	v_add_f64 v[10:11], v[30:31], v[10:11]
	v_cvt_f64_i32_e32 v[55:56], v57
	v_add_f64 v[34:35], v[34:35], -v[55:56]
	v_add_f64 v[10:11], v[12:13], v[10:11]
	v_add_f64 v[30:31], v[49:50], v[34:35]
	;; [unrolled: 1-line block ×3, first 2 shown]
	v_add_f64 v[12:13], v[30:31], -v[34:35]
	v_cmp_le_f64_e32 vcc, 0.5, v[30:31]
	v_add_f64 v[12:13], v[49:50], -v[12:13]
	v_cndmask_b32_e32 v23, 0, v44, vcc
	v_add_f64 v[10:11], v[10:11], v[12:13]
	v_add_f64 v[12:13], v[30:31], -v[22:23]
	v_add_f64 v[30:31], v[12:13], v[10:11]
	v_mul_f64 v[32:33], v[30:31], s[4:5]
	v_add_f64 v[12:13], v[30:31], -v[12:13]
	v_fma_f64 v[34:35], v[30:31], s[4:5], -v[32:33]
	v_add_f64 v[10:11], v[10:11], -v[12:13]
	v_fma_f64 v[12:13], v[30:31], s[16:17], v[34:35]
	v_addc_co_u32_e32 v34, vcc, 0, v57, vcc
	v_fma_f64 v[12:13], v[10:11], s[4:5], v[12:13]
	v_add_f64 v[10:11], v[32:33], v[12:13]
	v_add_f64 v[30:31], v[10:11], -v[32:33]
	v_add_f64 v[12:13], v[12:13], -v[30:31]
	s_andn2_saveexec_b64 s[68:69], s[68:69]
	s_cbranch_execz .LBB99_307
	s_branch .LBB99_306
.LBB99_305:                             ;   in Loop: Header=BB99_180 Depth=1
	s_andn2_saveexec_b64 s[68:69], s[68:69]
	s_cbranch_execz .LBB99_307
.LBB99_306:                             ;   in Loop: Header=BB99_180 Depth=1
	v_mul_f64 v[10:11], |v[2:3]|, s[6:7]
	s_mov_b32 s8, s14
	v_rndne_f64_e32 v[30:31], v[10:11]
	v_fma_f64 v[10:11], v[30:31], s[12:13], |v[2:3]|
	v_mul_f64 v[12:13], v[30:31], s[14:15]
	v_fma_f64 v[36:37], v[30:31], s[14:15], v[10:11]
	v_add_f64 v[32:33], v[10:11], v[12:13]
	v_add_f64 v[34:35], v[10:11], -v[32:33]
	v_add_f64 v[32:33], v[32:33], -v[36:37]
	v_add_f64 v[10:11], v[34:35], v[12:13]
	v_fma_f64 v[12:13], v[30:31], s[8:9], v[12:13]
	v_cvt_i32_f64_e32 v34, v[30:31]
	v_add_f64 v[10:11], v[32:33], v[10:11]
	v_add_f64 v[10:11], v[10:11], -v[12:13]
	v_fma_f64 v[12:13], v[30:31], s[10:11], v[10:11]
	v_add_f64 v[10:11], v[36:37], v[12:13]
	v_add_f64 v[32:33], v[10:11], -v[36:37]
	v_add_f64 v[12:13], v[12:13], -v[32:33]
.LBB99_307:                             ;   in Loop: Header=BB99_180 Depth=1
	s_or_b64 exec, exec, s[68:69]
                                        ; implicit-def: $vgpr23
                                        ; implicit-def: $vgpr30_vgpr31
                                        ; implicit-def: $vgpr32_vgpr33
	s_and_saveexec_b64 s[68:69], s[48:49]
	s_xor_b64 s[48:49], exec, s[68:69]
	s_cbranch_execz .LBB99_309
; %bb.308:                              ;   in Loop: Header=BB99_180 Depth=1
	v_trig_preop_f64 v[30:31], |v[2:3]|, 0
	v_ldexp_f64 v[32:33], |v[2:3]|, s35
	v_cmp_ge_f64_e64 vcc, |v[2:3]|, s[92:93]
	v_trig_preop_f64 v[35:36], |v[2:3]|, 1
	v_and_b32_e32 v23, 0x7fffffff, v3
	v_trig_preop_f64 v[51:52], |v[2:3]|, 2
	s_mov_b32 s4, s12
	s_mov_b32 s17, s9
	v_cndmask_b32_e32 v33, v23, v33, vcc
	v_cndmask_b32_e32 v32, v2, v32, vcc
	v_mul_f64 v[37:38], v[30:31], v[32:33]
	v_mul_f64 v[39:40], v[35:36], v[32:33]
	;; [unrolled: 1-line block ×3, first 2 shown]
	v_fma_f64 v[30:31], v[30:31], v[32:33], -v[37:38]
	v_fma_f64 v[35:36], v[35:36], v[32:33], -v[39:40]
	;; [unrolled: 1-line block ×3, first 2 shown]
	v_add_f64 v[49:50], v[39:40], v[30:31]
	v_add_f64 v[53:54], v[49:50], -v[39:40]
	v_add_f64 v[59:60], v[37:38], v[49:50]
	v_add_f64 v[55:56], v[49:50], -v[53:54]
	v_add_f64 v[30:31], v[30:31], -v[53:54]
	v_add_f64 v[53:54], v[57:58], v[35:36]
	v_add_f64 v[37:38], v[59:60], -v[37:38]
	v_add_f64 v[39:40], v[39:40], -v[55:56]
	v_ldexp_f64 v[55:56], v[59:60], -2
	v_add_f64 v[61:62], v[53:54], -v[57:58]
	v_add_f64 v[37:38], v[49:50], -v[37:38]
	v_add_f64 v[30:31], v[30:31], v[39:40]
	v_fract_f64_e32 v[39:40], v[55:56]
	v_cmp_neq_f64_e64 vcc, |v[55:56]|, s[94:95]
	v_add_f64 v[35:36], v[35:36], -v[61:62]
	v_add_f64 v[49:50], v[53:54], v[30:31]
	v_ldexp_f64 v[39:40], v[39:40], 2
	v_add_f64 v[55:56], v[37:38], v[49:50]
	v_cndmask_b32_e32 v40, 0, v40, vcc
	v_cndmask_b32_e32 v39, 0, v39, vcc
	v_add_f64 v[63:64], v[49:50], -v[53:54]
	v_add_f64 v[59:60], v[55:56], v[39:40]
	v_add_f64 v[37:38], v[55:56], -v[37:38]
	v_add_f64 v[65:66], v[49:50], -v[63:64]
	v_add_f64 v[30:31], v[30:31], -v[63:64]
	v_cmp_gt_f64_e32 vcc, 0, v[59:60]
	v_add_f64 v[59:60], v[53:54], -v[61:62]
	v_add_f64 v[37:38], v[49:50], -v[37:38]
	;; [unrolled: 1-line block ×3, first 2 shown]
	v_cndmask_b32_e32 v23, 0, v43, vcc
	v_add_f64 v[39:40], v[39:40], v[22:23]
	v_add_f64 v[59:60], v[57:58], -v[59:60]
	v_add_f64 v[30:31], v[30:31], v[53:54]
	v_add_f64 v[67:68], v[55:56], v[39:40]
	;; [unrolled: 1-line block ×3, first 2 shown]
	v_cvt_i32_f64_e32 v41, v[67:68]
	v_add_f64 v[30:31], v[35:36], v[30:31]
	v_cvt_f64_i32_e32 v[61:62], v41
	v_add_f64 v[39:40], v[39:40], -v[61:62]
	v_add_f64 v[30:31], v[32:33], v[30:31]
	v_add_f64 v[35:36], v[55:56], v[39:40]
	;; [unrolled: 1-line block ×3, first 2 shown]
	v_add_f64 v[32:33], v[35:36], -v[39:40]
	v_cmp_le_f64_e32 vcc, 0.5, v[35:36]
	v_add_f64 v[32:33], v[55:56], -v[32:33]
	v_cndmask_b32_e32 v23, 0, v44, vcc
	v_add_f64 v[30:31], v[30:31], v[32:33]
	v_add_f64 v[32:33], v[35:36], -v[22:23]
	v_addc_co_u32_e32 v23, vcc, 0, v41, vcc
	v_add_f64 v[35:36], v[32:33], v[30:31]
	v_mul_f64 v[37:38], v[35:36], s[4:5]
	v_add_f64 v[32:33], v[35:36], -v[32:33]
	v_fma_f64 v[39:40], v[35:36], s[4:5], -v[37:38]
	v_add_f64 v[30:31], v[30:31], -v[32:33]
	v_fma_f64 v[32:33], v[35:36], s[16:17], v[39:40]
	v_fma_f64 v[32:33], v[30:31], s[4:5], v[32:33]
	v_add_f64 v[30:31], v[37:38], v[32:33]
	v_add_f64 v[35:36], v[30:31], -v[37:38]
	v_add_f64 v[32:33], v[32:33], -v[35:36]
	s_andn2_saveexec_b64 s[48:49], s[48:49]
	s_cbranch_execnz .LBB99_310
	s_branch .LBB99_311
.LBB99_309:                             ;   in Loop: Header=BB99_180 Depth=1
	s_andn2_saveexec_b64 s[48:49], s[48:49]
	s_cbranch_execz .LBB99_311
.LBB99_310:                             ;   in Loop: Header=BB99_180 Depth=1
	v_mul_f64 v[30:31], |v[2:3]|, s[6:7]
	s_mov_b32 s8, s14
	v_rndne_f64_e32 v[35:36], v[30:31]
	v_fma_f64 v[30:31], v[35:36], s[12:13], |v[2:3]|
	v_mul_f64 v[32:33], v[35:36], s[14:15]
	v_cvt_i32_f64_e32 v23, v[35:36]
	v_fma_f64 v[49:50], v[35:36], s[14:15], v[30:31]
	v_add_f64 v[37:38], v[30:31], v[32:33]
	v_add_f64 v[39:40], v[30:31], -v[37:38]
	v_add_f64 v[37:38], v[37:38], -v[49:50]
	v_add_f64 v[30:31], v[39:40], v[32:33]
	v_fma_f64 v[32:33], v[35:36], s[8:9], v[32:33]
	v_add_f64 v[30:31], v[37:38], v[30:31]
	v_add_f64 v[30:31], v[30:31], -v[32:33]
	v_fma_f64 v[32:33], v[35:36], s[10:11], v[30:31]
	v_add_f64 v[30:31], v[49:50], v[32:33]
	v_add_f64 v[37:38], v[30:31], -v[49:50]
	v_add_f64 v[32:33], v[32:33], -v[37:38]
.LBB99_311:                             ;   in Loop: Header=BB99_180 Depth=1
	s_or_b64 exec, exec, s[48:49]
	v_mul_f64 v[35:36], |v[4:5]|, s[20:21]
	s_mov_b32 s48, 0x3b39803f
	s_mov_b32 s49, 0xbc7abc9e
	v_mul_f64 v[49:50], v[10:11], v[10:11]
	v_mov_b32_e32 v53, s80
	v_mov_b32_e32 v54, s81
	v_mul_f64 v[55:56], v[30:31], v[30:31]
	v_mov_b32_e32 v51, s70
	v_rndne_f64_e32 v[35:36], v[35:36]
	v_mov_b32_e32 v52, s71
	v_mul_f64 v[57:58], v[12:13], 0.5
	v_fma_f64 v[59:60], v[49:50], s[82:83], v[53:54]
	v_fma_f64 v[61:62], v[49:50], s[72:73], v[51:52]
	v_mul_f64 v[63:64], v[49:50], 0.5
	v_fma_f64 v[53:54], v[55:56], s[82:83], v[53:54]
	v_mul_f64 v[67:68], v[55:56], 0.5
	v_fma_f64 v[37:38], v[35:36], s[22:23], -|v[4:5]|
	v_fma_f64 v[51:52], v[55:56], s[72:73], v[51:52]
	s_mov_b32 s61, s25
	v_fma_f64 v[59:60], v[49:50], v[59:60], s[84:85]
	v_fma_f64 v[61:62], v[49:50], v[61:62], s[74:75]
	v_add_f64 v[69:70], -v[63:64], 1.0
	v_fma_f64 v[53:54], v[55:56], v[53:54], s[84:85]
	v_mul_f64 v[71:72], v[10:11], -v[49:50]
	v_fma_f64 v[37:38], v[35:36], s[48:49], v[37:38]
	v_add_f64 v[73:74], -v[67:68], 1.0
	v_fma_f64 v[51:52], v[55:56], v[51:52], s[74:75]
	v_fma_f64 v[59:60], v[49:50], v[59:60], s[86:87]
	v_fma_f64 v[61:62], v[49:50], v[61:62], s[76:77]
	v_add_f64 v[75:76], -v[69:70], 1.0
	v_fma_f64 v[53:54], v[55:56], v[53:54], s[86:87]
	v_mul_f64 v[65:66], v[32:33], 0.5
	v_fma_f64 v[39:40], v[37:38], s[50:51], v[28:29]
	v_mul_f64 v[77:78], v[30:31], -v[55:56]
	s_mov_b32 s63, s37
	v_fma_f64 v[59:60], v[49:50], v[59:60], s[24:25]
	v_add_f64 v[79:80], -v[73:74], 1.0
	v_fma_f64 v[51:52], v[55:56], v[51:52], s[76:77]
	v_fma_f64 v[53:54], v[55:56], v[53:54], s[24:25]
	;; [unrolled: 1-line block ×4, first 2 shown]
	v_add_f64 v[63:64], v[75:76], -v[63:64]
	s_mov_b32 s26, s36
	v_fma_f64 v[57:58], v[71:72], v[59:60], v[57:58]
	v_mul_f64 v[59:60], v[49:50], v[49:50]
	v_add_f64 v[67:68], v[79:80], -v[67:68]
	v_fma_f64 v[53:54], v[77:78], v[53:54], v[65:66]
	v_fma_f64 v[51:52], v[55:56], v[51:52], s[78:79]
	;; [unrolled: 1-line block ×4, first 2 shown]
	v_fma_f64 v[63:64], v[10:11], -v[12:13], v[63:64]
	v_fma_f64 v[12:13], v[49:50], v[57:58], -v[12:13]
	v_mul_f64 v[49:50], v[55:56], v[55:56]
	v_lshlrev_b32_e32 v2, 30, v34
	v_fma_f64 v[53:54], v[55:56], v[53:54], -v[32:33]
	v_fma_f64 v[51:52], v[55:56], v[51:52], s[36:37]
	v_fma_f64 v[39:40], v[37:38], v[39:40], s[56:57]
	v_fma_f64 v[32:33], v[30:31], -v[32:33], v[67:68]
	v_fma_f64 v[55:56], v[59:60], v[61:62], v[63:64]
	v_fma_f64 v[12:13], v[71:72], s[26:27], v[12:13]
	v_xor_b32_e32 v57, v2, v3
	v_and_b32_e32 v41, 1, v34
	v_fma_f64 v[2:3], v[77:78], s[26:27], v[53:54]
	v_cmp_eq_u32_e32 vcc, 0, v41
	v_fma_f64 v[39:40], v[37:38], v[39:40], s[58:59]
	v_fma_f64 v[32:33], v[49:50], v[51:52], v[32:33]
	v_add_f64 v[49:50], v[69:70], v[55:56]
	v_add_f64 v[10:11], v[10:11], -v[12:13]
	v_cvt_i32_f64_e32 v35, v[35:36]
	v_and_b32_e32 v34, 1, v23
	v_add_f64 v[2:3], v[30:31], -v[2:3]
	v_lshlrev_b32_e32 v23, 30, v23
	v_fma_f64 v[39:40], v[37:38], v[39:40], s[60:61]
	v_add_f64 v[30:31], v[73:74], v[32:33]
	s_mov_b32 s48, 0
	v_cndmask_b32_e32 v11, v50, v11, vcc
	v_cndmask_b32_e32 v10, v49, v10, vcc
	v_cmp_eq_u32_e32 vcc, 0, v34
	v_xor_b32_e32 v3, 0x80000000, v3
	v_and_b32_e32 v23, 0x80000000, v23
	v_fma_f64 v[39:40], v[37:38], v[39:40], s[62:63]
	v_cndmask_b32_e32 v3, v3, v31, vcc
	s_mov_b32 s49, 0x4090cc00
	v_cndmask_b32_e32 v2, v2, v30, vcc
	v_xor_b32_e32 v3, v3, v23
	v_cmp_ngt_f64_e64 vcc, |v[4:5]|, s[48:49]
	v_fma_f64 v[39:40], v[37:38], v[39:40], s[64:65]
	v_fma_f64 v[39:40], v[37:38], v[39:40], s[66:67]
	v_fma_f64 v[12:13], v[37:38], v[39:40], 1.0
	v_and_b32_e32 v39, 0x80000000, v57
	v_xor_b32_e32 v11, v11, v39
	v_mul_f64 v[10:11], v[10:11], 4.0
	v_fma_f64 v[12:13], v[37:38], v[12:13], 1.0
	v_mul_f64 v[2:3], v[10:11], v[2:3]
	v_ldexp_f64 v[12:13], v[12:13], v35
	v_cndmask_b32_e32 v11, 0, v13, vcc
	v_cndmask_b32_e32 v10, 0, v12, vcc
	v_mul_f64 v[2:3], v[10:11], v[2:3]
	v_mul_f64 v[10:11], v[10:11], v[2:3]
	v_xor_b32_e32 v2, 0x80000000, v5
	v_bfi_b32 v23, s29, v44, v2
	v_mov_b32_e32 v12, v22
	v_mov_b32_e32 v13, v23
.LBB99_312:                             ;   in Loop: Header=BB99_180 Depth=1
	s_or_b64 exec, exec, s[0:1]
                                        ; implicit-def: $vgpr2_vgpr3
.LBB99_313:                             ;   in Loop: Header=BB99_180 Depth=1
	s_andn2_saveexec_b64 s[0:1], s[46:47]
	s_cbranch_execz .LBB99_315
; %bb.314:                              ;   in Loop: Header=BB99_180 Depth=1
	v_add_f64 v[10:11], v[2:3], -v[2:3]
	v_mov_b32_e32 v13, v11
	v_mov_b32_e32 v12, v10
.LBB99_315:                             ;   in Loop: Header=BB99_180 Depth=1
	s_or_b64 exec, exec, s[0:1]
                                        ; implicit-def: $vgpr2_vgpr3
.LBB99_316:                             ;   in Loop: Header=BB99_180 Depth=1
	s_andn2_saveexec_b64 s[38:39], s[38:39]
	s_cbranch_execz .LBB99_179
; %bb.317:                              ;   in Loop: Header=BB99_180 Depth=1
	v_and_or_b32 v10, v13, s42, v12
	v_cmp_ne_u32_e32 vcc, 0, v10
	s_and_saveexec_b64 s[0:1], vcc
	s_xor_b64 s[0:1], exec, s[0:1]
	s_cbranch_execz .LBB99_319
; %bb.318:                              ;   in Loop: Header=BB99_180 Depth=1
	v_mul_f64 v[4:5], v[2:3], -v[4:5]
	v_cmp_eq_f64_e32 vcc, 0, v[2:3]
	v_cndmask_b32_e32 v11, v5, v3, vcc
	v_cndmask_b32_e32 v10, v4, v2, vcc
                                        ; implicit-def: $vgpr2_vgpr3
.LBB99_319:                             ;   in Loop: Header=BB99_180 Depth=1
	s_andn2_saveexec_b64 s[46:47], s[0:1]
	s_cbranch_execz .LBB99_178
; %bb.320:                              ;   in Loop: Header=BB99_180 Depth=1
	v_cmp_neq_f64_e64 s[0:1], |v[2:3]|, s[94:95]
	s_and_saveexec_b64 s[48:49], s[0:1]
	s_cbranch_execz .LBB99_177
; %bb.321:                              ;   in Loop: Header=BB99_180 Depth=1
	v_trig_preop_f64 v[36:37], |v[2:3]|, 0
	v_trig_preop_f64 v[34:35], |v[2:3]|, 1
	;; [unrolled: 1-line block ×3, first 2 shown]
	v_cmp_nlt_f64_e64 s[0:1], |v[2:3]|, s[90:91]
	v_ldexp_f64 v[38:39], |v[2:3]|, s35
	v_and_b32_e32 v50, 0x7fffffff, v3
                                        ; implicit-def: $vgpr49
                                        ; implicit-def: $vgpr4_vgpr5
                                        ; implicit-def: $vgpr10_vgpr11
	s_and_saveexec_b64 s[68:69], s[0:1]
	s_xor_b64 s[68:69], exec, s[68:69]
	s_cbranch_execz .LBB99_323
; %bb.322:                              ;   in Loop: Header=BB99_180 Depth=1
	v_cmp_ge_f64_e64 vcc, |v[2:3]|, s[92:93]
	s_mov_b32 s4, s12
	s_mov_b32 s17, s9
	v_cndmask_b32_e32 v5, v50, v39, vcc
	v_cndmask_b32_e32 v4, v2, v38, vcc
	v_mul_f64 v[10:11], v[36:37], v[4:5]
	v_mul_f64 v[32:33], v[34:35], v[4:5]
	;; [unrolled: 1-line block ×3, first 2 shown]
	v_fma_f64 v[40:41], v[36:37], v[4:5], -v[10:11]
	v_fma_f64 v[59:60], v[34:35], v[4:5], -v[32:33]
	;; [unrolled: 1-line block ×3, first 2 shown]
	v_add_f64 v[51:52], v[32:33], v[40:41]
	v_add_f64 v[53:54], v[51:52], -v[32:33]
	v_add_f64 v[61:62], v[10:11], v[51:52]
	v_add_f64 v[55:56], v[51:52], -v[53:54]
	v_add_f64 v[40:41], v[40:41], -v[53:54]
	v_add_f64 v[53:54], v[57:58], v[59:60]
	v_add_f64 v[10:11], v[61:62], -v[10:11]
	v_add_f64 v[32:33], v[32:33], -v[55:56]
	v_ldexp_f64 v[55:56], v[61:62], -2
	v_add_f64 v[63:64], v[53:54], -v[57:58]
	v_add_f64 v[10:11], v[51:52], -v[10:11]
	v_add_f64 v[32:33], v[40:41], v[32:33]
	v_fract_f64_e32 v[40:41], v[55:56]
	v_cmp_neq_f64_e64 vcc, |v[55:56]|, s[94:95]
	v_add_f64 v[59:60], v[59:60], -v[63:64]
	v_add_f64 v[51:52], v[53:54], v[32:33]
	v_ldexp_f64 v[40:41], v[40:41], 2
	v_add_f64 v[55:56], v[10:11], v[51:52]
	v_cndmask_b32_e32 v41, 0, v41, vcc
	v_cndmask_b32_e32 v40, 0, v40, vcc
	v_add_f64 v[65:66], v[51:52], -v[53:54]
	v_add_f64 v[61:62], v[55:56], v[40:41]
	v_add_f64 v[10:11], v[55:56], -v[10:11]
	v_add_f64 v[67:68], v[51:52], -v[65:66]
	;; [unrolled: 1-line block ×3, first 2 shown]
	v_cmp_gt_f64_e32 vcc, 0, v[61:62]
	v_add_f64 v[61:62], v[53:54], -v[63:64]
	v_add_f64 v[10:11], v[51:52], -v[10:11]
	;; [unrolled: 1-line block ×3, first 2 shown]
	v_cndmask_b32_e32 v23, 0, v43, vcc
	v_add_f64 v[40:41], v[40:41], v[22:23]
	v_add_f64 v[61:62], v[57:58], -v[61:62]
	v_add_f64 v[32:33], v[32:33], v[53:54]
	v_add_f64 v[69:70], v[55:56], v[40:41]
	;; [unrolled: 1-line block ×3, first 2 shown]
	v_cvt_i32_f64_e32 v49, v[69:70]
	v_add_f64 v[32:33], v[59:60], v[32:33]
	v_cvt_f64_i32_e32 v[63:64], v49
	v_add_f64 v[40:41], v[40:41], -v[63:64]
	v_add_f64 v[4:5], v[4:5], v[32:33]
	v_add_f64 v[53:54], v[55:56], v[40:41]
	;; [unrolled: 1-line block ×3, first 2 shown]
	v_add_f64 v[32:33], v[53:54], -v[40:41]
	v_cmp_le_f64_e32 vcc, 0.5, v[53:54]
	v_add_f64 v[10:11], v[55:56], -v[32:33]
	v_cndmask_b32_e32 v23, 0, v44, vcc
	v_addc_co_u32_e32 v49, vcc, 0, v49, vcc
	v_add_f64 v[4:5], v[4:5], v[10:11]
	v_add_f64 v[10:11], v[53:54], -v[22:23]
	v_add_f64 v[32:33], v[10:11], v[4:5]
	v_mul_f64 v[40:41], v[32:33], s[4:5]
	v_add_f64 v[10:11], v[32:33], -v[10:11]
	v_fma_f64 v[51:52], v[32:33], s[4:5], -v[40:41]
	v_add_f64 v[4:5], v[4:5], -v[10:11]
	v_fma_f64 v[10:11], v[32:33], s[16:17], v[51:52]
	v_fma_f64 v[10:11], v[4:5], s[4:5], v[10:11]
	v_add_f64 v[4:5], v[40:41], v[10:11]
	v_add_f64 v[32:33], v[4:5], -v[40:41]
	v_add_f64 v[10:11], v[10:11], -v[32:33]
	s_andn2_saveexec_b64 s[68:69], s[68:69]
	s_cbranch_execz .LBB99_325
	s_branch .LBB99_324
.LBB99_323:                             ;   in Loop: Header=BB99_180 Depth=1
	s_andn2_saveexec_b64 s[68:69], s[68:69]
	s_cbranch_execz .LBB99_325
.LBB99_324:                             ;   in Loop: Header=BB99_180 Depth=1
	v_mul_f64 v[4:5], |v[2:3]|, s[6:7]
	s_mov_b32 s8, s14
	v_rndne_f64_e32 v[32:33], v[4:5]
	v_fma_f64 v[4:5], v[32:33], s[12:13], |v[2:3]|
	v_mul_f64 v[10:11], v[32:33], s[14:15]
	v_cvt_i32_f64_e32 v49, v[32:33]
	v_fma_f64 v[53:54], v[32:33], s[14:15], v[4:5]
	v_add_f64 v[40:41], v[4:5], v[10:11]
	v_add_f64 v[51:52], v[4:5], -v[40:41]
	v_add_f64 v[40:41], v[40:41], -v[53:54]
	v_add_f64 v[4:5], v[51:52], v[10:11]
	v_fma_f64 v[10:11], v[32:33], s[8:9], v[10:11]
	v_add_f64 v[4:5], v[40:41], v[4:5]
	v_add_f64 v[4:5], v[4:5], -v[10:11]
	v_fma_f64 v[10:11], v[32:33], s[10:11], v[4:5]
	v_add_f64 v[4:5], v[53:54], v[10:11]
	v_add_f64 v[40:41], v[4:5], -v[53:54]
	v_add_f64 v[10:11], v[10:11], -v[40:41]
.LBB99_325:                             ;   in Loop: Header=BB99_180 Depth=1
	s_or_b64 exec, exec, s[68:69]
                                        ; implicit-def: $vgpr23
                                        ; implicit-def: $vgpr32_vgpr33
                                        ; implicit-def: $vgpr40_vgpr41
	s_and_saveexec_b64 s[68:69], s[0:1]
	s_xor_b64 s[0:1], exec, s[68:69]
	s_cbranch_execz .LBB99_327
; %bb.326:                              ;   in Loop: Header=BB99_180 Depth=1
	v_cmp_ge_f64_e64 vcc, |v[2:3]|, s[92:93]
	s_mov_b32 s4, s12
	s_mov_b32 s17, s9
	v_cndmask_b32_e32 v33, v50, v39, vcc
	v_cndmask_b32_e32 v32, v2, v38, vcc
	v_mul_f64 v[38:39], v[36:37], v[32:33]
	v_mul_f64 v[40:41], v[34:35], v[32:33]
	;; [unrolled: 1-line block ×3, first 2 shown]
	v_fma_f64 v[36:37], v[36:37], v[32:33], -v[38:39]
	v_fma_f64 v[34:35], v[34:35], v[32:33], -v[40:41]
	;; [unrolled: 1-line block ×3, first 2 shown]
	v_add_f64 v[50:51], v[40:41], v[36:37]
	v_add_f64 v[52:53], v[50:51], -v[40:41]
	v_add_f64 v[58:59], v[38:39], v[50:51]
	v_add_f64 v[54:55], v[50:51], -v[52:53]
	v_add_f64 v[36:37], v[36:37], -v[52:53]
	v_add_f64 v[52:53], v[56:57], v[34:35]
	v_add_f64 v[38:39], v[58:59], -v[38:39]
	v_add_f64 v[40:41], v[40:41], -v[54:55]
	v_ldexp_f64 v[54:55], v[58:59], -2
	v_add_f64 v[60:61], v[52:53], -v[56:57]
	v_add_f64 v[38:39], v[50:51], -v[38:39]
	v_add_f64 v[36:37], v[36:37], v[40:41]
	v_fract_f64_e32 v[40:41], v[54:55]
	v_cmp_neq_f64_e64 vcc, |v[54:55]|, s[94:95]
	v_add_f64 v[34:35], v[34:35], -v[60:61]
	v_add_f64 v[50:51], v[52:53], v[36:37]
	v_ldexp_f64 v[40:41], v[40:41], 2
	v_add_f64 v[54:55], v[38:39], v[50:51]
	v_cndmask_b32_e32 v41, 0, v41, vcc
	v_cndmask_b32_e32 v40, 0, v40, vcc
	v_add_f64 v[62:63], v[50:51], -v[52:53]
	v_add_f64 v[58:59], v[54:55], v[40:41]
	v_add_f64 v[32:33], v[54:55], -v[38:39]
	v_add_f64 v[64:65], v[50:51], -v[62:63]
	;; [unrolled: 1-line block ×3, first 2 shown]
	v_cmp_gt_f64_e32 vcc, 0, v[58:59]
	v_add_f64 v[58:59], v[52:53], -v[60:61]
	v_add_f64 v[32:33], v[50:51], -v[32:33]
	;; [unrolled: 1-line block ×3, first 2 shown]
	v_cndmask_b32_e32 v23, 0, v43, vcc
	v_add_f64 v[40:41], v[40:41], v[22:23]
	v_add_f64 v[58:59], v[56:57], -v[58:59]
	v_add_f64 v[36:37], v[36:37], v[52:53]
	v_add_f64 v[66:67], v[54:55], v[40:41]
	;; [unrolled: 1-line block ×3, first 2 shown]
	v_cvt_i32_f64_e32 v62, v[66:67]
	v_add_f64 v[34:35], v[34:35], v[36:37]
	v_cvt_f64_i32_e32 v[60:61], v62
	v_add_f64 v[40:41], v[40:41], -v[60:61]
	v_add_f64 v[30:31], v[30:31], v[34:35]
	v_add_f64 v[36:37], v[54:55], v[40:41]
	;; [unrolled: 1-line block ×3, first 2 shown]
	v_add_f64 v[34:35], v[36:37], -v[40:41]
	v_cmp_le_f64_e32 vcc, 0.5, v[36:37]
	v_add_f64 v[32:33], v[54:55], -v[34:35]
	v_cndmask_b32_e32 v23, 0, v44, vcc
	v_add_f64 v[30:31], v[30:31], v[32:33]
	v_add_f64 v[32:33], v[36:37], -v[22:23]
	v_addc_co_u32_e32 v23, vcc, 0, v62, vcc
	v_add_f64 v[34:35], v[32:33], v[30:31]
	v_mul_f64 v[36:37], v[34:35], s[4:5]
	v_add_f64 v[32:33], v[34:35], -v[32:33]
	v_fma_f64 v[38:39], v[34:35], s[4:5], -v[36:37]
	v_add_f64 v[30:31], v[30:31], -v[32:33]
	v_fma_f64 v[32:33], v[34:35], s[16:17], v[38:39]
	v_fma_f64 v[30:31], v[30:31], s[4:5], v[32:33]
	v_add_f64 v[32:33], v[36:37], v[30:31]
	v_add_f64 v[34:35], v[32:33], -v[36:37]
	v_add_f64 v[40:41], v[30:31], -v[34:35]
	s_andn2_saveexec_b64 s[0:1], s[0:1]
	s_cbranch_execz .LBB99_176
	s_branch .LBB99_328
.LBB99_327:                             ;   in Loop: Header=BB99_180 Depth=1
	s_andn2_saveexec_b64 s[0:1], s[0:1]
	s_cbranch_execz .LBB99_176
.LBB99_328:                             ;   in Loop: Header=BB99_180 Depth=1
	v_mul_f64 v[30:31], |v[2:3]|, s[6:7]
	s_mov_b32 s8, s14
	v_rndne_f64_e32 v[30:31], v[30:31]
	v_fma_f64 v[32:33], v[30:31], s[12:13], |v[2:3]|
	v_mul_f64 v[34:35], v[30:31], s[14:15]
	v_cvt_i32_f64_e32 v23, v[30:31]
	v_fma_f64 v[40:41], v[30:31], s[14:15], v[32:33]
	v_add_f64 v[36:37], v[32:33], v[34:35]
	v_add_f64 v[38:39], v[32:33], -v[36:37]
	v_add_f64 v[36:37], v[36:37], -v[40:41]
	v_add_f64 v[32:33], v[38:39], v[34:35]
	v_fma_f64 v[34:35], v[30:31], s[8:9], v[34:35]
	v_add_f64 v[32:33], v[36:37], v[32:33]
	v_add_f64 v[32:33], v[32:33], -v[34:35]
	v_fma_f64 v[34:35], v[30:31], s[10:11], v[32:33]
	v_add_f64 v[32:33], v[40:41], v[34:35]
	v_add_f64 v[36:37], v[32:33], -v[40:41]
	v_add_f64 v[40:41], v[34:35], -v[36:37]
	s_branch .LBB99_176
.LBB99_329:
	s_endpgm
	.section	.rodata,"a",@progbits
	.p2align	6, 0x0
	.amdhsa_kernel _ZN2at6native12_GLOBAL__N_125multi_tensor_apply_kernelINS1_18TensorListMetadataILi1EEENS1_14UnaryOpFunctorIN3c107complexIdEELi1ELi1ELi0EEEJNS0_3TanIS8_EEEEEvT_T0_DpT1_
		.amdhsa_group_segment_fixed_size 0
		.amdhsa_private_segment_fixed_size 0
		.amdhsa_kernarg_size 3632
		.amdhsa_user_sgpr_count 6
		.amdhsa_user_sgpr_private_segment_buffer 1
		.amdhsa_user_sgpr_dispatch_ptr 0
		.amdhsa_user_sgpr_queue_ptr 0
		.amdhsa_user_sgpr_kernarg_segment_ptr 1
		.amdhsa_user_sgpr_dispatch_id 0
		.amdhsa_user_sgpr_flat_scratch_init 0
		.amdhsa_user_sgpr_private_segment_size 0
		.amdhsa_uses_dynamic_stack 0
		.amdhsa_system_sgpr_private_segment_wavefront_offset 0
		.amdhsa_system_sgpr_workgroup_id_x 1
		.amdhsa_system_sgpr_workgroup_id_y 0
		.amdhsa_system_sgpr_workgroup_id_z 0
		.amdhsa_system_sgpr_workgroup_info 0
		.amdhsa_system_vgpr_workitem_id 0
		.amdhsa_next_free_vgpr 82
		.amdhsa_next_free_sgpr 96
		.amdhsa_reserve_vcc 1
		.amdhsa_reserve_flat_scratch 0
		.amdhsa_float_round_mode_32 0
		.amdhsa_float_round_mode_16_64 0
		.amdhsa_float_denorm_mode_32 3
		.amdhsa_float_denorm_mode_16_64 3
		.amdhsa_dx10_clamp 1
		.amdhsa_ieee_mode 1
		.amdhsa_fp16_overflow 0
		.amdhsa_exception_fp_ieee_invalid_op 0
		.amdhsa_exception_fp_denorm_src 0
		.amdhsa_exception_fp_ieee_div_zero 0
		.amdhsa_exception_fp_ieee_overflow 0
		.amdhsa_exception_fp_ieee_underflow 0
		.amdhsa_exception_fp_ieee_inexact 0
		.amdhsa_exception_int_div_zero 0
	.end_amdhsa_kernel
	.section	.text._ZN2at6native12_GLOBAL__N_125multi_tensor_apply_kernelINS1_18TensorListMetadataILi1EEENS1_14UnaryOpFunctorIN3c107complexIdEELi1ELi1ELi0EEEJNS0_3TanIS8_EEEEEvT_T0_DpT1_,"axG",@progbits,_ZN2at6native12_GLOBAL__N_125multi_tensor_apply_kernelINS1_18TensorListMetadataILi1EEENS1_14UnaryOpFunctorIN3c107complexIdEELi1ELi1ELi0EEEJNS0_3TanIS8_EEEEEvT_T0_DpT1_,comdat
.Lfunc_end99:
	.size	_ZN2at6native12_GLOBAL__N_125multi_tensor_apply_kernelINS1_18TensorListMetadataILi1EEENS1_14UnaryOpFunctorIN3c107complexIdEELi1ELi1ELi0EEEJNS0_3TanIS8_EEEEEvT_T0_DpT1_, .Lfunc_end99-_ZN2at6native12_GLOBAL__N_125multi_tensor_apply_kernelINS1_18TensorListMetadataILi1EEENS1_14UnaryOpFunctorIN3c107complexIdEELi1ELi1ELi0EEEJNS0_3TanIS8_EEEEEvT_T0_DpT1_
                                        ; -- End function
	.set _ZN2at6native12_GLOBAL__N_125multi_tensor_apply_kernelINS1_18TensorListMetadataILi1EEENS1_14UnaryOpFunctorIN3c107complexIdEELi1ELi1ELi0EEEJNS0_3TanIS8_EEEEEvT_T0_DpT1_.num_vgpr, 82
	.set _ZN2at6native12_GLOBAL__N_125multi_tensor_apply_kernelINS1_18TensorListMetadataILi1EEENS1_14UnaryOpFunctorIN3c107complexIdEELi1ELi1ELi0EEEJNS0_3TanIS8_EEEEEvT_T0_DpT1_.num_agpr, 0
	.set _ZN2at6native12_GLOBAL__N_125multi_tensor_apply_kernelINS1_18TensorListMetadataILi1EEENS1_14UnaryOpFunctorIN3c107complexIdEELi1ELi1ELi0EEEJNS0_3TanIS8_EEEEEvT_T0_DpT1_.numbered_sgpr, 96
	.set _ZN2at6native12_GLOBAL__N_125multi_tensor_apply_kernelINS1_18TensorListMetadataILi1EEENS1_14UnaryOpFunctorIN3c107complexIdEELi1ELi1ELi0EEEJNS0_3TanIS8_EEEEEvT_T0_DpT1_.num_named_barrier, 0
	.set _ZN2at6native12_GLOBAL__N_125multi_tensor_apply_kernelINS1_18TensorListMetadataILi1EEENS1_14UnaryOpFunctorIN3c107complexIdEELi1ELi1ELi0EEEJNS0_3TanIS8_EEEEEvT_T0_DpT1_.private_seg_size, 0
	.set _ZN2at6native12_GLOBAL__N_125multi_tensor_apply_kernelINS1_18TensorListMetadataILi1EEENS1_14UnaryOpFunctorIN3c107complexIdEELi1ELi1ELi0EEEJNS0_3TanIS8_EEEEEvT_T0_DpT1_.uses_vcc, 1
	.set _ZN2at6native12_GLOBAL__N_125multi_tensor_apply_kernelINS1_18TensorListMetadataILi1EEENS1_14UnaryOpFunctorIN3c107complexIdEELi1ELi1ELi0EEEJNS0_3TanIS8_EEEEEvT_T0_DpT1_.uses_flat_scratch, 0
	.set _ZN2at6native12_GLOBAL__N_125multi_tensor_apply_kernelINS1_18TensorListMetadataILi1EEENS1_14UnaryOpFunctorIN3c107complexIdEELi1ELi1ELi0EEEJNS0_3TanIS8_EEEEEvT_T0_DpT1_.has_dyn_sized_stack, 0
	.set _ZN2at6native12_GLOBAL__N_125multi_tensor_apply_kernelINS1_18TensorListMetadataILi1EEENS1_14UnaryOpFunctorIN3c107complexIdEELi1ELi1ELi0EEEJNS0_3TanIS8_EEEEEvT_T0_DpT1_.has_recursion, 0
	.set _ZN2at6native12_GLOBAL__N_125multi_tensor_apply_kernelINS1_18TensorListMetadataILi1EEENS1_14UnaryOpFunctorIN3c107complexIdEELi1ELi1ELi0EEEJNS0_3TanIS8_EEEEEvT_T0_DpT1_.has_indirect_call, 0
	.section	.AMDGPU.csdata,"",@progbits
; Kernel info:
; codeLenInByte = 59648
; TotalNumSgprs: 100
; NumVgprs: 82
; ScratchSize: 0
; MemoryBound: 1
; FloatMode: 240
; IeeeMode: 1
; LDSByteSize: 0 bytes/workgroup (compile time only)
; SGPRBlocks: 12
; VGPRBlocks: 20
; NumSGPRsForWavesPerEU: 100
; NumVGPRsForWavesPerEU: 82
; Occupancy: 3
; WaveLimiterHint : 0
; COMPUTE_PGM_RSRC2:SCRATCH_EN: 0
; COMPUTE_PGM_RSRC2:USER_SGPR: 6
; COMPUTE_PGM_RSRC2:TRAP_HANDLER: 0
; COMPUTE_PGM_RSRC2:TGID_X_EN: 1
; COMPUTE_PGM_RSRC2:TGID_Y_EN: 0
; COMPUTE_PGM_RSRC2:TGID_Z_EN: 0
; COMPUTE_PGM_RSRC2:TIDIG_COMP_CNT: 0
	.section	.text._ZN2at6native12_GLOBAL__N_125multi_tensor_apply_kernelINS1_18TensorListMetadataILi1EEENS1_14UnaryOpFunctorIN3c107complexIfEELi1ELi1ELi0EEEJNS0_3TanIS8_EEEEEvT_T0_DpT1_,"axG",@progbits,_ZN2at6native12_GLOBAL__N_125multi_tensor_apply_kernelINS1_18TensorListMetadataILi1EEENS1_14UnaryOpFunctorIN3c107complexIfEELi1ELi1ELi0EEEJNS0_3TanIS8_EEEEEvT_T0_DpT1_,comdat
	.globl	_ZN2at6native12_GLOBAL__N_125multi_tensor_apply_kernelINS1_18TensorListMetadataILi1EEENS1_14UnaryOpFunctorIN3c107complexIfEELi1ELi1ELi0EEEJNS0_3TanIS8_EEEEEvT_T0_DpT1_ ; -- Begin function _ZN2at6native12_GLOBAL__N_125multi_tensor_apply_kernelINS1_18TensorListMetadataILi1EEENS1_14UnaryOpFunctorIN3c107complexIfEELi1ELi1ELi0EEEJNS0_3TanIS8_EEEEEvT_T0_DpT1_
	.p2align	8
	.type	_ZN2at6native12_GLOBAL__N_125multi_tensor_apply_kernelINS1_18TensorListMetadataILi1EEENS1_14UnaryOpFunctorIN3c107complexIfEELi1ELi1ELi0EEEJNS0_3TanIS8_EEEEEvT_T0_DpT1_,@function
_ZN2at6native12_GLOBAL__N_125multi_tensor_apply_kernelINS1_18TensorListMetadataILi1EEENS1_14UnaryOpFunctorIN3c107complexIfEELi1ELi1ELi0EEEJNS0_3TanIS8_EEEEEvT_T0_DpT1_: ; @_ZN2at6native12_GLOBAL__N_125multi_tensor_apply_kernelINS1_18TensorListMetadataILi1EEENS1_14UnaryOpFunctorIN3c107complexIfEELi1ELi1ELi0EEEJNS0_3TanIS8_EEEEEvT_T0_DpT1_
; %bb.0:
	v_mov_b32_e32 v1, s6
	global_load_ubyte v1, v1, s[4:5] offset:1760
	s_add_u32 s0, s4, s6
	s_mul_hi_u32 s1, s6, 3
	s_mul_i32 s6, s6, 3
	s_addc_u32 s2, s5, 0
	s_add_u32 s0, s0, s6
	s_addc_u32 s1, s2, s1
	s_load_dword s0, s[0:1], 0x820
	s_mov_b32 s7, 0
	s_waitcnt vmcnt(0)
	v_readfirstlane_b32 s1, v1
	s_lshl_b32 s1, s1, 3
	s_load_dwordx2 s[16:17], s[4:5], s1 offset:0x0
	s_load_dwordx2 s[2:3], s[4:5], s1 offset:0x370
	s_waitcnt lgkmcnt(0)
	s_ashr_i32 s1, s0, 31
	s_lshl_b64 s[18:19], s[0:1], 19
	s_add_u32 s33, s16, s18
	s_addc_u32 s40, s17, s19
	s_lshl_b64 s[0:1], s[0:1], 16
	s_and_b32 s6, s33, 31
	s_sub_u32 s20, s2, s0
	s_subb_u32 s21, s3, s1
	s_and_b32 s0, s2, 3
	s_mov_b32 s1, s7
	s_or_b64 s[0:1], s[6:7], s[0:1]
	s_cmp_eq_u64 s[0:1], 0
	s_cbranch_scc1 .LBB100_173
; %bb.1:
	v_cmp_lt_i64_e64 s[0:1], s[20:21], 1
	s_and_b64 vcc, exec, s[0:1]
	s_cbranch_vccnz .LBB100_172
; %bb.2:
	v_mov_b32_e32 v3, 0x10000
	s_load_dword s2, s[4:5], 0xd3c
	v_mov_b32_e32 v4, 0
	v_cmp_lt_i64_e32 vcc, s[20:21], v[3:4]
	v_mov_b32_e32 v2, 0
	s_and_b64 s[0:1], vcc, exec
	v_cmp_lt_u64_e32 vcc, s[20:21], v[3:4]
	s_cselect_b32 s23, s21, 0
	s_cselect_b32 s22, s20, 0x10000
	s_waitcnt lgkmcnt(0)
	s_and_b32 s2, s2, 0xffff
	s_and_b64 s[0:1], vcc, exec
	s_mul_i32 s6, s2, 3
	v_add_co_u32_e32 v16, vcc, s2, v0
	v_lshlrev_b32_e32 v3, 3, v0
	v_mov_b32_e32 v4, v2
	v_addc_co_u32_e64 v17, s[0:1], 0, 0, vcc
	v_add_co_u32_e32 v18, vcc, s6, v0
	v_mad_u64_u32 v[4:5], s[0:1], s2, 24, v[3:4]
	v_addc_co_u32_e64 v19, s[0:1], 0, 0, vcc
	s_cselect_b32 s25, s21, 0
	s_cselect_b32 s24, s20, 0x10000
	s_lshl_b32 s0, s2, 4
	s_lshl_b32 s3, s2, 1
	v_add_co_u32_e32 v1, vcc, s0, v3
	v_addc_co_u32_e64 v21, s[0:1], 0, 0, vcc
	v_add_co_u32_e32 v23, vcc, s3, v0
	s_lshl_b32 s41, s2, 2
	s_lshl_b32 s42, s2, 5
	v_or_b32_e32 v4, 4, v4
	v_lshlrev_b32_e32 v20, 3, v16
	v_or_b32_e32 v22, 4, v1
	v_addc_co_u32_e64 v24, s[0:1], 0, 0, vcc
	s_mov_b64 s[26:27], 0
	s_brev_b32 s43, -2
	s_mov_b32 s44, 0x7f800000
	s_movk_i32 s45, 0x1f8
	s_mov_b32 s46, 0x41300000
	s_brev_b32 s47, 18
	s_mov_b32 s48, 0xfe5163ab
	s_mov_b32 s49, 0x3c439041
	;; [unrolled: 1-line block ×10, first 2 shown]
	v_mov_b32_e32 v25, 0x3f93f425
	s_mov_b32 s58, 0xbf317218
	v_mov_b32_e32 v26, 0x3d2aadcc
	v_mov_b32_e32 v27, 0x3e2aaa47
	s_mov_b32 s59, 0x42b2d4fc
	s_mov_b32 s60, 0x39800000
	;; [unrolled: 1-line block ×7, first 2 shown]
	v_mov_b32_e32 v28, 0x3efffffc
	v_mov_b32_e32 v29, 0x260
	;; [unrolled: 1-line block ×5, first 2 shown]
	v_not_b32_e32 v33, 63
	v_not_b32_e32 v34, 31
	v_mov_b32_e32 v35, 0x7f800000
	v_mov_b32_e32 v36, 0x7fc00000
	s_branch .LBB100_4
.LBB100_3:                              ;   in Loop: Header=BB100_4 Depth=1
	s_or_b64 exec, exec, s[0:1]
	s_add_u32 s26, s26, s41
	v_mov_b32_e32 v6, s22
	s_addc_u32 s27, s27, 0
	v_mov_b32_e32 v7, s23
	v_cmp_ge_i64_e32 vcc, s[26:27], v[6:7]
	s_add_u32 s33, s33, s42
	s_addc_u32 s40, s40, 0
	s_cbranch_vccnz .LBB100_172
.LBB100_4:                              ; =>This Inner Loop Header: Depth=1
	v_mov_b32_e32 v1, s27
	v_add_co_u32_e32 v6, vcc, s26, v0
	v_addc_co_u32_e32 v7, vcc, 0, v1, vcc
	v_cmp_gt_u64_e64 s[0:1], s[24:25], v[6:7]
	v_mov_b32_e32 v15, 0
	v_mov_b32_e32 v14, 0
	s_and_saveexec_b64 s[2:3], s[0:1]
	s_cbranch_execz .LBB100_6
; %bb.5:                                ;   in Loop: Header=BB100_4 Depth=1
	v_mov_b32_e32 v1, s40
	v_add_co_u32_e32 v6, vcc, s33, v3
	v_addc_co_u32_e32 v7, vcc, 0, v1, vcc
	global_load_dwordx2 v[14:15], v[6:7], off
.LBB100_6:                              ;   in Loop: Header=BB100_4 Depth=1
	s_or_b64 exec, exec, s[2:3]
	v_mov_b32_e32 v1, s27
	v_add_co_u32_e32 v6, vcc, s26, v16
	v_addc_co_u32_e32 v7, vcc, v17, v1, vcc
	v_cmp_gt_u64_e64 s[2:3], s[24:25], v[6:7]
	v_mov_b32_e32 v10, 0
	v_mov_b32_e32 v13, 0
	v_mov_b32_e32 v12, 0
	s_and_saveexec_b64 s[6:7], s[2:3]
	s_cbranch_execz .LBB100_8
; %bb.7:                                ;   in Loop: Header=BB100_4 Depth=1
	v_mov_b32_e32 v1, s40
	v_add_co_u32_e32 v6, vcc, s33, v20
	v_addc_co_u32_e32 v7, vcc, 0, v1, vcc
	global_load_dwordx2 v[12:13], v[6:7], off
.LBB100_8:                              ;   in Loop: Header=BB100_4 Depth=1
	s_or_b64 exec, exec, s[6:7]
	v_mov_b32_e32 v1, s27
	v_add_co_u32_e32 v6, vcc, s26, v23
	v_addc_co_u32_e32 v7, vcc, v24, v1, vcc
	v_cmp_gt_u64_e64 s[6:7], s[24:25], v[6:7]
	v_mov_b32_e32 v9, 0
	s_and_saveexec_b64 s[8:9], s[6:7]
	s_cbranch_execz .LBB100_10
; %bb.9:                                ;   in Loop: Header=BB100_4 Depth=1
	v_mov_b32_e32 v1, s40
	v_add_co_u32_e32 v6, vcc, s33, v22
	v_addc_co_u32_e32 v7, vcc, v1, v21, vcc
	global_load_dwordx2 v[9:10], v[6:7], off offset:-4
.LBB100_10:                             ;   in Loop: Header=BB100_4 Depth=1
	s_or_b64 exec, exec, s[8:9]
	v_mov_b32_e32 v1, s27
	v_add_co_u32_e32 v6, vcc, s26, v18
	v_addc_co_u32_e32 v7, vcc, v19, v1, vcc
	v_cmp_gt_u64_e64 s[8:9], s[24:25], v[6:7]
	v_mov_b32_e32 v7, 0
	v_mov_b32_e32 v6, 0
	s_and_saveexec_b64 s[10:11], s[8:9]
	s_cbranch_execz .LBB100_12
; %bb.11:                               ;   in Loop: Header=BB100_4 Depth=1
	v_mov_b32_e32 v1, s40
	v_add_co_u32_e32 v6, vcc, s33, v4
	v_addc_co_u32_e32 v7, vcc, v1, v5, vcc
	global_load_dwordx2 v[6:7], v[6:7], off offset:-4
.LBB100_12:                             ;   in Loop: Header=BB100_4 Depth=1
	s_or_b64 exec, exec, s[10:11]
	s_waitcnt vmcnt(0)
	v_and_b32_e32 v1, 0x7fffffff, v15
	v_cmp_gt_u32_e32 vcc, s44, v1
                                        ; implicit-def: $vgpr8
                                        ; implicit-def: $vgpr37
	s_and_saveexec_b64 s[10:11], vcc
	s_xor_b64 s[28:29], exec, s[10:11]
	s_cbranch_execz .LBB100_34
; %bb.13:                               ;   in Loop: Header=BB100_4 Depth=1
	v_cmp_class_f32_e64 s[10:11], v14, s45
                                        ; implicit-def: $vgpr8
                                        ; implicit-def: $vgpr37
	s_and_saveexec_b64 s[12:13], s[10:11]
	s_xor_b64 s[30:31], exec, s[12:13]
	s_cbranch_execz .LBB100_31
; %bb.14:                               ;   in Loop: Header=BB100_4 Depth=1
	v_and_b32_e32 v11, 0x7fffffff, v14
	v_cmp_gt_u32_e32 vcc, s46, v1
                                        ; implicit-def: $vgpr8
                                        ; implicit-def: $vgpr37
	s_and_saveexec_b64 s[10:11], vcc
	s_xor_b64 s[34:35], exec, s[10:11]
	s_cbranch_execz .LBB100_20
; %bb.15:                               ;   in Loop: Header=BB100_4 Depth=1
	v_cmp_nlt_f32_e64 s[10:11], |v14|, s47
                                        ; implicit-def: $vgpr8
                                        ; implicit-def: $vgpr1
	s_and_saveexec_b64 s[12:13], s[10:11]
	s_xor_b64 s[36:37], exec, s[12:13]
	s_cbranch_execz .LBB100_17
; %bb.16:                               ;   in Loop: Header=BB100_4 Depth=1
	v_and_b32_e32 v1, 0x7fffff, v11
	v_or_b32_e32 v8, 0x800000, v1
	v_mad_u64_u32 v[37:38], s[10:11], v8, s48, 0
	v_mov_b32_e32 v1, v38
	v_mad_u64_u32 v[38:39], s[10:11], v8, s49, v[1:2]
	v_mov_b32_e32 v1, v39
	;; [unrolled: 2-line block ×3, first 2 shown]
	v_mad_u64_u32 v[40:41], s[10:11], v8, s51, v[1:2]
	v_lshrrev_b32_e32 v1, 23, v11
	v_add_u32_e32 v43, 0xffffff88, v1
	v_mov_b32_e32 v1, v41
	v_mad_u64_u32 v[41:42], s[10:11], v8, s52, v[1:2]
	v_cmp_lt_u32_e32 vcc, 63, v43
	v_cndmask_b32_e32 v1, 0, v33, vcc
	v_add_u32_e32 v44, v1, v43
	v_mov_b32_e32 v1, v42
	v_mad_u64_u32 v[42:43], s[10:11], v8, s53, v[1:2]
	v_cmp_lt_u32_e64 s[10:11], 31, v44
	v_cndmask_b32_e64 v1, 0, v34, s[10:11]
	v_add_u32_e32 v45, v1, v44
	v_mov_b32_e32 v1, v43
	v_mad_u64_u32 v[43:44], s[12:13], v8, s54, v[1:2]
	v_cmp_lt_u32_e64 s[12:13], 31, v45
	v_cndmask_b32_e64 v1, 0, v34, s[12:13]
	v_cndmask_b32_e32 v8, v42, v40, vcc
	v_cndmask_b32_e32 v43, v43, v41, vcc
	;; [unrolled: 1-line block ×4, first 2 shown]
	v_add_u32_e32 v1, v1, v45
	v_cndmask_b32_e64 v44, v43, v8, s[10:11]
	v_cndmask_b32_e64 v42, v42, v43, s[10:11]
	;; [unrolled: 1-line block ×5, first 2 shown]
	v_sub_u32_e32 v44, 32, v1
	v_cmp_eq_u32_e64 s[14:15], 0, v1
	v_cndmask_b32_e32 v1, v40, v38, vcc
	v_cndmask_b32_e64 v38, v41, v1, s[10:11]
	v_alignbit_b32 v45, v42, v43, v44
	v_cndmask_b32_e64 v8, v8, v38, s[12:13]
	v_cndmask_b32_e64 v42, v45, v42, s[14:15]
	v_alignbit_b32 v40, v43, v8, v44
	v_cndmask_b32_e32 v37, v39, v37, vcc
	v_cndmask_b32_e64 v40, v40, v43, s[14:15]
	v_bfe_u32 v45, v42, 29, 1
	v_cndmask_b32_e64 v1, v1, v37, s[10:11]
	v_alignbit_b32 v41, v42, v40, 30
	v_sub_u32_e32 v46, 0, v45
	v_cndmask_b32_e64 v1, v38, v1, s[12:13]
	v_xor_b32_e32 v41, v41, v46
	v_alignbit_b32 v37, v8, v1, v44
	v_cndmask_b32_e64 v8, v37, v8, s[14:15]
	v_ffbh_u32_e32 v38, v41
	v_alignbit_b32 v37, v40, v8, 30
	v_min_u32_e32 v38, 32, v38
	v_alignbit_b32 v1, v8, v1, 30
	v_xor_b32_e32 v37, v37, v46
	v_sub_u32_e32 v39, 31, v38
	v_xor_b32_e32 v1, v1, v46
	v_alignbit_b32 v40, v41, v37, v39
	v_alignbit_b32 v1, v37, v1, v39
	;; [unrolled: 1-line block ×3, first 2 shown]
	v_ffbh_u32_e32 v37, v8
	v_min_u32_e32 v37, 32, v37
	v_lshrrev_b32_e32 v43, 29, v42
	v_not_b32_e32 v39, v37
	v_alignbit_b32 v1, v8, v1, v39
	v_lshlrev_b32_e32 v8, 31, v43
	v_or_b32_e32 v39, 0x33000000, v8
	v_add_lshl_u32 v37, v37, v38, 23
	v_lshrrev_b32_e32 v1, 9, v1
	v_sub_u32_e32 v37, v39, v37
	v_or_b32_e32 v8, 0.5, v8
	v_lshlrev_b32_e32 v38, 23, v38
	v_or_b32_e32 v1, v37, v1
	v_lshrrev_b32_e32 v37, 9, v40
	v_sub_u32_e32 v8, v8, v38
	v_or_b32_e32 v8, v37, v8
	v_mul_f32_e32 v37, 0x3fc90fda, v8
	v_fma_f32 v38, v8, s55, -v37
	v_fmac_f32_e32 v38, 0x33a22168, v8
	v_fmac_f32_e32 v38, 0x3fc90fda, v1
	v_lshrrev_b32_e32 v8, 30, v42
	v_add_f32_e32 v1, v37, v38
	v_add_u32_e32 v8, v45, v8
.LBB100_17:                             ;   in Loop: Header=BB100_4 Depth=1
	s_andn2_saveexec_b64 s[10:11], s[36:37]
; %bb.18:                               ;   in Loop: Header=BB100_4 Depth=1
	v_mul_f32_e64 v1, |v14|, s56
	v_rndne_f32_e32 v37, v1
	v_cvt_i32_f32_e32 v8, v37
	v_fma_f32 v1, v37, s57, |v14|
	v_fmac_f32_e32 v1, 0xb3a22168, v37
	v_fmac_f32_e32 v1, 0xa7c234c4, v37
; %bb.19:                               ;   in Loop: Header=BB100_4 Depth=1
	s_or_b64 exec, exec, s[10:11]
	v_mul_f32_e32 v37, v1, v1
	v_mov_b32_e32 v38, 0xbf039337
	v_fmac_f32_e32 v38, 0x3c971480, v37
	v_fma_f32 v38, v37, v38, v25
	v_rcp_f32_e32 v38, v38
	v_mov_b32_e32 v39, 0x3ec54587
	v_fmac_f32_e32 v39, 0xbc8cedd3, v37
	v_and_b32_e32 v8, 1, v8
	v_mul_f32_e32 v38, v39, v38
	v_mul_f32_e32 v37, v37, v38
	v_fma_f32 v38, v37, v1, v1
	v_rcp_f32_e32 v39, v38
	v_sub_f32_e32 v40, v38, v1
	v_fma_f32 v1, v37, v1, -v40
	v_cmp_eq_u32_e32 vcc, 0, v8
	v_fma_f32 v37, v38, -v39, 1.0
	v_fma_f32 v1, v1, -v39, v37
	v_add_f32_e64 v8, |v15|, s58
	v_fma_f32 v1, v1, -v39, -v39
	v_sub_f32_e64 v37, v8, |v15|
	v_cndmask_b32_e32 v1, v1, v38, vcc
	v_sub_f32_e32 v38, v37, v8
	v_add_f32_e64 v38, |v15|, v38
	v_add_f32_e32 v37, 0x3f317218, v37
	v_sub_f32_e32 v37, v38, v37
	v_add_f32_e32 v37, 0x3102e308, v37
	v_add_f32_e32 v38, v8, v37
	v_sub_f32_e32 v8, v8, v38
	v_add_f32_e32 v8, v37, v8
	v_mul_f32_e32 v37, 0x3fb8aa3b, v38
	v_rndne_f32_e32 v37, v37
	v_fmac_f32_e32 v38, 0xbf317200, v37
	v_add_f32_e32 v39, v8, v38
	v_sub_f32_e32 v38, v38, v39
	v_add_f32_e32 v8, v8, v38
	v_mul_f32_e32 v38, 0x35bfbc00, v37
	v_sub_f32_e32 v40, v39, v38
	v_sub_f32_e32 v39, v39, v40
	;; [unrolled: 1-line block ×3, first 2 shown]
	v_add_f32_e32 v8, v8, v38
	v_add_f32_e32 v38, v40, v8
	v_sub_f32_e32 v39, v40, v38
	v_add_f32_e32 v8, v8, v39
	v_mul_f32_e32 v39, 0x2ea39ef3, v37
	v_sub_f32_e32 v40, v38, v39
	v_sub_f32_e32 v38, v38, v40
	;; [unrolled: 1-line block ×3, first 2 shown]
	v_add_f32_e32 v8, v8, v38
	v_add_f32_e32 v38, v40, v8
	v_sub_f32_e32 v40, v40, v38
	v_mov_b32_e32 v39, 0x3c091de6
	v_add_f32_e32 v8, v8, v40
	v_mul_f32_e32 v41, v38, v38
	v_fmac_f32_e32 v39, 0x3ab42872, v38
	v_add_f32_e32 v40, v8, v8
	v_fma_f32 v42, v38, v38, -v41
	v_fma_f32 v39, v38, v39, v26
	v_fmac_f32_e32 v42, v38, v40
	v_fma_f32 v39, v38, v39, v27
	v_add_f32_e32 v40, v41, v42
	v_fma_f32 v39, v38, v39, v28
	v_sub_f32_e32 v41, v40, v41
	v_sub_f32_e32 v41, v42, v41
	v_mul_f32_e32 v42, v39, v40
	v_fma_f32 v40, v40, v39, -v42
	v_fmac_f32_e32 v40, v41, v39
	v_add_f32_e32 v39, v42, v40
	v_sub_f32_e32 v41, v39, v42
	v_sub_f32_e32 v40, v40, v41
	v_add_f32_e32 v41, v38, v39
	v_sub_f32_e32 v38, v41, v38
	v_sub_f32_e32 v38, v39, v38
	v_add_f32_e32 v8, v8, v40
	v_add_f32_e32 v8, v8, v38
	;; [unrolled: 1-line block ×3, first 2 shown]
	v_sub_f32_e32 v39, v38, v41
	v_sub_f32_e32 v8, v8, v39
	v_add_f32_e32 v39, 1.0, v38
	v_add_f32_e32 v40, -1.0, v39
	v_cvt_i32_f32_e32 v37, v37
	v_sub_f32_e32 v38, v38, v40
	v_add_f32_e32 v8, v8, v38
	v_add_f32_e32 v38, v39, v8
	v_ldexp_f32 v40, v38, v37
	v_rcp_f32_e32 v41, v40
	v_sub_f32_e32 v38, v38, v39
	v_sub_f32_e32 v8, v8, v38
	v_ldexp_f32 v8, v8, v37
	v_mul_f32_e32 v37, v40, v41
	v_fma_f32 v38, v41, v40, -v37
	v_fmac_f32_e32 v38, v41, v8
	v_add_f32_e32 v39, v37, v38
	v_sub_f32_e32 v42, 1.0, v39
	v_sub_f32_e32 v43, 1.0, v42
	v_sub_f32_e32 v37, v39, v37
	v_sub_f32_e32 v43, v43, v39
	;; [unrolled: 1-line block ×3, first 2 shown]
	v_add_f32_e32 v37, v37, v43
	v_add_f32_e32 v38, v42, v37
	v_mul_f32_e32 v39, v41, v38
	v_mul_f32_e32 v43, v40, v39
	v_fma_f32 v44, v39, v40, -v43
	v_fmac_f32_e32 v44, v39, v8
	v_sub_f32_e32 v42, v42, v38
	v_add_f32_e32 v37, v37, v42
	v_add_f32_e32 v42, v43, v44
	v_sub_f32_e32 v45, v38, v42
	v_sub_f32_e32 v38, v38, v45
	;; [unrolled: 1-line block ×4, first 2 shown]
	v_add_f32_e32 v37, v37, v38
	v_sub_f32_e32 v38, v43, v44
	v_add_f32_e32 v37, v38, v37
	v_add_f32_e32 v37, v45, v37
	;; [unrolled: 1-line block ×3, first 2 shown]
	v_mul_f32_e32 v37, v41, v37
	v_sub_f32_e32 v41, v38, v41
	v_sub_f32_e32 v39, v39, v41
	v_add_f32_e32 v37, v39, v37
	v_add_f32_e32 v39, v38, v37
	v_sub_f32_e32 v38, v39, v38
	v_sub_f32_e32 v37, v37, v38
	v_ldexp_f32 v38, v39, -2
	v_sub_f32_e32 v39, v40, v38
	v_sub_f32_e32 v40, v40, v39
	;; [unrolled: 1-line block ×3, first 2 shown]
	v_ldexp_f32 v37, v37, -2
	v_add_f32_e32 v8, v8, v38
	v_sub_f32_e32 v8, v8, v37
	v_add_f32_e32 v8, v39, v8
	v_cmp_ngt_f32_e64 vcc, |v15|, s59
	v_cndmask_b32_e32 v8, v35, v8, vcc
	v_cmp_lt_f32_e64 s[10:11], |v15|, s60
	v_cndmask_b32_e64 v8, v8, |v15|, s[10:11]
	v_xor_b32_e32 v15, 0x80000000, v15
	v_bfi_b32 v8, s43, v8, v15
	v_fma_f32 v15, v8, v8, 1.0
	v_mul_f32_e32 v37, 0x4f800000, v15
	v_cmp_gt_f32_e32 vcc, s61, v15
	v_cndmask_b32_e32 v15, v15, v37, vcc
	v_sqrt_f32_e32 v37, v15
	v_xor_b32_e32 v1, v11, v1
	v_xor_b32_e32 v1, v1, v14
	v_fma_f32 v11, v1, v1, 1.0
	v_add_u32_e32 v14, -1, v37
	v_fma_f32 v38, -v14, v37, v15
	v_cmp_ge_f32_e64 s[10:11], 0, v38
	v_add_u32_e32 v38, 1, v37
	v_cndmask_b32_e64 v14, v37, v14, s[10:11]
	v_fma_f32 v37, -v38, v37, v15
	v_cmp_lt_f32_e64 s[10:11], 0, v37
	v_cndmask_b32_e64 v14, v14, v38, s[10:11]
	v_mul_f32_e32 v37, 0x37800000, v14
	v_cndmask_b32_e32 v14, v14, v37, vcc
	v_cmp_class_f32_e32 vcc, v15, v29
	v_cndmask_b32_e32 v14, v14, v15, vcc
	v_mul_f32_e32 v15, v8, v11
	v_mul_f32_e32 v11, v14, v11
	v_fma_f32 v15, v8, v15, 1.0
	v_mul_f32_e32 v8, v8, v11
	v_div_scale_f32 v11, s[10:11], v15, v15, v8
	v_div_scale_f32 v14, vcc, v8, v15, v8
	v_div_scale_f32 v37, s[10:11], v15, v15, v1
	v_div_scale_f32 v38, s[10:11], v1, v15, v1
	v_rcp_f32_e32 v39, v11
	v_fma_f32 v40, -v11, v39, 1.0
	v_fmac_f32_e32 v39, v40, v39
	v_mul_f32_e32 v40, v14, v39
	v_fma_f32 v41, -v11, v40, v14
	v_fmac_f32_e32 v40, v41, v39
	v_rcp_f32_e32 v41, v37
	v_fma_f32 v11, -v11, v40, v14
	v_div_fmas_f32 v11, v11, v39, v40
	s_mov_b64 vcc, s[10:11]
	v_fma_f32 v14, -v37, v41, 1.0
	v_fmac_f32_e32 v41, v14, v41
	v_mul_f32_e32 v14, v38, v41
	v_fma_f32 v39, -v37, v14, v38
	v_fmac_f32_e32 v14, v39, v41
	v_fma_f32 v37, -v37, v14, v38
	v_div_fmas_f32 v14, v37, v41, v14
	v_div_fixup_f32 v37, v11, v15, v8
                                        ; implicit-def: $vgpr11
	v_div_fixup_f32 v8, v14, v15, v1
                                        ; implicit-def: $vgpr14
.LBB100_20:                             ;   in Loop: Header=BB100_4 Depth=1
	s_andn2_saveexec_b64 s[34:35], s[34:35]
	s_cbranch_execz .LBB100_23
; %bb.21:                               ;   in Loop: Header=BB100_4 Depth=1
	v_lshrrev_b32_e32 v1, 23, v11
	v_and_b32_e32 v8, 0x7fffff, v11
	v_cmp_nlt_f32_e64 s[36:37], |v14|, s47
	v_add_u32_e32 v39, 0xffffff88, v1
	v_or_b32_e32 v8, 0x800000, v8
                                        ; implicit-def: $vgpr37
                                        ; implicit-def: $vgpr38
	s_and_saveexec_b64 s[10:11], s[36:37]
	s_xor_b64 s[38:39], exec, s[10:11]
	s_cbranch_execz .LBB100_24
; %bb.22:                               ;   in Loop: Header=BB100_4 Depth=1
	v_mad_u64_u32 v[37:38], s[10:11], v8, s48, 0
	v_cmp_lt_u32_e32 vcc, 63, v39
	v_mov_b32_e32 v1, v38
	v_mad_u64_u32 v[40:41], s[10:11], v8, s49, v[1:2]
	v_mov_b32_e32 v1, v41
	v_mad_u64_u32 v[41:42], s[10:11], v8, s50, v[1:2]
	v_mov_b32_e32 v1, v42
	v_mad_u64_u32 v[42:43], s[10:11], v8, s51, v[1:2]
	v_cndmask_b32_e32 v1, 0, v33, vcc
	v_add_u32_e32 v38, v1, v39
	v_mov_b32_e32 v1, v43
	v_mad_u64_u32 v[43:44], s[10:11], v8, s52, v[1:2]
	v_cmp_lt_u32_e64 s[10:11], 31, v38
	v_cndmask_b32_e64 v1, 0, v34, s[10:11]
	v_add_u32_e32 v38, v1, v38
	v_mov_b32_e32 v1, v44
	v_mad_u64_u32 v[44:45], s[12:13], v8, s53, v[1:2]
	v_cmp_lt_u32_e64 s[12:13], 31, v38
	v_cndmask_b32_e64 v1, 0, v34, s[12:13]
	v_add_u32_e32 v38, v1, v38
	v_mov_b32_e32 v1, v45
	v_mad_u64_u32 v[45:46], s[14:15], v8, s54, v[1:2]
	v_cndmask_b32_e32 v1, v43, v41, vcc
	v_cndmask_b32_e32 v47, v44, v42, vcc
	;; [unrolled: 1-line block ×4, first 2 shown]
	v_cndmask_b32_e64 v48, v47, v1, s[10:11]
	v_cndmask_b32_e64 v45, v43, v47, s[10:11]
	;; [unrolled: 1-line block ×5, first 2 shown]
	v_sub_u32_e32 v45, 32, v38
	v_cmp_eq_u32_e64 s[14:15], 0, v38
	v_cndmask_b32_e32 v38, v42, v40, vcc
	v_cndmask_b32_e64 v1, v1, v38, s[10:11]
	v_alignbit_b32 v46, v43, v44, v45
	v_cndmask_b32_e64 v40, v48, v1, s[12:13]
	v_cndmask_b32_e64 v43, v46, v43, s[14:15]
	v_alignbit_b32 v42, v44, v40, v45
	v_cndmask_b32_e32 v37, v41, v37, vcc
	v_cndmask_b32_e64 v42, v42, v44, s[14:15]
	v_bfe_u32 v47, v43, 29, 1
	v_cndmask_b32_e64 v37, v38, v37, s[10:11]
	v_alignbit_b32 v44, v43, v42, 30
	v_sub_u32_e32 v48, 0, v47
	v_cndmask_b32_e64 v1, v1, v37, s[12:13]
	v_xor_b32_e32 v44, v44, v48
	v_alignbit_b32 v37, v40, v1, v45
	v_cndmask_b32_e64 v37, v37, v40, s[14:15]
	v_ffbh_u32_e32 v40, v44
	v_alignbit_b32 v38, v42, v37, 30
	v_min_u32_e32 v40, 32, v40
	v_alignbit_b32 v1, v37, v1, 30
	v_xor_b32_e32 v38, v38, v48
	v_sub_u32_e32 v41, 31, v40
	v_xor_b32_e32 v1, v1, v48
	v_alignbit_b32 v42, v44, v38, v41
	v_alignbit_b32 v1, v38, v1, v41
	;; [unrolled: 1-line block ×3, first 2 shown]
	v_ffbh_u32_e32 v38, v37
	v_min_u32_e32 v38, 32, v38
	v_lshrrev_b32_e32 v46, 29, v43
	v_not_b32_e32 v41, v38
	v_alignbit_b32 v1, v37, v1, v41
	v_lshlrev_b32_e32 v37, 31, v46
	v_or_b32_e32 v41, 0x33000000, v37
	v_add_lshl_u32 v38, v38, v40, 23
	v_lshrrev_b32_e32 v1, 9, v1
	v_sub_u32_e32 v38, v41, v38
	v_or_b32_e32 v37, 0.5, v37
	v_lshlrev_b32_e32 v40, 23, v40
	v_or_b32_e32 v1, v38, v1
	v_lshrrev_b32_e32 v38, 9, v42
	v_sub_u32_e32 v37, v37, v40
	v_or_b32_e32 v37, v38, v37
	v_mul_f32_e32 v38, 0x3fc90fda, v37
	v_fma_f32 v40, v37, s55, -v38
	v_fmac_f32_e32 v40, 0x33a22168, v37
	v_fmac_f32_e32 v40, 0x3fc90fda, v1
	v_lshrrev_b32_e32 v1, 30, v43
	v_add_f32_e32 v38, v38, v40
	v_add_u32_e32 v37, v47, v1
	s_andn2_saveexec_b64 s[10:11], s[38:39]
	s_branch .LBB100_25
.LBB100_23:                             ;   in Loop: Header=BB100_4 Depth=1
	s_or_b64 exec, exec, s[34:35]
                                        ; implicit-def: $vgpr14
	s_andn2_saveexec_b64 s[10:11], s[30:31]
	s_cbranch_execnz .LBB100_32
	s_branch .LBB100_33
.LBB100_24:                             ;   in Loop: Header=BB100_4 Depth=1
	s_andn2_saveexec_b64 s[10:11], s[38:39]
.LBB100_25:                             ;   in Loop: Header=BB100_4 Depth=1
	v_mul_f32_e64 v1, |v14|, s56
	v_rndne_f32_e32 v1, v1
	v_cvt_i32_f32_e32 v37, v1
	v_fma_f32 v38, v1, s57, |v14|
	v_fmac_f32_e32 v38, 0xb3a22168, v1
	v_fmac_f32_e32 v38, 0xa7c234c4, v1
; %bb.26:                               ;   in Loop: Header=BB100_4 Depth=1
	s_or_b64 exec, exec, s[10:11]
                                        ; implicit-def: $vgpr1
                                        ; implicit-def: $vgpr40
	s_and_saveexec_b64 s[10:11], s[36:37]
	s_xor_b64 s[36:37], exec, s[10:11]
	s_cbranch_execz .LBB100_28
; %bb.27:                               ;   in Loop: Header=BB100_4 Depth=1
	v_mad_u64_u32 v[40:41], s[10:11], v8, s48, 0
	v_cmp_lt_u32_e32 vcc, 63, v39
	v_mov_b32_e32 v1, v41
	v_mad_u64_u32 v[41:42], s[10:11], v8, s49, v[1:2]
	v_mov_b32_e32 v1, v42
	v_mad_u64_u32 v[42:43], s[10:11], v8, s50, v[1:2]
	;; [unrolled: 2-line block ×3, first 2 shown]
	v_cndmask_b32_e32 v1, 0, v33, vcc
	v_add_u32_e32 v39, v1, v39
	v_mov_b32_e32 v1, v44
	v_mad_u64_u32 v[44:45], s[10:11], v8, s52, v[1:2]
	v_cmp_lt_u32_e64 s[10:11], 31, v39
	v_cndmask_b32_e64 v1, 0, v34, s[10:11]
	v_add_u32_e32 v39, v1, v39
	v_mov_b32_e32 v1, v45
	v_mad_u64_u32 v[45:46], s[12:13], v8, s53, v[1:2]
	v_cmp_lt_u32_e64 s[12:13], 31, v39
	v_cndmask_b32_e64 v1, 0, v34, s[12:13]
	v_add_u32_e32 v39, v1, v39
	v_mov_b32_e32 v1, v46
	v_mad_u64_u32 v[46:47], s[14:15], v8, s54, v[1:2]
	v_cndmask_b32_e32 v1, v44, v42, vcc
	v_cndmask_b32_e32 v8, v45, v43, vcc
	;; [unrolled: 1-line block ×4, first 2 shown]
	v_cndmask_b32_e64 v48, v8, v1, s[10:11]
	v_cndmask_b32_e64 v8, v44, v8, s[10:11]
	;; [unrolled: 1-line block ×3, first 2 shown]
	v_cndmask_b32_e32 v41, v43, v41, vcc
	v_cndmask_b32_e64 v44, v44, v8, s[12:13]
	v_cndmask_b32_e64 v8, v8, v48, s[12:13]
	v_sub_u32_e32 v45, 32, v39
	v_cndmask_b32_e64 v1, v1, v41, s[10:11]
	v_alignbit_b32 v46, v44, v8, v45
	v_cmp_eq_u32_e64 s[14:15], 0, v39
	v_cndmask_b32_e64 v43, v48, v1, s[12:13]
	v_cndmask_b32_e64 v39, v46, v44, s[14:15]
	v_alignbit_b32 v44, v8, v43, v45
	v_cndmask_b32_e32 v40, v42, v40, vcc
	v_cndmask_b32_e64 v8, v44, v8, s[14:15]
	v_bfe_u32 v47, v39, 29, 1
	v_cndmask_b32_e64 v40, v41, v40, s[10:11]
	v_alignbit_b32 v44, v39, v8, 30
	v_sub_u32_e32 v48, 0, v47
	v_cndmask_b32_e64 v1, v1, v40, s[12:13]
	v_xor_b32_e32 v44, v44, v48
	v_alignbit_b32 v40, v43, v1, v45
	v_cndmask_b32_e64 v40, v40, v43, s[14:15]
	v_ffbh_u32_e32 v41, v44
	v_alignbit_b32 v8, v8, v40, 30
	v_min_u32_e32 v41, 32, v41
	v_alignbit_b32 v1, v40, v1, 30
	v_xor_b32_e32 v8, v8, v48
	v_sub_u32_e32 v42, 31, v41
	v_xor_b32_e32 v1, v1, v48
	v_alignbit_b32 v43, v44, v8, v42
	v_alignbit_b32 v1, v8, v1, v42
	;; [unrolled: 1-line block ×3, first 2 shown]
	v_ffbh_u32_e32 v40, v8
	v_min_u32_e32 v40, 32, v40
	v_lshrrev_b32_e32 v46, 29, v39
	v_not_b32_e32 v42, v40
	v_alignbit_b32 v1, v8, v1, v42
	v_lshlrev_b32_e32 v8, 31, v46
	v_or_b32_e32 v42, 0x33000000, v8
	v_add_lshl_u32 v40, v40, v41, 23
	v_lshrrev_b32_e32 v1, 9, v1
	v_sub_u32_e32 v40, v42, v40
	v_or_b32_e32 v8, 0.5, v8
	v_lshlrev_b32_e32 v41, 23, v41
	v_or_b32_e32 v1, v40, v1
	v_lshrrev_b32_e32 v40, 9, v43
	v_sub_u32_e32 v8, v8, v41
	v_or_b32_e32 v8, v40, v8
	v_mul_f32_e32 v40, 0x3fc90fda, v8
	v_fma_f32 v41, v8, s55, -v40
	v_fmac_f32_e32 v41, 0x33a22168, v8
	v_fmac_f32_e32 v41, 0x3fc90fda, v1
	v_lshrrev_b32_e32 v1, 30, v39
	v_add_f32_e32 v40, v40, v41
	v_add_u32_e32 v1, v47, v1
	s_andn2_saveexec_b64 s[10:11], s[36:37]
	s_cbranch_execnz .LBB100_29
	s_branch .LBB100_30
.LBB100_28:                             ;   in Loop: Header=BB100_4 Depth=1
	s_andn2_saveexec_b64 s[10:11], s[36:37]
.LBB100_29:                             ;   in Loop: Header=BB100_4 Depth=1
	v_mul_f32_e64 v1, |v14|, s56
	v_rndne_f32_e32 v8, v1
	v_cvt_i32_f32_e32 v1, v8
	v_fma_f32 v40, v8, s57, |v14|
	v_fmac_f32_e32 v40, 0xb3a22168, v8
	v_fmac_f32_e32 v40, 0xa7c234c4, v8
.LBB100_30:                             ;   in Loop: Header=BB100_4 Depth=1
	s_or_b64 exec, exec, s[10:11]
	v_mul_f32_e32 v8, v38, v38
	v_mov_b32_e32 v39, 0x3c0881c4
	v_fmac_f32_e32 v39, 0xb94c1982, v8
	v_fma_f32 v39, v8, v39, v30
	v_mul_f32_e32 v39, v8, v39
	v_fmac_f32_e32 v38, v38, v39
	v_mov_b32_e32 v39, 0xbab64f3b
	v_fmac_f32_e32 v39, 0x37d75334, v8
	v_fma_f32 v39, v8, v39, v31
	v_fma_f32 v39, v8, v39, v32
	v_fma_f32 v8, v8, v39, 1.0
	v_and_b32_e32 v39, 1, v37
	v_lshlrev_b32_e32 v37, 30, v37
	v_and_b32_e32 v37, 0x80000000, v37
	v_cmp_eq_u32_e32 vcc, 0, v39
	v_xor_b32_e32 v11, v11, v37
	v_mul_f32_e64 v37, |v15|, s62
	v_cndmask_b32_e32 v8, v8, v38, vcc
	v_rndne_f32_e32 v38, v37
	v_sub_f32_e32 v39, v37, v38
	v_fma_f32 v37, |v15|, s62, -v37
	v_fma_f32 v37, |v15|, s63, v37
	v_add_f32_e32 v37, v39, v37
	v_exp_f32_e32 v37, v37
	v_cvt_i32_f32_e32 v38, v38
	v_xor_b32_e32 v8, v11, v8
	v_xor_b32_e32 v8, v8, v14
	v_cmp_ngt_f32_e64 vcc, |v15|, s64
	v_ldexp_f32 v11, v37, v38
	v_xor_b32_e32 v14, 0x80000000, v15
	v_cndmask_b32_e32 v11, 0, v11, vcc
	v_cmp_nlt_f32_e64 vcc, |v15|, s65
	v_bfi_b32 v37, s43, 1.0, v14
	v_mul_f32_e32 v14, v40, v40
	v_mov_b32_e32 v15, 0x3c0881c4
	v_fmac_f32_e32 v15, 0xb94c1982, v14
	v_fma_f32 v15, v14, v15, v30
	v_mul_f32_e32 v15, v14, v15
	v_fmac_f32_e32 v40, v40, v15
	v_mov_b32_e32 v15, 0xbab64f3b
	v_fmac_f32_e32 v15, 0x37d75334, v14
	v_fma_f32 v15, v14, v15, v31
	v_fma_f32 v15, v14, v15, v32
	v_fma_f32 v14, v14, v15, 1.0
	v_and_b32_e32 v15, 1, v1
	v_cndmask_b32_e32 v11, v35, v11, vcc
	v_cmp_eq_u32_e32 vcc, 0, v15
	v_lshlrev_b32_e32 v1, 30, v1
	v_cndmask_b32_e64 v14, -v40, v14, vcc
	v_and_b32_e32 v1, 0x80000000, v1
	v_mul_f32_e32 v8, 4.0, v8
	v_xor_b32_e32 v1, v1, v14
	v_mul_f32_e32 v1, v8, v1
	v_mul_f32_e32 v1, v11, v1
	;; [unrolled: 1-line block ×3, first 2 shown]
	s_or_b64 exec, exec, s[34:35]
                                        ; implicit-def: $vgpr14
.LBB100_31:                             ;   in Loop: Header=BB100_4 Depth=1
	s_andn2_saveexec_b64 s[10:11], s[30:31]
.LBB100_32:                             ;   in Loop: Header=BB100_4 Depth=1
	v_sub_f32_e32 v8, v14, v14
	v_mov_b32_e32 v37, v8
.LBB100_33:                             ;   in Loop: Header=BB100_4 Depth=1
	s_or_b64 exec, exec, s[10:11]
                                        ; implicit-def: $vgpr15
.LBB100_34:                             ;   in Loop: Header=BB100_4 Depth=1
	s_andn2_saveexec_b64 s[28:29], s[28:29]
	s_cbranch_execz .LBB100_50
; %bb.35:                               ;   in Loop: Header=BB100_4 Depth=1
	v_xor_b32_e32 v37, 0x80000000, v15
	v_and_b32_e32 v1, 0x7fffff, v37
	v_cmp_ne_u32_e32 vcc, 0, v1
                                        ; implicit-def: $vgpr8
	s_and_saveexec_b64 s[10:11], vcc
	s_xor_b64 s[10:11], exec, s[10:11]
; %bb.36:                               ;   in Loop: Header=BB100_4 Depth=1
	v_mul_f32_e64 v1, v14, -v15
	v_cmp_eq_f32_e32 vcc, 0, v14
	v_cndmask_b32_e32 v8, v1, v14, vcc
                                        ; implicit-def: $vgpr14
; %bb.37:                               ;   in Loop: Header=BB100_4 Depth=1
	s_andn2_saveexec_b64 s[30:31], s[10:11]
	s_cbranch_execz .LBB100_49
; %bb.38:                               ;   in Loop: Header=BB100_4 Depth=1
	v_cmp_neq_f32_e64 s[10:11], |v14|, s44
	s_and_saveexec_b64 s[34:35], s[10:11]
	s_cbranch_execz .LBB100_48
; %bb.39:                               ;   in Loop: Header=BB100_4 Depth=1
	v_and_b32_e32 v8, 0x7fffffff, v14
	v_lshrrev_b32_e32 v1, 23, v8
	v_and_b32_e32 v11, 0x7fffff, v8
	v_cmp_nlt_f32_e64 s[36:37], |v14|, s47
	v_add_u32_e32 v39, 0xffffff88, v1
	v_or_b32_e32 v15, 0x800000, v11
                                        ; implicit-def: $vgpr11
                                        ; implicit-def: $vgpr38
	s_and_saveexec_b64 s[10:11], s[36:37]
	s_xor_b64 s[38:39], exec, s[10:11]
	s_cbranch_execz .LBB100_41
; %bb.40:                               ;   in Loop: Header=BB100_4 Depth=1
	v_mad_u64_u32 v[40:41], s[10:11], v15, s48, 0
	v_cmp_lt_u32_e32 vcc, 63, v39
	v_mov_b32_e32 v1, v41
	v_mad_u64_u32 v[41:42], s[10:11], v15, s49, v[1:2]
	v_mov_b32_e32 v1, v42
	v_mad_u64_u32 v[42:43], s[10:11], v15, s50, v[1:2]
	;; [unrolled: 2-line block ×3, first 2 shown]
	v_cndmask_b32_e32 v1, 0, v33, vcc
	v_add_u32_e32 v11, v1, v39
	v_mov_b32_e32 v1, v44
	v_mad_u64_u32 v[44:45], s[10:11], v15, s52, v[1:2]
	v_cmp_lt_u32_e64 s[10:11], 31, v11
	v_cndmask_b32_e64 v1, 0, v34, s[10:11]
	v_add_u32_e32 v11, v1, v11
	v_mov_b32_e32 v1, v45
	v_mad_u64_u32 v[45:46], s[12:13], v15, s53, v[1:2]
	v_cmp_lt_u32_e64 s[12:13], 31, v11
	v_cndmask_b32_e64 v1, 0, v34, s[12:13]
	v_add_u32_e32 v11, v1, v11
	v_mov_b32_e32 v1, v46
	v_mad_u64_u32 v[46:47], s[14:15], v15, s54, v[1:2]
	v_cndmask_b32_e32 v1, v44, v42, vcc
	v_cndmask_b32_e32 v38, v45, v43, vcc
	;; [unrolled: 1-line block ×4, first 2 shown]
	v_cndmask_b32_e64 v48, v38, v1, s[10:11]
	v_cndmask_b32_e64 v38, v44, v38, s[10:11]
	;; [unrolled: 1-line block ×3, first 2 shown]
	v_cndmask_b32_e32 v41, v43, v41, vcc
	v_cndmask_b32_e64 v44, v44, v38, s[12:13]
	v_cndmask_b32_e64 v38, v38, v48, s[12:13]
	v_sub_u32_e32 v45, 32, v11
	v_cndmask_b32_e64 v1, v1, v41, s[10:11]
	v_alignbit_b32 v46, v44, v38, v45
	v_cmp_eq_u32_e64 s[14:15], 0, v11
	v_cndmask_b32_e64 v43, v48, v1, s[12:13]
	v_cndmask_b32_e64 v11, v46, v44, s[14:15]
	v_alignbit_b32 v44, v38, v43, v45
	v_cndmask_b32_e32 v40, v42, v40, vcc
	v_cndmask_b32_e64 v38, v44, v38, s[14:15]
	v_bfe_u32 v47, v11, 29, 1
	v_cndmask_b32_e64 v40, v41, v40, s[10:11]
	v_alignbit_b32 v44, v11, v38, 30
	v_sub_u32_e32 v48, 0, v47
	v_cndmask_b32_e64 v1, v1, v40, s[12:13]
	v_xor_b32_e32 v44, v44, v48
	v_alignbit_b32 v40, v43, v1, v45
	v_cndmask_b32_e64 v40, v40, v43, s[14:15]
	v_ffbh_u32_e32 v41, v44
	v_alignbit_b32 v38, v38, v40, 30
	v_min_u32_e32 v41, 32, v41
	v_alignbit_b32 v1, v40, v1, 30
	v_xor_b32_e32 v38, v38, v48
	v_sub_u32_e32 v42, 31, v41
	v_xor_b32_e32 v1, v1, v48
	v_alignbit_b32 v43, v44, v38, v42
	v_alignbit_b32 v1, v38, v1, v42
	;; [unrolled: 1-line block ×3, first 2 shown]
	v_ffbh_u32_e32 v40, v38
	v_min_u32_e32 v40, 32, v40
	v_lshrrev_b32_e32 v46, 29, v11
	v_not_b32_e32 v42, v40
	v_alignbit_b32 v1, v38, v1, v42
	v_lshlrev_b32_e32 v38, 31, v46
	v_or_b32_e32 v42, 0x33000000, v38
	v_add_lshl_u32 v40, v40, v41, 23
	v_lshrrev_b32_e32 v1, 9, v1
	v_sub_u32_e32 v40, v42, v40
	v_or_b32_e32 v38, 0.5, v38
	v_lshlrev_b32_e32 v41, 23, v41
	v_or_b32_e32 v1, v40, v1
	v_lshrrev_b32_e32 v40, 9, v43
	v_sub_u32_e32 v38, v38, v41
	v_or_b32_e32 v38, v40, v38
	v_mul_f32_e32 v40, 0x3fc90fda, v38
	v_fma_f32 v41, v38, s55, -v40
	v_fmac_f32_e32 v41, 0x33a22168, v38
	v_fmac_f32_e32 v41, 0x3fc90fda, v1
	v_lshrrev_b32_e32 v1, 30, v11
	v_add_f32_e32 v38, v40, v41
	v_add_u32_e32 v11, v47, v1
.LBB100_41:                             ;   in Loop: Header=BB100_4 Depth=1
	s_or_saveexec_b64 s[10:11], s[38:39]
	v_mul_f32_e64 v1, |v14|, s56
	v_rndne_f32_e32 v41, v1
	s_xor_b64 exec, exec, s[10:11]
; %bb.42:                               ;   in Loop: Header=BB100_4 Depth=1
	v_cvt_i32_f32_e32 v11, v41
	v_fma_f32 v38, v41, s57, |v14|
	v_fmac_f32_e32 v38, 0xb3a22168, v41
	v_fmac_f32_e32 v38, 0xa7c234c4, v41
; %bb.43:                               ;   in Loop: Header=BB100_4 Depth=1
	s_or_b64 exec, exec, s[10:11]
                                        ; implicit-def: $vgpr1
                                        ; implicit-def: $vgpr40
	s_and_saveexec_b64 s[10:11], s[36:37]
	s_xor_b64 s[36:37], exec, s[10:11]
	s_cbranch_execz .LBB100_45
; %bb.44:                               ;   in Loop: Header=BB100_4 Depth=1
	v_mad_u64_u32 v[40:41], s[10:11], v15, s48, 0
	v_cmp_lt_u32_e32 vcc, 63, v39
	v_mov_b32_e32 v1, v41
	v_mad_u64_u32 v[41:42], s[10:11], v15, s49, v[1:2]
	v_mov_b32_e32 v1, v42
	v_mad_u64_u32 v[42:43], s[10:11], v15, s50, v[1:2]
	;; [unrolled: 2-line block ×3, first 2 shown]
	v_cndmask_b32_e32 v1, 0, v33, vcc
	v_add_u32_e32 v39, v1, v39
	v_mov_b32_e32 v1, v44
	v_mad_u64_u32 v[44:45], s[10:11], v15, s52, v[1:2]
	v_cmp_lt_u32_e64 s[10:11], 31, v39
	v_cndmask_b32_e64 v1, 0, v34, s[10:11]
	v_add_u32_e32 v39, v1, v39
	v_mov_b32_e32 v1, v45
	v_mad_u64_u32 v[45:46], s[12:13], v15, s53, v[1:2]
	v_cmp_lt_u32_e64 s[12:13], 31, v39
	v_cndmask_b32_e64 v1, 0, v34, s[12:13]
	v_add_u32_e32 v39, v1, v39
	v_mov_b32_e32 v1, v46
	v_mad_u64_u32 v[46:47], s[14:15], v15, s54, v[1:2]
	v_cndmask_b32_e32 v1, v44, v42, vcc
	v_cndmask_b32_e32 v15, v45, v43, vcc
	;; [unrolled: 1-line block ×4, first 2 shown]
	v_cndmask_b32_e64 v48, v15, v1, s[10:11]
	v_cndmask_b32_e64 v15, v44, v15, s[10:11]
	;; [unrolled: 1-line block ×3, first 2 shown]
	v_cndmask_b32_e32 v41, v43, v41, vcc
	v_cndmask_b32_e64 v44, v44, v15, s[12:13]
	v_cndmask_b32_e64 v15, v15, v48, s[12:13]
	v_sub_u32_e32 v45, 32, v39
	v_cndmask_b32_e64 v1, v1, v41, s[10:11]
	v_alignbit_b32 v46, v44, v15, v45
	v_cmp_eq_u32_e64 s[14:15], 0, v39
	v_cndmask_b32_e64 v43, v48, v1, s[12:13]
	v_cndmask_b32_e64 v39, v46, v44, s[14:15]
	v_alignbit_b32 v44, v15, v43, v45
	v_cndmask_b32_e32 v40, v42, v40, vcc
	v_cndmask_b32_e64 v15, v44, v15, s[14:15]
	v_bfe_u32 v47, v39, 29, 1
	v_cndmask_b32_e64 v40, v41, v40, s[10:11]
	v_alignbit_b32 v44, v39, v15, 30
	v_sub_u32_e32 v48, 0, v47
	v_cndmask_b32_e64 v1, v1, v40, s[12:13]
	v_xor_b32_e32 v44, v44, v48
	v_alignbit_b32 v40, v43, v1, v45
	v_cndmask_b32_e64 v40, v40, v43, s[14:15]
	v_ffbh_u32_e32 v41, v44
	v_alignbit_b32 v15, v15, v40, 30
	v_min_u32_e32 v41, 32, v41
	v_alignbit_b32 v1, v40, v1, 30
	v_xor_b32_e32 v15, v15, v48
	v_sub_u32_e32 v42, 31, v41
	v_xor_b32_e32 v1, v1, v48
	v_alignbit_b32 v43, v44, v15, v42
	v_alignbit_b32 v1, v15, v1, v42
	;; [unrolled: 1-line block ×3, first 2 shown]
	v_ffbh_u32_e32 v40, v15
	v_min_u32_e32 v40, 32, v40
	v_lshrrev_b32_e32 v46, 29, v39
	v_not_b32_e32 v42, v40
	v_alignbit_b32 v1, v15, v1, v42
	v_lshlrev_b32_e32 v15, 31, v46
	v_or_b32_e32 v42, 0x33000000, v15
	v_add_lshl_u32 v40, v40, v41, 23
	v_lshrrev_b32_e32 v1, 9, v1
	v_sub_u32_e32 v40, v42, v40
	v_or_b32_e32 v15, 0.5, v15
	v_lshlrev_b32_e32 v41, 23, v41
	v_or_b32_e32 v1, v40, v1
	v_lshrrev_b32_e32 v40, 9, v43
	v_sub_u32_e32 v15, v15, v41
	v_or_b32_e32 v15, v40, v15
	v_mul_f32_e32 v40, 0x3fc90fda, v15
	v_fma_f32 v41, v15, s55, -v40
	v_fmac_f32_e32 v41, 0x33a22168, v15
	v_fmac_f32_e32 v41, 0x3fc90fda, v1
	v_lshrrev_b32_e32 v1, 30, v39
	v_add_f32_e32 v40, v40, v41
	v_add_u32_e32 v1, v47, v1
                                        ; implicit-def: $vgpr41
	s_andn2_saveexec_b64 s[10:11], s[36:37]
	s_cbranch_execnz .LBB100_46
	s_branch .LBB100_47
.LBB100_45:                             ;   in Loop: Header=BB100_4 Depth=1
	s_andn2_saveexec_b64 s[10:11], s[36:37]
.LBB100_46:                             ;   in Loop: Header=BB100_4 Depth=1
	v_cvt_i32_f32_e32 v1, v41
	v_fma_f32 v40, v41, s57, |v14|
	v_fmac_f32_e32 v40, 0xb3a22168, v41
	v_fmac_f32_e32 v40, 0xa7c234c4, v41
.LBB100_47:                             ;   in Loop: Header=BB100_4 Depth=1
	s_or_b64 exec, exec, s[10:11]
	v_mul_f32_e32 v15, v38, v38
	v_mov_b32_e32 v39, 0x3c0881c4
	v_fmac_f32_e32 v39, 0xb94c1982, v15
	v_fma_f32 v39, v15, v39, v30
	v_mul_f32_e32 v39, v15, v39
	v_fmac_f32_e32 v38, v38, v39
	v_mov_b32_e32 v39, 0xbab64f3b
	v_fmac_f32_e32 v39, 0x37d75334, v15
	v_fma_f32 v39, v15, v39, v31
	v_fma_f32 v39, v15, v39, v32
	v_fma_f32 v15, v15, v39, 1.0
	v_and_b32_e32 v39, 1, v11
	v_lshlrev_b32_e32 v11, 30, v11
	v_cmp_eq_u32_e32 vcc, 0, v39
	v_and_b32_e32 v11, 0x80000000, v11
	v_cndmask_b32_e32 v15, v15, v38, vcc
	v_xor_b32_e32 v8, v8, v11
	v_xor_b32_e32 v8, v8, v15
	v_mul_f32_e32 v11, v40, v40
	v_mov_b32_e32 v15, 0x3c0881c4
	v_fmac_f32_e32 v15, 0xb94c1982, v11
	v_fma_f32 v15, v11, v15, v30
	v_mul_f32_e32 v15, v11, v15
	v_fmac_f32_e32 v40, v40, v15
	v_mov_b32_e32 v15, 0xbab64f3b
	v_fmac_f32_e32 v15, 0x37d75334, v11
	v_fma_f32 v15, v11, v15, v31
	v_fma_f32 v15, v11, v15, v32
	v_fma_f32 v11, v11, v15, 1.0
	v_and_b32_e32 v15, 1, v1
	v_cmp_eq_u32_e32 vcc, 0, v15
	v_lshlrev_b32_e32 v1, 30, v1
	v_cndmask_b32_e64 v11, -v40, v11, vcc
	v_and_b32_e32 v1, 0x80000000, v1
	v_xor_b32_e32 v8, v8, v14
	v_xor_b32_e32 v1, v1, v11
	v_mul_f32_e32 v1, v8, v1
	v_cmp_class_f32_e64 vcc, v14, s45
	v_cndmask_b32_e32 v14, v36, v1, vcc
.LBB100_48:                             ;   in Loop: Header=BB100_4 Depth=1
	s_or_b64 exec, exec, s[34:35]
	v_add_u32_e32 v37, -2.0, v37
	v_bfi_b32 v8, s43, 0, v14
.LBB100_49:                             ;   in Loop: Header=BB100_4 Depth=1
	s_or_b64 exec, exec, s[30:31]
.LBB100_50:                             ;   in Loop: Header=BB100_4 Depth=1
	s_or_b64 exec, exec, s[28:29]
	v_and_b32_e32 v1, 0x7fffffff, v13
	v_cmp_gt_u32_e32 vcc, s44, v1
                                        ; implicit-def: $vgpr11
                                        ; implicit-def: $vgpr14
	s_and_saveexec_b64 s[10:11], vcc
	s_xor_b64 s[28:29], exec, s[10:11]
	s_cbranch_execz .LBB100_72
; %bb.51:                               ;   in Loop: Header=BB100_4 Depth=1
	v_cmp_class_f32_e64 s[10:11], v12, s45
                                        ; implicit-def: $vgpr11
                                        ; implicit-def: $vgpr14
	s_and_saveexec_b64 s[12:13], s[10:11]
	s_xor_b64 s[30:31], exec, s[12:13]
	s_cbranch_execz .LBB100_69
; %bb.52:                               ;   in Loop: Header=BB100_4 Depth=1
	v_and_b32_e32 v15, 0x7fffffff, v12
	v_cmp_gt_u32_e32 vcc, s46, v1
                                        ; implicit-def: $vgpr11
                                        ; implicit-def: $vgpr14
	s_and_saveexec_b64 s[10:11], vcc
	s_xor_b64 s[34:35], exec, s[10:11]
	s_cbranch_execz .LBB100_58
; %bb.53:                               ;   in Loop: Header=BB100_4 Depth=1
	v_cmp_nlt_f32_e64 s[10:11], |v12|, s47
                                        ; implicit-def: $vgpr11
                                        ; implicit-def: $vgpr1
	s_and_saveexec_b64 s[12:13], s[10:11]
	s_xor_b64 s[36:37], exec, s[12:13]
	s_cbranch_execz .LBB100_55
; %bb.54:                               ;   in Loop: Header=BB100_4 Depth=1
	v_and_b32_e32 v1, 0x7fffff, v15
	v_or_b32_e32 v11, 0x800000, v1
	v_mad_u64_u32 v[38:39], s[10:11], v11, s48, 0
	v_mov_b32_e32 v1, v39
	v_mad_u64_u32 v[39:40], s[10:11], v11, s49, v[1:2]
	v_mov_b32_e32 v1, v40
	v_mad_u64_u32 v[40:41], s[10:11], v11, s50, v[1:2]
	v_mov_b32_e32 v1, v41
	v_mad_u64_u32 v[41:42], s[10:11], v11, s51, v[1:2]
	v_lshrrev_b32_e32 v1, 23, v15
	v_add_u32_e32 v14, 0xffffff88, v1
	v_mov_b32_e32 v1, v42
	v_mad_u64_u32 v[42:43], s[10:11], v11, s52, v[1:2]
	v_cmp_lt_u32_e32 vcc, 63, v14
	v_cndmask_b32_e32 v1, 0, v33, vcc
	v_add_u32_e32 v14, v1, v14
	v_mov_b32_e32 v1, v43
	v_mad_u64_u32 v[43:44], s[10:11], v11, s53, v[1:2]
	v_cmp_lt_u32_e64 s[10:11], 31, v14
	v_cndmask_b32_e64 v1, 0, v34, s[10:11]
	v_add_u32_e32 v14, v1, v14
	v_mov_b32_e32 v1, v44
	v_mad_u64_u32 v[44:45], s[12:13], v11, s54, v[1:2]
	v_cmp_lt_u32_e64 s[12:13], 31, v14
	v_cndmask_b32_e64 v1, 0, v34, s[12:13]
	v_add_u32_e32 v1, v1, v14
	v_cndmask_b32_e32 v11, v43, v41, vcc
	v_cndmask_b32_e32 v14, v44, v42, vcc
	;; [unrolled: 1-line block ×4, first 2 shown]
	v_cndmask_b32_e64 v44, v14, v11, s[10:11]
	v_cndmask_b32_e64 v14, v43, v14, s[10:11]
	;; [unrolled: 1-line block ×5, first 2 shown]
	v_sub_u32_e32 v44, 32, v1
	v_cmp_eq_u32_e64 s[14:15], 0, v1
	v_cndmask_b32_e32 v1, v41, v39, vcc
	v_cndmask_b32_e64 v39, v42, v1, s[10:11]
	v_alignbit_b32 v45, v14, v43, v44
	v_cndmask_b32_e64 v11, v11, v39, s[12:13]
	v_cndmask_b32_e64 v14, v45, v14, s[14:15]
	v_alignbit_b32 v41, v43, v11, v44
	v_cndmask_b32_e32 v38, v40, v38, vcc
	v_cndmask_b32_e64 v41, v41, v43, s[14:15]
	v_bfe_u32 v45, v14, 29, 1
	v_cndmask_b32_e64 v1, v1, v38, s[10:11]
	v_alignbit_b32 v42, v14, v41, 30
	v_sub_u32_e32 v46, 0, v45
	v_cndmask_b32_e64 v1, v39, v1, s[12:13]
	v_xor_b32_e32 v42, v42, v46
	v_alignbit_b32 v38, v11, v1, v44
	v_cndmask_b32_e64 v11, v38, v11, s[14:15]
	v_ffbh_u32_e32 v39, v42
	v_alignbit_b32 v38, v41, v11, 30
	v_min_u32_e32 v39, 32, v39
	v_alignbit_b32 v1, v11, v1, 30
	v_xor_b32_e32 v38, v38, v46
	v_sub_u32_e32 v40, 31, v39
	v_xor_b32_e32 v1, v1, v46
	v_alignbit_b32 v41, v42, v38, v40
	v_alignbit_b32 v1, v38, v1, v40
	;; [unrolled: 1-line block ×3, first 2 shown]
	v_ffbh_u32_e32 v38, v11
	v_min_u32_e32 v38, 32, v38
	v_lshrrev_b32_e32 v43, 29, v14
	v_not_b32_e32 v40, v38
	v_alignbit_b32 v1, v11, v1, v40
	v_lshlrev_b32_e32 v11, 31, v43
	v_or_b32_e32 v40, 0x33000000, v11
	v_add_lshl_u32 v38, v38, v39, 23
	v_lshrrev_b32_e32 v1, 9, v1
	v_sub_u32_e32 v38, v40, v38
	v_or_b32_e32 v11, 0.5, v11
	v_lshlrev_b32_e32 v39, 23, v39
	v_or_b32_e32 v1, v38, v1
	v_lshrrev_b32_e32 v38, 9, v41
	v_sub_u32_e32 v11, v11, v39
	v_or_b32_e32 v11, v38, v11
	v_mul_f32_e32 v38, 0x3fc90fda, v11
	v_fma_f32 v39, v11, s55, -v38
	v_fmac_f32_e32 v39, 0x33a22168, v11
	v_fmac_f32_e32 v39, 0x3fc90fda, v1
	v_lshrrev_b32_e32 v11, 30, v14
	v_add_f32_e32 v1, v38, v39
	v_add_u32_e32 v11, v45, v11
.LBB100_55:                             ;   in Loop: Header=BB100_4 Depth=1
	s_andn2_saveexec_b64 s[10:11], s[36:37]
; %bb.56:                               ;   in Loop: Header=BB100_4 Depth=1
	v_mul_f32_e64 v1, |v12|, s56
	v_rndne_f32_e32 v14, v1
	v_cvt_i32_f32_e32 v11, v14
	v_fma_f32 v1, v14, s57, |v12|
	v_fmac_f32_e32 v1, 0xb3a22168, v14
	v_fmac_f32_e32 v1, 0xa7c234c4, v14
; %bb.57:                               ;   in Loop: Header=BB100_4 Depth=1
	s_or_b64 exec, exec, s[10:11]
	v_mul_f32_e32 v14, v1, v1
	v_mov_b32_e32 v38, 0xbf039337
	v_fmac_f32_e32 v38, 0x3c971480, v14
	v_fma_f32 v38, v14, v38, v25
	v_rcp_f32_e32 v38, v38
	v_mov_b32_e32 v39, 0x3ec54587
	v_fmac_f32_e32 v39, 0xbc8cedd3, v14
	v_and_b32_e32 v11, 1, v11
	v_mul_f32_e32 v38, v39, v38
	v_mul_f32_e32 v14, v14, v38
	v_fma_f32 v38, v14, v1, v1
	v_rcp_f32_e32 v39, v38
	v_sub_f32_e32 v40, v38, v1
	v_fma_f32 v1, v14, v1, -v40
	v_cmp_eq_u32_e32 vcc, 0, v11
	v_fma_f32 v14, v38, -v39, 1.0
	v_fma_f32 v1, v1, -v39, v14
	v_add_f32_e64 v11, |v13|, s58
	v_fma_f32 v1, v1, -v39, -v39
	v_sub_f32_e64 v14, v11, |v13|
	v_cndmask_b32_e32 v1, v1, v38, vcc
	v_sub_f32_e32 v38, v14, v11
	v_add_f32_e64 v38, |v13|, v38
	v_add_f32_e32 v14, 0x3f317218, v14
	v_sub_f32_e32 v14, v38, v14
	v_add_f32_e32 v14, 0x3102e308, v14
	v_add_f32_e32 v38, v11, v14
	v_sub_f32_e32 v11, v11, v38
	v_add_f32_e32 v11, v14, v11
	v_mul_f32_e32 v14, 0x3fb8aa3b, v38
	v_rndne_f32_e32 v14, v14
	v_fmac_f32_e32 v38, 0xbf317200, v14
	v_add_f32_e32 v39, v11, v38
	v_sub_f32_e32 v38, v38, v39
	v_add_f32_e32 v11, v11, v38
	v_mul_f32_e32 v38, 0x35bfbc00, v14
	v_sub_f32_e32 v40, v39, v38
	v_sub_f32_e32 v39, v39, v40
	;; [unrolled: 1-line block ×3, first 2 shown]
	v_add_f32_e32 v11, v11, v38
	v_add_f32_e32 v38, v40, v11
	v_sub_f32_e32 v39, v40, v38
	v_add_f32_e32 v11, v11, v39
	v_mul_f32_e32 v39, 0x2ea39ef3, v14
	v_sub_f32_e32 v40, v38, v39
	v_sub_f32_e32 v38, v38, v40
	;; [unrolled: 1-line block ×3, first 2 shown]
	v_add_f32_e32 v11, v11, v38
	v_add_f32_e32 v38, v40, v11
	v_sub_f32_e32 v40, v40, v38
	v_mov_b32_e32 v39, 0x3c091de6
	v_add_f32_e32 v11, v11, v40
	v_mul_f32_e32 v41, v38, v38
	v_fmac_f32_e32 v39, 0x3ab42872, v38
	v_add_f32_e32 v40, v11, v11
	v_fma_f32 v42, v38, v38, -v41
	v_fma_f32 v39, v38, v39, v26
	v_fmac_f32_e32 v42, v38, v40
	v_fma_f32 v39, v38, v39, v27
	v_add_f32_e32 v40, v41, v42
	v_fma_f32 v39, v38, v39, v28
	v_sub_f32_e32 v41, v40, v41
	v_sub_f32_e32 v41, v42, v41
	v_mul_f32_e32 v42, v39, v40
	v_fma_f32 v40, v40, v39, -v42
	v_fmac_f32_e32 v40, v41, v39
	v_add_f32_e32 v39, v42, v40
	v_sub_f32_e32 v41, v39, v42
	v_sub_f32_e32 v40, v40, v41
	v_add_f32_e32 v41, v38, v39
	v_sub_f32_e32 v38, v41, v38
	v_sub_f32_e32 v38, v39, v38
	v_add_f32_e32 v11, v11, v40
	v_add_f32_e32 v11, v11, v38
	;; [unrolled: 1-line block ×3, first 2 shown]
	v_sub_f32_e32 v39, v38, v41
	v_sub_f32_e32 v11, v11, v39
	v_add_f32_e32 v39, 1.0, v38
	v_add_f32_e32 v40, -1.0, v39
	v_cvt_i32_f32_e32 v14, v14
	v_sub_f32_e32 v38, v38, v40
	v_add_f32_e32 v11, v11, v38
	v_add_f32_e32 v38, v39, v11
	v_ldexp_f32 v40, v38, v14
	v_rcp_f32_e32 v41, v40
	v_sub_f32_e32 v38, v38, v39
	v_sub_f32_e32 v11, v11, v38
	v_ldexp_f32 v11, v11, v14
	v_mul_f32_e32 v14, v40, v41
	v_fma_f32 v38, v41, v40, -v14
	v_fmac_f32_e32 v38, v41, v11
	v_add_f32_e32 v39, v14, v38
	v_sub_f32_e32 v42, 1.0, v39
	v_sub_f32_e32 v43, 1.0, v42
	v_sub_f32_e32 v14, v39, v14
	v_sub_f32_e32 v43, v43, v39
	;; [unrolled: 1-line block ×3, first 2 shown]
	v_add_f32_e32 v14, v14, v43
	v_add_f32_e32 v38, v42, v14
	v_mul_f32_e32 v39, v41, v38
	v_mul_f32_e32 v43, v40, v39
	v_fma_f32 v44, v39, v40, -v43
	v_fmac_f32_e32 v44, v39, v11
	v_sub_f32_e32 v42, v42, v38
	v_add_f32_e32 v14, v14, v42
	v_add_f32_e32 v42, v43, v44
	v_sub_f32_e32 v45, v38, v42
	v_sub_f32_e32 v38, v38, v45
	;; [unrolled: 1-line block ×4, first 2 shown]
	v_add_f32_e32 v14, v14, v38
	v_sub_f32_e32 v38, v43, v44
	v_add_f32_e32 v14, v38, v14
	v_add_f32_e32 v14, v45, v14
	;; [unrolled: 1-line block ×3, first 2 shown]
	v_mul_f32_e32 v14, v41, v14
	v_sub_f32_e32 v41, v38, v41
	v_sub_f32_e32 v39, v39, v41
	v_add_f32_e32 v14, v39, v14
	v_add_f32_e32 v39, v38, v14
	v_sub_f32_e32 v38, v39, v38
	v_sub_f32_e32 v14, v14, v38
	v_ldexp_f32 v38, v39, -2
	v_sub_f32_e32 v39, v40, v38
	v_sub_f32_e32 v40, v40, v39
	;; [unrolled: 1-line block ×3, first 2 shown]
	v_ldexp_f32 v14, v14, -2
	v_add_f32_e32 v11, v11, v38
	v_sub_f32_e32 v11, v11, v14
	v_add_f32_e32 v11, v39, v11
	v_cmp_ngt_f32_e64 vcc, |v13|, s59
	v_cndmask_b32_e32 v11, v35, v11, vcc
	v_cmp_lt_f32_e64 s[10:11], |v13|, s60
	v_cndmask_b32_e64 v11, v11, |v13|, s[10:11]
	v_xor_b32_e32 v13, 0x80000000, v13
	v_bfi_b32 v11, s43, v11, v13
	v_fma_f32 v13, v11, v11, 1.0
	v_mul_f32_e32 v14, 0x4f800000, v13
	v_cmp_gt_f32_e32 vcc, s61, v13
	v_cndmask_b32_e32 v13, v13, v14, vcc
	v_sqrt_f32_e32 v14, v13
	v_xor_b32_e32 v1, v15, v1
	v_xor_b32_e32 v1, v1, v12
	v_fma_f32 v12, v1, v1, 1.0
	v_add_u32_e32 v15, -1, v14
	v_fma_f32 v38, -v15, v14, v13
	v_cmp_ge_f32_e64 s[10:11], 0, v38
	v_add_u32_e32 v38, 1, v14
	v_cndmask_b32_e64 v15, v14, v15, s[10:11]
	v_fma_f32 v14, -v38, v14, v13
	v_cmp_lt_f32_e64 s[10:11], 0, v14
	v_cndmask_b32_e64 v14, v15, v38, s[10:11]
	v_mul_f32_e32 v15, 0x37800000, v14
	v_cndmask_b32_e32 v14, v14, v15, vcc
	v_cmp_class_f32_e32 vcc, v13, v29
	v_cndmask_b32_e32 v13, v14, v13, vcc
	v_mul_f32_e32 v14, v11, v12
	v_mul_f32_e32 v12, v13, v12
	v_fma_f32 v15, v11, v14, 1.0
	v_mul_f32_e32 v11, v11, v12
	v_div_scale_f32 v12, s[10:11], v15, v15, v11
	v_div_scale_f32 v13, vcc, v11, v15, v11
	v_div_scale_f32 v14, s[10:11], v15, v15, v1
	v_div_scale_f32 v38, s[10:11], v1, v15, v1
	v_rcp_f32_e32 v39, v12
	v_fma_f32 v40, -v12, v39, 1.0
	v_fmac_f32_e32 v39, v40, v39
	v_mul_f32_e32 v40, v13, v39
	v_fma_f32 v41, -v12, v40, v13
	v_fmac_f32_e32 v40, v41, v39
	v_rcp_f32_e32 v41, v14
	v_fma_f32 v12, -v12, v40, v13
	v_div_fmas_f32 v12, v12, v39, v40
	s_mov_b64 vcc, s[10:11]
	v_fma_f32 v13, -v14, v41, 1.0
	v_fmac_f32_e32 v41, v13, v41
	v_mul_f32_e32 v13, v38, v41
	v_fma_f32 v39, -v14, v13, v38
	v_fmac_f32_e32 v13, v39, v41
	v_fma_f32 v14, -v14, v13, v38
	v_div_fmas_f32 v13, v14, v41, v13
	v_div_fixup_f32 v14, v12, v15, v11
	v_div_fixup_f32 v11, v13, v15, v1
                                        ; implicit-def: $vgpr12
                                        ; implicit-def: $vgpr15
.LBB100_58:                             ;   in Loop: Header=BB100_4 Depth=1
	s_andn2_saveexec_b64 s[34:35], s[34:35]
	s_cbranch_execz .LBB100_68
; %bb.59:                               ;   in Loop: Header=BB100_4 Depth=1
	v_lshrrev_b32_e32 v1, 23, v15
	v_and_b32_e32 v11, 0x7fffff, v15
	v_cmp_nlt_f32_e64 s[36:37], |v12|, s47
	v_add_u32_e32 v39, 0xffffff88, v1
	v_or_b32_e32 v11, 0x800000, v11
                                        ; implicit-def: $vgpr14
                                        ; implicit-def: $vgpr38
	s_and_saveexec_b64 s[10:11], s[36:37]
	s_xor_b64 s[38:39], exec, s[10:11]
	s_cbranch_execz .LBB100_61
; %bb.60:                               ;   in Loop: Header=BB100_4 Depth=1
	v_mad_u64_u32 v[40:41], s[10:11], v11, s48, 0
	v_cmp_lt_u32_e32 vcc, 63, v39
	v_mov_b32_e32 v1, v41
	v_mad_u64_u32 v[41:42], s[10:11], v11, s49, v[1:2]
	v_mov_b32_e32 v1, v42
	v_mad_u64_u32 v[42:43], s[10:11], v11, s50, v[1:2]
	;; [unrolled: 2-line block ×3, first 2 shown]
	v_cndmask_b32_e32 v1, 0, v33, vcc
	v_add_u32_e32 v14, v1, v39
	v_mov_b32_e32 v1, v44
	v_mad_u64_u32 v[44:45], s[10:11], v11, s52, v[1:2]
	v_cmp_lt_u32_e64 s[10:11], 31, v14
	v_cndmask_b32_e64 v1, 0, v34, s[10:11]
	v_add_u32_e32 v14, v1, v14
	v_mov_b32_e32 v1, v45
	v_mad_u64_u32 v[45:46], s[12:13], v11, s53, v[1:2]
	v_cmp_lt_u32_e64 s[12:13], 31, v14
	v_cndmask_b32_e64 v1, 0, v34, s[12:13]
	v_add_u32_e32 v14, v1, v14
	v_mov_b32_e32 v1, v46
	v_mad_u64_u32 v[46:47], s[14:15], v11, s54, v[1:2]
	v_cndmask_b32_e32 v1, v44, v42, vcc
	v_cndmask_b32_e32 v38, v45, v43, vcc
	;; [unrolled: 1-line block ×4, first 2 shown]
	v_cndmask_b32_e64 v48, v38, v1, s[10:11]
	v_cndmask_b32_e64 v38, v44, v38, s[10:11]
	v_cndmask_b32_e64 v44, v45, v44, s[10:11]
	v_cndmask_b32_e32 v41, v43, v41, vcc
	v_cndmask_b32_e64 v44, v44, v38, s[12:13]
	v_cndmask_b32_e64 v38, v38, v48, s[12:13]
	v_sub_u32_e32 v45, 32, v14
	v_cndmask_b32_e64 v1, v1, v41, s[10:11]
	v_alignbit_b32 v46, v44, v38, v45
	v_cmp_eq_u32_e64 s[14:15], 0, v14
	v_cndmask_b32_e64 v43, v48, v1, s[12:13]
	v_cndmask_b32_e64 v14, v46, v44, s[14:15]
	v_alignbit_b32 v44, v38, v43, v45
	v_cndmask_b32_e32 v40, v42, v40, vcc
	v_cndmask_b32_e64 v38, v44, v38, s[14:15]
	v_bfe_u32 v47, v14, 29, 1
	v_cndmask_b32_e64 v40, v41, v40, s[10:11]
	v_alignbit_b32 v44, v14, v38, 30
	v_sub_u32_e32 v48, 0, v47
	v_cndmask_b32_e64 v1, v1, v40, s[12:13]
	v_xor_b32_e32 v44, v44, v48
	v_alignbit_b32 v40, v43, v1, v45
	v_cndmask_b32_e64 v40, v40, v43, s[14:15]
	v_ffbh_u32_e32 v41, v44
	v_alignbit_b32 v38, v38, v40, 30
	v_min_u32_e32 v41, 32, v41
	v_alignbit_b32 v1, v40, v1, 30
	v_xor_b32_e32 v38, v38, v48
	v_sub_u32_e32 v42, 31, v41
	v_xor_b32_e32 v1, v1, v48
	v_alignbit_b32 v43, v44, v38, v42
	v_alignbit_b32 v1, v38, v1, v42
	;; [unrolled: 1-line block ×3, first 2 shown]
	v_ffbh_u32_e32 v40, v38
	v_min_u32_e32 v40, 32, v40
	v_lshrrev_b32_e32 v46, 29, v14
	v_not_b32_e32 v42, v40
	v_alignbit_b32 v1, v38, v1, v42
	v_lshlrev_b32_e32 v38, 31, v46
	v_or_b32_e32 v42, 0x33000000, v38
	v_add_lshl_u32 v40, v40, v41, 23
	v_lshrrev_b32_e32 v1, 9, v1
	v_sub_u32_e32 v40, v42, v40
	v_or_b32_e32 v38, 0.5, v38
	v_lshlrev_b32_e32 v41, 23, v41
	v_or_b32_e32 v1, v40, v1
	v_lshrrev_b32_e32 v40, 9, v43
	v_sub_u32_e32 v38, v38, v41
	v_or_b32_e32 v38, v40, v38
	v_mul_f32_e32 v40, 0x3fc90fda, v38
	v_fma_f32 v41, v38, s55, -v40
	v_fmac_f32_e32 v41, 0x33a22168, v38
	v_fmac_f32_e32 v41, 0x3fc90fda, v1
	v_lshrrev_b32_e32 v1, 30, v14
	v_add_f32_e32 v38, v40, v41
	v_add_u32_e32 v14, v47, v1
	s_andn2_saveexec_b64 s[10:11], s[38:39]
	s_branch .LBB100_62
.LBB100_61:                             ;   in Loop: Header=BB100_4 Depth=1
	s_andn2_saveexec_b64 s[10:11], s[38:39]
.LBB100_62:                             ;   in Loop: Header=BB100_4 Depth=1
	v_mul_f32_e64 v1, |v12|, s56
	v_rndne_f32_e32 v1, v1
	v_cvt_i32_f32_e32 v14, v1
	v_fma_f32 v38, v1, s57, |v12|
	v_fmac_f32_e32 v38, 0xb3a22168, v1
	v_fmac_f32_e32 v38, 0xa7c234c4, v1
; %bb.63:                               ;   in Loop: Header=BB100_4 Depth=1
	s_or_b64 exec, exec, s[10:11]
                                        ; implicit-def: $vgpr1
                                        ; implicit-def: $vgpr40
	s_and_saveexec_b64 s[10:11], s[36:37]
	s_xor_b64 s[36:37], exec, s[10:11]
	s_cbranch_execz .LBB100_65
; %bb.64:                               ;   in Loop: Header=BB100_4 Depth=1
	v_mad_u64_u32 v[40:41], s[10:11], v11, s48, 0
	v_cmp_lt_u32_e32 vcc, 63, v39
	v_mov_b32_e32 v1, v41
	v_mad_u64_u32 v[41:42], s[10:11], v11, s49, v[1:2]
	v_mov_b32_e32 v1, v42
	v_mad_u64_u32 v[42:43], s[10:11], v11, s50, v[1:2]
	v_mov_b32_e32 v1, v43
	v_mad_u64_u32 v[43:44], s[10:11], v11, s51, v[1:2]
	v_cndmask_b32_e32 v1, 0, v33, vcc
	v_add_u32_e32 v39, v1, v39
	v_mov_b32_e32 v1, v44
	v_mad_u64_u32 v[44:45], s[10:11], v11, s52, v[1:2]
	v_cmp_lt_u32_e64 s[10:11], 31, v39
	v_cndmask_b32_e64 v1, 0, v34, s[10:11]
	v_add_u32_e32 v39, v1, v39
	v_mov_b32_e32 v1, v45
	v_mad_u64_u32 v[45:46], s[12:13], v11, s53, v[1:2]
	v_cmp_lt_u32_e64 s[12:13], 31, v39
	v_cndmask_b32_e64 v1, 0, v34, s[12:13]
	v_add_u32_e32 v39, v1, v39
	v_mov_b32_e32 v1, v46
	v_mad_u64_u32 v[46:47], s[14:15], v11, s54, v[1:2]
	v_cndmask_b32_e32 v1, v44, v42, vcc
	v_cndmask_b32_e32 v11, v45, v43, vcc
	;; [unrolled: 1-line block ×4, first 2 shown]
	v_cndmask_b32_e64 v48, v11, v1, s[10:11]
	v_cndmask_b32_e64 v11, v44, v11, s[10:11]
	;; [unrolled: 1-line block ×3, first 2 shown]
	v_cndmask_b32_e32 v41, v43, v41, vcc
	v_cndmask_b32_e64 v44, v44, v11, s[12:13]
	v_cndmask_b32_e64 v11, v11, v48, s[12:13]
	v_sub_u32_e32 v45, 32, v39
	v_cndmask_b32_e64 v1, v1, v41, s[10:11]
	v_alignbit_b32 v46, v44, v11, v45
	v_cmp_eq_u32_e64 s[14:15], 0, v39
	v_cndmask_b32_e64 v43, v48, v1, s[12:13]
	v_cndmask_b32_e64 v39, v46, v44, s[14:15]
	v_alignbit_b32 v44, v11, v43, v45
	v_cndmask_b32_e32 v40, v42, v40, vcc
	v_cndmask_b32_e64 v11, v44, v11, s[14:15]
	v_bfe_u32 v47, v39, 29, 1
	v_cndmask_b32_e64 v40, v41, v40, s[10:11]
	v_alignbit_b32 v44, v39, v11, 30
	v_sub_u32_e32 v48, 0, v47
	v_cndmask_b32_e64 v1, v1, v40, s[12:13]
	v_xor_b32_e32 v44, v44, v48
	v_alignbit_b32 v40, v43, v1, v45
	v_cndmask_b32_e64 v40, v40, v43, s[14:15]
	v_ffbh_u32_e32 v41, v44
	v_alignbit_b32 v11, v11, v40, 30
	v_min_u32_e32 v41, 32, v41
	v_alignbit_b32 v1, v40, v1, 30
	v_xor_b32_e32 v11, v11, v48
	v_sub_u32_e32 v42, 31, v41
	v_xor_b32_e32 v1, v1, v48
	v_alignbit_b32 v43, v44, v11, v42
	v_alignbit_b32 v1, v11, v1, v42
	;; [unrolled: 1-line block ×3, first 2 shown]
	v_ffbh_u32_e32 v40, v11
	v_min_u32_e32 v40, 32, v40
	v_lshrrev_b32_e32 v46, 29, v39
	v_not_b32_e32 v42, v40
	v_alignbit_b32 v1, v11, v1, v42
	v_lshlrev_b32_e32 v11, 31, v46
	v_or_b32_e32 v42, 0x33000000, v11
	v_add_lshl_u32 v40, v40, v41, 23
	v_lshrrev_b32_e32 v1, 9, v1
	v_sub_u32_e32 v40, v42, v40
	v_or_b32_e32 v11, 0.5, v11
	v_lshlrev_b32_e32 v41, 23, v41
	v_or_b32_e32 v1, v40, v1
	v_lshrrev_b32_e32 v40, 9, v43
	v_sub_u32_e32 v11, v11, v41
	v_or_b32_e32 v11, v40, v11
	v_mul_f32_e32 v40, 0x3fc90fda, v11
	v_fma_f32 v41, v11, s55, -v40
	v_fmac_f32_e32 v41, 0x33a22168, v11
	v_fmac_f32_e32 v41, 0x3fc90fda, v1
	v_lshrrev_b32_e32 v1, 30, v39
	v_add_f32_e32 v40, v40, v41
	v_add_u32_e32 v1, v47, v1
	s_andn2_saveexec_b64 s[10:11], s[36:37]
	s_cbranch_execnz .LBB100_66
	s_branch .LBB100_67
.LBB100_65:                             ;   in Loop: Header=BB100_4 Depth=1
	s_andn2_saveexec_b64 s[10:11], s[36:37]
.LBB100_66:                             ;   in Loop: Header=BB100_4 Depth=1
	v_mul_f32_e64 v1, |v12|, s56
	v_rndne_f32_e32 v11, v1
	v_cvt_i32_f32_e32 v1, v11
	v_fma_f32 v40, v11, s57, |v12|
	v_fmac_f32_e32 v40, 0xb3a22168, v11
	v_fmac_f32_e32 v40, 0xa7c234c4, v11
.LBB100_67:                             ;   in Loop: Header=BB100_4 Depth=1
	s_or_b64 exec, exec, s[10:11]
	v_mul_f32_e32 v11, v38, v38
	v_mov_b32_e32 v39, 0x3c0881c4
	v_fmac_f32_e32 v39, 0xb94c1982, v11
	v_fma_f32 v39, v11, v39, v30
	v_mul_f32_e32 v39, v11, v39
	v_fmac_f32_e32 v38, v38, v39
	v_mov_b32_e32 v39, 0xbab64f3b
	v_fmac_f32_e32 v39, 0x37d75334, v11
	v_fma_f32 v39, v11, v39, v31
	v_fma_f32 v39, v11, v39, v32
	v_fma_f32 v11, v11, v39, 1.0
	v_and_b32_e32 v39, 1, v14
	v_lshlrev_b32_e32 v14, 30, v14
	v_and_b32_e32 v14, 0x80000000, v14
	v_cmp_eq_u32_e32 vcc, 0, v39
	v_xor_b32_e32 v14, v15, v14
	v_mul_f32_e64 v15, |v13|, s62
	v_cndmask_b32_e32 v11, v11, v38, vcc
	v_rndne_f32_e32 v38, v15
	v_sub_f32_e32 v39, v15, v38
	v_fma_f32 v15, |v13|, s62, -v15
	v_fma_f32 v15, |v13|, s63, v15
	v_add_f32_e32 v15, v39, v15
	v_exp_f32_e32 v15, v15
	v_cvt_i32_f32_e32 v38, v38
	v_xor_b32_e32 v11, v14, v11
	v_xor_b32_e32 v11, v11, v12
	v_cmp_ngt_f32_e64 vcc, |v13|, s64
	v_ldexp_f32 v12, v15, v38
	v_cndmask_b32_e32 v12, 0, v12, vcc
	v_cmp_nlt_f32_e64 vcc, |v13|, s65
	v_xor_b32_e32 v13, 0x80000000, v13
	v_bfi_b32 v14, s43, 1.0, v13
	v_mul_f32_e32 v13, v40, v40
	v_mov_b32_e32 v15, 0x3c0881c4
	v_fmac_f32_e32 v15, 0xb94c1982, v13
	v_fma_f32 v15, v13, v15, v30
	v_mul_f32_e32 v15, v13, v15
	v_fmac_f32_e32 v40, v40, v15
	v_mov_b32_e32 v15, 0xbab64f3b
	v_fmac_f32_e32 v15, 0x37d75334, v13
	v_fma_f32 v15, v13, v15, v31
	v_fma_f32 v15, v13, v15, v32
	v_fma_f32 v13, v13, v15, 1.0
	v_and_b32_e32 v15, 1, v1
	v_cndmask_b32_e32 v12, v35, v12, vcc
	v_cmp_eq_u32_e32 vcc, 0, v15
	v_lshlrev_b32_e32 v1, 30, v1
	v_cndmask_b32_e64 v13, -v40, v13, vcc
	v_and_b32_e32 v1, 0x80000000, v1
	v_mul_f32_e32 v11, 4.0, v11
	v_xor_b32_e32 v1, v1, v13
	v_mul_f32_e32 v1, v11, v1
	v_mul_f32_e32 v1, v12, v1
	;; [unrolled: 1-line block ×3, first 2 shown]
.LBB100_68:                             ;   in Loop: Header=BB100_4 Depth=1
	s_or_b64 exec, exec, s[34:35]
                                        ; implicit-def: $vgpr12
.LBB100_69:                             ;   in Loop: Header=BB100_4 Depth=1
	s_andn2_saveexec_b64 s[10:11], s[30:31]
; %bb.70:                               ;   in Loop: Header=BB100_4 Depth=1
	v_sub_f32_e32 v11, v12, v12
	v_mov_b32_e32 v14, v11
; %bb.71:                               ;   in Loop: Header=BB100_4 Depth=1
	s_or_b64 exec, exec, s[10:11]
                                        ; implicit-def: $vgpr13
.LBB100_72:                             ;   in Loop: Header=BB100_4 Depth=1
	s_andn2_saveexec_b64 s[28:29], s[28:29]
	s_cbranch_execz .LBB100_88
; %bb.73:                               ;   in Loop: Header=BB100_4 Depth=1
	v_xor_b32_e32 v14, 0x80000000, v13
	v_and_b32_e32 v1, 0x7fffff, v14
	v_cmp_ne_u32_e32 vcc, 0, v1
                                        ; implicit-def: $vgpr11
	s_and_saveexec_b64 s[10:11], vcc
	s_xor_b64 s[10:11], exec, s[10:11]
; %bb.74:                               ;   in Loop: Header=BB100_4 Depth=1
	v_mul_f32_e64 v1, v12, -v13
	v_cmp_eq_f32_e32 vcc, 0, v12
	v_cndmask_b32_e32 v11, v1, v12, vcc
                                        ; implicit-def: $vgpr12
; %bb.75:                               ;   in Loop: Header=BB100_4 Depth=1
	s_andn2_saveexec_b64 s[30:31], s[10:11]
	s_cbranch_execz .LBB100_87
; %bb.76:                               ;   in Loop: Header=BB100_4 Depth=1
	v_cmp_neq_f32_e64 s[10:11], |v12|, s44
	s_and_saveexec_b64 s[34:35], s[10:11]
	s_cbranch_execz .LBB100_86
; %bb.77:                               ;   in Loop: Header=BB100_4 Depth=1
	v_and_b32_e32 v11, 0x7fffffff, v12
	v_lshrrev_b32_e32 v1, 23, v11
	v_and_b32_e32 v13, 0x7fffff, v11
	v_cmp_nlt_f32_e64 s[36:37], |v12|, s47
	v_add_u32_e32 v39, 0xffffff88, v1
	v_or_b32_e32 v13, 0x800000, v13
                                        ; implicit-def: $vgpr15
                                        ; implicit-def: $vgpr38
	s_and_saveexec_b64 s[10:11], s[36:37]
	s_xor_b64 s[38:39], exec, s[10:11]
	s_cbranch_execz .LBB100_79
; %bb.78:                               ;   in Loop: Header=BB100_4 Depth=1
	v_mad_u64_u32 v[40:41], s[10:11], v13, s48, 0
	v_cmp_lt_u32_e32 vcc, 63, v39
	v_mov_b32_e32 v1, v41
	v_mad_u64_u32 v[41:42], s[10:11], v13, s49, v[1:2]
	v_mov_b32_e32 v1, v42
	v_mad_u64_u32 v[42:43], s[10:11], v13, s50, v[1:2]
	;; [unrolled: 2-line block ×3, first 2 shown]
	v_cndmask_b32_e32 v1, 0, v33, vcc
	v_add_u32_e32 v15, v1, v39
	v_mov_b32_e32 v1, v44
	v_mad_u64_u32 v[44:45], s[10:11], v13, s52, v[1:2]
	v_cmp_lt_u32_e64 s[10:11], 31, v15
	v_cndmask_b32_e64 v1, 0, v34, s[10:11]
	v_add_u32_e32 v15, v1, v15
	v_mov_b32_e32 v1, v45
	v_mad_u64_u32 v[45:46], s[12:13], v13, s53, v[1:2]
	v_cmp_lt_u32_e64 s[12:13], 31, v15
	v_cndmask_b32_e64 v1, 0, v34, s[12:13]
	v_add_u32_e32 v15, v1, v15
	v_mov_b32_e32 v1, v46
	v_mad_u64_u32 v[46:47], s[14:15], v13, s54, v[1:2]
	v_cndmask_b32_e32 v1, v44, v42, vcc
	v_cndmask_b32_e32 v38, v45, v43, vcc
	;; [unrolled: 1-line block ×4, first 2 shown]
	v_cndmask_b32_e64 v48, v38, v1, s[10:11]
	v_cndmask_b32_e64 v38, v44, v38, s[10:11]
	;; [unrolled: 1-line block ×3, first 2 shown]
	v_cndmask_b32_e32 v41, v43, v41, vcc
	v_cndmask_b32_e64 v44, v44, v38, s[12:13]
	v_cndmask_b32_e64 v38, v38, v48, s[12:13]
	v_sub_u32_e32 v45, 32, v15
	v_cndmask_b32_e64 v1, v1, v41, s[10:11]
	v_alignbit_b32 v46, v44, v38, v45
	v_cmp_eq_u32_e64 s[14:15], 0, v15
	v_cndmask_b32_e64 v43, v48, v1, s[12:13]
	v_cndmask_b32_e64 v15, v46, v44, s[14:15]
	v_alignbit_b32 v44, v38, v43, v45
	v_cndmask_b32_e32 v40, v42, v40, vcc
	v_cndmask_b32_e64 v38, v44, v38, s[14:15]
	v_bfe_u32 v47, v15, 29, 1
	v_cndmask_b32_e64 v40, v41, v40, s[10:11]
	v_alignbit_b32 v44, v15, v38, 30
	v_sub_u32_e32 v48, 0, v47
	v_cndmask_b32_e64 v1, v1, v40, s[12:13]
	v_xor_b32_e32 v44, v44, v48
	v_alignbit_b32 v40, v43, v1, v45
	v_cndmask_b32_e64 v40, v40, v43, s[14:15]
	v_ffbh_u32_e32 v41, v44
	v_alignbit_b32 v38, v38, v40, 30
	v_min_u32_e32 v41, 32, v41
	v_alignbit_b32 v1, v40, v1, 30
	v_xor_b32_e32 v38, v38, v48
	v_sub_u32_e32 v42, 31, v41
	v_xor_b32_e32 v1, v1, v48
	v_alignbit_b32 v43, v44, v38, v42
	v_alignbit_b32 v1, v38, v1, v42
	;; [unrolled: 1-line block ×3, first 2 shown]
	v_ffbh_u32_e32 v40, v38
	v_min_u32_e32 v40, 32, v40
	v_lshrrev_b32_e32 v46, 29, v15
	v_not_b32_e32 v42, v40
	v_alignbit_b32 v1, v38, v1, v42
	v_lshlrev_b32_e32 v38, 31, v46
	v_or_b32_e32 v42, 0x33000000, v38
	v_add_lshl_u32 v40, v40, v41, 23
	v_lshrrev_b32_e32 v1, 9, v1
	v_sub_u32_e32 v40, v42, v40
	v_or_b32_e32 v38, 0.5, v38
	v_lshlrev_b32_e32 v41, 23, v41
	v_or_b32_e32 v1, v40, v1
	v_lshrrev_b32_e32 v40, 9, v43
	v_sub_u32_e32 v38, v38, v41
	v_or_b32_e32 v38, v40, v38
	v_mul_f32_e32 v40, 0x3fc90fda, v38
	v_fma_f32 v41, v38, s55, -v40
	v_fmac_f32_e32 v41, 0x33a22168, v38
	v_fmac_f32_e32 v41, 0x3fc90fda, v1
	v_lshrrev_b32_e32 v1, 30, v15
	v_add_f32_e32 v38, v40, v41
	v_add_u32_e32 v15, v47, v1
.LBB100_79:                             ;   in Loop: Header=BB100_4 Depth=1
	s_or_saveexec_b64 s[10:11], s[38:39]
	v_mul_f32_e64 v1, |v12|, s56
	v_rndne_f32_e32 v41, v1
	s_xor_b64 exec, exec, s[10:11]
; %bb.80:                               ;   in Loop: Header=BB100_4 Depth=1
	v_cvt_i32_f32_e32 v15, v41
	v_fma_f32 v38, v41, s57, |v12|
	v_fmac_f32_e32 v38, 0xb3a22168, v41
	v_fmac_f32_e32 v38, 0xa7c234c4, v41
; %bb.81:                               ;   in Loop: Header=BB100_4 Depth=1
	s_or_b64 exec, exec, s[10:11]
                                        ; implicit-def: $vgpr1
                                        ; implicit-def: $vgpr40
	s_and_saveexec_b64 s[10:11], s[36:37]
	s_xor_b64 s[36:37], exec, s[10:11]
	s_cbranch_execz .LBB100_83
; %bb.82:                               ;   in Loop: Header=BB100_4 Depth=1
	v_mad_u64_u32 v[40:41], s[10:11], v13, s48, 0
	v_cmp_lt_u32_e32 vcc, 63, v39
	v_mov_b32_e32 v1, v41
	v_mad_u64_u32 v[41:42], s[10:11], v13, s49, v[1:2]
	v_mov_b32_e32 v1, v42
	v_mad_u64_u32 v[42:43], s[10:11], v13, s50, v[1:2]
	;; [unrolled: 2-line block ×3, first 2 shown]
	v_cndmask_b32_e32 v1, 0, v33, vcc
	v_add_u32_e32 v39, v1, v39
	v_mov_b32_e32 v1, v44
	v_mad_u64_u32 v[44:45], s[10:11], v13, s52, v[1:2]
	v_cmp_lt_u32_e64 s[10:11], 31, v39
	v_cndmask_b32_e64 v1, 0, v34, s[10:11]
	v_add_u32_e32 v39, v1, v39
	v_mov_b32_e32 v1, v45
	v_mad_u64_u32 v[45:46], s[12:13], v13, s53, v[1:2]
	v_cmp_lt_u32_e64 s[12:13], 31, v39
	v_cndmask_b32_e64 v1, 0, v34, s[12:13]
	v_add_u32_e32 v39, v1, v39
	v_mov_b32_e32 v1, v46
	v_mad_u64_u32 v[46:47], s[14:15], v13, s54, v[1:2]
	v_cndmask_b32_e32 v1, v44, v42, vcc
	v_cndmask_b32_e32 v13, v45, v43, vcc
	;; [unrolled: 1-line block ×4, first 2 shown]
	v_cndmask_b32_e64 v48, v13, v1, s[10:11]
	v_cndmask_b32_e64 v13, v44, v13, s[10:11]
	;; [unrolled: 1-line block ×3, first 2 shown]
	v_cndmask_b32_e32 v41, v43, v41, vcc
	v_cndmask_b32_e64 v44, v44, v13, s[12:13]
	v_cndmask_b32_e64 v13, v13, v48, s[12:13]
	v_sub_u32_e32 v45, 32, v39
	v_cndmask_b32_e64 v1, v1, v41, s[10:11]
	v_alignbit_b32 v46, v44, v13, v45
	v_cmp_eq_u32_e64 s[14:15], 0, v39
	v_cndmask_b32_e64 v43, v48, v1, s[12:13]
	v_cndmask_b32_e64 v39, v46, v44, s[14:15]
	v_alignbit_b32 v44, v13, v43, v45
	v_cndmask_b32_e32 v40, v42, v40, vcc
	v_cndmask_b32_e64 v13, v44, v13, s[14:15]
	v_bfe_u32 v47, v39, 29, 1
	v_cndmask_b32_e64 v40, v41, v40, s[10:11]
	v_alignbit_b32 v44, v39, v13, 30
	v_sub_u32_e32 v48, 0, v47
	v_cndmask_b32_e64 v1, v1, v40, s[12:13]
	v_xor_b32_e32 v44, v44, v48
	v_alignbit_b32 v40, v43, v1, v45
	v_cndmask_b32_e64 v40, v40, v43, s[14:15]
	v_ffbh_u32_e32 v41, v44
	v_alignbit_b32 v13, v13, v40, 30
	v_min_u32_e32 v41, 32, v41
	v_alignbit_b32 v1, v40, v1, 30
	v_xor_b32_e32 v13, v13, v48
	v_sub_u32_e32 v42, 31, v41
	v_xor_b32_e32 v1, v1, v48
	v_alignbit_b32 v43, v44, v13, v42
	v_alignbit_b32 v1, v13, v1, v42
	;; [unrolled: 1-line block ×3, first 2 shown]
	v_ffbh_u32_e32 v40, v13
	v_min_u32_e32 v40, 32, v40
	v_lshrrev_b32_e32 v46, 29, v39
	v_not_b32_e32 v42, v40
	v_alignbit_b32 v1, v13, v1, v42
	v_lshlrev_b32_e32 v13, 31, v46
	v_or_b32_e32 v42, 0x33000000, v13
	v_add_lshl_u32 v40, v40, v41, 23
	v_lshrrev_b32_e32 v1, 9, v1
	v_sub_u32_e32 v40, v42, v40
	v_or_b32_e32 v13, 0.5, v13
	v_lshlrev_b32_e32 v41, 23, v41
	v_or_b32_e32 v1, v40, v1
	v_lshrrev_b32_e32 v40, 9, v43
	v_sub_u32_e32 v13, v13, v41
	v_or_b32_e32 v13, v40, v13
	v_mul_f32_e32 v40, 0x3fc90fda, v13
	v_fma_f32 v41, v13, s55, -v40
	v_fmac_f32_e32 v41, 0x33a22168, v13
	v_fmac_f32_e32 v41, 0x3fc90fda, v1
	v_lshrrev_b32_e32 v1, 30, v39
	v_add_f32_e32 v40, v40, v41
	v_add_u32_e32 v1, v47, v1
                                        ; implicit-def: $vgpr41
	s_andn2_saveexec_b64 s[10:11], s[36:37]
	s_cbranch_execnz .LBB100_84
	s_branch .LBB100_85
.LBB100_83:                             ;   in Loop: Header=BB100_4 Depth=1
	s_andn2_saveexec_b64 s[10:11], s[36:37]
.LBB100_84:                             ;   in Loop: Header=BB100_4 Depth=1
	v_cvt_i32_f32_e32 v1, v41
	v_fma_f32 v40, v41, s57, |v12|
	v_fmac_f32_e32 v40, 0xb3a22168, v41
	v_fmac_f32_e32 v40, 0xa7c234c4, v41
.LBB100_85:                             ;   in Loop: Header=BB100_4 Depth=1
	s_or_b64 exec, exec, s[10:11]
	v_mul_f32_e32 v13, v38, v38
	v_mov_b32_e32 v39, 0x3c0881c4
	v_fmac_f32_e32 v39, 0xb94c1982, v13
	v_fma_f32 v39, v13, v39, v30
	v_mul_f32_e32 v39, v13, v39
	v_fmac_f32_e32 v38, v38, v39
	v_mov_b32_e32 v39, 0xbab64f3b
	v_fmac_f32_e32 v39, 0x37d75334, v13
	v_fma_f32 v39, v13, v39, v31
	v_fma_f32 v39, v13, v39, v32
	v_fma_f32 v13, v13, v39, 1.0
	v_and_b32_e32 v39, 1, v15
	v_lshlrev_b32_e32 v15, 30, v15
	v_cmp_eq_u32_e32 vcc, 0, v39
	v_and_b32_e32 v15, 0x80000000, v15
	v_cndmask_b32_e32 v13, v13, v38, vcc
	v_xor_b32_e32 v11, v11, v15
	v_xor_b32_e32 v11, v11, v13
	v_mul_f32_e32 v13, v40, v40
	v_mov_b32_e32 v15, 0x3c0881c4
	v_fmac_f32_e32 v15, 0xb94c1982, v13
	v_fma_f32 v15, v13, v15, v30
	v_mul_f32_e32 v15, v13, v15
	v_fmac_f32_e32 v40, v40, v15
	v_mov_b32_e32 v15, 0xbab64f3b
	v_fmac_f32_e32 v15, 0x37d75334, v13
	v_fma_f32 v15, v13, v15, v31
	v_fma_f32 v15, v13, v15, v32
	v_fma_f32 v13, v13, v15, 1.0
	v_and_b32_e32 v15, 1, v1
	v_cmp_eq_u32_e32 vcc, 0, v15
	v_lshlrev_b32_e32 v1, 30, v1
	v_cndmask_b32_e64 v13, -v40, v13, vcc
	v_and_b32_e32 v1, 0x80000000, v1
	v_xor_b32_e32 v11, v11, v12
	v_xor_b32_e32 v1, v1, v13
	v_mul_f32_e32 v1, v11, v1
	v_cmp_class_f32_e64 vcc, v12, s45
	v_cndmask_b32_e32 v12, v36, v1, vcc
.LBB100_86:                             ;   in Loop: Header=BB100_4 Depth=1
	s_or_b64 exec, exec, s[34:35]
	v_add_u32_e32 v14, -2.0, v14
	v_bfi_b32 v11, s43, 0, v12
.LBB100_87:                             ;   in Loop: Header=BB100_4 Depth=1
	s_or_b64 exec, exec, s[30:31]
.LBB100_88:                             ;   in Loop: Header=BB100_4 Depth=1
	s_or_b64 exec, exec, s[28:29]
	v_and_b32_e32 v1, 0x7fffffff, v10
	v_cmp_gt_u32_e32 vcc, s44, v1
                                        ; implicit-def: $vgpr13
                                        ; implicit-def: $vgpr15
	s_and_saveexec_b64 s[10:11], vcc
	s_xor_b64 s[28:29], exec, s[10:11]
	s_cbranch_execz .LBB100_110
; %bb.89:                               ;   in Loop: Header=BB100_4 Depth=1
	v_cmp_class_f32_e64 s[10:11], v9, s45
                                        ; implicit-def: $vgpr13
                                        ; implicit-def: $vgpr15
	s_and_saveexec_b64 s[12:13], s[10:11]
	s_xor_b64 s[30:31], exec, s[12:13]
	s_cbranch_execz .LBB100_107
; %bb.90:                               ;   in Loop: Header=BB100_4 Depth=1
	v_and_b32_e32 v12, 0x7fffffff, v9
	v_cmp_gt_u32_e32 vcc, s46, v1
                                        ; implicit-def: $vgpr13
                                        ; implicit-def: $vgpr15
	s_and_saveexec_b64 s[10:11], vcc
	s_xor_b64 s[34:35], exec, s[10:11]
	s_cbranch_execz .LBB100_96
; %bb.91:                               ;   in Loop: Header=BB100_4 Depth=1
	v_cmp_nlt_f32_e64 s[10:11], |v9|, s47
                                        ; implicit-def: $vgpr13
                                        ; implicit-def: $vgpr1
	s_and_saveexec_b64 s[12:13], s[10:11]
	s_xor_b64 s[36:37], exec, s[12:13]
	s_cbranch_execz .LBB100_93
; %bb.92:                               ;   in Loop: Header=BB100_4 Depth=1
	v_and_b32_e32 v1, 0x7fffff, v12
	v_or_b32_e32 v13, 0x800000, v1
	v_mad_u64_u32 v[38:39], s[10:11], v13, s48, 0
	v_mov_b32_e32 v1, v39
	v_mad_u64_u32 v[39:40], s[10:11], v13, s49, v[1:2]
	v_mov_b32_e32 v1, v40
	;; [unrolled: 2-line block ×3, first 2 shown]
	v_mad_u64_u32 v[41:42], s[10:11], v13, s51, v[1:2]
	v_lshrrev_b32_e32 v1, 23, v12
	v_add_u32_e32 v15, 0xffffff88, v1
	v_mov_b32_e32 v1, v42
	v_mad_u64_u32 v[42:43], s[10:11], v13, s52, v[1:2]
	v_cmp_lt_u32_e32 vcc, 63, v15
	v_cndmask_b32_e32 v1, 0, v33, vcc
	v_add_u32_e32 v15, v1, v15
	v_mov_b32_e32 v1, v43
	v_mad_u64_u32 v[43:44], s[10:11], v13, s53, v[1:2]
	v_cmp_lt_u32_e64 s[10:11], 31, v15
	v_cndmask_b32_e64 v1, 0, v34, s[10:11]
	v_add_u32_e32 v15, v1, v15
	v_mov_b32_e32 v1, v44
	v_mad_u64_u32 v[44:45], s[12:13], v13, s54, v[1:2]
	v_cmp_lt_u32_e64 s[12:13], 31, v15
	v_cndmask_b32_e64 v1, 0, v34, s[12:13]
	v_add_u32_e32 v1, v1, v15
	v_cndmask_b32_e32 v13, v43, v41, vcc
	v_cndmask_b32_e32 v15, v44, v42, vcc
	;; [unrolled: 1-line block ×4, first 2 shown]
	v_cndmask_b32_e64 v44, v15, v13, s[10:11]
	v_cndmask_b32_e64 v15, v43, v15, s[10:11]
	;; [unrolled: 1-line block ×5, first 2 shown]
	v_sub_u32_e32 v44, 32, v1
	v_cmp_eq_u32_e64 s[14:15], 0, v1
	v_cndmask_b32_e32 v1, v41, v39, vcc
	v_cndmask_b32_e64 v39, v42, v1, s[10:11]
	v_alignbit_b32 v45, v15, v43, v44
	v_cndmask_b32_e64 v13, v13, v39, s[12:13]
	v_cndmask_b32_e64 v15, v45, v15, s[14:15]
	v_alignbit_b32 v41, v43, v13, v44
	v_cndmask_b32_e32 v38, v40, v38, vcc
	v_cndmask_b32_e64 v41, v41, v43, s[14:15]
	v_bfe_u32 v45, v15, 29, 1
	v_cndmask_b32_e64 v1, v1, v38, s[10:11]
	v_alignbit_b32 v42, v15, v41, 30
	v_sub_u32_e32 v46, 0, v45
	v_cndmask_b32_e64 v1, v39, v1, s[12:13]
	v_xor_b32_e32 v42, v42, v46
	v_alignbit_b32 v38, v13, v1, v44
	v_cndmask_b32_e64 v13, v38, v13, s[14:15]
	v_ffbh_u32_e32 v39, v42
	v_alignbit_b32 v38, v41, v13, 30
	v_min_u32_e32 v39, 32, v39
	v_alignbit_b32 v1, v13, v1, 30
	v_xor_b32_e32 v38, v38, v46
	v_sub_u32_e32 v40, 31, v39
	v_xor_b32_e32 v1, v1, v46
	v_alignbit_b32 v41, v42, v38, v40
	v_alignbit_b32 v1, v38, v1, v40
	;; [unrolled: 1-line block ×3, first 2 shown]
	v_ffbh_u32_e32 v38, v13
	v_min_u32_e32 v38, 32, v38
	v_lshrrev_b32_e32 v43, 29, v15
	v_not_b32_e32 v40, v38
	v_alignbit_b32 v1, v13, v1, v40
	v_lshlrev_b32_e32 v13, 31, v43
	v_or_b32_e32 v40, 0x33000000, v13
	v_add_lshl_u32 v38, v38, v39, 23
	v_lshrrev_b32_e32 v1, 9, v1
	v_sub_u32_e32 v38, v40, v38
	v_or_b32_e32 v13, 0.5, v13
	v_lshlrev_b32_e32 v39, 23, v39
	v_or_b32_e32 v1, v38, v1
	v_lshrrev_b32_e32 v38, 9, v41
	v_sub_u32_e32 v13, v13, v39
	v_or_b32_e32 v13, v38, v13
	v_mul_f32_e32 v38, 0x3fc90fda, v13
	v_fma_f32 v39, v13, s55, -v38
	v_fmac_f32_e32 v39, 0x33a22168, v13
	v_fmac_f32_e32 v39, 0x3fc90fda, v1
	v_lshrrev_b32_e32 v13, 30, v15
	v_add_f32_e32 v1, v38, v39
	v_add_u32_e32 v13, v45, v13
.LBB100_93:                             ;   in Loop: Header=BB100_4 Depth=1
	s_andn2_saveexec_b64 s[10:11], s[36:37]
; %bb.94:                               ;   in Loop: Header=BB100_4 Depth=1
	v_mul_f32_e64 v1, |v9|, s56
	v_rndne_f32_e32 v15, v1
	v_cvt_i32_f32_e32 v13, v15
	v_fma_f32 v1, v15, s57, |v9|
	v_fmac_f32_e32 v1, 0xb3a22168, v15
	v_fmac_f32_e32 v1, 0xa7c234c4, v15
; %bb.95:                               ;   in Loop: Header=BB100_4 Depth=1
	s_or_b64 exec, exec, s[10:11]
	v_mul_f32_e32 v15, v1, v1
	v_mov_b32_e32 v38, 0xbf039337
	v_fmac_f32_e32 v38, 0x3c971480, v15
	v_fma_f32 v38, v15, v38, v25
	v_rcp_f32_e32 v38, v38
	v_mov_b32_e32 v39, 0x3ec54587
	v_fmac_f32_e32 v39, 0xbc8cedd3, v15
	v_and_b32_e32 v13, 1, v13
	v_mul_f32_e32 v38, v39, v38
	v_mul_f32_e32 v15, v15, v38
	v_fma_f32 v38, v15, v1, v1
	v_rcp_f32_e32 v39, v38
	v_sub_f32_e32 v40, v38, v1
	v_fma_f32 v1, v15, v1, -v40
	v_cmp_eq_u32_e32 vcc, 0, v13
	v_fma_f32 v15, v38, -v39, 1.0
	v_fma_f32 v1, v1, -v39, v15
	v_add_f32_e64 v13, |v10|, s58
	v_fma_f32 v1, v1, -v39, -v39
	v_sub_f32_e64 v15, v13, |v10|
	v_cndmask_b32_e32 v1, v1, v38, vcc
	v_sub_f32_e32 v38, v15, v13
	v_add_f32_e64 v38, |v10|, v38
	v_add_f32_e32 v15, 0x3f317218, v15
	v_sub_f32_e32 v15, v38, v15
	v_add_f32_e32 v15, 0x3102e308, v15
	v_add_f32_e32 v38, v13, v15
	v_sub_f32_e32 v13, v13, v38
	v_add_f32_e32 v13, v15, v13
	v_mul_f32_e32 v15, 0x3fb8aa3b, v38
	v_rndne_f32_e32 v15, v15
	v_fmac_f32_e32 v38, 0xbf317200, v15
	v_add_f32_e32 v39, v13, v38
	v_sub_f32_e32 v38, v38, v39
	v_add_f32_e32 v13, v13, v38
	v_mul_f32_e32 v38, 0x35bfbc00, v15
	v_sub_f32_e32 v40, v39, v38
	v_sub_f32_e32 v39, v39, v40
	;; [unrolled: 1-line block ×3, first 2 shown]
	v_add_f32_e32 v13, v13, v38
	v_add_f32_e32 v38, v40, v13
	v_sub_f32_e32 v39, v40, v38
	v_add_f32_e32 v13, v13, v39
	v_mul_f32_e32 v39, 0x2ea39ef3, v15
	v_sub_f32_e32 v40, v38, v39
	v_sub_f32_e32 v38, v38, v40
	;; [unrolled: 1-line block ×3, first 2 shown]
	v_add_f32_e32 v13, v13, v38
	v_add_f32_e32 v38, v40, v13
	v_sub_f32_e32 v40, v40, v38
	v_mov_b32_e32 v39, 0x3c091de6
	v_add_f32_e32 v13, v13, v40
	v_mul_f32_e32 v41, v38, v38
	v_fmac_f32_e32 v39, 0x3ab42872, v38
	v_add_f32_e32 v40, v13, v13
	v_fma_f32 v42, v38, v38, -v41
	v_fma_f32 v39, v38, v39, v26
	v_fmac_f32_e32 v42, v38, v40
	v_fma_f32 v39, v38, v39, v27
	v_add_f32_e32 v40, v41, v42
	v_fma_f32 v39, v38, v39, v28
	v_sub_f32_e32 v41, v40, v41
	v_sub_f32_e32 v41, v42, v41
	v_mul_f32_e32 v42, v39, v40
	v_fma_f32 v40, v40, v39, -v42
	v_fmac_f32_e32 v40, v41, v39
	v_add_f32_e32 v39, v42, v40
	v_sub_f32_e32 v41, v39, v42
	v_sub_f32_e32 v40, v40, v41
	v_add_f32_e32 v41, v38, v39
	v_sub_f32_e32 v38, v41, v38
	v_sub_f32_e32 v38, v39, v38
	v_add_f32_e32 v13, v13, v40
	v_add_f32_e32 v13, v13, v38
	;; [unrolled: 1-line block ×3, first 2 shown]
	v_sub_f32_e32 v39, v38, v41
	v_sub_f32_e32 v13, v13, v39
	v_add_f32_e32 v39, 1.0, v38
	v_add_f32_e32 v40, -1.0, v39
	v_cvt_i32_f32_e32 v15, v15
	v_sub_f32_e32 v38, v38, v40
	v_add_f32_e32 v13, v13, v38
	v_add_f32_e32 v38, v39, v13
	v_ldexp_f32 v40, v38, v15
	v_rcp_f32_e32 v41, v40
	v_sub_f32_e32 v38, v38, v39
	v_sub_f32_e32 v13, v13, v38
	v_ldexp_f32 v13, v13, v15
	v_mul_f32_e32 v15, v40, v41
	v_fma_f32 v38, v41, v40, -v15
	v_fmac_f32_e32 v38, v41, v13
	v_add_f32_e32 v39, v15, v38
	v_sub_f32_e32 v42, 1.0, v39
	v_sub_f32_e32 v43, 1.0, v42
	v_sub_f32_e32 v15, v39, v15
	v_sub_f32_e32 v43, v43, v39
	;; [unrolled: 1-line block ×3, first 2 shown]
	v_add_f32_e32 v15, v15, v43
	v_add_f32_e32 v38, v42, v15
	v_mul_f32_e32 v39, v41, v38
	v_mul_f32_e32 v43, v40, v39
	v_fma_f32 v44, v39, v40, -v43
	v_fmac_f32_e32 v44, v39, v13
	v_sub_f32_e32 v42, v42, v38
	v_add_f32_e32 v15, v15, v42
	v_add_f32_e32 v42, v43, v44
	v_sub_f32_e32 v45, v38, v42
	v_sub_f32_e32 v38, v38, v45
	;; [unrolled: 1-line block ×4, first 2 shown]
	v_add_f32_e32 v15, v15, v38
	v_sub_f32_e32 v38, v43, v44
	v_add_f32_e32 v15, v38, v15
	v_add_f32_e32 v15, v45, v15
	;; [unrolled: 1-line block ×3, first 2 shown]
	v_mul_f32_e32 v15, v41, v15
	v_sub_f32_e32 v41, v38, v41
	v_sub_f32_e32 v39, v39, v41
	v_add_f32_e32 v15, v39, v15
	v_add_f32_e32 v39, v38, v15
	v_sub_f32_e32 v38, v39, v38
	v_sub_f32_e32 v15, v15, v38
	v_ldexp_f32 v38, v39, -2
	v_sub_f32_e32 v39, v40, v38
	v_sub_f32_e32 v40, v40, v39
	;; [unrolled: 1-line block ×3, first 2 shown]
	v_ldexp_f32 v15, v15, -2
	v_add_f32_e32 v13, v13, v38
	v_sub_f32_e32 v13, v13, v15
	v_add_f32_e32 v13, v39, v13
	v_cmp_ngt_f32_e64 vcc, |v10|, s59
	v_cndmask_b32_e32 v13, v35, v13, vcc
	v_cmp_lt_f32_e64 s[10:11], |v10|, s60
	v_cndmask_b32_e64 v13, v13, |v10|, s[10:11]
	v_xor_b32_e32 v10, 0x80000000, v10
	v_bfi_b32 v10, s43, v13, v10
	v_fma_f32 v13, v10, v10, 1.0
	v_mul_f32_e32 v15, 0x4f800000, v13
	v_cmp_gt_f32_e32 vcc, s61, v13
	v_cndmask_b32_e32 v13, v13, v15, vcc
	v_sqrt_f32_e32 v15, v13
	v_xor_b32_e32 v1, v12, v1
	v_xor_b32_e32 v1, v1, v9
	v_fma_f32 v9, v1, v1, 1.0
	v_add_u32_e32 v12, -1, v15
	v_fma_f32 v38, -v12, v15, v13
	v_cmp_ge_f32_e64 s[10:11], 0, v38
	v_add_u32_e32 v38, 1, v15
	v_cndmask_b32_e64 v12, v15, v12, s[10:11]
	v_fma_f32 v15, -v38, v15, v13
	v_cmp_lt_f32_e64 s[10:11], 0, v15
	v_cndmask_b32_e64 v12, v12, v38, s[10:11]
	v_mul_f32_e32 v15, 0x37800000, v12
	v_cndmask_b32_e32 v12, v12, v15, vcc
	v_cmp_class_f32_e32 vcc, v13, v29
	v_cndmask_b32_e32 v12, v12, v13, vcc
	v_mul_f32_e32 v13, v10, v9
	v_mul_f32_e32 v9, v12, v9
	v_fma_f32 v13, v10, v13, 1.0
	v_mul_f32_e32 v9, v10, v9
	v_div_scale_f32 v10, s[10:11], v13, v13, v9
	v_div_scale_f32 v12, vcc, v9, v13, v9
	v_div_scale_f32 v15, s[10:11], v13, v13, v1
	v_div_scale_f32 v38, s[10:11], v1, v13, v1
	v_rcp_f32_e32 v39, v10
	v_fma_f32 v40, -v10, v39, 1.0
	v_fmac_f32_e32 v39, v40, v39
	v_mul_f32_e32 v40, v12, v39
	v_fma_f32 v41, -v10, v40, v12
	v_fmac_f32_e32 v40, v41, v39
	v_rcp_f32_e32 v41, v15
	v_fma_f32 v10, -v10, v40, v12
	v_div_fmas_f32 v10, v10, v39, v40
	s_mov_b64 vcc, s[10:11]
	v_fma_f32 v12, -v15, v41, 1.0
	v_fmac_f32_e32 v41, v12, v41
	v_mul_f32_e32 v12, v38, v41
	v_fma_f32 v39, -v15, v12, v38
	v_fmac_f32_e32 v12, v39, v41
	v_fma_f32 v15, -v15, v12, v38
	v_div_fmas_f32 v12, v15, v41, v12
	v_div_fixup_f32 v15, v10, v13, v9
                                        ; implicit-def: $vgpr9
	v_div_fixup_f32 v13, v12, v13, v1
                                        ; implicit-def: $vgpr12
.LBB100_96:                             ;   in Loop: Header=BB100_4 Depth=1
	s_andn2_saveexec_b64 s[34:35], s[34:35]
	s_cbranch_execz .LBB100_106
; %bb.97:                               ;   in Loop: Header=BB100_4 Depth=1
	v_lshrrev_b32_e32 v1, 23, v12
	v_and_b32_e32 v13, 0x7fffff, v12
	v_cmp_nlt_f32_e64 s[36:37], |v9|, s47
	v_add_u32_e32 v39, 0xffffff88, v1
	v_or_b32_e32 v13, 0x800000, v13
                                        ; implicit-def: $vgpr15
                                        ; implicit-def: $vgpr38
	s_and_saveexec_b64 s[10:11], s[36:37]
	s_xor_b64 s[38:39], exec, s[10:11]
	s_cbranch_execz .LBB100_99
; %bb.98:                               ;   in Loop: Header=BB100_4 Depth=1
	v_mad_u64_u32 v[40:41], s[10:11], v13, s48, 0
	v_cmp_lt_u32_e32 vcc, 63, v39
	v_mov_b32_e32 v1, v41
	v_mad_u64_u32 v[41:42], s[10:11], v13, s49, v[1:2]
	v_mov_b32_e32 v1, v42
	v_mad_u64_u32 v[42:43], s[10:11], v13, s50, v[1:2]
	;; [unrolled: 2-line block ×3, first 2 shown]
	v_cndmask_b32_e32 v1, 0, v33, vcc
	v_add_u32_e32 v15, v1, v39
	v_mov_b32_e32 v1, v44
	v_mad_u64_u32 v[44:45], s[10:11], v13, s52, v[1:2]
	v_cmp_lt_u32_e64 s[10:11], 31, v15
	v_cndmask_b32_e64 v1, 0, v34, s[10:11]
	v_add_u32_e32 v15, v1, v15
	v_mov_b32_e32 v1, v45
	v_mad_u64_u32 v[45:46], s[12:13], v13, s53, v[1:2]
	v_cmp_lt_u32_e64 s[12:13], 31, v15
	v_cndmask_b32_e64 v1, 0, v34, s[12:13]
	v_add_u32_e32 v15, v1, v15
	v_mov_b32_e32 v1, v46
	v_mad_u64_u32 v[46:47], s[14:15], v13, s54, v[1:2]
	v_cndmask_b32_e32 v1, v44, v42, vcc
	v_cndmask_b32_e32 v38, v45, v43, vcc
	v_cndmask_b32_e32 v44, v46, v44, vcc
	v_cndmask_b32_e32 v45, v47, v45, vcc
	v_cndmask_b32_e64 v48, v38, v1, s[10:11]
	v_cndmask_b32_e64 v38, v44, v38, s[10:11]
	;; [unrolled: 1-line block ×3, first 2 shown]
	v_cndmask_b32_e32 v41, v43, v41, vcc
	v_cndmask_b32_e64 v44, v44, v38, s[12:13]
	v_cndmask_b32_e64 v38, v38, v48, s[12:13]
	v_sub_u32_e32 v45, 32, v15
	v_cndmask_b32_e64 v1, v1, v41, s[10:11]
	v_alignbit_b32 v46, v44, v38, v45
	v_cmp_eq_u32_e64 s[14:15], 0, v15
	v_cndmask_b32_e64 v43, v48, v1, s[12:13]
	v_cndmask_b32_e64 v15, v46, v44, s[14:15]
	v_alignbit_b32 v44, v38, v43, v45
	v_cndmask_b32_e32 v40, v42, v40, vcc
	v_cndmask_b32_e64 v38, v44, v38, s[14:15]
	v_bfe_u32 v47, v15, 29, 1
	v_cndmask_b32_e64 v40, v41, v40, s[10:11]
	v_alignbit_b32 v44, v15, v38, 30
	v_sub_u32_e32 v48, 0, v47
	v_cndmask_b32_e64 v1, v1, v40, s[12:13]
	v_xor_b32_e32 v44, v44, v48
	v_alignbit_b32 v40, v43, v1, v45
	v_cndmask_b32_e64 v40, v40, v43, s[14:15]
	v_ffbh_u32_e32 v41, v44
	v_alignbit_b32 v38, v38, v40, 30
	v_min_u32_e32 v41, 32, v41
	v_alignbit_b32 v1, v40, v1, 30
	v_xor_b32_e32 v38, v38, v48
	v_sub_u32_e32 v42, 31, v41
	v_xor_b32_e32 v1, v1, v48
	v_alignbit_b32 v43, v44, v38, v42
	v_alignbit_b32 v1, v38, v1, v42
	;; [unrolled: 1-line block ×3, first 2 shown]
	v_ffbh_u32_e32 v40, v38
	v_min_u32_e32 v40, 32, v40
	v_lshrrev_b32_e32 v46, 29, v15
	v_not_b32_e32 v42, v40
	v_alignbit_b32 v1, v38, v1, v42
	v_lshlrev_b32_e32 v38, 31, v46
	v_or_b32_e32 v42, 0x33000000, v38
	v_add_lshl_u32 v40, v40, v41, 23
	v_lshrrev_b32_e32 v1, 9, v1
	v_sub_u32_e32 v40, v42, v40
	v_or_b32_e32 v38, 0.5, v38
	v_lshlrev_b32_e32 v41, 23, v41
	v_or_b32_e32 v1, v40, v1
	v_lshrrev_b32_e32 v40, 9, v43
	v_sub_u32_e32 v38, v38, v41
	v_or_b32_e32 v38, v40, v38
	v_mul_f32_e32 v40, 0x3fc90fda, v38
	v_fma_f32 v41, v38, s55, -v40
	v_fmac_f32_e32 v41, 0x33a22168, v38
	v_fmac_f32_e32 v41, 0x3fc90fda, v1
	v_lshrrev_b32_e32 v1, 30, v15
	v_add_f32_e32 v38, v40, v41
	v_add_u32_e32 v15, v47, v1
	s_andn2_saveexec_b64 s[10:11], s[38:39]
	s_branch .LBB100_100
.LBB100_99:                             ;   in Loop: Header=BB100_4 Depth=1
	s_andn2_saveexec_b64 s[10:11], s[38:39]
.LBB100_100:                            ;   in Loop: Header=BB100_4 Depth=1
	v_mul_f32_e64 v1, |v9|, s56
	v_rndne_f32_e32 v1, v1
	v_cvt_i32_f32_e32 v15, v1
	v_fma_f32 v38, v1, s57, |v9|
	v_fmac_f32_e32 v38, 0xb3a22168, v1
	v_fmac_f32_e32 v38, 0xa7c234c4, v1
; %bb.101:                              ;   in Loop: Header=BB100_4 Depth=1
	s_or_b64 exec, exec, s[10:11]
                                        ; implicit-def: $vgpr1
                                        ; implicit-def: $vgpr40
	s_and_saveexec_b64 s[10:11], s[36:37]
	s_xor_b64 s[36:37], exec, s[10:11]
	s_cbranch_execz .LBB100_103
; %bb.102:                              ;   in Loop: Header=BB100_4 Depth=1
	v_mad_u64_u32 v[40:41], s[10:11], v13, s48, 0
	v_cmp_lt_u32_e32 vcc, 63, v39
	v_mov_b32_e32 v1, v41
	v_mad_u64_u32 v[41:42], s[10:11], v13, s49, v[1:2]
	v_mov_b32_e32 v1, v42
	v_mad_u64_u32 v[42:43], s[10:11], v13, s50, v[1:2]
	;; [unrolled: 2-line block ×3, first 2 shown]
	v_cndmask_b32_e32 v1, 0, v33, vcc
	v_add_u32_e32 v39, v1, v39
	v_mov_b32_e32 v1, v44
	v_mad_u64_u32 v[44:45], s[10:11], v13, s52, v[1:2]
	v_cmp_lt_u32_e64 s[10:11], 31, v39
	v_cndmask_b32_e64 v1, 0, v34, s[10:11]
	v_add_u32_e32 v39, v1, v39
	v_mov_b32_e32 v1, v45
	v_mad_u64_u32 v[45:46], s[12:13], v13, s53, v[1:2]
	v_cmp_lt_u32_e64 s[12:13], 31, v39
	v_cndmask_b32_e64 v1, 0, v34, s[12:13]
	v_add_u32_e32 v39, v1, v39
	v_mov_b32_e32 v1, v46
	v_mad_u64_u32 v[46:47], s[14:15], v13, s54, v[1:2]
	v_cndmask_b32_e32 v1, v44, v42, vcc
	v_cndmask_b32_e32 v13, v45, v43, vcc
	;; [unrolled: 1-line block ×4, first 2 shown]
	v_cndmask_b32_e64 v48, v13, v1, s[10:11]
	v_cndmask_b32_e64 v13, v44, v13, s[10:11]
	;; [unrolled: 1-line block ×3, first 2 shown]
	v_cndmask_b32_e32 v41, v43, v41, vcc
	v_cndmask_b32_e64 v44, v44, v13, s[12:13]
	v_cndmask_b32_e64 v13, v13, v48, s[12:13]
	v_sub_u32_e32 v45, 32, v39
	v_cndmask_b32_e64 v1, v1, v41, s[10:11]
	v_alignbit_b32 v46, v44, v13, v45
	v_cmp_eq_u32_e64 s[14:15], 0, v39
	v_cndmask_b32_e64 v43, v48, v1, s[12:13]
	v_cndmask_b32_e64 v39, v46, v44, s[14:15]
	v_alignbit_b32 v44, v13, v43, v45
	v_cndmask_b32_e32 v40, v42, v40, vcc
	v_cndmask_b32_e64 v13, v44, v13, s[14:15]
	v_bfe_u32 v47, v39, 29, 1
	v_cndmask_b32_e64 v40, v41, v40, s[10:11]
	v_alignbit_b32 v44, v39, v13, 30
	v_sub_u32_e32 v48, 0, v47
	v_cndmask_b32_e64 v1, v1, v40, s[12:13]
	v_xor_b32_e32 v44, v44, v48
	v_alignbit_b32 v40, v43, v1, v45
	v_cndmask_b32_e64 v40, v40, v43, s[14:15]
	v_ffbh_u32_e32 v41, v44
	v_alignbit_b32 v13, v13, v40, 30
	v_min_u32_e32 v41, 32, v41
	v_alignbit_b32 v1, v40, v1, 30
	v_xor_b32_e32 v13, v13, v48
	v_sub_u32_e32 v42, 31, v41
	v_xor_b32_e32 v1, v1, v48
	v_alignbit_b32 v43, v44, v13, v42
	v_alignbit_b32 v1, v13, v1, v42
	;; [unrolled: 1-line block ×3, first 2 shown]
	v_ffbh_u32_e32 v40, v13
	v_min_u32_e32 v40, 32, v40
	v_lshrrev_b32_e32 v46, 29, v39
	v_not_b32_e32 v42, v40
	v_alignbit_b32 v1, v13, v1, v42
	v_lshlrev_b32_e32 v13, 31, v46
	v_or_b32_e32 v42, 0x33000000, v13
	v_add_lshl_u32 v40, v40, v41, 23
	v_lshrrev_b32_e32 v1, 9, v1
	v_sub_u32_e32 v40, v42, v40
	v_or_b32_e32 v13, 0.5, v13
	v_lshlrev_b32_e32 v41, 23, v41
	v_or_b32_e32 v1, v40, v1
	v_lshrrev_b32_e32 v40, 9, v43
	v_sub_u32_e32 v13, v13, v41
	v_or_b32_e32 v13, v40, v13
	v_mul_f32_e32 v40, 0x3fc90fda, v13
	v_fma_f32 v41, v13, s55, -v40
	v_fmac_f32_e32 v41, 0x33a22168, v13
	v_fmac_f32_e32 v41, 0x3fc90fda, v1
	v_lshrrev_b32_e32 v1, 30, v39
	v_add_f32_e32 v40, v40, v41
	v_add_u32_e32 v1, v47, v1
	s_andn2_saveexec_b64 s[10:11], s[36:37]
	s_cbranch_execnz .LBB100_104
	s_branch .LBB100_105
.LBB100_103:                            ;   in Loop: Header=BB100_4 Depth=1
	s_andn2_saveexec_b64 s[10:11], s[36:37]
.LBB100_104:                            ;   in Loop: Header=BB100_4 Depth=1
	v_mul_f32_e64 v1, |v9|, s56
	v_rndne_f32_e32 v13, v1
	v_cvt_i32_f32_e32 v1, v13
	v_fma_f32 v40, v13, s57, |v9|
	v_fmac_f32_e32 v40, 0xb3a22168, v13
	v_fmac_f32_e32 v40, 0xa7c234c4, v13
.LBB100_105:                            ;   in Loop: Header=BB100_4 Depth=1
	s_or_b64 exec, exec, s[10:11]
	v_mul_f32_e32 v13, v38, v38
	v_mov_b32_e32 v39, 0x3c0881c4
	v_fmac_f32_e32 v39, 0xb94c1982, v13
	v_fma_f32 v39, v13, v39, v30
	v_mul_f32_e32 v39, v13, v39
	v_fmac_f32_e32 v38, v38, v39
	v_mov_b32_e32 v39, 0xbab64f3b
	v_fmac_f32_e32 v39, 0x37d75334, v13
	v_fma_f32 v39, v13, v39, v31
	v_fma_f32 v39, v13, v39, v32
	v_fma_f32 v13, v13, v39, 1.0
	v_and_b32_e32 v39, 1, v15
	v_lshlrev_b32_e32 v15, 30, v15
	v_and_b32_e32 v15, 0x80000000, v15
	v_cmp_eq_u32_e32 vcc, 0, v39
	v_xor_b32_e32 v12, v12, v15
	v_mul_f32_e64 v15, |v10|, s62
	v_cndmask_b32_e32 v13, v13, v38, vcc
	v_rndne_f32_e32 v38, v15
	v_sub_f32_e32 v39, v15, v38
	v_fma_f32 v15, |v10|, s62, -v15
	v_fma_f32 v15, |v10|, s63, v15
	v_add_f32_e32 v15, v39, v15
	v_exp_f32_e32 v15, v15
	v_cvt_i32_f32_e32 v38, v38
	v_xor_b32_e32 v12, v12, v13
	v_xor_b32_e32 v9, v12, v9
	v_cmp_ngt_f32_e64 vcc, |v10|, s64
	v_ldexp_f32 v12, v15, v38
	v_cndmask_b32_e32 v12, 0, v12, vcc
	v_cmp_nlt_f32_e64 vcc, |v10|, s65
	v_xor_b32_e32 v10, 0x80000000, v10
	v_bfi_b32 v15, s43, 1.0, v10
	v_mul_f32_e32 v10, v40, v40
	v_mov_b32_e32 v13, 0x3c0881c4
	v_fmac_f32_e32 v13, 0xb94c1982, v10
	v_fma_f32 v13, v10, v13, v30
	v_mul_f32_e32 v13, v10, v13
	v_fmac_f32_e32 v40, v40, v13
	v_mov_b32_e32 v13, 0xbab64f3b
	v_fmac_f32_e32 v13, 0x37d75334, v10
	v_fma_f32 v13, v10, v13, v31
	v_fma_f32 v13, v10, v13, v32
	v_fma_f32 v10, v10, v13, 1.0
	v_and_b32_e32 v13, 1, v1
	v_cndmask_b32_e32 v12, v35, v12, vcc
	v_cmp_eq_u32_e32 vcc, 0, v13
	v_lshlrev_b32_e32 v1, 30, v1
	v_cndmask_b32_e64 v10, -v40, v10, vcc
	v_and_b32_e32 v1, 0x80000000, v1
	v_mul_f32_e32 v9, 4.0, v9
	v_xor_b32_e32 v1, v1, v10
	v_mul_f32_e32 v1, v9, v1
	v_mul_f32_e32 v1, v12, v1
	;; [unrolled: 1-line block ×3, first 2 shown]
.LBB100_106:                            ;   in Loop: Header=BB100_4 Depth=1
	s_or_b64 exec, exec, s[34:35]
                                        ; implicit-def: $vgpr9
.LBB100_107:                            ;   in Loop: Header=BB100_4 Depth=1
	s_andn2_saveexec_b64 s[10:11], s[30:31]
; %bb.108:                              ;   in Loop: Header=BB100_4 Depth=1
	v_sub_f32_e32 v13, v9, v9
	v_mov_b32_e32 v15, v13
; %bb.109:                              ;   in Loop: Header=BB100_4 Depth=1
	s_or_b64 exec, exec, s[10:11]
                                        ; implicit-def: $vgpr10
.LBB100_110:                            ;   in Loop: Header=BB100_4 Depth=1
	s_andn2_saveexec_b64 s[28:29], s[28:29]
	s_cbranch_execz .LBB100_126
; %bb.111:                              ;   in Loop: Header=BB100_4 Depth=1
	v_xor_b32_e32 v15, 0x80000000, v10
	v_and_b32_e32 v1, 0x7fffff, v15
	v_cmp_ne_u32_e32 vcc, 0, v1
                                        ; implicit-def: $vgpr13
	s_and_saveexec_b64 s[10:11], vcc
	s_xor_b64 s[10:11], exec, s[10:11]
; %bb.112:                              ;   in Loop: Header=BB100_4 Depth=1
	v_mul_f32_e64 v1, v9, -v10
	v_cmp_eq_f32_e32 vcc, 0, v9
	v_cndmask_b32_e32 v13, v1, v9, vcc
                                        ; implicit-def: $vgpr9
; %bb.113:                              ;   in Loop: Header=BB100_4 Depth=1
	s_andn2_saveexec_b64 s[30:31], s[10:11]
	s_cbranch_execz .LBB100_125
; %bb.114:                              ;   in Loop: Header=BB100_4 Depth=1
	v_cmp_neq_f32_e64 s[10:11], |v9|, s44
	s_and_saveexec_b64 s[34:35], s[10:11]
	s_cbranch_execz .LBB100_124
; %bb.115:                              ;   in Loop: Header=BB100_4 Depth=1
	v_and_b32_e32 v10, 0x7fffffff, v9
	v_lshrrev_b32_e32 v1, 23, v10
	v_and_b32_e32 v12, 0x7fffff, v10
	v_cmp_nlt_f32_e64 s[36:37], |v9|, s47
	v_add_u32_e32 v39, 0xffffff88, v1
	v_or_b32_e32 v12, 0x800000, v12
                                        ; implicit-def: $vgpr13
                                        ; implicit-def: $vgpr38
	s_and_saveexec_b64 s[10:11], s[36:37]
	s_xor_b64 s[38:39], exec, s[10:11]
	s_cbranch_execz .LBB100_117
; %bb.116:                              ;   in Loop: Header=BB100_4 Depth=1
	v_mad_u64_u32 v[40:41], s[10:11], v12, s48, 0
	v_cmp_lt_u32_e32 vcc, 63, v39
	v_mov_b32_e32 v1, v41
	v_mad_u64_u32 v[41:42], s[10:11], v12, s49, v[1:2]
	v_mov_b32_e32 v1, v42
	v_mad_u64_u32 v[42:43], s[10:11], v12, s50, v[1:2]
	;; [unrolled: 2-line block ×3, first 2 shown]
	v_cndmask_b32_e32 v1, 0, v33, vcc
	v_add_u32_e32 v13, v1, v39
	v_mov_b32_e32 v1, v44
	v_mad_u64_u32 v[44:45], s[10:11], v12, s52, v[1:2]
	v_cmp_lt_u32_e64 s[10:11], 31, v13
	v_cndmask_b32_e64 v1, 0, v34, s[10:11]
	v_add_u32_e32 v13, v1, v13
	v_mov_b32_e32 v1, v45
	v_mad_u64_u32 v[45:46], s[12:13], v12, s53, v[1:2]
	v_cmp_lt_u32_e64 s[12:13], 31, v13
	v_cndmask_b32_e64 v1, 0, v34, s[12:13]
	v_add_u32_e32 v13, v1, v13
	v_mov_b32_e32 v1, v46
	v_mad_u64_u32 v[46:47], s[14:15], v12, s54, v[1:2]
	v_cndmask_b32_e32 v1, v44, v42, vcc
	v_cndmask_b32_e32 v38, v45, v43, vcc
	;; [unrolled: 1-line block ×4, first 2 shown]
	v_cndmask_b32_e64 v48, v38, v1, s[10:11]
	v_cndmask_b32_e64 v38, v44, v38, s[10:11]
	;; [unrolled: 1-line block ×3, first 2 shown]
	v_cndmask_b32_e32 v41, v43, v41, vcc
	v_cndmask_b32_e64 v44, v44, v38, s[12:13]
	v_cndmask_b32_e64 v38, v38, v48, s[12:13]
	v_sub_u32_e32 v45, 32, v13
	v_cndmask_b32_e64 v1, v1, v41, s[10:11]
	v_alignbit_b32 v46, v44, v38, v45
	v_cmp_eq_u32_e64 s[14:15], 0, v13
	v_cndmask_b32_e64 v43, v48, v1, s[12:13]
	v_cndmask_b32_e64 v13, v46, v44, s[14:15]
	v_alignbit_b32 v44, v38, v43, v45
	v_cndmask_b32_e32 v40, v42, v40, vcc
	v_cndmask_b32_e64 v38, v44, v38, s[14:15]
	v_bfe_u32 v47, v13, 29, 1
	v_cndmask_b32_e64 v40, v41, v40, s[10:11]
	v_alignbit_b32 v44, v13, v38, 30
	v_sub_u32_e32 v48, 0, v47
	v_cndmask_b32_e64 v1, v1, v40, s[12:13]
	v_xor_b32_e32 v44, v44, v48
	v_alignbit_b32 v40, v43, v1, v45
	v_cndmask_b32_e64 v40, v40, v43, s[14:15]
	v_ffbh_u32_e32 v41, v44
	v_alignbit_b32 v38, v38, v40, 30
	v_min_u32_e32 v41, 32, v41
	v_alignbit_b32 v1, v40, v1, 30
	v_xor_b32_e32 v38, v38, v48
	v_sub_u32_e32 v42, 31, v41
	v_xor_b32_e32 v1, v1, v48
	v_alignbit_b32 v43, v44, v38, v42
	v_alignbit_b32 v1, v38, v1, v42
	;; [unrolled: 1-line block ×3, first 2 shown]
	v_ffbh_u32_e32 v40, v38
	v_min_u32_e32 v40, 32, v40
	v_lshrrev_b32_e32 v46, 29, v13
	v_not_b32_e32 v42, v40
	v_alignbit_b32 v1, v38, v1, v42
	v_lshlrev_b32_e32 v38, 31, v46
	v_or_b32_e32 v42, 0x33000000, v38
	v_add_lshl_u32 v40, v40, v41, 23
	v_lshrrev_b32_e32 v1, 9, v1
	v_sub_u32_e32 v40, v42, v40
	v_or_b32_e32 v38, 0.5, v38
	v_lshlrev_b32_e32 v41, 23, v41
	v_or_b32_e32 v1, v40, v1
	v_lshrrev_b32_e32 v40, 9, v43
	v_sub_u32_e32 v38, v38, v41
	v_or_b32_e32 v38, v40, v38
	v_mul_f32_e32 v40, 0x3fc90fda, v38
	v_fma_f32 v41, v38, s55, -v40
	v_fmac_f32_e32 v41, 0x33a22168, v38
	v_fmac_f32_e32 v41, 0x3fc90fda, v1
	v_lshrrev_b32_e32 v1, 30, v13
	v_add_f32_e32 v38, v40, v41
	v_add_u32_e32 v13, v47, v1
.LBB100_117:                            ;   in Loop: Header=BB100_4 Depth=1
	s_or_saveexec_b64 s[10:11], s[38:39]
	v_mul_f32_e64 v1, |v9|, s56
	v_rndne_f32_e32 v41, v1
	s_xor_b64 exec, exec, s[10:11]
; %bb.118:                              ;   in Loop: Header=BB100_4 Depth=1
	v_cvt_i32_f32_e32 v13, v41
	v_fma_f32 v38, v41, s57, |v9|
	v_fmac_f32_e32 v38, 0xb3a22168, v41
	v_fmac_f32_e32 v38, 0xa7c234c4, v41
; %bb.119:                              ;   in Loop: Header=BB100_4 Depth=1
	s_or_b64 exec, exec, s[10:11]
                                        ; implicit-def: $vgpr1
                                        ; implicit-def: $vgpr40
	s_and_saveexec_b64 s[10:11], s[36:37]
	s_xor_b64 s[36:37], exec, s[10:11]
	s_cbranch_execz .LBB100_121
; %bb.120:                              ;   in Loop: Header=BB100_4 Depth=1
	v_mad_u64_u32 v[40:41], s[10:11], v12, s48, 0
	v_cmp_lt_u32_e32 vcc, 63, v39
	v_mov_b32_e32 v1, v41
	v_mad_u64_u32 v[41:42], s[10:11], v12, s49, v[1:2]
	v_mov_b32_e32 v1, v42
	v_mad_u64_u32 v[42:43], s[10:11], v12, s50, v[1:2]
	;; [unrolled: 2-line block ×3, first 2 shown]
	v_cndmask_b32_e32 v1, 0, v33, vcc
	v_add_u32_e32 v39, v1, v39
	v_mov_b32_e32 v1, v44
	v_mad_u64_u32 v[44:45], s[10:11], v12, s52, v[1:2]
	v_cmp_lt_u32_e64 s[10:11], 31, v39
	v_cndmask_b32_e64 v1, 0, v34, s[10:11]
	v_add_u32_e32 v39, v1, v39
	v_mov_b32_e32 v1, v45
	v_mad_u64_u32 v[45:46], s[12:13], v12, s53, v[1:2]
	v_cmp_lt_u32_e64 s[12:13], 31, v39
	v_cndmask_b32_e64 v1, 0, v34, s[12:13]
	v_add_u32_e32 v39, v1, v39
	v_mov_b32_e32 v1, v46
	v_mad_u64_u32 v[46:47], s[14:15], v12, s54, v[1:2]
	v_cndmask_b32_e32 v1, v44, v42, vcc
	v_cndmask_b32_e32 v12, v45, v43, vcc
	;; [unrolled: 1-line block ×4, first 2 shown]
	v_cndmask_b32_e64 v48, v12, v1, s[10:11]
	v_cndmask_b32_e64 v12, v44, v12, s[10:11]
	;; [unrolled: 1-line block ×3, first 2 shown]
	v_cndmask_b32_e32 v41, v43, v41, vcc
	v_cndmask_b32_e64 v44, v44, v12, s[12:13]
	v_cndmask_b32_e64 v12, v12, v48, s[12:13]
	v_sub_u32_e32 v45, 32, v39
	v_cndmask_b32_e64 v1, v1, v41, s[10:11]
	v_alignbit_b32 v46, v44, v12, v45
	v_cmp_eq_u32_e64 s[14:15], 0, v39
	v_cndmask_b32_e64 v43, v48, v1, s[12:13]
	v_cndmask_b32_e64 v39, v46, v44, s[14:15]
	v_alignbit_b32 v44, v12, v43, v45
	v_cndmask_b32_e32 v40, v42, v40, vcc
	v_cndmask_b32_e64 v12, v44, v12, s[14:15]
	v_bfe_u32 v47, v39, 29, 1
	v_cndmask_b32_e64 v40, v41, v40, s[10:11]
	v_alignbit_b32 v44, v39, v12, 30
	v_sub_u32_e32 v48, 0, v47
	v_cndmask_b32_e64 v1, v1, v40, s[12:13]
	v_xor_b32_e32 v44, v44, v48
	v_alignbit_b32 v40, v43, v1, v45
	v_cndmask_b32_e64 v40, v40, v43, s[14:15]
	v_ffbh_u32_e32 v41, v44
	v_alignbit_b32 v12, v12, v40, 30
	v_min_u32_e32 v41, 32, v41
	v_alignbit_b32 v1, v40, v1, 30
	v_xor_b32_e32 v12, v12, v48
	v_sub_u32_e32 v42, 31, v41
	v_xor_b32_e32 v1, v1, v48
	v_alignbit_b32 v43, v44, v12, v42
	v_alignbit_b32 v1, v12, v1, v42
	;; [unrolled: 1-line block ×3, first 2 shown]
	v_ffbh_u32_e32 v40, v12
	v_min_u32_e32 v40, 32, v40
	v_lshrrev_b32_e32 v46, 29, v39
	v_not_b32_e32 v42, v40
	v_alignbit_b32 v1, v12, v1, v42
	v_lshlrev_b32_e32 v12, 31, v46
	v_or_b32_e32 v42, 0x33000000, v12
	v_add_lshl_u32 v40, v40, v41, 23
	v_lshrrev_b32_e32 v1, 9, v1
	v_sub_u32_e32 v40, v42, v40
	v_or_b32_e32 v12, 0.5, v12
	v_lshlrev_b32_e32 v41, 23, v41
	v_or_b32_e32 v1, v40, v1
	v_lshrrev_b32_e32 v40, 9, v43
	v_sub_u32_e32 v12, v12, v41
	v_or_b32_e32 v12, v40, v12
	v_mul_f32_e32 v40, 0x3fc90fda, v12
	v_fma_f32 v41, v12, s55, -v40
	v_fmac_f32_e32 v41, 0x33a22168, v12
	v_fmac_f32_e32 v41, 0x3fc90fda, v1
	v_lshrrev_b32_e32 v1, 30, v39
	v_add_f32_e32 v40, v40, v41
	v_add_u32_e32 v1, v47, v1
                                        ; implicit-def: $vgpr41
	s_andn2_saveexec_b64 s[10:11], s[36:37]
	s_cbranch_execnz .LBB100_122
	s_branch .LBB100_123
.LBB100_121:                            ;   in Loop: Header=BB100_4 Depth=1
	s_andn2_saveexec_b64 s[10:11], s[36:37]
.LBB100_122:                            ;   in Loop: Header=BB100_4 Depth=1
	v_cvt_i32_f32_e32 v1, v41
	v_fma_f32 v40, v41, s57, |v9|
	v_fmac_f32_e32 v40, 0xb3a22168, v41
	v_fmac_f32_e32 v40, 0xa7c234c4, v41
.LBB100_123:                            ;   in Loop: Header=BB100_4 Depth=1
	s_or_b64 exec, exec, s[10:11]
	v_mul_f32_e32 v12, v38, v38
	v_mov_b32_e32 v39, 0x3c0881c4
	v_fmac_f32_e32 v39, 0xb94c1982, v12
	v_fma_f32 v39, v12, v39, v30
	v_mul_f32_e32 v39, v12, v39
	v_fmac_f32_e32 v38, v38, v39
	v_mov_b32_e32 v39, 0xbab64f3b
	v_fmac_f32_e32 v39, 0x37d75334, v12
	v_fma_f32 v39, v12, v39, v31
	v_fma_f32 v39, v12, v39, v32
	v_fma_f32 v12, v12, v39, 1.0
	v_and_b32_e32 v39, 1, v13
	v_lshlrev_b32_e32 v13, 30, v13
	v_cmp_eq_u32_e32 vcc, 0, v39
	v_and_b32_e32 v13, 0x80000000, v13
	v_cndmask_b32_e32 v12, v12, v38, vcc
	v_xor_b32_e32 v10, v10, v13
	v_xor_b32_e32 v10, v10, v12
	v_mul_f32_e32 v12, v40, v40
	v_mov_b32_e32 v13, 0x3c0881c4
	v_fmac_f32_e32 v13, 0xb94c1982, v12
	v_fma_f32 v13, v12, v13, v30
	v_mul_f32_e32 v13, v12, v13
	v_fmac_f32_e32 v40, v40, v13
	v_mov_b32_e32 v13, 0xbab64f3b
	v_fmac_f32_e32 v13, 0x37d75334, v12
	v_fma_f32 v13, v12, v13, v31
	v_fma_f32 v13, v12, v13, v32
	v_fma_f32 v12, v12, v13, 1.0
	v_and_b32_e32 v13, 1, v1
	v_cmp_eq_u32_e32 vcc, 0, v13
	v_lshlrev_b32_e32 v1, 30, v1
	v_cndmask_b32_e64 v12, -v40, v12, vcc
	v_and_b32_e32 v1, 0x80000000, v1
	v_xor_b32_e32 v10, v10, v9
	v_xor_b32_e32 v1, v1, v12
	v_mul_f32_e32 v1, v10, v1
	v_cmp_class_f32_e64 vcc, v9, s45
	v_cndmask_b32_e32 v9, v36, v1, vcc
.LBB100_124:                            ;   in Loop: Header=BB100_4 Depth=1
	s_or_b64 exec, exec, s[34:35]
	v_add_u32_e32 v15, -2.0, v15
	v_bfi_b32 v13, s43, 0, v9
.LBB100_125:                            ;   in Loop: Header=BB100_4 Depth=1
	s_or_b64 exec, exec, s[30:31]
.LBB100_126:                            ;   in Loop: Header=BB100_4 Depth=1
	s_or_b64 exec, exec, s[28:29]
	v_and_b32_e32 v1, 0x7fffffff, v7
	v_cmp_gt_u32_e32 vcc, s44, v1
                                        ; implicit-def: $vgpr10
                                        ; implicit-def: $vgpr38
	s_and_saveexec_b64 s[10:11], vcc
	s_xor_b64 s[28:29], exec, s[10:11]
	s_cbranch_execz .LBB100_137
; %bb.127:                              ;   in Loop: Header=BB100_4 Depth=1
	v_cmp_class_f32_e64 s[10:11], v6, s45
                                        ; implicit-def: $vgpr10
                                        ; implicit-def: $vgpr38
	s_and_saveexec_b64 s[12:13], s[10:11]
	s_xor_b64 s[30:31], exec, s[12:13]
	s_cbranch_execz .LBB100_164
; %bb.128:                              ;   in Loop: Header=BB100_4 Depth=1
	v_and_b32_e32 v9, 0x7fffffff, v6
	v_cmp_gt_u32_e32 vcc, s46, v1
                                        ; implicit-def: $vgpr10
                                        ; implicit-def: $vgpr38
	s_and_saveexec_b64 s[10:11], vcc
	s_xor_b64 s[34:35], exec, s[10:11]
	s_cbranch_execz .LBB100_134
; %bb.129:                              ;   in Loop: Header=BB100_4 Depth=1
	v_cmp_nlt_f32_e64 s[10:11], |v6|, s47
                                        ; implicit-def: $vgpr10
                                        ; implicit-def: $vgpr1
	s_and_saveexec_b64 s[12:13], s[10:11]
	s_xor_b64 s[36:37], exec, s[12:13]
	s_cbranch_execz .LBB100_131
; %bb.130:                              ;   in Loop: Header=BB100_4 Depth=1
	v_and_b32_e32 v1, 0x7fffff, v9
	v_or_b32_e32 v10, 0x800000, v1
	v_mad_u64_u32 v[38:39], s[10:11], v10, s48, 0
	v_mov_b32_e32 v1, v39
	v_mad_u64_u32 v[39:40], s[10:11], v10, s49, v[1:2]
	v_mov_b32_e32 v1, v40
	;; [unrolled: 2-line block ×3, first 2 shown]
	v_mad_u64_u32 v[41:42], s[10:11], v10, s51, v[1:2]
	v_lshrrev_b32_e32 v1, 23, v9
	v_add_u32_e32 v12, 0xffffff88, v1
	v_mov_b32_e32 v1, v42
	v_mad_u64_u32 v[42:43], s[10:11], v10, s52, v[1:2]
	v_cmp_lt_u32_e32 vcc, 63, v12
	v_cndmask_b32_e32 v1, 0, v33, vcc
	v_add_u32_e32 v12, v1, v12
	v_mov_b32_e32 v1, v43
	v_mad_u64_u32 v[43:44], s[10:11], v10, s53, v[1:2]
	v_cmp_lt_u32_e64 s[10:11], 31, v12
	v_cndmask_b32_e64 v1, 0, v34, s[10:11]
	v_add_u32_e32 v12, v1, v12
	v_mov_b32_e32 v1, v44
	v_mad_u64_u32 v[44:45], s[12:13], v10, s54, v[1:2]
	v_cmp_lt_u32_e64 s[12:13], 31, v12
	v_cndmask_b32_e64 v1, 0, v34, s[12:13]
	v_add_u32_e32 v1, v1, v12
	v_cndmask_b32_e32 v10, v43, v41, vcc
	v_cndmask_b32_e32 v12, v44, v42, vcc
	;; [unrolled: 1-line block ×4, first 2 shown]
	v_cndmask_b32_e64 v44, v12, v10, s[10:11]
	v_cndmask_b32_e64 v12, v43, v12, s[10:11]
	;; [unrolled: 1-line block ×5, first 2 shown]
	v_sub_u32_e32 v44, 32, v1
	v_cmp_eq_u32_e64 s[14:15], 0, v1
	v_cndmask_b32_e32 v1, v41, v39, vcc
	v_cndmask_b32_e64 v39, v42, v1, s[10:11]
	v_alignbit_b32 v45, v12, v43, v44
	v_cndmask_b32_e64 v10, v10, v39, s[12:13]
	v_cndmask_b32_e64 v12, v45, v12, s[14:15]
	v_alignbit_b32 v41, v43, v10, v44
	v_cndmask_b32_e32 v38, v40, v38, vcc
	v_cndmask_b32_e64 v41, v41, v43, s[14:15]
	v_bfe_u32 v45, v12, 29, 1
	v_cndmask_b32_e64 v1, v1, v38, s[10:11]
	v_alignbit_b32 v42, v12, v41, 30
	v_sub_u32_e32 v46, 0, v45
	v_cndmask_b32_e64 v1, v39, v1, s[12:13]
	v_xor_b32_e32 v42, v42, v46
	v_alignbit_b32 v38, v10, v1, v44
	v_cndmask_b32_e64 v10, v38, v10, s[14:15]
	v_ffbh_u32_e32 v39, v42
	v_alignbit_b32 v38, v41, v10, 30
	v_min_u32_e32 v39, 32, v39
	v_alignbit_b32 v1, v10, v1, 30
	v_xor_b32_e32 v38, v38, v46
	v_sub_u32_e32 v40, 31, v39
	v_xor_b32_e32 v1, v1, v46
	v_alignbit_b32 v41, v42, v38, v40
	v_alignbit_b32 v1, v38, v1, v40
	;; [unrolled: 1-line block ×3, first 2 shown]
	v_ffbh_u32_e32 v38, v10
	v_min_u32_e32 v38, 32, v38
	v_lshrrev_b32_e32 v43, 29, v12
	v_not_b32_e32 v40, v38
	v_alignbit_b32 v1, v10, v1, v40
	v_lshlrev_b32_e32 v10, 31, v43
	v_or_b32_e32 v40, 0x33000000, v10
	v_add_lshl_u32 v38, v38, v39, 23
	v_lshrrev_b32_e32 v1, 9, v1
	v_sub_u32_e32 v38, v40, v38
	v_or_b32_e32 v10, 0.5, v10
	v_lshlrev_b32_e32 v39, 23, v39
	v_or_b32_e32 v1, v38, v1
	v_lshrrev_b32_e32 v38, 9, v41
	v_sub_u32_e32 v10, v10, v39
	v_or_b32_e32 v10, v38, v10
	v_mul_f32_e32 v38, 0x3fc90fda, v10
	v_fma_f32 v39, v10, s55, -v38
	v_fmac_f32_e32 v39, 0x33a22168, v10
	v_fmac_f32_e32 v39, 0x3fc90fda, v1
	v_lshrrev_b32_e32 v10, 30, v12
	v_add_f32_e32 v1, v38, v39
	v_add_u32_e32 v10, v45, v10
.LBB100_131:                            ;   in Loop: Header=BB100_4 Depth=1
	s_andn2_saveexec_b64 s[10:11], s[36:37]
; %bb.132:                              ;   in Loop: Header=BB100_4 Depth=1
	v_mul_f32_e64 v1, |v6|, s56
	v_rndne_f32_e32 v12, v1
	v_cvt_i32_f32_e32 v10, v12
	v_fma_f32 v1, v12, s57, |v6|
	v_fmac_f32_e32 v1, 0xb3a22168, v12
	v_fmac_f32_e32 v1, 0xa7c234c4, v12
; %bb.133:                              ;   in Loop: Header=BB100_4 Depth=1
	s_or_b64 exec, exec, s[10:11]
	v_mul_f32_e32 v12, v1, v1
	v_mov_b32_e32 v38, 0xbf039337
	v_fmac_f32_e32 v38, 0x3c971480, v12
	v_fma_f32 v38, v12, v38, v25
	v_rcp_f32_e32 v38, v38
	v_mov_b32_e32 v39, 0x3ec54587
	v_fmac_f32_e32 v39, 0xbc8cedd3, v12
	v_and_b32_e32 v10, 1, v10
	v_mul_f32_e32 v38, v39, v38
	v_mul_f32_e32 v12, v12, v38
	v_fma_f32 v38, v12, v1, v1
	v_rcp_f32_e32 v39, v38
	v_sub_f32_e32 v40, v38, v1
	v_fma_f32 v1, v12, v1, -v40
	v_cmp_eq_u32_e32 vcc, 0, v10
	v_fma_f32 v12, v38, -v39, 1.0
	v_fma_f32 v1, v1, -v39, v12
	v_add_f32_e64 v10, |v7|, s58
	v_fma_f32 v1, v1, -v39, -v39
	v_sub_f32_e64 v12, v10, |v7|
	v_cndmask_b32_e32 v1, v1, v38, vcc
	v_sub_f32_e32 v38, v12, v10
	v_add_f32_e64 v38, |v7|, v38
	v_add_f32_e32 v12, 0x3f317218, v12
	v_sub_f32_e32 v12, v38, v12
	v_add_f32_e32 v12, 0x3102e308, v12
	v_add_f32_e32 v38, v10, v12
	v_sub_f32_e32 v10, v10, v38
	v_add_f32_e32 v10, v12, v10
	v_mul_f32_e32 v12, 0x3fb8aa3b, v38
	v_rndne_f32_e32 v12, v12
	v_fmac_f32_e32 v38, 0xbf317200, v12
	v_add_f32_e32 v39, v10, v38
	v_sub_f32_e32 v38, v38, v39
	v_add_f32_e32 v10, v10, v38
	v_mul_f32_e32 v38, 0x35bfbc00, v12
	v_sub_f32_e32 v40, v39, v38
	v_sub_f32_e32 v39, v39, v40
	v_sub_f32_e32 v38, v39, v38
	v_add_f32_e32 v10, v10, v38
	v_add_f32_e32 v38, v40, v10
	v_sub_f32_e32 v39, v40, v38
	v_add_f32_e32 v10, v10, v39
	v_mul_f32_e32 v39, 0x2ea39ef3, v12
	v_sub_f32_e32 v40, v38, v39
	v_sub_f32_e32 v38, v38, v40
	;; [unrolled: 1-line block ×3, first 2 shown]
	v_add_f32_e32 v10, v10, v38
	v_add_f32_e32 v38, v40, v10
	v_sub_f32_e32 v40, v40, v38
	v_mov_b32_e32 v39, 0x3c091de6
	v_add_f32_e32 v10, v10, v40
	v_mul_f32_e32 v41, v38, v38
	v_fmac_f32_e32 v39, 0x3ab42872, v38
	v_add_f32_e32 v40, v10, v10
	v_fma_f32 v42, v38, v38, -v41
	v_fma_f32 v39, v38, v39, v26
	v_fmac_f32_e32 v42, v38, v40
	v_fma_f32 v39, v38, v39, v27
	v_add_f32_e32 v40, v41, v42
	v_fma_f32 v39, v38, v39, v28
	v_sub_f32_e32 v41, v40, v41
	v_sub_f32_e32 v41, v42, v41
	v_mul_f32_e32 v42, v39, v40
	v_fma_f32 v40, v40, v39, -v42
	v_fmac_f32_e32 v40, v41, v39
	v_add_f32_e32 v39, v42, v40
	v_sub_f32_e32 v41, v39, v42
	v_sub_f32_e32 v40, v40, v41
	v_add_f32_e32 v41, v38, v39
	v_sub_f32_e32 v38, v41, v38
	v_sub_f32_e32 v38, v39, v38
	v_add_f32_e32 v10, v10, v40
	v_add_f32_e32 v10, v10, v38
	;; [unrolled: 1-line block ×3, first 2 shown]
	v_sub_f32_e32 v39, v38, v41
	v_sub_f32_e32 v10, v10, v39
	v_add_f32_e32 v39, 1.0, v38
	v_add_f32_e32 v40, -1.0, v39
	v_cvt_i32_f32_e32 v12, v12
	v_sub_f32_e32 v38, v38, v40
	v_add_f32_e32 v10, v10, v38
	v_add_f32_e32 v38, v39, v10
	v_ldexp_f32 v40, v38, v12
	v_rcp_f32_e32 v41, v40
	v_sub_f32_e32 v38, v38, v39
	v_sub_f32_e32 v10, v10, v38
	v_ldexp_f32 v10, v10, v12
	v_mul_f32_e32 v12, v40, v41
	v_fma_f32 v38, v41, v40, -v12
	v_fmac_f32_e32 v38, v41, v10
	v_add_f32_e32 v39, v12, v38
	v_sub_f32_e32 v42, 1.0, v39
	v_sub_f32_e32 v43, 1.0, v42
	v_sub_f32_e32 v12, v39, v12
	v_sub_f32_e32 v43, v43, v39
	;; [unrolled: 1-line block ×3, first 2 shown]
	v_add_f32_e32 v12, v12, v43
	v_add_f32_e32 v38, v42, v12
	v_mul_f32_e32 v39, v41, v38
	v_mul_f32_e32 v43, v40, v39
	v_fma_f32 v44, v39, v40, -v43
	v_fmac_f32_e32 v44, v39, v10
	v_sub_f32_e32 v42, v42, v38
	v_add_f32_e32 v12, v12, v42
	v_add_f32_e32 v42, v43, v44
	v_sub_f32_e32 v45, v38, v42
	v_sub_f32_e32 v38, v38, v45
	;; [unrolled: 1-line block ×4, first 2 shown]
	v_add_f32_e32 v12, v12, v38
	v_sub_f32_e32 v38, v43, v44
	v_add_f32_e32 v12, v38, v12
	v_add_f32_e32 v12, v45, v12
	v_add_f32_e32 v38, v41, v39
	v_mul_f32_e32 v12, v41, v12
	v_sub_f32_e32 v41, v38, v41
	v_sub_f32_e32 v39, v39, v41
	v_add_f32_e32 v12, v39, v12
	v_add_f32_e32 v39, v38, v12
	v_sub_f32_e32 v38, v39, v38
	v_sub_f32_e32 v12, v12, v38
	v_ldexp_f32 v38, v39, -2
	v_sub_f32_e32 v39, v40, v38
	v_sub_f32_e32 v40, v40, v39
	;; [unrolled: 1-line block ×3, first 2 shown]
	v_ldexp_f32 v12, v12, -2
	v_add_f32_e32 v10, v10, v38
	v_sub_f32_e32 v10, v10, v12
	v_add_f32_e32 v10, v39, v10
	v_cmp_ngt_f32_e64 vcc, |v7|, s59
	v_cndmask_b32_e32 v10, v35, v10, vcc
	v_cmp_lt_f32_e64 s[10:11], |v7|, s60
	v_cndmask_b32_e64 v10, v10, |v7|, s[10:11]
	v_xor_b32_e32 v7, 0x80000000, v7
	v_bfi_b32 v7, s43, v10, v7
	v_fma_f32 v10, v7, v7, 1.0
	v_mul_f32_e32 v12, 0x4f800000, v10
	v_cmp_gt_f32_e32 vcc, s61, v10
	v_cndmask_b32_e32 v10, v10, v12, vcc
	v_sqrt_f32_e32 v12, v10
	v_xor_b32_e32 v1, v9, v1
	v_xor_b32_e32 v1, v1, v6
	v_fma_f32 v6, v1, v1, 1.0
	v_add_u32_e32 v9, -1, v12
	v_fma_f32 v38, -v9, v12, v10
	v_cmp_ge_f32_e64 s[10:11], 0, v38
	v_add_u32_e32 v38, 1, v12
	v_cndmask_b32_e64 v9, v12, v9, s[10:11]
	v_fma_f32 v12, -v38, v12, v10
	v_cmp_lt_f32_e64 s[10:11], 0, v12
	v_cndmask_b32_e64 v9, v9, v38, s[10:11]
	v_mul_f32_e32 v12, 0x37800000, v9
	v_cndmask_b32_e32 v9, v9, v12, vcc
	v_cmp_class_f32_e32 vcc, v10, v29
	v_cndmask_b32_e32 v9, v9, v10, vcc
	v_mul_f32_e32 v10, v7, v6
	v_mul_f32_e32 v6, v9, v6
	v_fma_f32 v10, v7, v10, 1.0
	v_mul_f32_e32 v6, v7, v6
	v_div_scale_f32 v7, s[10:11], v10, v10, v6
	v_div_scale_f32 v9, vcc, v6, v10, v6
	v_div_scale_f32 v12, s[10:11], v10, v10, v1
	v_div_scale_f32 v38, s[10:11], v1, v10, v1
	v_rcp_f32_e32 v39, v7
	v_fma_f32 v40, -v7, v39, 1.0
	v_fmac_f32_e32 v39, v40, v39
	v_mul_f32_e32 v40, v9, v39
	v_fma_f32 v41, -v7, v40, v9
	v_fmac_f32_e32 v40, v41, v39
	v_rcp_f32_e32 v41, v12
	v_fma_f32 v7, -v7, v40, v9
	v_div_fmas_f32 v7, v7, v39, v40
	s_mov_b64 vcc, s[10:11]
	v_fma_f32 v9, -v12, v41, 1.0
	v_fmac_f32_e32 v41, v9, v41
	v_mul_f32_e32 v9, v38, v41
	v_fma_f32 v39, -v12, v9, v38
	v_fmac_f32_e32 v9, v39, v41
	v_fma_f32 v12, -v12, v9, v38
	v_div_fmas_f32 v9, v12, v41, v9
	v_div_fixup_f32 v38, v7, v10, v6
                                        ; implicit-def: $vgpr6
	v_div_fixup_f32 v10, v9, v10, v1
                                        ; implicit-def: $vgpr9
.LBB100_134:                            ;   in Loop: Header=BB100_4 Depth=1
	s_andn2_saveexec_b64 s[34:35], s[34:35]
	s_cbranch_execz .LBB100_163
; %bb.135:                              ;   in Loop: Header=BB100_4 Depth=1
	v_lshrrev_b32_e32 v1, 23, v9
	v_and_b32_e32 v10, 0x7fffff, v9
	v_cmp_nlt_f32_e64 s[36:37], |v6|, s47
	v_add_u32_e32 v39, 0xffffff88, v1
	v_or_b32_e32 v10, 0x800000, v10
                                        ; implicit-def: $vgpr12
                                        ; implicit-def: $vgpr38
	s_and_saveexec_b64 s[10:11], s[36:37]
	s_xor_b64 s[38:39], exec, s[10:11]
	s_cbranch_execz .LBB100_148
; %bb.136:                              ;   in Loop: Header=BB100_4 Depth=1
	v_mad_u64_u32 v[40:41], s[10:11], v10, s48, 0
	v_cmp_lt_u32_e32 vcc, 63, v39
	v_mov_b32_e32 v1, v41
	v_mad_u64_u32 v[41:42], s[10:11], v10, s49, v[1:2]
	v_mov_b32_e32 v1, v42
	v_mad_u64_u32 v[42:43], s[10:11], v10, s50, v[1:2]
	;; [unrolled: 2-line block ×3, first 2 shown]
	v_cndmask_b32_e32 v1, 0, v33, vcc
	v_add_u32_e32 v12, v1, v39
	v_mov_b32_e32 v1, v44
	v_mad_u64_u32 v[44:45], s[10:11], v10, s52, v[1:2]
	v_cmp_lt_u32_e64 s[10:11], 31, v12
	v_cndmask_b32_e64 v1, 0, v34, s[10:11]
	v_add_u32_e32 v12, v1, v12
	v_mov_b32_e32 v1, v45
	v_mad_u64_u32 v[45:46], s[12:13], v10, s53, v[1:2]
	v_cmp_lt_u32_e64 s[12:13], 31, v12
	v_cndmask_b32_e64 v1, 0, v34, s[12:13]
	v_add_u32_e32 v12, v1, v12
	v_mov_b32_e32 v1, v46
	v_mad_u64_u32 v[46:47], s[14:15], v10, s54, v[1:2]
	v_cndmask_b32_e32 v1, v44, v42, vcc
	v_cndmask_b32_e32 v38, v45, v43, vcc
	v_cndmask_b32_e32 v44, v46, v44, vcc
	v_cndmask_b32_e32 v45, v47, v45, vcc
	v_cndmask_b32_e64 v48, v38, v1, s[10:11]
	v_cndmask_b32_e64 v38, v44, v38, s[10:11]
	;; [unrolled: 1-line block ×3, first 2 shown]
	v_cndmask_b32_e32 v41, v43, v41, vcc
	v_cndmask_b32_e64 v44, v44, v38, s[12:13]
	v_cndmask_b32_e64 v38, v38, v48, s[12:13]
	v_sub_u32_e32 v45, 32, v12
	v_cndmask_b32_e64 v1, v1, v41, s[10:11]
	v_alignbit_b32 v46, v44, v38, v45
	v_cmp_eq_u32_e64 s[14:15], 0, v12
	v_cndmask_b32_e64 v43, v48, v1, s[12:13]
	v_cndmask_b32_e64 v12, v46, v44, s[14:15]
	v_alignbit_b32 v44, v38, v43, v45
	v_cndmask_b32_e32 v40, v42, v40, vcc
	v_cndmask_b32_e64 v38, v44, v38, s[14:15]
	v_bfe_u32 v47, v12, 29, 1
	v_cndmask_b32_e64 v40, v41, v40, s[10:11]
	v_alignbit_b32 v44, v12, v38, 30
	v_sub_u32_e32 v48, 0, v47
	v_cndmask_b32_e64 v1, v1, v40, s[12:13]
	v_xor_b32_e32 v44, v44, v48
	v_alignbit_b32 v40, v43, v1, v45
	v_cndmask_b32_e64 v40, v40, v43, s[14:15]
	v_ffbh_u32_e32 v41, v44
	v_alignbit_b32 v38, v38, v40, 30
	v_min_u32_e32 v41, 32, v41
	v_alignbit_b32 v1, v40, v1, 30
	v_xor_b32_e32 v38, v38, v48
	v_sub_u32_e32 v42, 31, v41
	v_xor_b32_e32 v1, v1, v48
	v_alignbit_b32 v43, v44, v38, v42
	v_alignbit_b32 v1, v38, v1, v42
	;; [unrolled: 1-line block ×3, first 2 shown]
	v_ffbh_u32_e32 v40, v38
	v_min_u32_e32 v40, 32, v40
	v_lshrrev_b32_e32 v46, 29, v12
	v_not_b32_e32 v42, v40
	v_alignbit_b32 v1, v38, v1, v42
	v_lshlrev_b32_e32 v38, 31, v46
	v_or_b32_e32 v42, 0x33000000, v38
	v_add_lshl_u32 v40, v40, v41, 23
	v_lshrrev_b32_e32 v1, 9, v1
	v_sub_u32_e32 v40, v42, v40
	v_or_b32_e32 v38, 0.5, v38
	v_lshlrev_b32_e32 v41, 23, v41
	v_or_b32_e32 v1, v40, v1
	v_lshrrev_b32_e32 v40, 9, v43
	v_sub_u32_e32 v38, v38, v41
	v_or_b32_e32 v38, v40, v38
	v_mul_f32_e32 v40, 0x3fc90fda, v38
	v_fma_f32 v41, v38, s55, -v40
	v_fmac_f32_e32 v41, 0x33a22168, v38
	v_fmac_f32_e32 v41, 0x3fc90fda, v1
	v_lshrrev_b32_e32 v1, 30, v12
	v_add_f32_e32 v38, v40, v41
	v_add_u32_e32 v12, v47, v1
	s_andn2_saveexec_b64 s[10:11], s[38:39]
	s_branch .LBB100_149
.LBB100_137:                            ;   in Loop: Header=BB100_4 Depth=1
	s_andn2_saveexec_b64 s[28:29], s[28:29]
	s_cbranch_execz .LBB100_167
.LBB100_138:                            ;   in Loop: Header=BB100_4 Depth=1
	v_xor_b32_e32 v38, 0x80000000, v7
	v_and_b32_e32 v1, 0x7fffff, v38
	v_cmp_ne_u32_e32 vcc, 0, v1
                                        ; implicit-def: $vgpr10
	s_and_saveexec_b64 s[10:11], vcc
	s_xor_b64 s[10:11], exec, s[10:11]
; %bb.139:                              ;   in Loop: Header=BB100_4 Depth=1
	v_mul_f32_e64 v1, v6, -v7
	v_cmp_eq_f32_e32 vcc, 0, v6
	v_cndmask_b32_e32 v10, v1, v6, vcc
                                        ; implicit-def: $vgpr6
; %bb.140:                              ;   in Loop: Header=BB100_4 Depth=1
	s_andn2_saveexec_b64 s[30:31], s[10:11]
	s_cbranch_execz .LBB100_156
; %bb.141:                              ;   in Loop: Header=BB100_4 Depth=1
	v_cmp_neq_f32_e64 s[10:11], |v6|, s44
	s_and_saveexec_b64 s[34:35], s[10:11]
	s_cbranch_execz .LBB100_155
; %bb.142:                              ;   in Loop: Header=BB100_4 Depth=1
	v_and_b32_e32 v7, 0x7fffffff, v6
	v_lshrrev_b32_e32 v1, 23, v7
	v_and_b32_e32 v9, 0x7fffff, v7
	v_cmp_nlt_f32_e64 s[36:37], |v6|, s47
	v_add_u32_e32 v39, 0xffffff88, v1
	v_or_b32_e32 v9, 0x800000, v9
                                        ; implicit-def: $vgpr10
                                        ; implicit-def: $vgpr12
	s_and_saveexec_b64 s[10:11], s[36:37]
	s_xor_b64 s[38:39], exec, s[10:11]
	s_cbranch_execz .LBB100_144
; %bb.143:                              ;   in Loop: Header=BB100_4 Depth=1
	v_mad_u64_u32 v[40:41], s[10:11], v9, s48, 0
	v_cmp_lt_u32_e32 vcc, 63, v39
	v_mov_b32_e32 v1, v41
	v_mad_u64_u32 v[41:42], s[10:11], v9, s49, v[1:2]
	v_mov_b32_e32 v1, v42
	v_mad_u64_u32 v[42:43], s[10:11], v9, s50, v[1:2]
	;; [unrolled: 2-line block ×3, first 2 shown]
	v_cndmask_b32_e32 v1, 0, v33, vcc
	v_add_u32_e32 v10, v1, v39
	v_mov_b32_e32 v1, v44
	v_mad_u64_u32 v[44:45], s[10:11], v9, s52, v[1:2]
	v_cmp_lt_u32_e64 s[10:11], 31, v10
	v_cndmask_b32_e64 v1, 0, v34, s[10:11]
	v_add_u32_e32 v10, v1, v10
	v_mov_b32_e32 v1, v45
	v_mad_u64_u32 v[45:46], s[12:13], v9, s53, v[1:2]
	v_cmp_lt_u32_e64 s[12:13], 31, v10
	v_cndmask_b32_e64 v1, 0, v34, s[12:13]
	v_add_u32_e32 v10, v1, v10
	v_mov_b32_e32 v1, v46
	v_mad_u64_u32 v[46:47], s[14:15], v9, s54, v[1:2]
	v_cndmask_b32_e32 v1, v44, v42, vcc
	v_cndmask_b32_e32 v12, v45, v43, vcc
	;; [unrolled: 1-line block ×4, first 2 shown]
	v_cndmask_b32_e64 v48, v12, v1, s[10:11]
	v_cndmask_b32_e64 v12, v44, v12, s[10:11]
	;; [unrolled: 1-line block ×3, first 2 shown]
	v_cndmask_b32_e32 v41, v43, v41, vcc
	v_cndmask_b32_e64 v44, v44, v12, s[12:13]
	v_cndmask_b32_e64 v12, v12, v48, s[12:13]
	v_sub_u32_e32 v45, 32, v10
	v_cndmask_b32_e64 v1, v1, v41, s[10:11]
	v_alignbit_b32 v46, v44, v12, v45
	v_cmp_eq_u32_e64 s[14:15], 0, v10
	v_cndmask_b32_e64 v43, v48, v1, s[12:13]
	v_cndmask_b32_e64 v10, v46, v44, s[14:15]
	v_alignbit_b32 v44, v12, v43, v45
	v_cndmask_b32_e32 v40, v42, v40, vcc
	v_cndmask_b32_e64 v12, v44, v12, s[14:15]
	v_bfe_u32 v47, v10, 29, 1
	v_cndmask_b32_e64 v40, v41, v40, s[10:11]
	v_alignbit_b32 v44, v10, v12, 30
	v_sub_u32_e32 v48, 0, v47
	v_cndmask_b32_e64 v1, v1, v40, s[12:13]
	v_xor_b32_e32 v44, v44, v48
	v_alignbit_b32 v40, v43, v1, v45
	v_cndmask_b32_e64 v40, v40, v43, s[14:15]
	v_ffbh_u32_e32 v41, v44
	v_alignbit_b32 v12, v12, v40, 30
	v_min_u32_e32 v41, 32, v41
	v_alignbit_b32 v1, v40, v1, 30
	v_xor_b32_e32 v12, v12, v48
	v_sub_u32_e32 v42, 31, v41
	v_xor_b32_e32 v1, v1, v48
	v_alignbit_b32 v43, v44, v12, v42
	v_alignbit_b32 v1, v12, v1, v42
	v_alignbit_b32 v12, v43, v1, 9
	v_ffbh_u32_e32 v40, v12
	v_min_u32_e32 v40, 32, v40
	v_lshrrev_b32_e32 v46, 29, v10
	v_not_b32_e32 v42, v40
	v_alignbit_b32 v1, v12, v1, v42
	v_lshlrev_b32_e32 v12, 31, v46
	v_or_b32_e32 v42, 0x33000000, v12
	v_add_lshl_u32 v40, v40, v41, 23
	v_lshrrev_b32_e32 v1, 9, v1
	v_sub_u32_e32 v40, v42, v40
	v_or_b32_e32 v12, 0.5, v12
	v_lshlrev_b32_e32 v41, 23, v41
	v_or_b32_e32 v1, v40, v1
	v_lshrrev_b32_e32 v40, 9, v43
	v_sub_u32_e32 v12, v12, v41
	v_or_b32_e32 v12, v40, v12
	v_mul_f32_e32 v40, 0x3fc90fda, v12
	v_fma_f32 v41, v12, s55, -v40
	v_fmac_f32_e32 v41, 0x33a22168, v12
	v_fmac_f32_e32 v41, 0x3fc90fda, v1
	v_lshrrev_b32_e32 v1, 30, v10
	v_add_f32_e32 v12, v40, v41
	v_add_u32_e32 v10, v47, v1
.LBB100_144:                            ;   in Loop: Header=BB100_4 Depth=1
	s_or_saveexec_b64 s[10:11], s[38:39]
	v_mul_f32_e64 v1, |v6|, s56
	v_rndne_f32_e32 v41, v1
	s_xor_b64 exec, exec, s[10:11]
; %bb.145:                              ;   in Loop: Header=BB100_4 Depth=1
	v_cvt_i32_f32_e32 v10, v41
	v_fma_f32 v12, v41, s57, |v6|
	v_fmac_f32_e32 v12, 0xb3a22168, v41
	v_fmac_f32_e32 v12, 0xa7c234c4, v41
; %bb.146:                              ;   in Loop: Header=BB100_4 Depth=1
	s_or_b64 exec, exec, s[10:11]
                                        ; implicit-def: $vgpr1
                                        ; implicit-def: $vgpr40
	s_and_saveexec_b64 s[10:11], s[36:37]
	s_xor_b64 s[36:37], exec, s[10:11]
	s_cbranch_execz .LBB100_152
; %bb.147:                              ;   in Loop: Header=BB100_4 Depth=1
	v_mad_u64_u32 v[40:41], s[10:11], v9, s48, 0
	v_cmp_lt_u32_e32 vcc, 63, v39
	v_mov_b32_e32 v1, v41
	v_mad_u64_u32 v[41:42], s[10:11], v9, s49, v[1:2]
	v_mov_b32_e32 v1, v42
	v_mad_u64_u32 v[42:43], s[10:11], v9, s50, v[1:2]
	;; [unrolled: 2-line block ×3, first 2 shown]
	v_cndmask_b32_e32 v1, 0, v33, vcc
	v_add_u32_e32 v39, v1, v39
	v_mov_b32_e32 v1, v44
	v_mad_u64_u32 v[44:45], s[10:11], v9, s52, v[1:2]
	v_cmp_lt_u32_e64 s[10:11], 31, v39
	v_cndmask_b32_e64 v1, 0, v34, s[10:11]
	v_add_u32_e32 v39, v1, v39
	v_mov_b32_e32 v1, v45
	v_mad_u64_u32 v[45:46], s[12:13], v9, s53, v[1:2]
	v_cmp_lt_u32_e64 s[12:13], 31, v39
	v_cndmask_b32_e64 v1, 0, v34, s[12:13]
	v_add_u32_e32 v39, v1, v39
	v_mov_b32_e32 v1, v46
	v_mad_u64_u32 v[46:47], s[14:15], v9, s54, v[1:2]
	v_cndmask_b32_e32 v1, v44, v42, vcc
	v_cndmask_b32_e32 v9, v45, v43, vcc
	;; [unrolled: 1-line block ×4, first 2 shown]
	v_cndmask_b32_e64 v48, v9, v1, s[10:11]
	v_cndmask_b32_e64 v9, v44, v9, s[10:11]
	;; [unrolled: 1-line block ×3, first 2 shown]
	v_cndmask_b32_e32 v41, v43, v41, vcc
	v_cndmask_b32_e64 v44, v44, v9, s[12:13]
	v_cndmask_b32_e64 v9, v9, v48, s[12:13]
	v_sub_u32_e32 v45, 32, v39
	v_cndmask_b32_e64 v1, v1, v41, s[10:11]
	v_alignbit_b32 v46, v44, v9, v45
	v_cmp_eq_u32_e64 s[14:15], 0, v39
	v_cndmask_b32_e64 v43, v48, v1, s[12:13]
	v_cndmask_b32_e64 v39, v46, v44, s[14:15]
	v_alignbit_b32 v44, v9, v43, v45
	v_cndmask_b32_e32 v40, v42, v40, vcc
	v_cndmask_b32_e64 v9, v44, v9, s[14:15]
	v_bfe_u32 v47, v39, 29, 1
	v_cndmask_b32_e64 v40, v41, v40, s[10:11]
	v_alignbit_b32 v44, v39, v9, 30
	v_sub_u32_e32 v48, 0, v47
	v_cndmask_b32_e64 v1, v1, v40, s[12:13]
	v_xor_b32_e32 v44, v44, v48
	v_alignbit_b32 v40, v43, v1, v45
	v_cndmask_b32_e64 v40, v40, v43, s[14:15]
	v_ffbh_u32_e32 v41, v44
	v_alignbit_b32 v9, v9, v40, 30
	v_min_u32_e32 v41, 32, v41
	v_alignbit_b32 v1, v40, v1, 30
	v_xor_b32_e32 v9, v9, v48
	v_sub_u32_e32 v42, 31, v41
	v_xor_b32_e32 v1, v1, v48
	v_alignbit_b32 v43, v44, v9, v42
	v_alignbit_b32 v1, v9, v1, v42
	;; [unrolled: 1-line block ×3, first 2 shown]
	v_ffbh_u32_e32 v40, v9
	v_min_u32_e32 v40, 32, v40
	v_lshrrev_b32_e32 v46, 29, v39
	v_not_b32_e32 v42, v40
	v_alignbit_b32 v1, v9, v1, v42
	v_lshlrev_b32_e32 v9, 31, v46
	v_or_b32_e32 v42, 0x33000000, v9
	v_add_lshl_u32 v40, v40, v41, 23
	v_lshrrev_b32_e32 v1, 9, v1
	v_sub_u32_e32 v40, v42, v40
	v_or_b32_e32 v9, 0.5, v9
	v_lshlrev_b32_e32 v41, 23, v41
	v_or_b32_e32 v1, v40, v1
	v_lshrrev_b32_e32 v40, 9, v43
	v_sub_u32_e32 v9, v9, v41
	v_or_b32_e32 v9, v40, v9
	v_mul_f32_e32 v40, 0x3fc90fda, v9
	v_fma_f32 v41, v9, s55, -v40
	v_fmac_f32_e32 v41, 0x33a22168, v9
	v_fmac_f32_e32 v41, 0x3fc90fda, v1
	v_lshrrev_b32_e32 v1, 30, v39
	v_add_f32_e32 v40, v40, v41
	v_add_u32_e32 v1, v47, v1
                                        ; implicit-def: $vgpr41
	s_andn2_saveexec_b64 s[10:11], s[36:37]
	s_cbranch_execnz .LBB100_153
	s_branch .LBB100_154
.LBB100_148:                            ;   in Loop: Header=BB100_4 Depth=1
	s_andn2_saveexec_b64 s[10:11], s[38:39]
.LBB100_149:                            ;   in Loop: Header=BB100_4 Depth=1
	v_mul_f32_e64 v1, |v6|, s56
	v_rndne_f32_e32 v1, v1
	v_cvt_i32_f32_e32 v12, v1
	v_fma_f32 v38, v1, s57, |v6|
	v_fmac_f32_e32 v38, 0xb3a22168, v1
	v_fmac_f32_e32 v38, 0xa7c234c4, v1
; %bb.150:                              ;   in Loop: Header=BB100_4 Depth=1
	s_or_b64 exec, exec, s[10:11]
                                        ; implicit-def: $vgpr1
                                        ; implicit-def: $vgpr40
	s_and_saveexec_b64 s[10:11], s[36:37]
	s_xor_b64 s[36:37], exec, s[10:11]
	s_cbranch_execz .LBB100_160
; %bb.151:                              ;   in Loop: Header=BB100_4 Depth=1
	v_mad_u64_u32 v[40:41], s[10:11], v10, s48, 0
	v_cmp_lt_u32_e32 vcc, 63, v39
	v_mov_b32_e32 v1, v41
	v_mad_u64_u32 v[41:42], s[10:11], v10, s49, v[1:2]
	v_mov_b32_e32 v1, v42
	v_mad_u64_u32 v[42:43], s[10:11], v10, s50, v[1:2]
	;; [unrolled: 2-line block ×3, first 2 shown]
	v_cndmask_b32_e32 v1, 0, v33, vcc
	v_add_u32_e32 v39, v1, v39
	v_mov_b32_e32 v1, v44
	v_mad_u64_u32 v[44:45], s[10:11], v10, s52, v[1:2]
	v_cmp_lt_u32_e64 s[10:11], 31, v39
	v_cndmask_b32_e64 v1, 0, v34, s[10:11]
	v_add_u32_e32 v39, v1, v39
	v_mov_b32_e32 v1, v45
	v_mad_u64_u32 v[45:46], s[12:13], v10, s53, v[1:2]
	v_cmp_lt_u32_e64 s[12:13], 31, v39
	v_cndmask_b32_e64 v1, 0, v34, s[12:13]
	v_add_u32_e32 v39, v1, v39
	v_mov_b32_e32 v1, v46
	v_mad_u64_u32 v[46:47], s[14:15], v10, s54, v[1:2]
	v_cndmask_b32_e32 v1, v44, v42, vcc
	v_cndmask_b32_e32 v10, v45, v43, vcc
	;; [unrolled: 1-line block ×4, first 2 shown]
	v_cndmask_b32_e64 v48, v10, v1, s[10:11]
	v_cndmask_b32_e64 v10, v44, v10, s[10:11]
	;; [unrolled: 1-line block ×3, first 2 shown]
	v_cndmask_b32_e32 v41, v43, v41, vcc
	v_cndmask_b32_e64 v44, v44, v10, s[12:13]
	v_cndmask_b32_e64 v10, v10, v48, s[12:13]
	v_sub_u32_e32 v45, 32, v39
	v_cndmask_b32_e64 v1, v1, v41, s[10:11]
	v_alignbit_b32 v46, v44, v10, v45
	v_cmp_eq_u32_e64 s[14:15], 0, v39
	v_cndmask_b32_e64 v43, v48, v1, s[12:13]
	v_cndmask_b32_e64 v39, v46, v44, s[14:15]
	v_alignbit_b32 v44, v10, v43, v45
	v_cndmask_b32_e32 v40, v42, v40, vcc
	v_cndmask_b32_e64 v10, v44, v10, s[14:15]
	v_bfe_u32 v47, v39, 29, 1
	v_cndmask_b32_e64 v40, v41, v40, s[10:11]
	v_alignbit_b32 v44, v39, v10, 30
	v_sub_u32_e32 v48, 0, v47
	v_cndmask_b32_e64 v1, v1, v40, s[12:13]
	v_xor_b32_e32 v44, v44, v48
	v_alignbit_b32 v40, v43, v1, v45
	v_cndmask_b32_e64 v40, v40, v43, s[14:15]
	v_ffbh_u32_e32 v41, v44
	v_alignbit_b32 v10, v10, v40, 30
	v_min_u32_e32 v41, 32, v41
	v_alignbit_b32 v1, v40, v1, 30
	v_xor_b32_e32 v10, v10, v48
	v_sub_u32_e32 v42, 31, v41
	v_xor_b32_e32 v1, v1, v48
	v_alignbit_b32 v43, v44, v10, v42
	v_alignbit_b32 v1, v10, v1, v42
	;; [unrolled: 1-line block ×3, first 2 shown]
	v_ffbh_u32_e32 v40, v10
	v_min_u32_e32 v40, 32, v40
	v_lshrrev_b32_e32 v46, 29, v39
	v_not_b32_e32 v42, v40
	v_alignbit_b32 v1, v10, v1, v42
	v_lshlrev_b32_e32 v10, 31, v46
	v_or_b32_e32 v42, 0x33000000, v10
	v_add_lshl_u32 v40, v40, v41, 23
	v_lshrrev_b32_e32 v1, 9, v1
	v_sub_u32_e32 v40, v42, v40
	v_or_b32_e32 v10, 0.5, v10
	v_lshlrev_b32_e32 v41, 23, v41
	v_or_b32_e32 v1, v40, v1
	v_lshrrev_b32_e32 v40, 9, v43
	v_sub_u32_e32 v10, v10, v41
	v_or_b32_e32 v10, v40, v10
	v_mul_f32_e32 v40, 0x3fc90fda, v10
	v_fma_f32 v41, v10, s55, -v40
	v_fmac_f32_e32 v41, 0x33a22168, v10
	v_fmac_f32_e32 v41, 0x3fc90fda, v1
	v_lshrrev_b32_e32 v1, 30, v39
	v_add_f32_e32 v40, v40, v41
	v_add_u32_e32 v1, v47, v1
	s_andn2_saveexec_b64 s[10:11], s[36:37]
	s_cbranch_execnz .LBB100_161
	s_branch .LBB100_162
.LBB100_152:                            ;   in Loop: Header=BB100_4 Depth=1
	s_andn2_saveexec_b64 s[10:11], s[36:37]
.LBB100_153:                            ;   in Loop: Header=BB100_4 Depth=1
	v_cvt_i32_f32_e32 v1, v41
	v_fma_f32 v40, v41, s57, |v6|
	v_fmac_f32_e32 v40, 0xb3a22168, v41
	v_fmac_f32_e32 v40, 0xa7c234c4, v41
.LBB100_154:                            ;   in Loop: Header=BB100_4 Depth=1
	s_or_b64 exec, exec, s[10:11]
	v_mul_f32_e32 v9, v12, v12
	v_mov_b32_e32 v39, 0x3c0881c4
	v_fmac_f32_e32 v39, 0xb94c1982, v9
	v_fma_f32 v39, v9, v39, v30
	v_mul_f32_e32 v39, v9, v39
	v_fmac_f32_e32 v12, v12, v39
	v_mov_b32_e32 v39, 0xbab64f3b
	v_fmac_f32_e32 v39, 0x37d75334, v9
	v_fma_f32 v39, v9, v39, v31
	v_fma_f32 v39, v9, v39, v32
	v_fma_f32 v9, v9, v39, 1.0
	v_and_b32_e32 v39, 1, v10
	v_lshlrev_b32_e32 v10, 30, v10
	v_cmp_eq_u32_e32 vcc, 0, v39
	v_and_b32_e32 v10, 0x80000000, v10
	v_cndmask_b32_e32 v9, v9, v12, vcc
	v_xor_b32_e32 v7, v7, v10
	v_xor_b32_e32 v7, v7, v9
	v_mul_f32_e32 v9, v40, v40
	v_mov_b32_e32 v10, 0x3c0881c4
	v_fmac_f32_e32 v10, 0xb94c1982, v9
	v_fma_f32 v10, v9, v10, v30
	v_mul_f32_e32 v10, v9, v10
	v_fmac_f32_e32 v40, v40, v10
	v_mov_b32_e32 v10, 0xbab64f3b
	v_fmac_f32_e32 v10, 0x37d75334, v9
	v_fma_f32 v10, v9, v10, v31
	v_fma_f32 v10, v9, v10, v32
	v_fma_f32 v9, v9, v10, 1.0
	v_and_b32_e32 v10, 1, v1
	v_cmp_eq_u32_e32 vcc, 0, v10
	v_lshlrev_b32_e32 v1, 30, v1
	v_cndmask_b32_e64 v9, -v40, v9, vcc
	v_and_b32_e32 v1, 0x80000000, v1
	v_xor_b32_e32 v7, v7, v6
	v_xor_b32_e32 v1, v1, v9
	v_mul_f32_e32 v1, v7, v1
	v_cmp_class_f32_e64 vcc, v6, s45
	v_cndmask_b32_e32 v6, v36, v1, vcc
.LBB100_155:                            ;   in Loop: Header=BB100_4 Depth=1
	s_or_b64 exec, exec, s[34:35]
	v_add_u32_e32 v38, -2.0, v38
	v_bfi_b32 v10, s43, 0, v6
.LBB100_156:                            ;   in Loop: Header=BB100_4 Depth=1
	s_or_b64 exec, exec, s[30:31]
	s_or_b64 exec, exec, s[28:29]
	s_and_saveexec_b64 s[10:11], s[0:1]
	s_xor_b64 s[0:1], exec, s[10:11]
	s_cbranch_execnz .LBB100_168
.LBB100_157:                            ;   in Loop: Header=BB100_4 Depth=1
	s_or_b64 exec, exec, s[0:1]
	s_and_saveexec_b64 s[0:1], s[2:3]
	s_cbranch_execz .LBB100_169
.LBB100_158:                            ;   in Loop: Header=BB100_4 Depth=1
	v_mov_b32_e32 v1, s40
	v_add_co_u32_e32 v6, vcc, s33, v20
	v_xor_b32_e32 v12, 0x80000000, v14
	v_addc_co_u32_e32 v7, vcc, 0, v1, vcc
	global_store_dwordx2 v[6:7], v[11:12], off
	s_or_b64 exec, exec, s[0:1]
	s_and_saveexec_b64 s[0:1], s[6:7]
	s_cbranch_execnz .LBB100_170
.LBB100_159:                            ;   in Loop: Header=BB100_4 Depth=1
	s_or_b64 exec, exec, s[0:1]
	s_and_saveexec_b64 s[0:1], s[8:9]
	s_cbranch_execz .LBB100_3
	s_branch .LBB100_171
.LBB100_160:                            ;   in Loop: Header=BB100_4 Depth=1
	s_andn2_saveexec_b64 s[10:11], s[36:37]
.LBB100_161:                            ;   in Loop: Header=BB100_4 Depth=1
	v_mul_f32_e64 v1, |v6|, s56
	v_rndne_f32_e32 v10, v1
	v_cvt_i32_f32_e32 v1, v10
	v_fma_f32 v40, v10, s57, |v6|
	v_fmac_f32_e32 v40, 0xb3a22168, v10
	v_fmac_f32_e32 v40, 0xa7c234c4, v10
.LBB100_162:                            ;   in Loop: Header=BB100_4 Depth=1
	s_or_b64 exec, exec, s[10:11]
	v_mul_f32_e32 v10, v38, v38
	v_mov_b32_e32 v39, 0x3c0881c4
	v_fmac_f32_e32 v39, 0xb94c1982, v10
	v_fma_f32 v39, v10, v39, v30
	v_mul_f32_e32 v39, v10, v39
	v_fmac_f32_e32 v38, v38, v39
	v_mov_b32_e32 v39, 0xbab64f3b
	v_fmac_f32_e32 v39, 0x37d75334, v10
	v_fma_f32 v39, v10, v39, v31
	v_fma_f32 v39, v10, v39, v32
	v_fma_f32 v10, v10, v39, 1.0
	v_and_b32_e32 v39, 1, v12
	v_lshlrev_b32_e32 v12, 30, v12
	v_and_b32_e32 v12, 0x80000000, v12
	v_cmp_eq_u32_e32 vcc, 0, v39
	v_xor_b32_e32 v9, v9, v12
	v_mul_f32_e64 v12, |v7|, s62
	v_cndmask_b32_e32 v10, v10, v38, vcc
	v_rndne_f32_e32 v38, v12
	v_sub_f32_e32 v39, v12, v38
	v_fma_f32 v12, |v7|, s62, -v12
	v_fma_f32 v12, |v7|, s63, v12
	v_add_f32_e32 v12, v39, v12
	v_exp_f32_e32 v12, v12
	v_cvt_i32_f32_e32 v38, v38
	v_xor_b32_e32 v9, v9, v10
	v_xor_b32_e32 v6, v9, v6
	v_cmp_ngt_f32_e64 vcc, |v7|, s64
	v_ldexp_f32 v9, v12, v38
	v_cndmask_b32_e32 v9, 0, v9, vcc
	v_cmp_nlt_f32_e64 vcc, |v7|, s65
	v_xor_b32_e32 v7, 0x80000000, v7
	v_bfi_b32 v38, s43, 1.0, v7
	v_mul_f32_e32 v7, v40, v40
	v_mov_b32_e32 v10, 0x3c0881c4
	v_fmac_f32_e32 v10, 0xb94c1982, v7
	v_fma_f32 v10, v7, v10, v30
	v_mul_f32_e32 v10, v7, v10
	v_fmac_f32_e32 v40, v40, v10
	v_mov_b32_e32 v10, 0xbab64f3b
	v_fmac_f32_e32 v10, 0x37d75334, v7
	v_fma_f32 v10, v7, v10, v31
	v_fma_f32 v10, v7, v10, v32
	v_fma_f32 v7, v7, v10, 1.0
	v_and_b32_e32 v10, 1, v1
	v_cndmask_b32_e32 v9, v35, v9, vcc
	v_cmp_eq_u32_e32 vcc, 0, v10
	v_lshlrev_b32_e32 v1, 30, v1
	v_cndmask_b32_e64 v7, -v40, v7, vcc
	v_and_b32_e32 v1, 0x80000000, v1
	v_mul_f32_e32 v6, 4.0, v6
	v_xor_b32_e32 v1, v1, v7
	v_mul_f32_e32 v1, v6, v1
	v_mul_f32_e32 v1, v9, v1
	;; [unrolled: 1-line block ×3, first 2 shown]
.LBB100_163:                            ;   in Loop: Header=BB100_4 Depth=1
	s_or_b64 exec, exec, s[34:35]
                                        ; implicit-def: $vgpr6
.LBB100_164:                            ;   in Loop: Header=BB100_4 Depth=1
	s_andn2_saveexec_b64 s[10:11], s[30:31]
; %bb.165:                              ;   in Loop: Header=BB100_4 Depth=1
	v_sub_f32_e32 v10, v6, v6
	v_mov_b32_e32 v38, v10
; %bb.166:                              ;   in Loop: Header=BB100_4 Depth=1
	s_or_b64 exec, exec, s[10:11]
                                        ; implicit-def: $vgpr7
	s_andn2_saveexec_b64 s[28:29], s[28:29]
	s_cbranch_execnz .LBB100_138
.LBB100_167:                            ;   in Loop: Header=BB100_4 Depth=1
	s_or_b64 exec, exec, s[28:29]
	s_and_saveexec_b64 s[10:11], s[0:1]
	s_xor_b64 s[0:1], exec, s[10:11]
	s_cbranch_execz .LBB100_157
.LBB100_168:                            ;   in Loop: Header=BB100_4 Depth=1
	v_mov_b32_e32 v1, s40
	v_add_co_u32_e32 v6, vcc, s33, v3
	v_xor_b32_e32 v9, 0x80000000, v37
	v_addc_co_u32_e32 v7, vcc, 0, v1, vcc
	global_store_dwordx2 v[6:7], v[8:9], off
	s_or_b64 exec, exec, s[0:1]
	s_and_saveexec_b64 s[0:1], s[2:3]
	s_cbranch_execnz .LBB100_158
.LBB100_169:                            ;   in Loop: Header=BB100_4 Depth=1
	s_or_b64 exec, exec, s[0:1]
	s_and_saveexec_b64 s[0:1], s[6:7]
	s_cbranch_execz .LBB100_159
.LBB100_170:                            ;   in Loop: Header=BB100_4 Depth=1
	v_mov_b32_e32 v1, s40
	v_add_co_u32_e32 v6, vcc, s33, v22
	v_xor_b32_e32 v14, 0x80000000, v15
	v_addc_co_u32_e32 v7, vcc, v1, v21, vcc
	global_store_dwordx2 v[6:7], v[13:14], off offset:-4
	s_or_b64 exec, exec, s[0:1]
	s_and_saveexec_b64 s[0:1], s[8:9]
	s_cbranch_execz .LBB100_3
.LBB100_171:                            ;   in Loop: Header=BB100_4 Depth=1
	v_mov_b32_e32 v1, s40
	v_add_co_u32_e32 v6, vcc, s33, v4
	v_xor_b32_e32 v11, 0x80000000, v38
	v_addc_co_u32_e32 v7, vcc, v1, v5, vcc
	global_store_dwordx2 v[6:7], v[10:11], off offset:-4
	s_branch .LBB100_3
.LBB100_172:
	s_cbranch_execz .LBB100_174
	s_branch .LBB100_329
.LBB100_173:
.LBB100_174:
	v_mov_b32_e32 v1, 0x10000
	v_mov_b32_e32 v2, 0
	v_cmp_lt_i64_e32 vcc, s[20:21], v[1:2]
	v_mov_b32_e32 v14, 0
	s_and_b64 s[0:1], vcc, exec
	s_cselect_b32 s7, s21, 0
	s_cselect_b32 s6, s20, 0x10000
	v_lshlrev_b32_e32 v13, 2, v0
	v_cmp_gt_i64_e32 vcc, s[6:7], v[13:14]
	s_and_saveexec_b64 s[0:1], vcc
	s_cbranch_execz .LBB100_329
; %bb.175:
	s_load_dword s0, s[4:5], 0xd3c
	v_lshlrev_b32_e32 v2, 5, v0
	v_mov_b32_e32 v1, v14
	s_mov_b64 s[8:9], 0
	s_brev_b32 s22, -2
	s_waitcnt lgkmcnt(0)
	s_and_b32 s20, s0, 0xffff
	s_add_u32 s0, s16, s18
	s_addc_u32 s1, s17, s19
	v_mov_b32_e32 v3, s1
	v_add_co_u32_e32 v15, vcc, s0, v2
	v_addc_co_u32_e32 v16, vcc, 0, v3, vcc
	s_lshl_b32 s21, s20, 5
	s_mov_b32 s23, 0x7f800000
	s_movk_i32 s24, 0x1f8
	s_mov_b32 s25, 0x41300000
	s_brev_b32 s26, 18
	s_mov_b32 s27, 0xfe5163ab
	s_mov_b32 s28, 0x3c439041
	;; [unrolled: 1-line block ×10, first 2 shown]
	v_mov_b32_e32 v17, 0x3f93f425
	s_mov_b32 s38, 0xbf317218
	v_mov_b32_e32 v18, 0x3d2aadcc
	v_mov_b32_e32 v19, 0x3e2aaa47
	;; [unrolled: 1-line block ×3, first 2 shown]
	s_mov_b32 s39, 0x42b2d4fc
	s_mov_b32 s40, 0x39800000
	;; [unrolled: 1-line block ×3, first 2 shown]
	v_mov_b32_e32 v21, 0x260
	v_mov_b32_e32 v22, 0xbe2aaa9d
	;; [unrolled: 1-line block ×4, first 2 shown]
	s_mov_b32 s42, 0xbfb8aa3b
	s_mov_b32 s43, 0xb2a5705f
	s_mov_b32 s44, 0x42ce8ed0
	s_mov_b32 s45, 0xc2b17218
	v_not_b32_e32 v25, 63
	v_not_b32_e32 v26, 31
	v_mov_b32_e32 v27, 0x7f800000
	v_mov_b32_e32 v28, 0x7fc00000
	s_branch .LBB100_180
.LBB100_176:                            ;   in Loop: Header=BB100_180 Depth=1
	s_or_b64 exec, exec, s[0:1]
	v_mul_f32_e32 v3, v11, v11
	v_mov_b32_e32 v12, 0x3c0881c4
	v_fmac_f32_e32 v12, 0xb94c1982, v3
	v_fma_f32 v12, v3, v12, v22
	v_mul_f32_e32 v12, v3, v12
	v_fmac_f32_e32 v11, v11, v12
	v_mov_b32_e32 v12, 0xbab64f3b
	v_fmac_f32_e32 v12, 0x37d75334, v3
	v_fma_f32 v12, v3, v12, v23
	v_fma_f32 v12, v3, v12, v24
	v_fma_f32 v3, v3, v12, 1.0
	v_and_b32_e32 v12, 1, v5
	v_lshlrev_b32_e32 v5, 30, v5
	v_cmp_eq_u32_e32 vcc, 0, v12
	v_and_b32_e32 v5, 0x80000000, v5
	v_cndmask_b32_e32 v3, v3, v11, vcc
	v_xor_b32_e32 v2, v2, v5
	v_xor_b32_e32 v2, v2, v3
	v_mul_f32_e32 v3, v31, v31
	v_mov_b32_e32 v5, 0x3c0881c4
	v_fmac_f32_e32 v5, 0xb94c1982, v3
	v_fma_f32 v5, v3, v5, v22
	v_mul_f32_e32 v5, v3, v5
	v_fmac_f32_e32 v31, v31, v5
	v_mov_b32_e32 v5, 0xbab64f3b
	v_fmac_f32_e32 v5, 0x37d75334, v3
	v_fma_f32 v5, v3, v5, v23
	v_fma_f32 v5, v3, v5, v24
	v_fma_f32 v3, v3, v5, 1.0
	v_and_b32_e32 v5, 1, v13
	v_cmp_eq_u32_e32 vcc, 0, v5
	v_lshlrev_b32_e32 v5, 30, v13
	v_cndmask_b32_e64 v3, -v31, v3, vcc
	v_and_b32_e32 v5, 0x80000000, v5
	v_xor_b32_e32 v2, v2, v4
	v_xor_b32_e32 v3, v5, v3
	v_mul_f32_e32 v2, v2, v3
	v_cmp_class_f32_e64 vcc, v4, s24
	v_cndmask_b32_e32 v4, v28, v2, vcc
.LBB100_177:                            ;   in Loop: Header=BB100_180 Depth=1
	s_or_b64 exec, exec, s[14:15]
	v_add_u32_e32 v30, -2.0, v30
	v_bfi_b32 v12, s22, 0, v4
.LBB100_178:                            ;   in Loop: Header=BB100_180 Depth=1
	s_or_b64 exec, exec, s[12:13]
.LBB100_179:                            ;   in Loop: Header=BB100_180 Depth=1
	s_or_b64 exec, exec, s[10:11]
	v_add_co_u32_e32 v0, vcc, s20, v0
	v_addc_co_u32_e32 v1, vcc, 0, v1, vcc
	v_lshlrev_b64 v[2:3], 2, v[0:1]
	v_xor_b32_e32 v11, 0x80000000, v9
	v_cmp_le_i64_e32 vcc, s[6:7], v[2:3]
	v_xor_b32_e32 v9, 0x80000000, v29
	v_xor_b32_e32 v7, 0x80000000, v7
	;; [unrolled: 1-line block ×3, first 2 shown]
	global_store_dwordx4 v[15:16], v[6:9], off
	global_store_dwordx4 v[15:16], v[10:13], off offset:16
	s_or_b64 s[8:9], vcc, s[8:9]
	v_add_co_u32_e32 v15, vcc, s21, v15
	v_addc_co_u32_e32 v16, vcc, 0, v16, vcc
	s_andn2_b64 exec, exec, s[8:9]
	s_cbranch_execz .LBB100_329
.LBB100_180:                            ; =>This Inner Loop Header: Depth=1
	global_load_dwordx4 v[9:12], v[15:16], off
	global_load_dwordx4 v[2:5], v[15:16], off offset:16
                                        ; implicit-def: $vgpr6
                                        ; implicit-def: $vgpr7
	s_waitcnt vmcnt(1)
	v_and_b32_e32 v13, 0x7fffffff, v10
	v_cmp_gt_u32_e32 vcc, s23, v13
	s_and_saveexec_b64 s[0:1], vcc
	s_xor_b64 s[10:11], exec, s[0:1]
	s_cbranch_execz .LBB100_202
; %bb.181:                              ;   in Loop: Header=BB100_180 Depth=1
	v_cmp_class_f32_e64 s[0:1], v9, s24
                                        ; implicit-def: $vgpr6
                                        ; implicit-def: $vgpr7
	s_and_saveexec_b64 s[2:3], s[0:1]
	s_xor_b64 s[12:13], exec, s[2:3]
	s_cbranch_execz .LBB100_199
; %bb.182:                              ;   in Loop: Header=BB100_180 Depth=1
	v_and_b32_e32 v8, 0x7fffffff, v9
	v_cmp_gt_u32_e32 vcc, s25, v13
                                        ; implicit-def: $vgpr6
                                        ; implicit-def: $vgpr7
	s_and_saveexec_b64 s[0:1], vcc
	s_xor_b64 s[14:15], exec, s[0:1]
	s_cbranch_execz .LBB100_188
; %bb.183:                              ;   in Loop: Header=BB100_180 Depth=1
	v_cmp_nlt_f32_e64 s[0:1], |v9|, s26
                                        ; implicit-def: $vgpr7
                                        ; implicit-def: $vgpr6
	s_and_saveexec_b64 s[2:3], s[0:1]
	s_xor_b64 s[16:17], exec, s[2:3]
	s_cbranch_execz .LBB100_185
; %bb.184:                              ;   in Loop: Header=BB100_180 Depth=1
	v_and_b32_e32 v6, 0x7fffff, v8
	v_or_b32_e32 v35, 0x800000, v6
	v_mad_u64_u32 v[6:7], s[0:1], v35, s27, 0
	v_mov_b32_e32 v13, v7
	v_mad_u64_u32 v[29:30], s[0:1], v35, s28, v[13:14]
	v_lshrrev_b32_e32 v7, 23, v8
	v_add_u32_e32 v7, 0xffffff88, v7
	v_mov_b32_e32 v13, v30
	v_mad_u64_u32 v[30:31], s[0:1], v35, s29, v[13:14]
	v_cmp_lt_u32_e32 vcc, 63, v7
	v_mov_b32_e32 v13, v31
	v_mad_u64_u32 v[31:32], s[0:1], v35, s30, v[13:14]
	v_cndmask_b32_e32 v6, v30, v6, vcc
	v_mov_b32_e32 v13, v32
	v_mad_u64_u32 v[32:33], s[0:1], v35, s31, v[13:14]
	v_cndmask_b32_e32 v13, 0, v25, vcc
	v_add_u32_e32 v7, v13, v7
	v_mov_b32_e32 v13, v33
	v_mad_u64_u32 v[33:34], s[0:1], v35, s33, v[13:14]
	v_cmp_lt_u32_e64 s[0:1], 31, v7
	v_cndmask_b32_e64 v13, 0, v26, s[0:1]
	v_add_u32_e32 v7, v13, v7
	v_mov_b32_e32 v13, v34
	v_mad_u64_u32 v[34:35], s[2:3], v35, s34, v[13:14]
	v_cmp_lt_u32_e64 s[2:3], 31, v7
	v_cndmask_b32_e64 v13, 0, v26, s[2:3]
	v_add_u32_e32 v7, v13, v7
	v_cndmask_b32_e32 v13, v33, v31, vcc
	v_cndmask_b32_e32 v34, v34, v32, vcc
	v_cndmask_b32_e32 v33, v35, v33, vcc
	v_cndmask_b32_e32 v32, v32, v30, vcc
	v_cndmask_b32_e64 v35, v34, v13, s[0:1]
	v_cndmask_b32_e64 v33, v33, v34, s[0:1]
	;; [unrolled: 1-line block ×3, first 2 shown]
	v_cndmask_b32_e32 v29, v31, v29, vcc
	v_cndmask_b32_e64 v33, v33, v35, s[2:3]
	v_cndmask_b32_e64 v34, v35, v13, s[2:3]
	v_sub_u32_e32 v35, 32, v7
	v_cndmask_b32_e64 v31, v32, v29, s[0:1]
	v_alignbit_b32 v36, v33, v34, v35
	v_cmp_eq_u32_e64 s[4:5], 0, v7
	v_cndmask_b32_e64 v13, v13, v31, s[2:3]
	v_cndmask_b32_e64 v7, v36, v33, s[4:5]
	v_alignbit_b32 v32, v34, v13, v35
	v_cndmask_b32_e64 v32, v32, v34, s[4:5]
	v_bfe_u32 v36, v7, 29, 1
	v_cndmask_b32_e64 v6, v29, v6, s[0:1]
	v_alignbit_b32 v33, v7, v32, 30
	v_sub_u32_e32 v37, 0, v36
	v_cndmask_b32_e64 v6, v31, v6, s[2:3]
	v_xor_b32_e32 v33, v33, v37
	v_alignbit_b32 v29, v13, v6, v35
	v_cndmask_b32_e64 v13, v29, v13, s[4:5]
	v_ffbh_u32_e32 v30, v33
	v_alignbit_b32 v29, v32, v13, 30
	v_min_u32_e32 v30, 32, v30
	v_alignbit_b32 v6, v13, v6, 30
	v_xor_b32_e32 v29, v29, v37
	v_sub_u32_e32 v31, 31, v30
	v_xor_b32_e32 v6, v6, v37
	v_alignbit_b32 v32, v33, v29, v31
	v_alignbit_b32 v6, v29, v6, v31
	;; [unrolled: 1-line block ×3, first 2 shown]
	v_ffbh_u32_e32 v29, v13
	v_min_u32_e32 v29, 32, v29
	v_lshrrev_b32_e32 v34, 29, v7
	v_not_b32_e32 v31, v29
	v_alignbit_b32 v6, v13, v6, v31
	v_lshlrev_b32_e32 v13, 31, v34
	v_or_b32_e32 v31, 0x33000000, v13
	v_add_lshl_u32 v29, v29, v30, 23
	v_lshrrev_b32_e32 v6, 9, v6
	v_sub_u32_e32 v29, v31, v29
	v_or_b32_e32 v13, 0.5, v13
	v_lshlrev_b32_e32 v30, 23, v30
	v_or_b32_e32 v6, v29, v6
	v_lshrrev_b32_e32 v29, 9, v32
	v_sub_u32_e32 v13, v13, v30
	v_or_b32_e32 v13, v29, v13
	v_mul_f32_e32 v29, 0x3fc90fda, v13
	v_fma_f32 v30, v13, s35, -v29
	v_fmac_f32_e32 v30, 0x33a22168, v13
	v_fmac_f32_e32 v30, 0x3fc90fda, v6
	v_lshrrev_b32_e32 v7, 30, v7
	v_add_f32_e32 v6, v29, v30
	v_add_u32_e32 v7, v36, v7
.LBB100_185:                            ;   in Loop: Header=BB100_180 Depth=1
	s_andn2_saveexec_b64 s[0:1], s[16:17]
; %bb.186:                              ;   in Loop: Header=BB100_180 Depth=1
	v_mul_f32_e64 v6, |v9|, s36
	v_rndne_f32_e32 v13, v6
	v_cvt_i32_f32_e32 v7, v13
	v_fma_f32 v6, v13, s37, |v9|
	v_fmac_f32_e32 v6, 0xb3a22168, v13
	v_fmac_f32_e32 v6, 0xa7c234c4, v13
; %bb.187:                              ;   in Loop: Header=BB100_180 Depth=1
	s_or_b64 exec, exec, s[0:1]
	v_mul_f32_e32 v13, v6, v6
	v_mov_b32_e32 v29, 0xbf039337
	v_fmac_f32_e32 v29, 0x3c971480, v13
	v_fma_f32 v29, v13, v29, v17
	v_rcp_f32_e32 v29, v29
	v_mov_b32_e32 v30, 0x3ec54587
	v_fmac_f32_e32 v30, 0xbc8cedd3, v13
	v_and_b32_e32 v7, 1, v7
	v_mul_f32_e32 v29, v30, v29
	v_mul_f32_e32 v13, v13, v29
	v_fma_f32 v29, v13, v6, v6
	v_rcp_f32_e32 v30, v29
	v_sub_f32_e32 v31, v29, v6
	v_fma_f32 v6, v13, v6, -v31
	v_cmp_eq_u32_e32 vcc, 0, v7
	v_fma_f32 v13, v29, -v30, 1.0
	v_fma_f32 v6, v6, -v30, v13
	v_add_f32_e64 v7, |v10|, s38
	v_fma_f32 v6, v6, -v30, -v30
	v_sub_f32_e64 v13, v7, |v10|
	v_cndmask_b32_e32 v6, v6, v29, vcc
	v_sub_f32_e32 v29, v13, v7
	v_add_f32_e64 v29, |v10|, v29
	v_add_f32_e32 v13, 0x3f317218, v13
	v_sub_f32_e32 v13, v29, v13
	v_add_f32_e32 v13, 0x3102e308, v13
	v_add_f32_e32 v29, v7, v13
	v_sub_f32_e32 v7, v7, v29
	v_add_f32_e32 v7, v13, v7
	v_mul_f32_e32 v13, 0x3fb8aa3b, v29
	v_rndne_f32_e32 v13, v13
	v_fmac_f32_e32 v29, 0xbf317200, v13
	v_add_f32_e32 v30, v7, v29
	v_sub_f32_e32 v29, v29, v30
	v_add_f32_e32 v7, v7, v29
	v_mul_f32_e32 v29, 0x35bfbc00, v13
	v_sub_f32_e32 v31, v30, v29
	v_sub_f32_e32 v30, v30, v31
	;; [unrolled: 1-line block ×3, first 2 shown]
	v_add_f32_e32 v7, v7, v29
	v_add_f32_e32 v29, v31, v7
	v_sub_f32_e32 v30, v31, v29
	v_add_f32_e32 v7, v7, v30
	v_mul_f32_e32 v30, 0x2ea39ef3, v13
	v_sub_f32_e32 v31, v29, v30
	v_sub_f32_e32 v29, v29, v31
	v_sub_f32_e32 v29, v29, v30
	v_add_f32_e32 v7, v7, v29
	v_add_f32_e32 v29, v31, v7
	v_sub_f32_e32 v31, v31, v29
	v_mov_b32_e32 v30, 0x3c091de6
	v_add_f32_e32 v7, v7, v31
	v_mul_f32_e32 v32, v29, v29
	v_fmac_f32_e32 v30, 0x3ab42872, v29
	v_add_f32_e32 v31, v7, v7
	v_fma_f32 v33, v29, v29, -v32
	v_fma_f32 v30, v29, v30, v18
	v_fmac_f32_e32 v33, v29, v31
	v_fma_f32 v30, v29, v30, v19
	v_add_f32_e32 v31, v32, v33
	v_fma_f32 v30, v29, v30, v20
	v_sub_f32_e32 v32, v31, v32
	v_sub_f32_e32 v32, v33, v32
	v_mul_f32_e32 v33, v30, v31
	v_fma_f32 v31, v31, v30, -v33
	v_fmac_f32_e32 v31, v32, v30
	v_add_f32_e32 v30, v33, v31
	v_sub_f32_e32 v32, v30, v33
	v_sub_f32_e32 v31, v31, v32
	v_add_f32_e32 v32, v29, v30
	v_sub_f32_e32 v29, v32, v29
	v_sub_f32_e32 v29, v30, v29
	v_add_f32_e32 v7, v7, v31
	v_add_f32_e32 v7, v7, v29
	;; [unrolled: 1-line block ×3, first 2 shown]
	v_sub_f32_e32 v30, v29, v32
	v_sub_f32_e32 v7, v7, v30
	v_add_f32_e32 v30, 1.0, v29
	v_add_f32_e32 v31, -1.0, v30
	v_cvt_i32_f32_e32 v13, v13
	v_sub_f32_e32 v29, v29, v31
	v_add_f32_e32 v7, v7, v29
	v_add_f32_e32 v29, v30, v7
	v_ldexp_f32 v31, v29, v13
	v_rcp_f32_e32 v32, v31
	v_sub_f32_e32 v29, v29, v30
	v_sub_f32_e32 v7, v7, v29
	v_ldexp_f32 v7, v7, v13
	v_mul_f32_e32 v13, v31, v32
	v_fma_f32 v29, v32, v31, -v13
	v_fmac_f32_e32 v29, v32, v7
	v_add_f32_e32 v30, v13, v29
	v_sub_f32_e32 v33, 1.0, v30
	v_sub_f32_e32 v34, 1.0, v33
	v_sub_f32_e32 v13, v30, v13
	v_sub_f32_e32 v34, v34, v30
	;; [unrolled: 1-line block ×3, first 2 shown]
	v_add_f32_e32 v13, v13, v34
	v_add_f32_e32 v29, v33, v13
	v_mul_f32_e32 v30, v32, v29
	v_mul_f32_e32 v34, v31, v30
	v_fma_f32 v35, v30, v31, -v34
	v_fmac_f32_e32 v35, v30, v7
	v_sub_f32_e32 v33, v33, v29
	v_add_f32_e32 v13, v13, v33
	v_add_f32_e32 v33, v34, v35
	v_sub_f32_e32 v36, v29, v33
	v_sub_f32_e32 v29, v29, v36
	;; [unrolled: 1-line block ×4, first 2 shown]
	v_add_f32_e32 v13, v13, v29
	v_sub_f32_e32 v29, v34, v35
	v_add_f32_e32 v13, v29, v13
	v_add_f32_e32 v13, v36, v13
	;; [unrolled: 1-line block ×3, first 2 shown]
	v_mul_f32_e32 v13, v32, v13
	v_sub_f32_e32 v32, v29, v32
	v_sub_f32_e32 v30, v30, v32
	v_add_f32_e32 v13, v30, v13
	v_add_f32_e32 v30, v29, v13
	v_sub_f32_e32 v29, v30, v29
	v_sub_f32_e32 v13, v13, v29
	v_ldexp_f32 v29, v30, -2
	v_sub_f32_e32 v30, v31, v29
	v_sub_f32_e32 v31, v31, v30
	;; [unrolled: 1-line block ×3, first 2 shown]
	v_ldexp_f32 v13, v13, -2
	v_add_f32_e32 v7, v7, v29
	v_sub_f32_e32 v7, v7, v13
	v_add_f32_e32 v7, v30, v7
	v_cmp_ngt_f32_e64 vcc, |v10|, s39
	v_cndmask_b32_e32 v7, v27, v7, vcc
	v_cmp_lt_f32_e64 s[0:1], |v10|, s40
	v_cndmask_b32_e64 v7, v7, |v10|, s[0:1]
	v_xor_b32_e32 v13, 0x80000000, v10
	v_bfi_b32 v7, s22, v7, v13
	v_fma_f32 v13, v7, v7, 1.0
	v_mul_f32_e32 v29, 0x4f800000, v13
	v_cmp_gt_f32_e32 vcc, s41, v13
	v_cndmask_b32_e32 v13, v13, v29, vcc
	v_sqrt_f32_e32 v29, v13
	v_xor_b32_e32 v6, v8, v6
	v_xor_b32_e32 v6, v6, v9
	v_fma_f32 v8, v6, v6, 1.0
	v_add_u32_e32 v30, -1, v29
	v_fma_f32 v31, -v30, v29, v13
	v_cmp_ge_f32_e64 s[0:1], 0, v31
	v_add_u32_e32 v31, 1, v29
	v_cndmask_b32_e64 v30, v29, v30, s[0:1]
	v_fma_f32 v29, -v31, v29, v13
	v_cmp_lt_f32_e64 s[0:1], 0, v29
	v_cndmask_b32_e64 v29, v30, v31, s[0:1]
	v_mul_f32_e32 v30, 0x37800000, v29
	v_cndmask_b32_e32 v29, v29, v30, vcc
	v_cmp_class_f32_e32 vcc, v13, v21
	v_cndmask_b32_e32 v13, v29, v13, vcc
	v_mul_f32_e32 v29, v7, v8
	v_mul_f32_e32 v8, v13, v8
	v_fma_f32 v29, v7, v29, 1.0
	v_mul_f32_e32 v7, v7, v8
	v_div_scale_f32 v8, s[0:1], v29, v29, v7
	v_div_scale_f32 v13, vcc, v7, v29, v7
	v_div_scale_f32 v30, s[0:1], v29, v29, v6
	v_div_scale_f32 v31, s[0:1], v6, v29, v6
	v_rcp_f32_e32 v32, v8
	v_fma_f32 v33, -v8, v32, 1.0
	v_fmac_f32_e32 v32, v33, v32
	v_mul_f32_e32 v33, v13, v32
	v_fma_f32 v34, -v8, v33, v13
	v_fmac_f32_e32 v33, v34, v32
	v_rcp_f32_e32 v34, v30
	v_fma_f32 v8, -v8, v33, v13
	v_div_fmas_f32 v8, v8, v32, v33
	s_mov_b64 vcc, s[0:1]
	v_fma_f32 v13, -v30, v34, 1.0
	v_fmac_f32_e32 v34, v13, v34
	v_mul_f32_e32 v13, v31, v34
	v_fma_f32 v32, -v30, v13, v31
	v_fmac_f32_e32 v13, v32, v34
	v_fma_f32 v30, -v30, v13, v31
	v_div_fmas_f32 v13, v30, v34, v13
	v_div_fixup_f32 v7, v8, v29, v7
                                        ; implicit-def: $vgpr8
	v_div_fixup_f32 v6, v13, v29, v6
.LBB100_188:                            ;   in Loop: Header=BB100_180 Depth=1
	s_andn2_saveexec_b64 s[14:15], s[14:15]
	s_cbranch_execz .LBB100_191
; %bb.189:                              ;   in Loop: Header=BB100_180 Depth=1
	v_lshrrev_b32_e32 v6, 23, v8
	v_and_b32_e32 v7, 0x7fffff, v8
	v_cmp_nlt_f32_e64 s[16:17], |v9|, s26
	v_add_u32_e32 v30, 0xffffff88, v6
	v_or_b32_e32 v6, 0x800000, v7
                                        ; implicit-def: $vgpr7
                                        ; implicit-def: $vgpr29
	s_and_saveexec_b64 s[0:1], s[16:17]
	s_xor_b64 s[18:19], exec, s[0:1]
	s_cbranch_execz .LBB100_192
; %bb.190:                              ;   in Loop: Header=BB100_180 Depth=1
	v_mad_u64_u32 v[31:32], s[0:1], v6, s27, 0
	v_cmp_lt_u32_e32 vcc, 63, v30
	v_cndmask_b32_e32 v7, 0, v25, vcc
	v_mov_b32_e32 v13, v32
	v_mad_u64_u32 v[32:33], s[0:1], v6, s28, v[13:14]
	v_add_u32_e32 v7, v7, v30
	v_mov_b32_e32 v13, v33
	v_mad_u64_u32 v[33:34], s[0:1], v6, s29, v[13:14]
	v_mov_b32_e32 v13, v34
	v_mad_u64_u32 v[34:35], s[0:1], v6, s30, v[13:14]
	v_cndmask_b32_e32 v31, v33, v31, vcc
	v_mov_b32_e32 v13, v35
	v_mad_u64_u32 v[35:36], s[0:1], v6, s31, v[13:14]
	v_cmp_lt_u32_e64 s[0:1], 31, v7
	v_cndmask_b32_e64 v13, 0, v26, s[0:1]
	v_add_u32_e32 v7, v13, v7
	v_mov_b32_e32 v13, v36
	v_mad_u64_u32 v[36:37], s[2:3], v6, s33, v[13:14]
	v_cmp_lt_u32_e64 s[2:3], 31, v7
	v_cndmask_b32_e64 v13, 0, v26, s[2:3]
	v_add_u32_e32 v7, v13, v7
	v_mov_b32_e32 v13, v37
	v_mad_u64_u32 v[37:38], s[4:5], v6, s34, v[13:14]
	v_cndmask_b32_e32 v13, v35, v33, vcc
	v_cndmask_b32_e32 v29, v36, v34, vcc
	;; [unrolled: 1-line block ×4, first 2 shown]
	v_cndmask_b32_e64 v39, v29, v13, s[0:1]
	v_cndmask_b32_e64 v29, v35, v29, s[0:1]
	;; [unrolled: 1-line block ×3, first 2 shown]
	v_cndmask_b32_e32 v32, v34, v32, vcc
	v_cndmask_b32_e64 v35, v35, v29, s[2:3]
	v_cndmask_b32_e64 v29, v29, v39, s[2:3]
	v_sub_u32_e32 v36, 32, v7
	v_cndmask_b32_e64 v13, v13, v32, s[0:1]
	v_alignbit_b32 v37, v35, v29, v36
	v_cmp_eq_u32_e64 s[4:5], 0, v7
	v_cndmask_b32_e64 v34, v39, v13, s[2:3]
	v_cndmask_b32_e64 v7, v37, v35, s[4:5]
	v_alignbit_b32 v35, v29, v34, v36
	v_cndmask_b32_e64 v29, v35, v29, s[4:5]
	v_bfe_u32 v38, v7, 29, 1
	v_cndmask_b32_e64 v31, v32, v31, s[0:1]
	v_alignbit_b32 v35, v7, v29, 30
	v_sub_u32_e32 v39, 0, v38
	v_cndmask_b32_e64 v13, v13, v31, s[2:3]
	v_xor_b32_e32 v35, v35, v39
	v_alignbit_b32 v31, v34, v13, v36
	v_cndmask_b32_e64 v31, v31, v34, s[4:5]
	v_ffbh_u32_e32 v32, v35
	v_alignbit_b32 v29, v29, v31, 30
	v_min_u32_e32 v32, 32, v32
	v_alignbit_b32 v13, v31, v13, 30
	v_xor_b32_e32 v29, v29, v39
	v_sub_u32_e32 v33, 31, v32
	v_xor_b32_e32 v13, v13, v39
	v_alignbit_b32 v34, v35, v29, v33
	v_alignbit_b32 v13, v29, v13, v33
	;; [unrolled: 1-line block ×3, first 2 shown]
	v_ffbh_u32_e32 v31, v29
	v_min_u32_e32 v31, 32, v31
	v_lshrrev_b32_e32 v37, 29, v7
	v_not_b32_e32 v33, v31
	v_alignbit_b32 v13, v29, v13, v33
	v_lshlrev_b32_e32 v29, 31, v37
	v_or_b32_e32 v33, 0x33000000, v29
	v_add_lshl_u32 v31, v31, v32, 23
	v_lshrrev_b32_e32 v13, 9, v13
	v_sub_u32_e32 v31, v33, v31
	v_or_b32_e32 v29, 0.5, v29
	v_lshlrev_b32_e32 v32, 23, v32
	v_or_b32_e32 v13, v31, v13
	v_lshrrev_b32_e32 v31, 9, v34
	v_sub_u32_e32 v29, v29, v32
	v_or_b32_e32 v29, v31, v29
	v_mul_f32_e32 v31, 0x3fc90fda, v29
	v_fma_f32 v32, v29, s35, -v31
	v_fmac_f32_e32 v32, 0x33a22168, v29
	v_fmac_f32_e32 v32, 0x3fc90fda, v13
	v_lshrrev_b32_e32 v7, 30, v7
	v_add_f32_e32 v29, v31, v32
	v_add_u32_e32 v7, v38, v7
	s_andn2_saveexec_b64 s[0:1], s[18:19]
	s_branch .LBB100_193
.LBB100_191:                            ;   in Loop: Header=BB100_180 Depth=1
	s_or_b64 exec, exec, s[14:15]
	s_andn2_saveexec_b64 s[0:1], s[12:13]
	s_cbranch_execnz .LBB100_200
	s_branch .LBB100_201
.LBB100_192:                            ;   in Loop: Header=BB100_180 Depth=1
	s_andn2_saveexec_b64 s[0:1], s[18:19]
.LBB100_193:                            ;   in Loop: Header=BB100_180 Depth=1
	v_mul_f32_e64 v7, |v9|, s36
	v_rndne_f32_e32 v13, v7
	v_cvt_i32_f32_e32 v7, v13
	v_fma_f32 v29, v13, s37, |v9|
	v_fmac_f32_e32 v29, 0xb3a22168, v13
	v_fmac_f32_e32 v29, 0xa7c234c4, v13
; %bb.194:                              ;   in Loop: Header=BB100_180 Depth=1
	s_or_b64 exec, exec, s[0:1]
                                        ; implicit-def: $vgpr13
                                        ; implicit-def: $vgpr31
	s_and_saveexec_b64 s[0:1], s[16:17]
	s_xor_b64 s[16:17], exec, s[0:1]
	s_cbranch_execz .LBB100_196
; %bb.195:                              ;   in Loop: Header=BB100_180 Depth=1
	v_mad_u64_u32 v[31:32], s[0:1], v6, s27, 0
	v_cmp_lt_u32_e32 vcc, 63, v30
	v_mov_b32_e32 v13, v32
	v_mad_u64_u32 v[32:33], s[0:1], v6, s28, v[13:14]
	v_mov_b32_e32 v13, v33
	v_mad_u64_u32 v[33:34], s[0:1], v6, s29, v[13:14]
	v_mov_b32_e32 v13, v34
	v_mad_u64_u32 v[34:35], s[0:1], v6, s30, v[13:14]
	v_cndmask_b32_e32 v13, 0, v25, vcc
	v_add_u32_e32 v30, v13, v30
	v_mov_b32_e32 v13, v35
	v_mad_u64_u32 v[35:36], s[0:1], v6, s31, v[13:14]
	v_cmp_lt_u32_e64 s[0:1], 31, v30
	v_cndmask_b32_e64 v13, 0, v26, s[0:1]
	v_add_u32_e32 v30, v13, v30
	v_mov_b32_e32 v13, v36
	v_mad_u64_u32 v[36:37], s[2:3], v6, s33, v[13:14]
	v_cmp_lt_u32_e64 s[2:3], 31, v30
	v_cndmask_b32_e64 v13, 0, v26, s[2:3]
	v_add_u32_e32 v30, v13, v30
	v_mov_b32_e32 v13, v37
	v_mad_u64_u32 v[37:38], s[4:5], v6, s34, v[13:14]
	v_cndmask_b32_e32 v6, v35, v33, vcc
	v_cndmask_b32_e32 v13, v36, v34, vcc
	;; [unrolled: 1-line block ×4, first 2 shown]
	v_cndmask_b32_e64 v39, v13, v6, s[0:1]
	v_cndmask_b32_e64 v13, v35, v13, s[0:1]
	;; [unrolled: 1-line block ×3, first 2 shown]
	v_cndmask_b32_e32 v32, v34, v32, vcc
	v_cndmask_b32_e64 v35, v35, v13, s[2:3]
	v_cndmask_b32_e64 v13, v13, v39, s[2:3]
	v_sub_u32_e32 v36, 32, v30
	v_cndmask_b32_e64 v6, v6, v32, s[0:1]
	v_alignbit_b32 v37, v35, v13, v36
	v_cmp_eq_u32_e64 s[4:5], 0, v30
	v_cndmask_b32_e64 v34, v39, v6, s[2:3]
	v_cndmask_b32_e64 v30, v37, v35, s[4:5]
	v_alignbit_b32 v35, v13, v34, v36
	v_cndmask_b32_e32 v31, v33, v31, vcc
	v_cndmask_b32_e64 v13, v35, v13, s[4:5]
	v_bfe_u32 v38, v30, 29, 1
	v_cndmask_b32_e64 v31, v32, v31, s[0:1]
	v_alignbit_b32 v35, v30, v13, 30
	v_sub_u32_e32 v39, 0, v38
	v_cndmask_b32_e64 v6, v6, v31, s[2:3]
	v_xor_b32_e32 v35, v35, v39
	v_alignbit_b32 v31, v34, v6, v36
	v_cndmask_b32_e64 v31, v31, v34, s[4:5]
	v_ffbh_u32_e32 v32, v35
	v_alignbit_b32 v13, v13, v31, 30
	v_min_u32_e32 v32, 32, v32
	v_alignbit_b32 v6, v31, v6, 30
	v_xor_b32_e32 v13, v13, v39
	v_sub_u32_e32 v33, 31, v32
	v_xor_b32_e32 v6, v6, v39
	v_alignbit_b32 v34, v35, v13, v33
	v_alignbit_b32 v6, v13, v6, v33
	;; [unrolled: 1-line block ×3, first 2 shown]
	v_ffbh_u32_e32 v31, v13
	v_min_u32_e32 v31, 32, v31
	v_lshrrev_b32_e32 v37, 29, v30
	v_not_b32_e32 v33, v31
	v_alignbit_b32 v6, v13, v6, v33
	v_lshlrev_b32_e32 v13, 31, v37
	v_or_b32_e32 v33, 0x33000000, v13
	v_add_lshl_u32 v31, v31, v32, 23
	v_lshrrev_b32_e32 v6, 9, v6
	v_sub_u32_e32 v31, v33, v31
	v_or_b32_e32 v13, 0.5, v13
	v_lshlrev_b32_e32 v32, 23, v32
	v_or_b32_e32 v6, v31, v6
	v_lshrrev_b32_e32 v31, 9, v34
	v_sub_u32_e32 v13, v13, v32
	v_or_b32_e32 v13, v31, v13
	v_mul_f32_e32 v31, 0x3fc90fda, v13
	v_fma_f32 v32, v13, s35, -v31
	v_fmac_f32_e32 v32, 0x33a22168, v13
	v_fmac_f32_e32 v32, 0x3fc90fda, v6
	v_lshrrev_b32_e32 v6, 30, v30
	v_add_f32_e32 v31, v31, v32
	v_add_u32_e32 v13, v38, v6
	s_andn2_saveexec_b64 s[0:1], s[16:17]
	s_cbranch_execnz .LBB100_197
	s_branch .LBB100_198
.LBB100_196:                            ;   in Loop: Header=BB100_180 Depth=1
	s_andn2_saveexec_b64 s[0:1], s[16:17]
.LBB100_197:                            ;   in Loop: Header=BB100_180 Depth=1
	v_mul_f32_e64 v6, |v9|, s36
	v_rndne_f32_e32 v6, v6
	v_cvt_i32_f32_e32 v13, v6
	v_fma_f32 v31, v6, s37, |v9|
	v_fmac_f32_e32 v31, 0xb3a22168, v6
	v_fmac_f32_e32 v31, 0xa7c234c4, v6
.LBB100_198:                            ;   in Loop: Header=BB100_180 Depth=1
	s_or_b64 exec, exec, s[0:1]
	v_mul_f32_e32 v6, v29, v29
	v_mov_b32_e32 v30, 0x3c0881c4
	v_fmac_f32_e32 v30, 0xb94c1982, v6
	v_fma_f32 v30, v6, v30, v22
	v_mul_f32_e32 v30, v6, v30
	v_fmac_f32_e32 v29, v29, v30
	v_mov_b32_e32 v30, 0xbab64f3b
	v_fmac_f32_e32 v30, 0x37d75334, v6
	v_fma_f32 v30, v6, v30, v23
	v_fma_f32 v30, v6, v30, v24
	v_fma_f32 v6, v6, v30, 1.0
	v_and_b32_e32 v30, 1, v7
	v_lshlrev_b32_e32 v7, 30, v7
	v_and_b32_e32 v7, 0x80000000, v7
	v_cmp_eq_u32_e32 vcc, 0, v30
	v_xor_b32_e32 v7, v8, v7
	v_mul_f32_e64 v8, |v10|, s42
	v_cndmask_b32_e32 v6, v6, v29, vcc
	v_rndne_f32_e32 v29, v8
	v_sub_f32_e32 v30, v8, v29
	v_fma_f32 v8, |v10|, s42, -v8
	v_fma_f32 v8, |v10|, s43, v8
	v_add_f32_e32 v8, v30, v8
	v_exp_f32_e32 v8, v8
	v_cvt_i32_f32_e32 v29, v29
	v_xor_b32_e32 v6, v7, v6
	v_mov_b32_e32 v30, 0x3c0881c4
	v_cmp_ngt_f32_e64 vcc, |v10|, s44
	v_ldexp_f32 v7, v8, v29
	v_mul_f32_e32 v29, v31, v31
	v_fmac_f32_e32 v30, 0xb94c1982, v29
	v_fma_f32 v30, v29, v30, v22
	v_mul_f32_e32 v30, v29, v30
	v_fmac_f32_e32 v31, v31, v30
	v_mov_b32_e32 v30, 0xbab64f3b
	v_fmac_f32_e32 v30, 0x37d75334, v29
	v_fma_f32 v30, v29, v30, v23
	v_fma_f32 v30, v29, v30, v24
	v_cndmask_b32_e32 v7, 0, v7, vcc
	v_cmp_nlt_f32_e64 vcc, |v10|, s45
	v_fma_f32 v29, v29, v30, 1.0
	v_and_b32_e32 v30, 1, v13
	v_cndmask_b32_e32 v8, v27, v7, vcc
	v_cmp_eq_u32_e32 vcc, 0, v30
	v_lshlrev_b32_e32 v13, 30, v13
	v_xor_b32_e32 v6, v6, v9
	v_cndmask_b32_e64 v29, -v31, v29, vcc
	v_and_b32_e32 v13, 0x80000000, v13
	v_mul_f32_e32 v6, 4.0, v6
	v_xor_b32_e32 v13, v13, v29
	v_mul_f32_e32 v6, v6, v13
	v_xor_b32_e32 v7, 0x80000000, v10
	v_mul_f32_e32 v6, v8, v6
	v_bfi_b32 v7, s22, 1.0, v7
	v_mul_f32_e32 v6, v8, v6
	s_or_b64 exec, exec, s[14:15]
.LBB100_199:                            ;   in Loop: Header=BB100_180 Depth=1
	s_andn2_saveexec_b64 s[0:1], s[12:13]
.LBB100_200:                            ;   in Loop: Header=BB100_180 Depth=1
	v_sub_f32_e32 v6, v9, v9
	v_mov_b32_e32 v7, v6
.LBB100_201:                            ;   in Loop: Header=BB100_180 Depth=1
	s_or_b64 exec, exec, s[0:1]
.LBB100_202:                            ;   in Loop: Header=BB100_180 Depth=1
	s_andn2_saveexec_b64 s[10:11], s[10:11]
	s_cbranch_execz .LBB100_218
; %bb.203:                              ;   in Loop: Header=BB100_180 Depth=1
	v_xor_b32_e32 v7, 0x80000000, v10
	v_and_b32_e32 v6, 0x7fffff, v7
	v_cmp_ne_u32_e32 vcc, 0, v6
                                        ; implicit-def: $vgpr6
	s_and_saveexec_b64 s[0:1], vcc
	s_xor_b64 s[0:1], exec, s[0:1]
; %bb.204:                              ;   in Loop: Header=BB100_180 Depth=1
	v_mul_f32_e64 v6, v9, -v10
	v_cmp_eq_f32_e32 vcc, 0, v9
	v_cndmask_b32_e32 v6, v6, v9, vcc
; %bb.205:                              ;   in Loop: Header=BB100_180 Depth=1
	s_andn2_saveexec_b64 s[12:13], s[0:1]
	s_cbranch_execz .LBB100_217
; %bb.206:                              ;   in Loop: Header=BB100_180 Depth=1
	v_cmp_neq_f32_e64 s[0:1], |v9|, s23
	s_and_saveexec_b64 s[14:15], s[0:1]
	s_cbranch_execz .LBB100_216
; %bb.207:                              ;   in Loop: Header=BB100_180 Depth=1
	v_and_b32_e32 v6, 0x7fffffff, v9
	v_lshrrev_b32_e32 v8, 23, v6
	v_and_b32_e32 v10, 0x7fffff, v6
	v_cmp_nlt_f32_e64 s[16:17], |v9|, s26
	v_add_u32_e32 v30, 0xffffff88, v8
	v_or_b32_e32 v10, 0x800000, v10
                                        ; implicit-def: $vgpr8
                                        ; implicit-def: $vgpr29
	s_and_saveexec_b64 s[0:1], s[16:17]
	s_xor_b64 s[18:19], exec, s[0:1]
	s_cbranch_execz .LBB100_209
; %bb.208:                              ;   in Loop: Header=BB100_180 Depth=1
	v_mad_u64_u32 v[31:32], s[0:1], v10, s27, 0
	v_cmp_lt_u32_e32 vcc, 63, v30
	v_cndmask_b32_e32 v8, 0, v25, vcc
	v_mov_b32_e32 v13, v32
	v_mad_u64_u32 v[32:33], s[0:1], v10, s28, v[13:14]
	v_add_u32_e32 v8, v8, v30
	v_mov_b32_e32 v13, v33
	v_mad_u64_u32 v[33:34], s[0:1], v10, s29, v[13:14]
	v_mov_b32_e32 v13, v34
	v_mad_u64_u32 v[34:35], s[0:1], v10, s30, v[13:14]
	v_cndmask_b32_e32 v31, v33, v31, vcc
	v_mov_b32_e32 v13, v35
	v_mad_u64_u32 v[35:36], s[0:1], v10, s31, v[13:14]
	v_cmp_lt_u32_e64 s[0:1], 31, v8
	v_cndmask_b32_e64 v13, 0, v26, s[0:1]
	v_add_u32_e32 v8, v13, v8
	v_mov_b32_e32 v13, v36
	v_mad_u64_u32 v[36:37], s[2:3], v10, s33, v[13:14]
	v_cmp_lt_u32_e64 s[2:3], 31, v8
	v_cndmask_b32_e64 v13, 0, v26, s[2:3]
	v_add_u32_e32 v8, v13, v8
	v_mov_b32_e32 v13, v37
	v_mad_u64_u32 v[37:38], s[4:5], v10, s34, v[13:14]
	v_cndmask_b32_e32 v13, v35, v33, vcc
	v_cndmask_b32_e32 v29, v36, v34, vcc
	;; [unrolled: 1-line block ×4, first 2 shown]
	v_cndmask_b32_e64 v39, v29, v13, s[0:1]
	v_cndmask_b32_e64 v29, v35, v29, s[0:1]
	;; [unrolled: 1-line block ×3, first 2 shown]
	v_cndmask_b32_e32 v32, v34, v32, vcc
	v_cndmask_b32_e64 v35, v35, v29, s[2:3]
	v_cndmask_b32_e64 v29, v29, v39, s[2:3]
	v_sub_u32_e32 v36, 32, v8
	v_cndmask_b32_e64 v13, v13, v32, s[0:1]
	v_alignbit_b32 v37, v35, v29, v36
	v_cmp_eq_u32_e64 s[4:5], 0, v8
	v_cndmask_b32_e64 v34, v39, v13, s[2:3]
	v_cndmask_b32_e64 v8, v37, v35, s[4:5]
	v_alignbit_b32 v35, v29, v34, v36
	v_cndmask_b32_e64 v29, v35, v29, s[4:5]
	v_bfe_u32 v38, v8, 29, 1
	v_cndmask_b32_e64 v31, v32, v31, s[0:1]
	v_alignbit_b32 v35, v8, v29, 30
	v_sub_u32_e32 v39, 0, v38
	v_cndmask_b32_e64 v13, v13, v31, s[2:3]
	v_xor_b32_e32 v35, v35, v39
	v_alignbit_b32 v31, v34, v13, v36
	v_cndmask_b32_e64 v31, v31, v34, s[4:5]
	v_ffbh_u32_e32 v32, v35
	v_alignbit_b32 v29, v29, v31, 30
	v_min_u32_e32 v32, 32, v32
	v_alignbit_b32 v13, v31, v13, 30
	v_xor_b32_e32 v29, v29, v39
	v_sub_u32_e32 v33, 31, v32
	v_xor_b32_e32 v13, v13, v39
	v_alignbit_b32 v34, v35, v29, v33
	v_alignbit_b32 v13, v29, v13, v33
	;; [unrolled: 1-line block ×3, first 2 shown]
	v_ffbh_u32_e32 v31, v29
	v_min_u32_e32 v31, 32, v31
	v_lshrrev_b32_e32 v37, 29, v8
	v_not_b32_e32 v33, v31
	v_alignbit_b32 v13, v29, v13, v33
	v_lshlrev_b32_e32 v29, 31, v37
	v_or_b32_e32 v33, 0x33000000, v29
	v_add_lshl_u32 v31, v31, v32, 23
	v_lshrrev_b32_e32 v13, 9, v13
	v_sub_u32_e32 v31, v33, v31
	v_or_b32_e32 v29, 0.5, v29
	v_lshlrev_b32_e32 v32, 23, v32
	v_or_b32_e32 v13, v31, v13
	v_lshrrev_b32_e32 v31, 9, v34
	v_sub_u32_e32 v29, v29, v32
	v_or_b32_e32 v29, v31, v29
	v_mul_f32_e32 v31, 0x3fc90fda, v29
	v_fma_f32 v32, v29, s35, -v31
	v_fmac_f32_e32 v32, 0x33a22168, v29
	v_fmac_f32_e32 v32, 0x3fc90fda, v13
	v_lshrrev_b32_e32 v8, 30, v8
	v_add_f32_e32 v29, v31, v32
	v_add_u32_e32 v8, v38, v8
.LBB100_209:                            ;   in Loop: Header=BB100_180 Depth=1
	s_or_saveexec_b64 s[0:1], s[18:19]
	v_mul_f32_e64 v13, |v9|, s36
	v_rndne_f32_e32 v32, v13
	s_xor_b64 exec, exec, s[0:1]
; %bb.210:                              ;   in Loop: Header=BB100_180 Depth=1
	v_cvt_i32_f32_e32 v8, v32
	v_fma_f32 v29, v32, s37, |v9|
	v_fmac_f32_e32 v29, 0xb3a22168, v32
	v_fmac_f32_e32 v29, 0xa7c234c4, v32
; %bb.211:                              ;   in Loop: Header=BB100_180 Depth=1
	s_or_b64 exec, exec, s[0:1]
                                        ; implicit-def: $vgpr13
                                        ; implicit-def: $vgpr31
	s_and_saveexec_b64 s[0:1], s[16:17]
	s_xor_b64 s[16:17], exec, s[0:1]
	s_cbranch_execz .LBB100_213
; %bb.212:                              ;   in Loop: Header=BB100_180 Depth=1
	v_mad_u64_u32 v[31:32], s[0:1], v10, s27, 0
	v_cmp_lt_u32_e32 vcc, 63, v30
	v_mov_b32_e32 v13, v32
	v_mad_u64_u32 v[32:33], s[0:1], v10, s28, v[13:14]
	v_mov_b32_e32 v13, v33
	v_mad_u64_u32 v[33:34], s[0:1], v10, s29, v[13:14]
	;; [unrolled: 2-line block ×3, first 2 shown]
	v_cndmask_b32_e32 v13, 0, v25, vcc
	v_add_u32_e32 v30, v13, v30
	v_mov_b32_e32 v13, v35
	v_mad_u64_u32 v[35:36], s[0:1], v10, s31, v[13:14]
	v_cmp_lt_u32_e64 s[0:1], 31, v30
	v_cndmask_b32_e64 v13, 0, v26, s[0:1]
	v_add_u32_e32 v30, v13, v30
	v_mov_b32_e32 v13, v36
	v_mad_u64_u32 v[36:37], s[2:3], v10, s33, v[13:14]
	v_cmp_lt_u32_e64 s[2:3], 31, v30
	v_cndmask_b32_e64 v13, 0, v26, s[2:3]
	v_add_u32_e32 v30, v13, v30
	v_mov_b32_e32 v13, v37
	v_mad_u64_u32 v[37:38], s[4:5], v10, s34, v[13:14]
	v_cndmask_b32_e32 v10, v35, v33, vcc
	v_cndmask_b32_e32 v13, v36, v34, vcc
	;; [unrolled: 1-line block ×4, first 2 shown]
	v_cndmask_b32_e64 v39, v13, v10, s[0:1]
	v_cndmask_b32_e64 v13, v35, v13, s[0:1]
	;; [unrolled: 1-line block ×3, first 2 shown]
	v_cndmask_b32_e32 v32, v34, v32, vcc
	v_cndmask_b32_e64 v35, v35, v13, s[2:3]
	v_cndmask_b32_e64 v13, v13, v39, s[2:3]
	v_sub_u32_e32 v36, 32, v30
	v_cndmask_b32_e64 v10, v10, v32, s[0:1]
	v_alignbit_b32 v37, v35, v13, v36
	v_cmp_eq_u32_e64 s[4:5], 0, v30
	v_cndmask_b32_e64 v34, v39, v10, s[2:3]
	v_cndmask_b32_e64 v30, v37, v35, s[4:5]
	v_alignbit_b32 v35, v13, v34, v36
	v_cndmask_b32_e32 v31, v33, v31, vcc
	v_cndmask_b32_e64 v13, v35, v13, s[4:5]
	v_bfe_u32 v38, v30, 29, 1
	v_cndmask_b32_e64 v31, v32, v31, s[0:1]
	v_alignbit_b32 v35, v30, v13, 30
	v_sub_u32_e32 v39, 0, v38
	v_cndmask_b32_e64 v10, v10, v31, s[2:3]
	v_xor_b32_e32 v35, v35, v39
	v_alignbit_b32 v31, v34, v10, v36
	v_cndmask_b32_e64 v31, v31, v34, s[4:5]
	v_ffbh_u32_e32 v32, v35
	v_alignbit_b32 v13, v13, v31, 30
	v_min_u32_e32 v32, 32, v32
	v_alignbit_b32 v10, v31, v10, 30
	v_xor_b32_e32 v13, v13, v39
	v_sub_u32_e32 v33, 31, v32
	v_xor_b32_e32 v10, v10, v39
	v_alignbit_b32 v34, v35, v13, v33
	v_alignbit_b32 v10, v13, v10, v33
	;; [unrolled: 1-line block ×3, first 2 shown]
	v_ffbh_u32_e32 v31, v13
	v_min_u32_e32 v31, 32, v31
	v_lshrrev_b32_e32 v37, 29, v30
	v_not_b32_e32 v33, v31
	v_alignbit_b32 v10, v13, v10, v33
	v_lshlrev_b32_e32 v13, 31, v37
	v_or_b32_e32 v33, 0x33000000, v13
	v_add_lshl_u32 v31, v31, v32, 23
	v_lshrrev_b32_e32 v10, 9, v10
	v_sub_u32_e32 v31, v33, v31
	v_or_b32_e32 v13, 0.5, v13
	v_lshlrev_b32_e32 v32, 23, v32
	v_or_b32_e32 v10, v31, v10
	v_lshrrev_b32_e32 v31, 9, v34
	v_sub_u32_e32 v13, v13, v32
	v_or_b32_e32 v13, v31, v13
	v_mul_f32_e32 v31, 0x3fc90fda, v13
	v_fma_f32 v32, v13, s35, -v31
	v_fmac_f32_e32 v32, 0x33a22168, v13
	v_fmac_f32_e32 v32, 0x3fc90fda, v10
	v_lshrrev_b32_e32 v10, 30, v30
	v_add_f32_e32 v31, v31, v32
	v_add_u32_e32 v13, v38, v10
                                        ; implicit-def: $vgpr32
	s_andn2_saveexec_b64 s[0:1], s[16:17]
	s_cbranch_execnz .LBB100_214
	s_branch .LBB100_215
.LBB100_213:                            ;   in Loop: Header=BB100_180 Depth=1
	s_andn2_saveexec_b64 s[0:1], s[16:17]
.LBB100_214:                            ;   in Loop: Header=BB100_180 Depth=1
	v_cvt_i32_f32_e32 v13, v32
	v_fma_f32 v31, v32, s37, |v9|
	v_fmac_f32_e32 v31, 0xb3a22168, v32
	v_fmac_f32_e32 v31, 0xa7c234c4, v32
.LBB100_215:                            ;   in Loop: Header=BB100_180 Depth=1
	s_or_b64 exec, exec, s[0:1]
	v_mul_f32_e32 v10, v29, v29
	v_mov_b32_e32 v30, 0x3c0881c4
	v_fmac_f32_e32 v30, 0xb94c1982, v10
	v_fma_f32 v30, v10, v30, v22
	v_mul_f32_e32 v30, v10, v30
	v_fmac_f32_e32 v29, v29, v30
	v_mov_b32_e32 v30, 0xbab64f3b
	v_fmac_f32_e32 v30, 0x37d75334, v10
	v_fma_f32 v30, v10, v30, v23
	v_fma_f32 v30, v10, v30, v24
	v_fma_f32 v10, v10, v30, 1.0
	v_and_b32_e32 v30, 1, v8
	v_lshlrev_b32_e32 v8, 30, v8
	v_cmp_eq_u32_e32 vcc, 0, v30
	v_and_b32_e32 v8, 0x80000000, v8
	v_cndmask_b32_e32 v10, v10, v29, vcc
	v_xor_b32_e32 v6, v6, v8
	v_xor_b32_e32 v6, v6, v10
	v_mul_f32_e32 v8, v31, v31
	v_mov_b32_e32 v10, 0x3c0881c4
	v_fmac_f32_e32 v10, 0xb94c1982, v8
	v_fma_f32 v10, v8, v10, v22
	v_mul_f32_e32 v10, v8, v10
	v_fmac_f32_e32 v31, v31, v10
	v_mov_b32_e32 v10, 0xbab64f3b
	v_fmac_f32_e32 v10, 0x37d75334, v8
	v_fma_f32 v10, v8, v10, v23
	v_fma_f32 v10, v8, v10, v24
	v_fma_f32 v8, v8, v10, 1.0
	v_and_b32_e32 v10, 1, v13
	v_cmp_eq_u32_e32 vcc, 0, v10
	v_lshlrev_b32_e32 v10, 30, v13
	v_cndmask_b32_e64 v8, -v31, v8, vcc
	v_and_b32_e32 v10, 0x80000000, v10
	v_xor_b32_e32 v6, v6, v9
	v_xor_b32_e32 v8, v10, v8
	v_mul_f32_e32 v6, v6, v8
	v_cmp_class_f32_e64 vcc, v9, s24
	v_cndmask_b32_e32 v9, v28, v6, vcc
.LBB100_216:                            ;   in Loop: Header=BB100_180 Depth=1
	s_or_b64 exec, exec, s[14:15]
	v_add_u32_e32 v7, -2.0, v7
	v_bfi_b32 v6, s22, 0, v9
.LBB100_217:                            ;   in Loop: Header=BB100_180 Depth=1
	s_or_b64 exec, exec, s[12:13]
.LBB100_218:                            ;   in Loop: Header=BB100_180 Depth=1
	s_or_b64 exec, exec, s[10:11]
	v_and_b32_e32 v8, 0x7fffffff, v12
	v_cmp_gt_u32_e32 vcc, s23, v8
                                        ; implicit-def: $vgpr29
	s_and_saveexec_b64 s[0:1], vcc
	s_xor_b64 s[10:11], exec, s[0:1]
	s_cbranch_execz .LBB100_240
; %bb.219:                              ;   in Loop: Header=BB100_180 Depth=1
	v_cmp_class_f32_e64 s[0:1], v11, s24
                                        ; implicit-def: $vgpr29
	s_and_saveexec_b64 s[2:3], s[0:1]
	s_xor_b64 s[12:13], exec, s[2:3]
	s_cbranch_execz .LBB100_237
; %bb.220:                              ;   in Loop: Header=BB100_180 Depth=1
	v_and_b32_e32 v9, 0x7fffffff, v11
	v_cmp_gt_u32_e32 vcc, s25, v8
                                        ; implicit-def: $vgpr29
	s_and_saveexec_b64 s[0:1], vcc
	s_xor_b64 s[14:15], exec, s[0:1]
	s_cbranch_execz .LBB100_226
; %bb.221:                              ;   in Loop: Header=BB100_180 Depth=1
	v_cmp_nlt_f32_e64 s[0:1], |v11|, s26
                                        ; implicit-def: $vgpr10
                                        ; implicit-def: $vgpr8
	s_and_saveexec_b64 s[2:3], s[0:1]
	s_xor_b64 s[16:17], exec, s[2:3]
	s_cbranch_execz .LBB100_223
; %bb.222:                              ;   in Loop: Header=BB100_180 Depth=1
	v_and_b32_e32 v8, 0x7fffff, v9
	v_or_b32_e32 v8, 0x800000, v8
	v_mad_u64_u32 v[29:30], s[0:1], v8, s27, 0
	v_lshrrev_b32_e32 v10, 23, v9
	v_add_u32_e32 v10, 0xffffff88, v10
	v_mov_b32_e32 v13, v30
	v_mad_u64_u32 v[30:31], s[0:1], v8, s28, v[13:14]
	v_cmp_lt_u32_e32 vcc, 63, v10
	v_mov_b32_e32 v13, v31
	v_mad_u64_u32 v[31:32], s[0:1], v8, s29, v[13:14]
	v_mov_b32_e32 v13, v32
	v_mad_u64_u32 v[32:33], s[0:1], v8, s30, v[13:14]
	v_cndmask_b32_e32 v29, v31, v29, vcc
	v_mov_b32_e32 v13, v33
	v_mad_u64_u32 v[33:34], s[0:1], v8, s31, v[13:14]
	v_cndmask_b32_e32 v13, 0, v25, vcc
	v_add_u32_e32 v10, v13, v10
	v_mov_b32_e32 v13, v34
	v_mad_u64_u32 v[34:35], s[0:1], v8, s33, v[13:14]
	v_cmp_lt_u32_e64 s[0:1], 31, v10
	v_cndmask_b32_e64 v13, 0, v26, s[0:1]
	v_add_u32_e32 v10, v13, v10
	v_mov_b32_e32 v13, v35
	v_mad_u64_u32 v[35:36], s[2:3], v8, s34, v[13:14]
	v_cmp_lt_u32_e64 s[2:3], 31, v10
	v_cndmask_b32_e64 v8, 0, v26, s[2:3]
	v_add_u32_e32 v8, v8, v10
	v_cndmask_b32_e32 v10, v34, v32, vcc
	v_cndmask_b32_e32 v13, v35, v33, vcc
	;; [unrolled: 1-line block ×4, first 2 shown]
	v_cndmask_b32_e64 v35, v13, v10, s[0:1]
	v_cndmask_b32_e64 v13, v34, v13, s[0:1]
	;; [unrolled: 1-line block ×5, first 2 shown]
	v_sub_u32_e32 v35, 32, v8
	v_cmp_eq_u32_e64 s[4:5], 0, v8
	v_cndmask_b32_e32 v8, v32, v30, vcc
	v_cndmask_b32_e64 v30, v33, v8, s[0:1]
	v_alignbit_b32 v36, v13, v34, v35
	v_cndmask_b32_e64 v10, v10, v30, s[2:3]
	v_cndmask_b32_e64 v13, v36, v13, s[4:5]
	v_alignbit_b32 v32, v34, v10, v35
	v_cndmask_b32_e64 v32, v32, v34, s[4:5]
	v_bfe_u32 v36, v13, 29, 1
	v_cndmask_b32_e64 v8, v8, v29, s[0:1]
	v_alignbit_b32 v33, v13, v32, 30
	v_sub_u32_e32 v37, 0, v36
	v_cndmask_b32_e64 v8, v30, v8, s[2:3]
	v_xor_b32_e32 v33, v33, v37
	v_alignbit_b32 v29, v10, v8, v35
	v_cndmask_b32_e64 v10, v29, v10, s[4:5]
	v_ffbh_u32_e32 v30, v33
	v_alignbit_b32 v29, v32, v10, 30
	v_min_u32_e32 v30, 32, v30
	v_alignbit_b32 v8, v10, v8, 30
	v_xor_b32_e32 v29, v29, v37
	v_sub_u32_e32 v31, 31, v30
	v_xor_b32_e32 v8, v8, v37
	v_alignbit_b32 v32, v33, v29, v31
	v_alignbit_b32 v8, v29, v8, v31
	;; [unrolled: 1-line block ×3, first 2 shown]
	v_ffbh_u32_e32 v29, v10
	v_min_u32_e32 v29, 32, v29
	v_lshrrev_b32_e32 v34, 29, v13
	v_not_b32_e32 v31, v29
	v_alignbit_b32 v8, v10, v8, v31
	v_lshlrev_b32_e32 v10, 31, v34
	v_or_b32_e32 v31, 0x33000000, v10
	v_add_lshl_u32 v29, v29, v30, 23
	v_lshrrev_b32_e32 v8, 9, v8
	v_sub_u32_e32 v29, v31, v29
	v_or_b32_e32 v10, 0.5, v10
	v_lshlrev_b32_e32 v30, 23, v30
	v_or_b32_e32 v8, v29, v8
	v_lshrrev_b32_e32 v29, 9, v32
	v_sub_u32_e32 v10, v10, v30
	v_or_b32_e32 v10, v29, v10
	v_mul_f32_e32 v29, 0x3fc90fda, v10
	v_fma_f32 v30, v10, s35, -v29
	v_fmac_f32_e32 v30, 0x33a22168, v10
	v_fmac_f32_e32 v30, 0x3fc90fda, v8
	v_lshrrev_b32_e32 v10, 30, v13
	v_add_f32_e32 v8, v29, v30
	v_add_u32_e32 v10, v36, v10
.LBB100_223:                            ;   in Loop: Header=BB100_180 Depth=1
	s_andn2_saveexec_b64 s[0:1], s[16:17]
; %bb.224:                              ;   in Loop: Header=BB100_180 Depth=1
	v_mul_f32_e64 v8, |v11|, s36
	v_rndne_f32_e32 v13, v8
	v_cvt_i32_f32_e32 v10, v13
	v_fma_f32 v8, v13, s37, |v11|
	v_fmac_f32_e32 v8, 0xb3a22168, v13
	v_fmac_f32_e32 v8, 0xa7c234c4, v13
; %bb.225:                              ;   in Loop: Header=BB100_180 Depth=1
	s_or_b64 exec, exec, s[0:1]
	v_mul_f32_e32 v13, v8, v8
	v_mov_b32_e32 v29, 0xbf039337
	v_fmac_f32_e32 v29, 0x3c971480, v13
	v_fma_f32 v29, v13, v29, v17
	v_rcp_f32_e32 v29, v29
	v_mov_b32_e32 v30, 0x3ec54587
	v_fmac_f32_e32 v30, 0xbc8cedd3, v13
	v_and_b32_e32 v10, 1, v10
	v_mul_f32_e32 v29, v30, v29
	v_mul_f32_e32 v13, v13, v29
	v_fma_f32 v29, v13, v8, v8
	v_rcp_f32_e32 v30, v29
	v_sub_f32_e32 v31, v29, v8
	v_fma_f32 v8, v13, v8, -v31
	v_cmp_eq_u32_e32 vcc, 0, v10
	v_fma_f32 v13, v29, -v30, 1.0
	v_fma_f32 v8, v8, -v30, v13
	v_add_f32_e64 v10, |v12|, s38
	v_fma_f32 v8, v8, -v30, -v30
	v_sub_f32_e64 v13, v10, |v12|
	v_cndmask_b32_e32 v8, v8, v29, vcc
	v_sub_f32_e32 v29, v13, v10
	v_add_f32_e64 v29, |v12|, v29
	v_add_f32_e32 v13, 0x3f317218, v13
	v_sub_f32_e32 v13, v29, v13
	v_add_f32_e32 v13, 0x3102e308, v13
	v_add_f32_e32 v29, v10, v13
	v_sub_f32_e32 v10, v10, v29
	v_add_f32_e32 v10, v13, v10
	v_mul_f32_e32 v13, 0x3fb8aa3b, v29
	v_rndne_f32_e32 v13, v13
	v_fmac_f32_e32 v29, 0xbf317200, v13
	v_add_f32_e32 v30, v10, v29
	v_sub_f32_e32 v29, v29, v30
	v_add_f32_e32 v10, v10, v29
	v_mul_f32_e32 v29, 0x35bfbc00, v13
	v_sub_f32_e32 v31, v30, v29
	v_sub_f32_e32 v30, v30, v31
	;; [unrolled: 1-line block ×3, first 2 shown]
	v_add_f32_e32 v10, v10, v29
	v_add_f32_e32 v29, v31, v10
	v_sub_f32_e32 v30, v31, v29
	v_add_f32_e32 v10, v10, v30
	v_mul_f32_e32 v30, 0x2ea39ef3, v13
	v_sub_f32_e32 v31, v29, v30
	v_sub_f32_e32 v29, v29, v31
	;; [unrolled: 1-line block ×3, first 2 shown]
	v_add_f32_e32 v10, v10, v29
	v_add_f32_e32 v29, v31, v10
	v_sub_f32_e32 v31, v31, v29
	v_mov_b32_e32 v30, 0x3c091de6
	v_add_f32_e32 v10, v10, v31
	v_mul_f32_e32 v32, v29, v29
	v_fmac_f32_e32 v30, 0x3ab42872, v29
	v_add_f32_e32 v31, v10, v10
	v_fma_f32 v33, v29, v29, -v32
	v_fma_f32 v30, v29, v30, v18
	v_fmac_f32_e32 v33, v29, v31
	v_fma_f32 v30, v29, v30, v19
	v_add_f32_e32 v31, v32, v33
	v_fma_f32 v30, v29, v30, v20
	v_sub_f32_e32 v32, v31, v32
	v_sub_f32_e32 v32, v33, v32
	v_mul_f32_e32 v33, v30, v31
	v_fma_f32 v31, v31, v30, -v33
	v_fmac_f32_e32 v31, v32, v30
	v_add_f32_e32 v30, v33, v31
	v_sub_f32_e32 v32, v30, v33
	v_sub_f32_e32 v31, v31, v32
	v_add_f32_e32 v32, v29, v30
	v_sub_f32_e32 v29, v32, v29
	v_sub_f32_e32 v29, v30, v29
	v_add_f32_e32 v10, v10, v31
	v_add_f32_e32 v10, v10, v29
	;; [unrolled: 1-line block ×3, first 2 shown]
	v_sub_f32_e32 v30, v29, v32
	v_sub_f32_e32 v10, v10, v30
	v_add_f32_e32 v30, 1.0, v29
	v_add_f32_e32 v31, -1.0, v30
	v_cvt_i32_f32_e32 v13, v13
	v_sub_f32_e32 v29, v29, v31
	v_add_f32_e32 v10, v10, v29
	v_add_f32_e32 v29, v30, v10
	v_ldexp_f32 v31, v29, v13
	v_rcp_f32_e32 v32, v31
	v_sub_f32_e32 v29, v29, v30
	v_sub_f32_e32 v10, v10, v29
	v_ldexp_f32 v10, v10, v13
	v_mul_f32_e32 v13, v31, v32
	v_fma_f32 v29, v32, v31, -v13
	v_fmac_f32_e32 v29, v32, v10
	v_add_f32_e32 v30, v13, v29
	v_sub_f32_e32 v33, 1.0, v30
	v_sub_f32_e32 v34, 1.0, v33
	v_sub_f32_e32 v13, v30, v13
	v_sub_f32_e32 v34, v34, v30
	;; [unrolled: 1-line block ×3, first 2 shown]
	v_add_f32_e32 v13, v13, v34
	v_add_f32_e32 v29, v33, v13
	v_mul_f32_e32 v30, v32, v29
	v_mul_f32_e32 v34, v31, v30
	v_fma_f32 v35, v30, v31, -v34
	v_fmac_f32_e32 v35, v30, v10
	v_sub_f32_e32 v33, v33, v29
	v_add_f32_e32 v13, v13, v33
	v_add_f32_e32 v33, v34, v35
	v_sub_f32_e32 v36, v29, v33
	v_sub_f32_e32 v29, v29, v36
	;; [unrolled: 1-line block ×4, first 2 shown]
	v_add_f32_e32 v13, v13, v29
	v_sub_f32_e32 v29, v34, v35
	v_add_f32_e32 v13, v29, v13
	v_add_f32_e32 v13, v36, v13
	;; [unrolled: 1-line block ×3, first 2 shown]
	v_mul_f32_e32 v13, v32, v13
	v_sub_f32_e32 v32, v29, v32
	v_sub_f32_e32 v30, v30, v32
	v_add_f32_e32 v13, v30, v13
	v_add_f32_e32 v30, v29, v13
	v_sub_f32_e32 v29, v30, v29
	v_sub_f32_e32 v13, v13, v29
	v_ldexp_f32 v29, v30, -2
	v_sub_f32_e32 v30, v31, v29
	v_sub_f32_e32 v31, v31, v30
	;; [unrolled: 1-line block ×3, first 2 shown]
	v_ldexp_f32 v13, v13, -2
	v_add_f32_e32 v10, v10, v29
	v_sub_f32_e32 v10, v10, v13
	v_add_f32_e32 v10, v30, v10
	v_cmp_ngt_f32_e64 vcc, |v12|, s39
	v_cndmask_b32_e32 v10, v27, v10, vcc
	v_cmp_lt_f32_e64 s[0:1], |v12|, s40
	v_cndmask_b32_e64 v10, v10, |v12|, s[0:1]
	v_xor_b32_e32 v12, 0x80000000, v12
	v_bfi_b32 v10, s22, v10, v12
	v_fma_f32 v12, v10, v10, 1.0
	v_mul_f32_e32 v13, 0x4f800000, v12
	v_cmp_gt_f32_e32 vcc, s41, v12
	v_cndmask_b32_e32 v12, v12, v13, vcc
	v_sqrt_f32_e32 v13, v12
	v_xor_b32_e32 v8, v9, v8
	v_xor_b32_e32 v8, v8, v11
	v_fma_f32 v9, v8, v8, 1.0
	v_add_u32_e32 v11, -1, v13
	v_fma_f32 v29, -v11, v13, v12
	v_cmp_ge_f32_e64 s[0:1], 0, v29
	v_add_u32_e32 v29, 1, v13
	v_cndmask_b32_e64 v11, v13, v11, s[0:1]
	v_fma_f32 v13, -v29, v13, v12
	v_cmp_lt_f32_e64 s[0:1], 0, v13
	v_cndmask_b32_e64 v11, v11, v29, s[0:1]
	v_mul_f32_e32 v13, 0x37800000, v11
	v_cndmask_b32_e32 v11, v11, v13, vcc
	v_cmp_class_f32_e32 vcc, v12, v21
	v_cndmask_b32_e32 v11, v11, v12, vcc
	v_mul_f32_e32 v12, v10, v9
	v_mul_f32_e32 v9, v11, v9
	v_fma_f32 v12, v10, v12, 1.0
	v_mul_f32_e32 v9, v10, v9
	v_div_scale_f32 v10, s[0:1], v12, v12, v9
	v_div_scale_f32 v11, vcc, v9, v12, v9
	v_div_scale_f32 v13, s[0:1], v12, v12, v8
	v_div_scale_f32 v29, s[0:1], v8, v12, v8
	v_rcp_f32_e32 v30, v10
	v_fma_f32 v31, -v10, v30, 1.0
	v_fmac_f32_e32 v30, v31, v30
	v_mul_f32_e32 v31, v11, v30
	v_fma_f32 v32, -v10, v31, v11
	v_fmac_f32_e32 v31, v32, v30
	v_rcp_f32_e32 v32, v13
	v_fma_f32 v10, -v10, v31, v11
	v_div_fmas_f32 v10, v10, v30, v31
	s_mov_b64 vcc, s[0:1]
	v_fma_f32 v11, -v13, v32, 1.0
	v_fmac_f32_e32 v32, v11, v32
	v_mul_f32_e32 v11, v29, v32
	v_fma_f32 v30, -v13, v11, v29
	v_fmac_f32_e32 v11, v30, v32
	v_fma_f32 v13, -v13, v11, v29
	v_div_fmas_f32 v11, v13, v32, v11
	v_div_fixup_f32 v29, v10, v12, v9
	v_div_fixup_f32 v8, v11, v12, v8
                                        ; implicit-def: $vgpr9_vgpr10_vgpr11_vgpr12
                                        ; implicit-def: $vgpr9
.LBB100_226:                            ;   in Loop: Header=BB100_180 Depth=1
	s_andn2_saveexec_b64 s[14:15], s[14:15]
	s_cbranch_execz .LBB100_236
; %bb.227:                              ;   in Loop: Header=BB100_180 Depth=1
	v_lshrrev_b32_e32 v8, 23, v9
	v_and_b32_e32 v10, 0x7fffff, v9
	v_cmp_nlt_f32_e64 s[16:17], |v11|, s26
	v_add_u32_e32 v30, 0xffffff88, v8
	v_or_b32_e32 v8, 0x800000, v10
                                        ; implicit-def: $vgpr10
                                        ; implicit-def: $vgpr29
	s_and_saveexec_b64 s[0:1], s[16:17]
	s_xor_b64 s[18:19], exec, s[0:1]
	s_cbranch_execz .LBB100_229
; %bb.228:                              ;   in Loop: Header=BB100_180 Depth=1
	v_mad_u64_u32 v[31:32], s[0:1], v8, s27, 0
	v_cmp_lt_u32_e32 vcc, 63, v30
	v_cndmask_b32_e32 v10, 0, v25, vcc
	v_mov_b32_e32 v13, v32
	v_mad_u64_u32 v[32:33], s[0:1], v8, s28, v[13:14]
	v_add_u32_e32 v10, v10, v30
	v_mov_b32_e32 v13, v33
	v_mad_u64_u32 v[33:34], s[0:1], v8, s29, v[13:14]
	v_mov_b32_e32 v13, v34
	v_mad_u64_u32 v[34:35], s[0:1], v8, s30, v[13:14]
	v_cndmask_b32_e32 v31, v33, v31, vcc
	v_mov_b32_e32 v13, v35
	v_mad_u64_u32 v[35:36], s[0:1], v8, s31, v[13:14]
	v_cmp_lt_u32_e64 s[0:1], 31, v10
	v_cndmask_b32_e64 v13, 0, v26, s[0:1]
	v_add_u32_e32 v10, v13, v10
	v_mov_b32_e32 v13, v36
	v_mad_u64_u32 v[36:37], s[2:3], v8, s33, v[13:14]
	v_cmp_lt_u32_e64 s[2:3], 31, v10
	v_cndmask_b32_e64 v13, 0, v26, s[2:3]
	v_add_u32_e32 v10, v13, v10
	v_mov_b32_e32 v13, v37
	v_mad_u64_u32 v[37:38], s[4:5], v8, s34, v[13:14]
	v_cndmask_b32_e32 v13, v35, v33, vcc
	v_cndmask_b32_e32 v29, v36, v34, vcc
	;; [unrolled: 1-line block ×4, first 2 shown]
	v_cndmask_b32_e64 v39, v29, v13, s[0:1]
	v_cndmask_b32_e64 v29, v35, v29, s[0:1]
	;; [unrolled: 1-line block ×3, first 2 shown]
	v_cndmask_b32_e32 v32, v34, v32, vcc
	v_cndmask_b32_e64 v35, v35, v29, s[2:3]
	v_cndmask_b32_e64 v29, v29, v39, s[2:3]
	v_sub_u32_e32 v36, 32, v10
	v_cndmask_b32_e64 v13, v13, v32, s[0:1]
	v_alignbit_b32 v37, v35, v29, v36
	v_cmp_eq_u32_e64 s[4:5], 0, v10
	v_cndmask_b32_e64 v34, v39, v13, s[2:3]
	v_cndmask_b32_e64 v10, v37, v35, s[4:5]
	v_alignbit_b32 v35, v29, v34, v36
	v_cndmask_b32_e64 v29, v35, v29, s[4:5]
	v_bfe_u32 v38, v10, 29, 1
	v_cndmask_b32_e64 v31, v32, v31, s[0:1]
	v_alignbit_b32 v35, v10, v29, 30
	v_sub_u32_e32 v39, 0, v38
	v_cndmask_b32_e64 v13, v13, v31, s[2:3]
	v_xor_b32_e32 v35, v35, v39
	v_alignbit_b32 v31, v34, v13, v36
	v_cndmask_b32_e64 v31, v31, v34, s[4:5]
	v_ffbh_u32_e32 v32, v35
	v_alignbit_b32 v29, v29, v31, 30
	v_min_u32_e32 v32, 32, v32
	v_alignbit_b32 v13, v31, v13, 30
	v_xor_b32_e32 v29, v29, v39
	v_sub_u32_e32 v33, 31, v32
	v_xor_b32_e32 v13, v13, v39
	v_alignbit_b32 v34, v35, v29, v33
	v_alignbit_b32 v13, v29, v13, v33
	;; [unrolled: 1-line block ×3, first 2 shown]
	v_ffbh_u32_e32 v31, v29
	v_min_u32_e32 v31, 32, v31
	v_lshrrev_b32_e32 v37, 29, v10
	v_not_b32_e32 v33, v31
	v_alignbit_b32 v13, v29, v13, v33
	v_lshlrev_b32_e32 v29, 31, v37
	v_or_b32_e32 v33, 0x33000000, v29
	v_add_lshl_u32 v31, v31, v32, 23
	v_lshrrev_b32_e32 v13, 9, v13
	v_sub_u32_e32 v31, v33, v31
	v_or_b32_e32 v29, 0.5, v29
	v_lshlrev_b32_e32 v32, 23, v32
	v_or_b32_e32 v13, v31, v13
	v_lshrrev_b32_e32 v31, 9, v34
	v_sub_u32_e32 v29, v29, v32
	v_or_b32_e32 v29, v31, v29
	v_mul_f32_e32 v31, 0x3fc90fda, v29
	v_fma_f32 v32, v29, s35, -v31
	v_fmac_f32_e32 v32, 0x33a22168, v29
	v_fmac_f32_e32 v32, 0x3fc90fda, v13
	v_lshrrev_b32_e32 v10, 30, v10
	v_add_f32_e32 v29, v31, v32
	v_add_u32_e32 v10, v38, v10
	s_andn2_saveexec_b64 s[0:1], s[18:19]
	s_branch .LBB100_230
.LBB100_229:                            ;   in Loop: Header=BB100_180 Depth=1
	s_andn2_saveexec_b64 s[0:1], s[18:19]
.LBB100_230:                            ;   in Loop: Header=BB100_180 Depth=1
	v_mul_f32_e64 v10, |v11|, s36
	v_rndne_f32_e32 v13, v10
	v_cvt_i32_f32_e32 v10, v13
	v_fma_f32 v29, v13, s37, |v11|
	v_fmac_f32_e32 v29, 0xb3a22168, v13
	v_fmac_f32_e32 v29, 0xa7c234c4, v13
; %bb.231:                              ;   in Loop: Header=BB100_180 Depth=1
	s_or_b64 exec, exec, s[0:1]
                                        ; implicit-def: $vgpr13
                                        ; implicit-def: $vgpr31
	s_and_saveexec_b64 s[0:1], s[16:17]
	s_xor_b64 s[16:17], exec, s[0:1]
	s_cbranch_execz .LBB100_233
; %bb.232:                              ;   in Loop: Header=BB100_180 Depth=1
	v_mad_u64_u32 v[31:32], s[0:1], v8, s27, 0
	v_cmp_lt_u32_e32 vcc, 63, v30
	v_mov_b32_e32 v13, v32
	v_mad_u64_u32 v[32:33], s[0:1], v8, s28, v[13:14]
	v_mov_b32_e32 v13, v33
	v_mad_u64_u32 v[33:34], s[0:1], v8, s29, v[13:14]
	v_mov_b32_e32 v13, v34
	v_mad_u64_u32 v[34:35], s[0:1], v8, s30, v[13:14]
	v_cndmask_b32_e32 v13, 0, v25, vcc
	v_add_u32_e32 v30, v13, v30
	v_mov_b32_e32 v13, v35
	v_mad_u64_u32 v[35:36], s[0:1], v8, s31, v[13:14]
	v_cmp_lt_u32_e64 s[0:1], 31, v30
	v_cndmask_b32_e64 v13, 0, v26, s[0:1]
	v_add_u32_e32 v30, v13, v30
	v_mov_b32_e32 v13, v36
	v_mad_u64_u32 v[36:37], s[2:3], v8, s33, v[13:14]
	v_cmp_lt_u32_e64 s[2:3], 31, v30
	v_cndmask_b32_e64 v13, 0, v26, s[2:3]
	v_add_u32_e32 v30, v13, v30
	v_mov_b32_e32 v13, v37
	v_mad_u64_u32 v[37:38], s[4:5], v8, s34, v[13:14]
	v_cndmask_b32_e32 v8, v35, v33, vcc
	v_cndmask_b32_e32 v13, v36, v34, vcc
	;; [unrolled: 1-line block ×4, first 2 shown]
	v_cndmask_b32_e64 v39, v13, v8, s[0:1]
	v_cndmask_b32_e64 v13, v35, v13, s[0:1]
	v_cndmask_b32_e64 v35, v36, v35, s[0:1]
	v_cndmask_b32_e32 v32, v34, v32, vcc
	v_cndmask_b32_e64 v35, v35, v13, s[2:3]
	v_cndmask_b32_e64 v13, v13, v39, s[2:3]
	v_sub_u32_e32 v36, 32, v30
	v_cndmask_b32_e64 v8, v8, v32, s[0:1]
	v_alignbit_b32 v37, v35, v13, v36
	v_cmp_eq_u32_e64 s[4:5], 0, v30
	v_cndmask_b32_e64 v34, v39, v8, s[2:3]
	v_cndmask_b32_e64 v30, v37, v35, s[4:5]
	v_alignbit_b32 v35, v13, v34, v36
	v_cndmask_b32_e32 v31, v33, v31, vcc
	v_cndmask_b32_e64 v13, v35, v13, s[4:5]
	v_bfe_u32 v38, v30, 29, 1
	v_cndmask_b32_e64 v31, v32, v31, s[0:1]
	v_alignbit_b32 v35, v30, v13, 30
	v_sub_u32_e32 v39, 0, v38
	v_cndmask_b32_e64 v8, v8, v31, s[2:3]
	v_xor_b32_e32 v35, v35, v39
	v_alignbit_b32 v31, v34, v8, v36
	v_cndmask_b32_e64 v31, v31, v34, s[4:5]
	v_ffbh_u32_e32 v32, v35
	v_alignbit_b32 v13, v13, v31, 30
	v_min_u32_e32 v32, 32, v32
	v_alignbit_b32 v8, v31, v8, 30
	v_xor_b32_e32 v13, v13, v39
	v_sub_u32_e32 v33, 31, v32
	v_xor_b32_e32 v8, v8, v39
	v_alignbit_b32 v34, v35, v13, v33
	v_alignbit_b32 v8, v13, v8, v33
	;; [unrolled: 1-line block ×3, first 2 shown]
	v_ffbh_u32_e32 v31, v13
	v_min_u32_e32 v31, 32, v31
	v_lshrrev_b32_e32 v37, 29, v30
	v_not_b32_e32 v33, v31
	v_alignbit_b32 v8, v13, v8, v33
	v_lshlrev_b32_e32 v13, 31, v37
	v_or_b32_e32 v33, 0x33000000, v13
	v_add_lshl_u32 v31, v31, v32, 23
	v_lshrrev_b32_e32 v8, 9, v8
	v_sub_u32_e32 v31, v33, v31
	v_or_b32_e32 v13, 0.5, v13
	v_lshlrev_b32_e32 v32, 23, v32
	v_or_b32_e32 v8, v31, v8
	v_lshrrev_b32_e32 v31, 9, v34
	v_sub_u32_e32 v13, v13, v32
	v_or_b32_e32 v13, v31, v13
	v_mul_f32_e32 v31, 0x3fc90fda, v13
	v_fma_f32 v32, v13, s35, -v31
	v_fmac_f32_e32 v32, 0x33a22168, v13
	v_fmac_f32_e32 v32, 0x3fc90fda, v8
	v_lshrrev_b32_e32 v8, 30, v30
	v_add_f32_e32 v31, v31, v32
	v_add_u32_e32 v13, v38, v8
	s_andn2_saveexec_b64 s[0:1], s[16:17]
	s_cbranch_execnz .LBB100_234
	s_branch .LBB100_235
.LBB100_233:                            ;   in Loop: Header=BB100_180 Depth=1
	s_andn2_saveexec_b64 s[0:1], s[16:17]
.LBB100_234:                            ;   in Loop: Header=BB100_180 Depth=1
	v_mul_f32_e64 v8, |v11|, s36
	v_rndne_f32_e32 v8, v8
	v_cvt_i32_f32_e32 v13, v8
	v_fma_f32 v31, v8, s37, |v11|
	v_fmac_f32_e32 v31, 0xb3a22168, v8
	v_fmac_f32_e32 v31, 0xa7c234c4, v8
.LBB100_235:                            ;   in Loop: Header=BB100_180 Depth=1
	s_or_b64 exec, exec, s[0:1]
	v_mul_f32_e32 v8, v29, v29
	v_mov_b32_e32 v30, 0x3c0881c4
	v_fmac_f32_e32 v30, 0xb94c1982, v8
	v_fma_f32 v30, v8, v30, v22
	v_mul_f32_e32 v30, v8, v30
	v_fmac_f32_e32 v29, v29, v30
	v_mov_b32_e32 v30, 0xbab64f3b
	v_fmac_f32_e32 v30, 0x37d75334, v8
	v_fma_f32 v30, v8, v30, v23
	v_fma_f32 v30, v8, v30, v24
	v_fma_f32 v8, v8, v30, 1.0
	v_and_b32_e32 v30, 1, v10
	v_lshlrev_b32_e32 v10, 30, v10
	v_and_b32_e32 v10, 0x80000000, v10
	v_cmp_eq_u32_e32 vcc, 0, v30
	v_xor_b32_e32 v9, v9, v10
	v_mul_f32_e64 v10, |v12|, s42
	v_cndmask_b32_e32 v8, v8, v29, vcc
	v_rndne_f32_e32 v29, v10
	v_sub_f32_e32 v30, v10, v29
	v_fma_f32 v10, |v12|, s42, -v10
	v_fma_f32 v10, |v12|, s43, v10
	v_add_f32_e32 v10, v30, v10
	v_exp_f32_e32 v10, v10
	v_cvt_i32_f32_e32 v29, v29
	v_xor_b32_e32 v8, v9, v8
	v_xor_b32_e32 v8, v8, v11
	v_mov_b32_e32 v11, 0x3c0881c4
	v_ldexp_f32 v9, v10, v29
	v_xor_b32_e32 v10, 0x80000000, v12
	v_bfi_b32 v29, s22, 1.0, v10
	v_mul_f32_e32 v10, v31, v31
	v_fmac_f32_e32 v11, 0xb94c1982, v10
	v_fma_f32 v11, v10, v11, v22
	v_mul_f32_e32 v11, v10, v11
	v_fmac_f32_e32 v31, v31, v11
	v_mov_b32_e32 v11, 0xbab64f3b
	v_fmac_f32_e32 v11, 0x37d75334, v10
	v_fma_f32 v11, v10, v11, v23
	v_cmp_ngt_f32_e64 vcc, |v12|, s44
	v_fma_f32 v11, v10, v11, v24
	v_cndmask_b32_e32 v9, 0, v9, vcc
	v_cmp_nlt_f32_e64 vcc, |v12|, s45
	v_fma_f32 v10, v10, v11, 1.0
	v_and_b32_e32 v11, 1, v13
	v_cndmask_b32_e32 v9, v27, v9, vcc
	v_cmp_eq_u32_e32 vcc, 0, v11
	v_lshlrev_b32_e32 v11, 30, v13
	v_cndmask_b32_e64 v10, -v31, v10, vcc
	v_and_b32_e32 v11, 0x80000000, v11
	v_mul_f32_e32 v8, 4.0, v8
	v_xor_b32_e32 v10, v11, v10
	v_mul_f32_e32 v8, v8, v10
	v_mul_f32_e32 v8, v9, v8
	;; [unrolled: 1-line block ×3, first 2 shown]
.LBB100_236:                            ;   in Loop: Header=BB100_180 Depth=1
	s_or_b64 exec, exec, s[14:15]
                                        ; implicit-def: $vgpr9_vgpr10_vgpr11_vgpr12
.LBB100_237:                            ;   in Loop: Header=BB100_180 Depth=1
	s_andn2_saveexec_b64 s[0:1], s[12:13]
; %bb.238:                              ;   in Loop: Header=BB100_180 Depth=1
	v_sub_f32_e32 v8, v11, v11
	v_mov_b32_e32 v29, v8
; %bb.239:                              ;   in Loop: Header=BB100_180 Depth=1
	s_or_b64 exec, exec, s[0:1]
                                        ; implicit-def: $vgpr9_vgpr10_vgpr11_vgpr12
.LBB100_240:                            ;   in Loop: Header=BB100_180 Depth=1
	s_andn2_saveexec_b64 s[10:11], s[10:11]
	s_cbranch_execz .LBB100_256
; %bb.241:                              ;   in Loop: Header=BB100_180 Depth=1
	v_xor_b32_e32 v29, 0x80000000, v12
	v_and_b32_e32 v8, 0x7fffff, v29
	v_cmp_ne_u32_e32 vcc, 0, v8
	s_and_saveexec_b64 s[0:1], vcc
	s_xor_b64 s[0:1], exec, s[0:1]
; %bb.242:                              ;   in Loop: Header=BB100_180 Depth=1
	v_mul_f32_e64 v8, v11, -v12
	v_cmp_eq_f32_e32 vcc, 0, v11
	v_cndmask_b32_e32 v8, v8, v11, vcc
                                        ; implicit-def: $vgpr9_vgpr10_vgpr11_vgpr12
; %bb.243:                              ;   in Loop: Header=BB100_180 Depth=1
	s_andn2_saveexec_b64 s[12:13], s[0:1]
	s_cbranch_execz .LBB100_255
; %bb.244:                              ;   in Loop: Header=BB100_180 Depth=1
	v_cmp_neq_f32_e64 s[0:1], |v11|, s23
	s_and_saveexec_b64 s[14:15], s[0:1]
	s_cbranch_execz .LBB100_254
; %bb.245:                              ;   in Loop: Header=BB100_180 Depth=1
	v_and_b32_e32 v8, 0x7fffffff, v11
	v_lshrrev_b32_e32 v9, 23, v8
	v_and_b32_e32 v10, 0x7fffff, v8
	v_cmp_nlt_f32_e64 s[16:17], |v11|, s26
	v_add_u32_e32 v30, 0xffffff88, v9
	v_or_b32_e32 v9, 0x800000, v10
                                        ; implicit-def: $vgpr10
                                        ; implicit-def: $vgpr12
	s_and_saveexec_b64 s[0:1], s[16:17]
	s_xor_b64 s[18:19], exec, s[0:1]
	s_cbranch_execz .LBB100_247
; %bb.246:                              ;   in Loop: Header=BB100_180 Depth=1
	v_mad_u64_u32 v[12:13], s[0:1], v9, s27, 0
	v_cmp_lt_u32_e32 vcc, 63, v30
	v_cndmask_b32_e32 v10, 0, v25, vcc
	v_mad_u64_u32 v[31:32], s[0:1], v9, s28, v[13:14]
	v_add_u32_e32 v10, v10, v30
	v_mov_b32_e32 v13, v32
	v_mad_u64_u32 v[32:33], s[0:1], v9, s29, v[13:14]
	v_mov_b32_e32 v13, v33
	v_mad_u64_u32 v[33:34], s[0:1], v9, s30, v[13:14]
	v_cndmask_b32_e32 v12, v32, v12, vcc
	v_mov_b32_e32 v13, v34
	v_mad_u64_u32 v[34:35], s[0:1], v9, s31, v[13:14]
	v_cmp_lt_u32_e64 s[0:1], 31, v10
	v_cndmask_b32_e64 v13, 0, v26, s[0:1]
	v_add_u32_e32 v10, v13, v10
	v_mov_b32_e32 v13, v35
	v_mad_u64_u32 v[35:36], s[2:3], v9, s33, v[13:14]
	v_cmp_lt_u32_e64 s[2:3], 31, v10
	v_cndmask_b32_e64 v13, 0, v26, s[2:3]
	v_add_u32_e32 v10, v13, v10
	v_mov_b32_e32 v13, v36
	v_mad_u64_u32 v[36:37], s[4:5], v9, s34, v[13:14]
	v_cndmask_b32_e32 v13, v34, v32, vcc
	v_cndmask_b32_e32 v38, v35, v33, vcc
	;; [unrolled: 1-line block ×4, first 2 shown]
	v_cndmask_b32_e64 v39, v38, v13, s[0:1]
	v_cndmask_b32_e64 v36, v34, v38, s[0:1]
	;; [unrolled: 1-line block ×3, first 2 shown]
	v_cndmask_b32_e32 v31, v33, v31, vcc
	v_cndmask_b32_e64 v34, v34, v36, s[2:3]
	v_cndmask_b32_e64 v35, v36, v39, s[2:3]
	v_sub_u32_e32 v36, 32, v10
	v_cndmask_b32_e64 v13, v13, v31, s[0:1]
	v_alignbit_b32 v37, v34, v35, v36
	v_cmp_eq_u32_e64 s[4:5], 0, v10
	v_cndmask_b32_e64 v33, v39, v13, s[2:3]
	v_cndmask_b32_e64 v10, v37, v34, s[4:5]
	v_alignbit_b32 v34, v35, v33, v36
	v_cndmask_b32_e64 v34, v34, v35, s[4:5]
	v_bfe_u32 v38, v10, 29, 1
	v_cndmask_b32_e64 v12, v31, v12, s[0:1]
	v_alignbit_b32 v35, v10, v34, 30
	v_sub_u32_e32 v39, 0, v38
	v_cndmask_b32_e64 v12, v13, v12, s[2:3]
	v_xor_b32_e32 v35, v35, v39
	v_alignbit_b32 v13, v33, v12, v36
	v_cndmask_b32_e64 v13, v13, v33, s[4:5]
	v_ffbh_u32_e32 v32, v35
	v_alignbit_b32 v31, v34, v13, 30
	v_min_u32_e32 v32, 32, v32
	v_alignbit_b32 v12, v13, v12, 30
	v_xor_b32_e32 v31, v31, v39
	v_sub_u32_e32 v33, 31, v32
	v_xor_b32_e32 v12, v12, v39
	v_alignbit_b32 v34, v35, v31, v33
	v_alignbit_b32 v12, v31, v12, v33
	;; [unrolled: 1-line block ×3, first 2 shown]
	v_ffbh_u32_e32 v31, v13
	v_min_u32_e32 v31, 32, v31
	v_lshrrev_b32_e32 v37, 29, v10
	v_not_b32_e32 v33, v31
	v_alignbit_b32 v12, v13, v12, v33
	v_lshlrev_b32_e32 v13, 31, v37
	v_or_b32_e32 v33, 0x33000000, v13
	v_add_lshl_u32 v31, v31, v32, 23
	v_lshrrev_b32_e32 v12, 9, v12
	v_sub_u32_e32 v31, v33, v31
	v_or_b32_e32 v13, 0.5, v13
	v_lshlrev_b32_e32 v32, 23, v32
	v_or_b32_e32 v12, v31, v12
	v_lshrrev_b32_e32 v31, 9, v34
	v_sub_u32_e32 v13, v13, v32
	v_or_b32_e32 v13, v31, v13
	v_mul_f32_e32 v31, 0x3fc90fda, v13
	v_fma_f32 v32, v13, s35, -v31
	v_fmac_f32_e32 v32, 0x33a22168, v13
	v_fmac_f32_e32 v32, 0x3fc90fda, v12
	v_lshrrev_b32_e32 v10, 30, v10
	v_add_f32_e32 v12, v31, v32
	v_add_u32_e32 v10, v38, v10
.LBB100_247:                            ;   in Loop: Header=BB100_180 Depth=1
	s_or_saveexec_b64 s[0:1], s[18:19]
	v_mul_f32_e64 v13, |v11|, s36
	v_rndne_f32_e32 v32, v13
	s_xor_b64 exec, exec, s[0:1]
; %bb.248:                              ;   in Loop: Header=BB100_180 Depth=1
	v_cvt_i32_f32_e32 v10, v32
	v_fma_f32 v12, v32, s37, |v11|
	v_fmac_f32_e32 v12, 0xb3a22168, v32
	v_fmac_f32_e32 v12, 0xa7c234c4, v32
; %bb.249:                              ;   in Loop: Header=BB100_180 Depth=1
	s_or_b64 exec, exec, s[0:1]
                                        ; implicit-def: $vgpr13
                                        ; implicit-def: $vgpr31
	s_and_saveexec_b64 s[0:1], s[16:17]
	s_xor_b64 s[16:17], exec, s[0:1]
	s_cbranch_execz .LBB100_251
; %bb.250:                              ;   in Loop: Header=BB100_180 Depth=1
	v_mad_u64_u32 v[31:32], s[0:1], v9, s27, 0
	v_cmp_lt_u32_e32 vcc, 63, v30
	v_mov_b32_e32 v13, v32
	v_mad_u64_u32 v[32:33], s[0:1], v9, s28, v[13:14]
	v_mov_b32_e32 v13, v33
	v_mad_u64_u32 v[33:34], s[0:1], v9, s29, v[13:14]
	;; [unrolled: 2-line block ×3, first 2 shown]
	v_cndmask_b32_e32 v13, 0, v25, vcc
	v_add_u32_e32 v30, v13, v30
	v_mov_b32_e32 v13, v35
	v_mad_u64_u32 v[35:36], s[0:1], v9, s31, v[13:14]
	v_cmp_lt_u32_e64 s[0:1], 31, v30
	v_cndmask_b32_e64 v13, 0, v26, s[0:1]
	v_add_u32_e32 v30, v13, v30
	v_mov_b32_e32 v13, v36
	v_mad_u64_u32 v[36:37], s[2:3], v9, s33, v[13:14]
	v_cmp_lt_u32_e64 s[2:3], 31, v30
	v_cndmask_b32_e64 v13, 0, v26, s[2:3]
	v_add_u32_e32 v30, v13, v30
	v_mov_b32_e32 v13, v37
	v_mad_u64_u32 v[37:38], s[4:5], v9, s34, v[13:14]
	v_cndmask_b32_e32 v9, v35, v33, vcc
	v_cndmask_b32_e32 v13, v36, v34, vcc
	;; [unrolled: 1-line block ×4, first 2 shown]
	v_cndmask_b32_e64 v39, v13, v9, s[0:1]
	v_cndmask_b32_e64 v13, v35, v13, s[0:1]
	;; [unrolled: 1-line block ×3, first 2 shown]
	v_cndmask_b32_e32 v32, v34, v32, vcc
	v_cndmask_b32_e64 v35, v35, v13, s[2:3]
	v_cndmask_b32_e64 v13, v13, v39, s[2:3]
	v_sub_u32_e32 v36, 32, v30
	v_cndmask_b32_e64 v9, v9, v32, s[0:1]
	v_alignbit_b32 v37, v35, v13, v36
	v_cmp_eq_u32_e64 s[4:5], 0, v30
	v_cndmask_b32_e64 v34, v39, v9, s[2:3]
	v_cndmask_b32_e64 v30, v37, v35, s[4:5]
	v_alignbit_b32 v35, v13, v34, v36
	v_cndmask_b32_e32 v31, v33, v31, vcc
	v_cndmask_b32_e64 v13, v35, v13, s[4:5]
	v_bfe_u32 v38, v30, 29, 1
	v_cndmask_b32_e64 v31, v32, v31, s[0:1]
	v_alignbit_b32 v35, v30, v13, 30
	v_sub_u32_e32 v39, 0, v38
	v_cndmask_b32_e64 v9, v9, v31, s[2:3]
	v_xor_b32_e32 v35, v35, v39
	v_alignbit_b32 v31, v34, v9, v36
	v_cndmask_b32_e64 v31, v31, v34, s[4:5]
	v_ffbh_u32_e32 v32, v35
	v_alignbit_b32 v13, v13, v31, 30
	v_min_u32_e32 v32, 32, v32
	v_alignbit_b32 v9, v31, v9, 30
	v_xor_b32_e32 v13, v13, v39
	v_sub_u32_e32 v33, 31, v32
	v_xor_b32_e32 v9, v9, v39
	v_alignbit_b32 v34, v35, v13, v33
	v_alignbit_b32 v9, v13, v9, v33
	;; [unrolled: 1-line block ×3, first 2 shown]
	v_ffbh_u32_e32 v31, v13
	v_min_u32_e32 v31, 32, v31
	v_lshrrev_b32_e32 v37, 29, v30
	v_not_b32_e32 v33, v31
	v_alignbit_b32 v9, v13, v9, v33
	v_lshlrev_b32_e32 v13, 31, v37
	v_or_b32_e32 v33, 0x33000000, v13
	v_add_lshl_u32 v31, v31, v32, 23
	v_lshrrev_b32_e32 v9, 9, v9
	v_sub_u32_e32 v31, v33, v31
	v_or_b32_e32 v13, 0.5, v13
	v_lshlrev_b32_e32 v32, 23, v32
	v_or_b32_e32 v9, v31, v9
	v_lshrrev_b32_e32 v31, 9, v34
	v_sub_u32_e32 v13, v13, v32
	v_or_b32_e32 v13, v31, v13
	v_mul_f32_e32 v31, 0x3fc90fda, v13
	v_fma_f32 v32, v13, s35, -v31
	v_fmac_f32_e32 v32, 0x33a22168, v13
	v_fmac_f32_e32 v32, 0x3fc90fda, v9
	v_lshrrev_b32_e32 v9, 30, v30
	v_add_f32_e32 v31, v31, v32
	v_add_u32_e32 v13, v38, v9
                                        ; implicit-def: $vgpr32
	s_andn2_saveexec_b64 s[0:1], s[16:17]
	s_cbranch_execnz .LBB100_252
	s_branch .LBB100_253
.LBB100_251:                            ;   in Loop: Header=BB100_180 Depth=1
	s_andn2_saveexec_b64 s[0:1], s[16:17]
.LBB100_252:                            ;   in Loop: Header=BB100_180 Depth=1
	v_cvt_i32_f32_e32 v13, v32
	v_fma_f32 v31, v32, s37, |v11|
	v_fmac_f32_e32 v31, 0xb3a22168, v32
	v_fmac_f32_e32 v31, 0xa7c234c4, v32
.LBB100_253:                            ;   in Loop: Header=BB100_180 Depth=1
	s_or_b64 exec, exec, s[0:1]
	v_mul_f32_e32 v9, v12, v12
	v_mov_b32_e32 v30, 0x3c0881c4
	v_fmac_f32_e32 v30, 0xb94c1982, v9
	v_fma_f32 v30, v9, v30, v22
	v_mul_f32_e32 v30, v9, v30
	v_fmac_f32_e32 v12, v12, v30
	v_mov_b32_e32 v30, 0xbab64f3b
	v_fmac_f32_e32 v30, 0x37d75334, v9
	v_fma_f32 v30, v9, v30, v23
	v_fma_f32 v30, v9, v30, v24
	v_fma_f32 v9, v9, v30, 1.0
	v_and_b32_e32 v30, 1, v10
	v_lshlrev_b32_e32 v10, 30, v10
	v_cmp_eq_u32_e32 vcc, 0, v30
	v_and_b32_e32 v10, 0x80000000, v10
	v_cndmask_b32_e32 v9, v9, v12, vcc
	v_xor_b32_e32 v8, v8, v10
	v_xor_b32_e32 v8, v8, v9
	v_mul_f32_e32 v9, v31, v31
	v_mov_b32_e32 v10, 0x3c0881c4
	v_fmac_f32_e32 v10, 0xb94c1982, v9
	v_fma_f32 v10, v9, v10, v22
	v_mul_f32_e32 v10, v9, v10
	v_fmac_f32_e32 v31, v31, v10
	v_mov_b32_e32 v10, 0xbab64f3b
	v_fmac_f32_e32 v10, 0x37d75334, v9
	v_fma_f32 v10, v9, v10, v23
	v_fma_f32 v10, v9, v10, v24
	v_fma_f32 v9, v9, v10, 1.0
	v_and_b32_e32 v10, 1, v13
	v_cmp_eq_u32_e32 vcc, 0, v10
	v_lshlrev_b32_e32 v10, 30, v13
	v_cndmask_b32_e64 v9, -v31, v9, vcc
	v_and_b32_e32 v10, 0x80000000, v10
	v_xor_b32_e32 v8, v8, v11
	v_xor_b32_e32 v9, v10, v9
	v_mul_f32_e32 v8, v8, v9
	v_cmp_class_f32_e64 vcc, v11, s24
	v_cndmask_b32_e32 v11, v28, v8, vcc
.LBB100_254:                            ;   in Loop: Header=BB100_180 Depth=1
	s_or_b64 exec, exec, s[14:15]
	v_add_u32_e32 v29, -2.0, v29
	v_bfi_b32 v8, s22, 0, v11
.LBB100_255:                            ;   in Loop: Header=BB100_180 Depth=1
	s_or_b64 exec, exec, s[12:13]
.LBB100_256:                            ;   in Loop: Header=BB100_180 Depth=1
	s_or_b64 exec, exec, s[10:11]
	s_waitcnt vmcnt(0)
	v_and_b32_e32 v12, 0x7fffffff, v3
	v_cmp_gt_u32_e32 vcc, s23, v12
                                        ; implicit-def: $vgpr10
                                        ; implicit-def: $vgpr9
	s_and_saveexec_b64 s[0:1], vcc
	s_xor_b64 s[10:11], exec, s[0:1]
	s_cbranch_execz .LBB100_278
; %bb.257:                              ;   in Loop: Header=BB100_180 Depth=1
	v_cmp_class_f32_e64 s[0:1], v2, s24
                                        ; implicit-def: $vgpr10
                                        ; implicit-def: $vgpr9
	s_and_saveexec_b64 s[2:3], s[0:1]
	s_xor_b64 s[12:13], exec, s[2:3]
	s_cbranch_execz .LBB100_275
; %bb.258:                              ;   in Loop: Header=BB100_180 Depth=1
	v_and_b32_e32 v11, 0x7fffffff, v2
	v_cmp_gt_u32_e32 vcc, s25, v12
                                        ; implicit-def: $vgpr10
                                        ; implicit-def: $vgpr9
	s_and_saveexec_b64 s[0:1], vcc
	s_xor_b64 s[14:15], exec, s[0:1]
	s_cbranch_execz .LBB100_264
; %bb.259:                              ;   in Loop: Header=BB100_180 Depth=1
	v_cmp_nlt_f32_e64 s[0:1], |v2|, s26
                                        ; implicit-def: $vgpr10
                                        ; implicit-def: $vgpr9
	s_and_saveexec_b64 s[2:3], s[0:1]
	s_xor_b64 s[16:17], exec, s[2:3]
	s_cbranch_execz .LBB100_261
; %bb.260:                              ;   in Loop: Header=BB100_180 Depth=1
	v_and_b32_e32 v9, 0x7fffff, v11
	v_or_b32_e32 v35, 0x800000, v9
	v_mad_u64_u32 v[9:10], s[0:1], v35, s27, 0
	v_mov_b32_e32 v13, v10
	v_mad_u64_u32 v[12:13], s[0:1], v35, s28, v[13:14]
	v_lshrrev_b32_e32 v10, 23, v11
	v_add_u32_e32 v10, 0xffffff88, v10
	v_mad_u64_u32 v[30:31], s[0:1], v35, s29, v[13:14]
	v_cmp_lt_u32_e32 vcc, 63, v10
	v_mov_b32_e32 v13, v31
	v_mad_u64_u32 v[31:32], s[0:1], v35, s30, v[13:14]
	v_cndmask_b32_e32 v9, v30, v9, vcc
	v_mov_b32_e32 v13, v32
	v_mad_u64_u32 v[32:33], s[0:1], v35, s31, v[13:14]
	v_cndmask_b32_e32 v13, 0, v25, vcc
	v_add_u32_e32 v10, v13, v10
	v_mov_b32_e32 v13, v33
	v_mad_u64_u32 v[33:34], s[0:1], v35, s33, v[13:14]
	v_cmp_lt_u32_e64 s[0:1], 31, v10
	v_cndmask_b32_e64 v13, 0, v26, s[0:1]
	v_add_u32_e32 v10, v13, v10
	v_mov_b32_e32 v13, v34
	v_mad_u64_u32 v[34:35], s[2:3], v35, s34, v[13:14]
	v_cmp_lt_u32_e64 s[2:3], 31, v10
	v_cndmask_b32_e64 v13, 0, v26, s[2:3]
	v_add_u32_e32 v10, v13, v10
	v_cndmask_b32_e32 v13, v33, v31, vcc
	v_cndmask_b32_e32 v34, v34, v32, vcc
	;; [unrolled: 1-line block ×4, first 2 shown]
	v_cndmask_b32_e64 v35, v34, v13, s[0:1]
	v_cndmask_b32_e64 v33, v33, v34, s[0:1]
	;; [unrolled: 1-line block ×3, first 2 shown]
	v_cndmask_b32_e32 v12, v31, v12, vcc
	v_cndmask_b32_e64 v33, v33, v35, s[2:3]
	v_cndmask_b32_e64 v34, v35, v13, s[2:3]
	v_sub_u32_e32 v35, 32, v10
	v_cndmask_b32_e64 v31, v32, v12, s[0:1]
	v_alignbit_b32 v36, v33, v34, v35
	v_cmp_eq_u32_e64 s[4:5], 0, v10
	v_cndmask_b32_e64 v13, v13, v31, s[2:3]
	v_cndmask_b32_e64 v10, v36, v33, s[4:5]
	v_alignbit_b32 v32, v34, v13, v35
	v_cndmask_b32_e64 v32, v32, v34, s[4:5]
	v_bfe_u32 v36, v10, 29, 1
	v_cndmask_b32_e64 v9, v12, v9, s[0:1]
	v_alignbit_b32 v33, v10, v32, 30
	v_sub_u32_e32 v37, 0, v36
	v_cndmask_b32_e64 v9, v31, v9, s[2:3]
	v_xor_b32_e32 v33, v33, v37
	v_alignbit_b32 v12, v13, v9, v35
	v_cndmask_b32_e64 v12, v12, v13, s[4:5]
	v_ffbh_u32_e32 v30, v33
	v_alignbit_b32 v13, v32, v12, 30
	v_min_u32_e32 v30, 32, v30
	v_alignbit_b32 v9, v12, v9, 30
	v_xor_b32_e32 v13, v13, v37
	v_sub_u32_e32 v31, 31, v30
	v_xor_b32_e32 v9, v9, v37
	v_alignbit_b32 v32, v33, v13, v31
	v_alignbit_b32 v9, v13, v9, v31
	;; [unrolled: 1-line block ×3, first 2 shown]
	v_ffbh_u32_e32 v13, v12
	v_min_u32_e32 v13, 32, v13
	v_lshrrev_b32_e32 v34, 29, v10
	v_not_b32_e32 v31, v13
	v_alignbit_b32 v9, v12, v9, v31
	v_lshlrev_b32_e32 v12, 31, v34
	v_or_b32_e32 v31, 0x33000000, v12
	v_add_lshl_u32 v13, v13, v30, 23
	v_lshrrev_b32_e32 v9, 9, v9
	v_sub_u32_e32 v13, v31, v13
	v_or_b32_e32 v12, 0.5, v12
	v_lshlrev_b32_e32 v30, 23, v30
	v_or_b32_e32 v9, v13, v9
	v_lshrrev_b32_e32 v13, 9, v32
	v_sub_u32_e32 v12, v12, v30
	v_or_b32_e32 v12, v13, v12
	v_mul_f32_e32 v13, 0x3fc90fda, v12
	v_fma_f32 v30, v12, s35, -v13
	v_fmac_f32_e32 v30, 0x33a22168, v12
	v_fmac_f32_e32 v30, 0x3fc90fda, v9
	v_lshrrev_b32_e32 v10, 30, v10
	v_add_f32_e32 v9, v13, v30
	v_add_u32_e32 v10, v36, v10
.LBB100_261:                            ;   in Loop: Header=BB100_180 Depth=1
	s_andn2_saveexec_b64 s[0:1], s[16:17]
; %bb.262:                              ;   in Loop: Header=BB100_180 Depth=1
	v_mul_f32_e64 v9, |v2|, s36
	v_rndne_f32_e32 v12, v9
	v_cvt_i32_f32_e32 v10, v12
	v_fma_f32 v9, v12, s37, |v2|
	v_fmac_f32_e32 v9, 0xb3a22168, v12
	v_fmac_f32_e32 v9, 0xa7c234c4, v12
; %bb.263:                              ;   in Loop: Header=BB100_180 Depth=1
	s_or_b64 exec, exec, s[0:1]
	v_mul_f32_e32 v12, v9, v9
	v_mov_b32_e32 v13, 0xbf039337
	v_fmac_f32_e32 v13, 0x3c971480, v12
	v_fma_f32 v13, v12, v13, v17
	v_rcp_f32_e32 v13, v13
	v_mov_b32_e32 v30, 0x3ec54587
	v_fmac_f32_e32 v30, 0xbc8cedd3, v12
	v_and_b32_e32 v10, 1, v10
	v_mul_f32_e32 v13, v30, v13
	v_mul_f32_e32 v12, v12, v13
	v_fma_f32 v13, v12, v9, v9
	v_rcp_f32_e32 v30, v13
	v_sub_f32_e32 v31, v13, v9
	v_fma_f32 v9, v12, v9, -v31
	v_cmp_eq_u32_e32 vcc, 0, v10
	v_fma_f32 v12, v13, -v30, 1.0
	v_fma_f32 v9, v9, -v30, v12
	v_add_f32_e64 v10, |v3|, s38
	v_fma_f32 v9, v9, -v30, -v30
	v_sub_f32_e64 v12, v10, |v3|
	v_cndmask_b32_e32 v9, v9, v13, vcc
	v_sub_f32_e32 v13, v12, v10
	v_add_f32_e64 v13, |v3|, v13
	v_add_f32_e32 v12, 0x3f317218, v12
	v_sub_f32_e32 v12, v13, v12
	v_add_f32_e32 v12, 0x3102e308, v12
	v_add_f32_e32 v13, v10, v12
	v_sub_f32_e32 v10, v10, v13
	v_add_f32_e32 v10, v12, v10
	v_mul_f32_e32 v12, 0x3fb8aa3b, v13
	v_rndne_f32_e32 v12, v12
	v_fmac_f32_e32 v13, 0xbf317200, v12
	v_add_f32_e32 v30, v10, v13
	v_sub_f32_e32 v13, v13, v30
	v_add_f32_e32 v10, v10, v13
	v_mul_f32_e32 v13, 0x35bfbc00, v12
	v_sub_f32_e32 v31, v30, v13
	v_sub_f32_e32 v30, v30, v31
	v_sub_f32_e32 v13, v30, v13
	v_add_f32_e32 v10, v10, v13
	v_add_f32_e32 v13, v31, v10
	v_sub_f32_e32 v30, v31, v13
	v_add_f32_e32 v10, v10, v30
	v_mul_f32_e32 v30, 0x2ea39ef3, v12
	v_sub_f32_e32 v31, v13, v30
	v_sub_f32_e32 v13, v13, v31
	;; [unrolled: 1-line block ×3, first 2 shown]
	v_add_f32_e32 v10, v10, v13
	v_add_f32_e32 v13, v31, v10
	v_sub_f32_e32 v31, v31, v13
	v_mov_b32_e32 v30, 0x3c091de6
	v_add_f32_e32 v10, v10, v31
	v_mul_f32_e32 v32, v13, v13
	v_fmac_f32_e32 v30, 0x3ab42872, v13
	v_add_f32_e32 v31, v10, v10
	v_fma_f32 v33, v13, v13, -v32
	v_fma_f32 v30, v13, v30, v18
	v_fmac_f32_e32 v33, v13, v31
	v_fma_f32 v30, v13, v30, v19
	v_add_f32_e32 v31, v32, v33
	v_fma_f32 v30, v13, v30, v20
	v_sub_f32_e32 v32, v31, v32
	v_sub_f32_e32 v32, v33, v32
	v_mul_f32_e32 v33, v30, v31
	v_fma_f32 v31, v31, v30, -v33
	v_fmac_f32_e32 v31, v32, v30
	v_add_f32_e32 v30, v33, v31
	v_sub_f32_e32 v32, v30, v33
	v_sub_f32_e32 v31, v31, v32
	v_add_f32_e32 v32, v13, v30
	v_sub_f32_e32 v13, v32, v13
	v_sub_f32_e32 v13, v30, v13
	v_add_f32_e32 v10, v10, v31
	v_add_f32_e32 v10, v10, v13
	;; [unrolled: 1-line block ×3, first 2 shown]
	v_sub_f32_e32 v30, v13, v32
	v_sub_f32_e32 v10, v10, v30
	v_add_f32_e32 v30, 1.0, v13
	v_add_f32_e32 v31, -1.0, v30
	v_cvt_i32_f32_e32 v12, v12
	v_sub_f32_e32 v13, v13, v31
	v_add_f32_e32 v10, v10, v13
	v_add_f32_e32 v13, v30, v10
	v_ldexp_f32 v31, v13, v12
	v_rcp_f32_e32 v32, v31
	v_sub_f32_e32 v13, v13, v30
	v_sub_f32_e32 v10, v10, v13
	v_ldexp_f32 v10, v10, v12
	v_mul_f32_e32 v12, v31, v32
	v_fma_f32 v13, v32, v31, -v12
	v_fmac_f32_e32 v13, v32, v10
	v_add_f32_e32 v30, v12, v13
	v_sub_f32_e32 v33, 1.0, v30
	v_sub_f32_e32 v34, 1.0, v33
	v_sub_f32_e32 v12, v30, v12
	v_sub_f32_e32 v34, v34, v30
	;; [unrolled: 1-line block ×3, first 2 shown]
	v_add_f32_e32 v12, v12, v34
	v_add_f32_e32 v13, v33, v12
	v_mul_f32_e32 v30, v32, v13
	v_mul_f32_e32 v34, v31, v30
	v_fma_f32 v35, v30, v31, -v34
	v_fmac_f32_e32 v35, v30, v10
	v_sub_f32_e32 v33, v33, v13
	v_add_f32_e32 v12, v12, v33
	v_add_f32_e32 v33, v34, v35
	v_sub_f32_e32 v36, v13, v33
	v_sub_f32_e32 v13, v13, v36
	;; [unrolled: 1-line block ×4, first 2 shown]
	v_add_f32_e32 v12, v12, v13
	v_sub_f32_e32 v13, v34, v35
	v_add_f32_e32 v12, v13, v12
	v_add_f32_e32 v12, v36, v12
	;; [unrolled: 1-line block ×3, first 2 shown]
	v_mul_f32_e32 v12, v32, v12
	v_sub_f32_e32 v32, v13, v32
	v_sub_f32_e32 v30, v30, v32
	v_add_f32_e32 v12, v30, v12
	v_add_f32_e32 v30, v13, v12
	v_sub_f32_e32 v13, v30, v13
	v_sub_f32_e32 v12, v12, v13
	v_ldexp_f32 v13, v30, -2
	v_sub_f32_e32 v30, v31, v13
	v_sub_f32_e32 v31, v31, v30
	;; [unrolled: 1-line block ×3, first 2 shown]
	v_ldexp_f32 v12, v12, -2
	v_add_f32_e32 v10, v10, v13
	v_sub_f32_e32 v10, v10, v12
	v_add_f32_e32 v10, v30, v10
	v_cmp_ngt_f32_e64 vcc, |v3|, s39
	v_cndmask_b32_e32 v10, v27, v10, vcc
	v_cmp_lt_f32_e64 s[0:1], |v3|, s40
	v_cndmask_b32_e64 v10, v10, |v3|, s[0:1]
	v_xor_b32_e32 v12, 0x80000000, v3
	v_bfi_b32 v10, s22, v10, v12
	v_fma_f32 v12, v10, v10, 1.0
	v_mul_f32_e32 v13, 0x4f800000, v12
	v_cmp_gt_f32_e32 vcc, s41, v12
	v_cndmask_b32_e32 v12, v12, v13, vcc
	v_sqrt_f32_e32 v13, v12
	v_xor_b32_e32 v9, v11, v9
	v_xor_b32_e32 v11, v9, v2
	v_fma_f32 v9, v11, v11, 1.0
	v_add_u32_e32 v30, -1, v13
	v_fma_f32 v31, -v30, v13, v12
	v_cmp_ge_f32_e64 s[0:1], 0, v31
	v_add_u32_e32 v31, 1, v13
	v_cndmask_b32_e64 v30, v13, v30, s[0:1]
	v_fma_f32 v13, -v31, v13, v12
	v_cmp_lt_f32_e64 s[0:1], 0, v13
	v_cndmask_b32_e64 v13, v30, v31, s[0:1]
	v_mul_f32_e32 v30, 0x37800000, v13
	v_cndmask_b32_e32 v13, v13, v30, vcc
	v_cmp_class_f32_e32 vcc, v12, v21
	v_cndmask_b32_e32 v12, v13, v12, vcc
	v_mul_f32_e32 v13, v10, v9
	v_mul_f32_e32 v9, v12, v9
	v_fma_f32 v13, v10, v13, 1.0
	v_mul_f32_e32 v9, v10, v9
	v_div_scale_f32 v10, s[0:1], v13, v13, v9
	v_div_scale_f32 v12, vcc, v9, v13, v9
	v_div_scale_f32 v30, s[0:1], v13, v13, v11
	v_div_scale_f32 v31, s[0:1], v11, v13, v11
	v_rcp_f32_e32 v32, v10
	v_fma_f32 v33, -v10, v32, 1.0
	v_fmac_f32_e32 v32, v33, v32
	v_mul_f32_e32 v33, v12, v32
	v_fma_f32 v34, -v10, v33, v12
	v_fmac_f32_e32 v33, v34, v32
	v_rcp_f32_e32 v34, v30
	v_fma_f32 v10, -v10, v33, v12
	v_div_fmas_f32 v10, v10, v32, v33
	s_mov_b64 vcc, s[0:1]
	v_fma_f32 v12, -v30, v34, 1.0
	v_fmac_f32_e32 v34, v12, v34
	v_mul_f32_e32 v12, v31, v34
	v_fma_f32 v32, -v30, v12, v31
	v_fmac_f32_e32 v12, v32, v34
	v_fma_f32 v30, -v30, v12, v31
	v_div_fmas_f32 v12, v30, v34, v12
	v_div_fixup_f32 v9, v10, v13, v9
	v_div_fixup_f32 v10, v12, v13, v11
                                        ; implicit-def: $vgpr11
.LBB100_264:                            ;   in Loop: Header=BB100_180 Depth=1
	s_andn2_saveexec_b64 s[14:15], s[14:15]
	s_cbranch_execz .LBB100_274
; %bb.265:                              ;   in Loop: Header=BB100_180 Depth=1
	v_lshrrev_b32_e32 v9, 23, v11
	v_and_b32_e32 v10, 0x7fffff, v11
	v_cmp_nlt_f32_e64 s[16:17], |v2|, s26
	v_add_u32_e32 v30, 0xffffff88, v9
	v_or_b32_e32 v9, 0x800000, v10
                                        ; implicit-def: $vgpr10
                                        ; implicit-def: $vgpr12
	s_and_saveexec_b64 s[0:1], s[16:17]
	s_xor_b64 s[18:19], exec, s[0:1]
	s_cbranch_execz .LBB100_267
; %bb.266:                              ;   in Loop: Header=BB100_180 Depth=1
	v_mad_u64_u32 v[12:13], s[0:1], v9, s27, 0
	v_cmp_lt_u32_e32 vcc, 63, v30
	v_cndmask_b32_e32 v10, 0, v25, vcc
	v_mad_u64_u32 v[31:32], s[0:1], v9, s28, v[13:14]
	v_add_u32_e32 v10, v10, v30
	v_mov_b32_e32 v13, v32
	v_mad_u64_u32 v[32:33], s[0:1], v9, s29, v[13:14]
	v_mov_b32_e32 v13, v33
	v_mad_u64_u32 v[33:34], s[0:1], v9, s30, v[13:14]
	v_cndmask_b32_e32 v12, v32, v12, vcc
	v_mov_b32_e32 v13, v34
	v_mad_u64_u32 v[34:35], s[0:1], v9, s31, v[13:14]
	v_cmp_lt_u32_e64 s[0:1], 31, v10
	v_cndmask_b32_e64 v13, 0, v26, s[0:1]
	v_add_u32_e32 v10, v13, v10
	v_mov_b32_e32 v13, v35
	v_mad_u64_u32 v[35:36], s[2:3], v9, s33, v[13:14]
	v_cmp_lt_u32_e64 s[2:3], 31, v10
	v_cndmask_b32_e64 v13, 0, v26, s[2:3]
	v_add_u32_e32 v10, v13, v10
	v_mov_b32_e32 v13, v36
	v_mad_u64_u32 v[36:37], s[4:5], v9, s34, v[13:14]
	v_cndmask_b32_e32 v13, v34, v32, vcc
	v_cndmask_b32_e32 v38, v35, v33, vcc
	;; [unrolled: 1-line block ×4, first 2 shown]
	v_cndmask_b32_e64 v39, v38, v13, s[0:1]
	v_cndmask_b32_e64 v36, v34, v38, s[0:1]
	;; [unrolled: 1-line block ×3, first 2 shown]
	v_cndmask_b32_e32 v31, v33, v31, vcc
	v_cndmask_b32_e64 v34, v34, v36, s[2:3]
	v_cndmask_b32_e64 v35, v36, v39, s[2:3]
	v_sub_u32_e32 v36, 32, v10
	v_cndmask_b32_e64 v13, v13, v31, s[0:1]
	v_alignbit_b32 v37, v34, v35, v36
	v_cmp_eq_u32_e64 s[4:5], 0, v10
	v_cndmask_b32_e64 v33, v39, v13, s[2:3]
	v_cndmask_b32_e64 v10, v37, v34, s[4:5]
	v_alignbit_b32 v34, v35, v33, v36
	v_cndmask_b32_e64 v34, v34, v35, s[4:5]
	v_bfe_u32 v38, v10, 29, 1
	v_cndmask_b32_e64 v12, v31, v12, s[0:1]
	v_alignbit_b32 v35, v10, v34, 30
	v_sub_u32_e32 v39, 0, v38
	v_cndmask_b32_e64 v12, v13, v12, s[2:3]
	v_xor_b32_e32 v35, v35, v39
	v_alignbit_b32 v13, v33, v12, v36
	v_cndmask_b32_e64 v13, v13, v33, s[4:5]
	v_ffbh_u32_e32 v32, v35
	v_alignbit_b32 v31, v34, v13, 30
	v_min_u32_e32 v32, 32, v32
	v_alignbit_b32 v12, v13, v12, 30
	v_xor_b32_e32 v31, v31, v39
	v_sub_u32_e32 v33, 31, v32
	v_xor_b32_e32 v12, v12, v39
	v_alignbit_b32 v34, v35, v31, v33
	v_alignbit_b32 v12, v31, v12, v33
	;; [unrolled: 1-line block ×3, first 2 shown]
	v_ffbh_u32_e32 v31, v13
	v_min_u32_e32 v31, 32, v31
	v_lshrrev_b32_e32 v37, 29, v10
	v_not_b32_e32 v33, v31
	v_alignbit_b32 v12, v13, v12, v33
	v_lshlrev_b32_e32 v13, 31, v37
	v_or_b32_e32 v33, 0x33000000, v13
	v_add_lshl_u32 v31, v31, v32, 23
	v_lshrrev_b32_e32 v12, 9, v12
	v_sub_u32_e32 v31, v33, v31
	v_or_b32_e32 v13, 0.5, v13
	v_lshlrev_b32_e32 v32, 23, v32
	v_or_b32_e32 v12, v31, v12
	v_lshrrev_b32_e32 v31, 9, v34
	v_sub_u32_e32 v13, v13, v32
	v_or_b32_e32 v13, v31, v13
	v_mul_f32_e32 v31, 0x3fc90fda, v13
	v_fma_f32 v32, v13, s35, -v31
	v_fmac_f32_e32 v32, 0x33a22168, v13
	v_fmac_f32_e32 v32, 0x3fc90fda, v12
	v_lshrrev_b32_e32 v10, 30, v10
	v_add_f32_e32 v12, v31, v32
	v_add_u32_e32 v10, v38, v10
	s_andn2_saveexec_b64 s[0:1], s[18:19]
	s_branch .LBB100_268
.LBB100_267:                            ;   in Loop: Header=BB100_180 Depth=1
	s_andn2_saveexec_b64 s[0:1], s[18:19]
.LBB100_268:                            ;   in Loop: Header=BB100_180 Depth=1
	v_mul_f32_e64 v10, |v2|, s36
	v_rndne_f32_e32 v13, v10
	v_cvt_i32_f32_e32 v10, v13
	v_fma_f32 v12, v13, s37, |v2|
	v_fmac_f32_e32 v12, 0xb3a22168, v13
	v_fmac_f32_e32 v12, 0xa7c234c4, v13
; %bb.269:                              ;   in Loop: Header=BB100_180 Depth=1
	s_or_b64 exec, exec, s[0:1]
                                        ; implicit-def: $vgpr13
                                        ; implicit-def: $vgpr31
	s_and_saveexec_b64 s[0:1], s[16:17]
	s_xor_b64 s[16:17], exec, s[0:1]
	s_cbranch_execz .LBB100_271
; %bb.270:                              ;   in Loop: Header=BB100_180 Depth=1
	v_mad_u64_u32 v[31:32], s[0:1], v9, s27, 0
	v_cmp_lt_u32_e32 vcc, 63, v30
	v_mov_b32_e32 v13, v32
	v_mad_u64_u32 v[32:33], s[0:1], v9, s28, v[13:14]
	v_mov_b32_e32 v13, v33
	v_mad_u64_u32 v[33:34], s[0:1], v9, s29, v[13:14]
	v_mov_b32_e32 v13, v34
	v_mad_u64_u32 v[34:35], s[0:1], v9, s30, v[13:14]
	v_cndmask_b32_e32 v13, 0, v25, vcc
	v_add_u32_e32 v30, v13, v30
	v_mov_b32_e32 v13, v35
	v_mad_u64_u32 v[35:36], s[0:1], v9, s31, v[13:14]
	v_cmp_lt_u32_e64 s[0:1], 31, v30
	v_cndmask_b32_e64 v13, 0, v26, s[0:1]
	v_add_u32_e32 v30, v13, v30
	v_mov_b32_e32 v13, v36
	v_mad_u64_u32 v[36:37], s[2:3], v9, s33, v[13:14]
	v_cmp_lt_u32_e64 s[2:3], 31, v30
	v_cndmask_b32_e64 v13, 0, v26, s[2:3]
	v_add_u32_e32 v30, v13, v30
	v_mov_b32_e32 v13, v37
	v_mad_u64_u32 v[37:38], s[4:5], v9, s34, v[13:14]
	v_cndmask_b32_e32 v9, v35, v33, vcc
	v_cndmask_b32_e32 v13, v36, v34, vcc
	;; [unrolled: 1-line block ×4, first 2 shown]
	v_cndmask_b32_e64 v39, v13, v9, s[0:1]
	v_cndmask_b32_e64 v13, v35, v13, s[0:1]
	;; [unrolled: 1-line block ×3, first 2 shown]
	v_cndmask_b32_e32 v32, v34, v32, vcc
	v_cndmask_b32_e64 v35, v35, v13, s[2:3]
	v_cndmask_b32_e64 v13, v13, v39, s[2:3]
	v_sub_u32_e32 v36, 32, v30
	v_cndmask_b32_e64 v9, v9, v32, s[0:1]
	v_alignbit_b32 v37, v35, v13, v36
	v_cmp_eq_u32_e64 s[4:5], 0, v30
	v_cndmask_b32_e64 v34, v39, v9, s[2:3]
	v_cndmask_b32_e64 v30, v37, v35, s[4:5]
	v_alignbit_b32 v35, v13, v34, v36
	v_cndmask_b32_e32 v31, v33, v31, vcc
	v_cndmask_b32_e64 v13, v35, v13, s[4:5]
	v_bfe_u32 v38, v30, 29, 1
	v_cndmask_b32_e64 v31, v32, v31, s[0:1]
	v_alignbit_b32 v35, v30, v13, 30
	v_sub_u32_e32 v39, 0, v38
	v_cndmask_b32_e64 v9, v9, v31, s[2:3]
	v_xor_b32_e32 v35, v35, v39
	v_alignbit_b32 v31, v34, v9, v36
	v_cndmask_b32_e64 v31, v31, v34, s[4:5]
	v_ffbh_u32_e32 v32, v35
	v_alignbit_b32 v13, v13, v31, 30
	v_min_u32_e32 v32, 32, v32
	v_alignbit_b32 v9, v31, v9, 30
	v_xor_b32_e32 v13, v13, v39
	v_sub_u32_e32 v33, 31, v32
	v_xor_b32_e32 v9, v9, v39
	v_alignbit_b32 v34, v35, v13, v33
	v_alignbit_b32 v9, v13, v9, v33
	;; [unrolled: 1-line block ×3, first 2 shown]
	v_ffbh_u32_e32 v31, v13
	v_min_u32_e32 v31, 32, v31
	v_lshrrev_b32_e32 v37, 29, v30
	v_not_b32_e32 v33, v31
	v_alignbit_b32 v9, v13, v9, v33
	v_lshlrev_b32_e32 v13, 31, v37
	v_or_b32_e32 v33, 0x33000000, v13
	v_add_lshl_u32 v31, v31, v32, 23
	v_lshrrev_b32_e32 v9, 9, v9
	v_sub_u32_e32 v31, v33, v31
	v_or_b32_e32 v13, 0.5, v13
	v_lshlrev_b32_e32 v32, 23, v32
	v_or_b32_e32 v9, v31, v9
	v_lshrrev_b32_e32 v31, 9, v34
	v_sub_u32_e32 v13, v13, v32
	v_or_b32_e32 v13, v31, v13
	v_mul_f32_e32 v31, 0x3fc90fda, v13
	v_fma_f32 v32, v13, s35, -v31
	v_fmac_f32_e32 v32, 0x33a22168, v13
	v_fmac_f32_e32 v32, 0x3fc90fda, v9
	v_lshrrev_b32_e32 v9, 30, v30
	v_add_f32_e32 v31, v31, v32
	v_add_u32_e32 v13, v38, v9
	s_andn2_saveexec_b64 s[0:1], s[16:17]
	s_cbranch_execnz .LBB100_272
	s_branch .LBB100_273
.LBB100_271:                            ;   in Loop: Header=BB100_180 Depth=1
	s_andn2_saveexec_b64 s[0:1], s[16:17]
.LBB100_272:                            ;   in Loop: Header=BB100_180 Depth=1
	v_mul_f32_e64 v9, |v2|, s36
	v_rndne_f32_e32 v9, v9
	v_cvt_i32_f32_e32 v13, v9
	v_fma_f32 v31, v9, s37, |v2|
	v_fmac_f32_e32 v31, 0xb3a22168, v9
	v_fmac_f32_e32 v31, 0xa7c234c4, v9
.LBB100_273:                            ;   in Loop: Header=BB100_180 Depth=1
	s_or_b64 exec, exec, s[0:1]
	v_mul_f32_e32 v9, v12, v12
	v_mov_b32_e32 v30, 0x3c0881c4
	v_fmac_f32_e32 v30, 0xb94c1982, v9
	v_fma_f32 v30, v9, v30, v22
	v_mul_f32_e32 v30, v9, v30
	v_fmac_f32_e32 v12, v12, v30
	v_mov_b32_e32 v30, 0xbab64f3b
	v_fmac_f32_e32 v30, 0x37d75334, v9
	v_fma_f32 v30, v9, v30, v23
	v_fma_f32 v30, v9, v30, v24
	v_fma_f32 v9, v9, v30, 1.0
	v_and_b32_e32 v30, 1, v10
	v_lshlrev_b32_e32 v10, 30, v10
	v_and_b32_e32 v10, 0x80000000, v10
	v_cmp_eq_u32_e32 vcc, 0, v30
	v_xor_b32_e32 v10, v11, v10
	v_mul_f32_e64 v11, |v3|, s42
	v_cndmask_b32_e32 v9, v9, v12, vcc
	v_rndne_f32_e32 v12, v11
	v_sub_f32_e32 v30, v11, v12
	v_fma_f32 v11, |v3|, s42, -v11
	v_fma_f32 v11, |v3|, s43, v11
	v_add_f32_e32 v11, v30, v11
	v_exp_f32_e32 v11, v11
	v_cvt_i32_f32_e32 v12, v12
	v_xor_b32_e32 v9, v10, v9
	v_xor_b32_e32 v9, v9, v2
	v_mul_f32_e32 v10, 4.0, v9
	v_ldexp_f32 v9, v11, v12
	v_mul_f32_e32 v12, v31, v31
	v_mov_b32_e32 v30, 0x3c0881c4
	v_fmac_f32_e32 v30, 0xb94c1982, v12
	v_fma_f32 v30, v12, v30, v22
	v_mul_f32_e32 v30, v12, v30
	v_fmac_f32_e32 v31, v31, v30
	v_mov_b32_e32 v30, 0xbab64f3b
	v_fmac_f32_e32 v30, 0x37d75334, v12
	v_fma_f32 v30, v12, v30, v23
	v_cmp_ngt_f32_e64 vcc, |v3|, s44
	v_fma_f32 v30, v12, v30, v24
	v_cndmask_b32_e32 v9, 0, v9, vcc
	v_cmp_nlt_f32_e64 vcc, |v3|, s45
	v_fma_f32 v12, v12, v30, 1.0
	v_and_b32_e32 v30, 1, v13
	v_cndmask_b32_e32 v11, v27, v9, vcc
	v_cmp_eq_u32_e32 vcc, 0, v30
	v_lshlrev_b32_e32 v13, 30, v13
	v_cndmask_b32_e64 v12, -v31, v12, vcc
	v_and_b32_e32 v13, 0x80000000, v13
	v_xor_b32_e32 v12, v13, v12
	v_mul_f32_e32 v10, v10, v12
	v_xor_b32_e32 v9, 0x80000000, v3
	v_mul_f32_e32 v10, v11, v10
	v_bfi_b32 v9, s22, 1.0, v9
	v_mul_f32_e32 v10, v11, v10
.LBB100_274:                            ;   in Loop: Header=BB100_180 Depth=1
	s_or_b64 exec, exec, s[14:15]
.LBB100_275:                            ;   in Loop: Header=BB100_180 Depth=1
	s_andn2_saveexec_b64 s[0:1], s[12:13]
; %bb.276:                              ;   in Loop: Header=BB100_180 Depth=1
	v_sub_f32_e32 v10, v2, v2
	v_mov_b32_e32 v9, v10
; %bb.277:                              ;   in Loop: Header=BB100_180 Depth=1
	s_or_b64 exec, exec, s[0:1]
.LBB100_278:                            ;   in Loop: Header=BB100_180 Depth=1
	s_andn2_saveexec_b64 s[10:11], s[10:11]
	s_cbranch_execz .LBB100_294
; %bb.279:                              ;   in Loop: Header=BB100_180 Depth=1
	v_xor_b32_e32 v9, 0x80000000, v3
	v_and_b32_e32 v10, 0x7fffff, v9
	v_cmp_ne_u32_e32 vcc, 0, v10
                                        ; implicit-def: $vgpr10
	s_and_saveexec_b64 s[0:1], vcc
	s_xor_b64 s[0:1], exec, s[0:1]
; %bb.280:                              ;   in Loop: Header=BB100_180 Depth=1
	v_mul_f32_e64 v3, v2, -v3
	v_cmp_eq_f32_e32 vcc, 0, v2
	v_cndmask_b32_e32 v10, v3, v2, vcc
; %bb.281:                              ;   in Loop: Header=BB100_180 Depth=1
	s_andn2_saveexec_b64 s[12:13], s[0:1]
	s_cbranch_execz .LBB100_293
; %bb.282:                              ;   in Loop: Header=BB100_180 Depth=1
	v_cmp_neq_f32_e64 s[0:1], |v2|, s23
	s_and_saveexec_b64 s[14:15], s[0:1]
	s_cbranch_execz .LBB100_292
; %bb.283:                              ;   in Loop: Header=BB100_180 Depth=1
	v_and_b32_e32 v3, 0x7fffffff, v2
	v_lshrrev_b32_e32 v10, 23, v3
	v_and_b32_e32 v11, 0x7fffff, v3
	v_cmp_nlt_f32_e64 s[16:17], |v2|, s26
	v_add_u32_e32 v30, 0xffffff88, v10
	v_or_b32_e32 v10, 0x800000, v11
                                        ; implicit-def: $vgpr11
                                        ; implicit-def: $vgpr12
	s_and_saveexec_b64 s[0:1], s[16:17]
	s_xor_b64 s[18:19], exec, s[0:1]
	s_cbranch_execz .LBB100_285
; %bb.284:                              ;   in Loop: Header=BB100_180 Depth=1
	v_mad_u64_u32 v[11:12], s[0:1], v10, s27, 0
	v_cmp_lt_u32_e32 vcc, 63, v30
	v_mov_b32_e32 v13, v12
	v_mad_u64_u32 v[12:13], s[0:1], v10, s28, v[13:14]
	v_mad_u64_u32 v[31:32], s[0:1], v10, s29, v[13:14]
	v_mov_b32_e32 v13, v32
	v_mad_u64_u32 v[32:33], s[0:1], v10, s30, v[13:14]
	v_cndmask_b32_e32 v13, 0, v25, vcc
	v_add_u32_e32 v35, v13, v30
	v_mov_b32_e32 v13, v33
	v_mad_u64_u32 v[33:34], s[0:1], v10, s31, v[13:14]
	v_cmp_lt_u32_e64 s[0:1], 31, v35
	v_cndmask_b32_e64 v13, 0, v26, s[0:1]
	v_add_u32_e32 v36, v13, v35
	v_mov_b32_e32 v13, v34
	v_mad_u64_u32 v[34:35], s[2:3], v10, s33, v[13:14]
	v_cmp_lt_u32_e64 s[2:3], 31, v36
	v_cndmask_b32_e64 v13, 0, v26, s[2:3]
	v_add_u32_e32 v37, v13, v36
	v_mov_b32_e32 v13, v35
	v_mad_u64_u32 v[35:36], s[4:5], v10, s34, v[13:14]
	v_cndmask_b32_e32 v13, v33, v31, vcc
	v_cndmask_b32_e32 v38, v34, v32, vcc
	;; [unrolled: 1-line block ×4, first 2 shown]
	v_cndmask_b32_e64 v39, v38, v13, s[0:1]
	v_cndmask_b32_e64 v35, v33, v38, s[0:1]
	;; [unrolled: 1-line block ×3, first 2 shown]
	v_cndmask_b32_e32 v12, v32, v12, vcc
	v_cndmask_b32_e64 v33, v33, v35, s[2:3]
	v_cndmask_b32_e64 v34, v35, v39, s[2:3]
	v_sub_u32_e32 v35, 32, v37
	v_cndmask_b32_e64 v13, v13, v12, s[0:1]
	v_alignbit_b32 v36, v33, v34, v35
	v_cmp_eq_u32_e64 s[4:5], 0, v37
	v_cndmask_b32_e64 v32, v39, v13, s[2:3]
	v_cndmask_b32_e64 v33, v36, v33, s[4:5]
	v_alignbit_b32 v36, v34, v32, v35
	v_cndmask_b32_e32 v11, v31, v11, vcc
	v_cndmask_b32_e64 v34, v36, v34, s[4:5]
	v_bfe_u32 v38, v33, 29, 1
	v_cndmask_b32_e64 v11, v12, v11, s[0:1]
	v_alignbit_b32 v36, v33, v34, 30
	v_sub_u32_e32 v39, 0, v38
	v_cndmask_b32_e64 v11, v13, v11, s[2:3]
	v_xor_b32_e32 v36, v36, v39
	v_alignbit_b32 v12, v32, v11, v35
	v_cndmask_b32_e64 v12, v12, v32, s[4:5]
	v_ffbh_u32_e32 v31, v36
	v_alignbit_b32 v13, v34, v12, 30
	v_min_u32_e32 v31, 32, v31
	v_alignbit_b32 v11, v12, v11, 30
	v_xor_b32_e32 v13, v13, v39
	v_sub_u32_e32 v32, 31, v31
	v_xor_b32_e32 v11, v11, v39
	v_alignbit_b32 v34, v36, v13, v32
	v_alignbit_b32 v11, v13, v11, v32
	;; [unrolled: 1-line block ×3, first 2 shown]
	v_ffbh_u32_e32 v13, v12
	v_min_u32_e32 v13, 32, v13
	v_lshrrev_b32_e32 v37, 29, v33
	v_not_b32_e32 v32, v13
	v_alignbit_b32 v11, v12, v11, v32
	v_lshlrev_b32_e32 v12, 31, v37
	v_or_b32_e32 v32, 0x33000000, v12
	v_add_lshl_u32 v13, v13, v31, 23
	v_lshrrev_b32_e32 v11, 9, v11
	v_sub_u32_e32 v13, v32, v13
	v_or_b32_e32 v12, 0.5, v12
	v_lshlrev_b32_e32 v31, 23, v31
	v_or_b32_e32 v11, v13, v11
	v_lshrrev_b32_e32 v13, 9, v34
	v_sub_u32_e32 v12, v12, v31
	v_or_b32_e32 v12, v13, v12
	v_mul_f32_e32 v13, 0x3fc90fda, v12
	v_fma_f32 v31, v12, s35, -v13
	v_fmac_f32_e32 v31, 0x33a22168, v12
	v_fmac_f32_e32 v31, 0x3fc90fda, v11
	v_lshrrev_b32_e32 v11, 30, v33
	v_add_f32_e32 v12, v13, v31
	v_add_u32_e32 v11, v38, v11
.LBB100_285:                            ;   in Loop: Header=BB100_180 Depth=1
	s_or_saveexec_b64 s[0:1], s[18:19]
	v_mul_f32_e64 v13, |v2|, s36
	v_rndne_f32_e32 v32, v13
	s_xor_b64 exec, exec, s[0:1]
; %bb.286:                              ;   in Loop: Header=BB100_180 Depth=1
	v_cvt_i32_f32_e32 v11, v32
	v_fma_f32 v12, v32, s37, |v2|
	v_fmac_f32_e32 v12, 0xb3a22168, v32
	v_fmac_f32_e32 v12, 0xa7c234c4, v32
; %bb.287:                              ;   in Loop: Header=BB100_180 Depth=1
	s_or_b64 exec, exec, s[0:1]
                                        ; implicit-def: $vgpr13
                                        ; implicit-def: $vgpr31
	s_and_saveexec_b64 s[0:1], s[16:17]
	s_xor_b64 s[16:17], exec, s[0:1]
	s_cbranch_execz .LBB100_289
; %bb.288:                              ;   in Loop: Header=BB100_180 Depth=1
	v_mad_u64_u32 v[31:32], s[0:1], v10, s27, 0
	v_cmp_lt_u32_e32 vcc, 63, v30
	v_mov_b32_e32 v13, v32
	v_mad_u64_u32 v[32:33], s[0:1], v10, s28, v[13:14]
	v_mov_b32_e32 v13, v33
	v_mad_u64_u32 v[33:34], s[0:1], v10, s29, v[13:14]
	;; [unrolled: 2-line block ×3, first 2 shown]
	v_cndmask_b32_e32 v13, 0, v25, vcc
	v_add_u32_e32 v30, v13, v30
	v_mov_b32_e32 v13, v35
	v_mad_u64_u32 v[35:36], s[0:1], v10, s31, v[13:14]
	v_cmp_lt_u32_e64 s[0:1], 31, v30
	v_cndmask_b32_e64 v13, 0, v26, s[0:1]
	v_add_u32_e32 v30, v13, v30
	v_mov_b32_e32 v13, v36
	v_mad_u64_u32 v[36:37], s[2:3], v10, s33, v[13:14]
	v_cmp_lt_u32_e64 s[2:3], 31, v30
	v_cndmask_b32_e64 v13, 0, v26, s[2:3]
	v_add_u32_e32 v30, v13, v30
	v_mov_b32_e32 v13, v37
	v_mad_u64_u32 v[37:38], s[4:5], v10, s34, v[13:14]
	v_cndmask_b32_e32 v10, v35, v33, vcc
	v_cndmask_b32_e32 v13, v36, v34, vcc
	;; [unrolled: 1-line block ×4, first 2 shown]
	v_cndmask_b32_e64 v39, v13, v10, s[0:1]
	v_cndmask_b32_e64 v13, v35, v13, s[0:1]
	;; [unrolled: 1-line block ×3, first 2 shown]
	v_cndmask_b32_e32 v32, v34, v32, vcc
	v_cndmask_b32_e64 v35, v35, v13, s[2:3]
	v_cndmask_b32_e64 v13, v13, v39, s[2:3]
	v_sub_u32_e32 v36, 32, v30
	v_cndmask_b32_e64 v10, v10, v32, s[0:1]
	v_alignbit_b32 v37, v35, v13, v36
	v_cmp_eq_u32_e64 s[4:5], 0, v30
	v_cndmask_b32_e64 v34, v39, v10, s[2:3]
	v_cndmask_b32_e64 v30, v37, v35, s[4:5]
	v_alignbit_b32 v35, v13, v34, v36
	v_cndmask_b32_e32 v31, v33, v31, vcc
	v_cndmask_b32_e64 v13, v35, v13, s[4:5]
	v_bfe_u32 v38, v30, 29, 1
	v_cndmask_b32_e64 v31, v32, v31, s[0:1]
	v_alignbit_b32 v35, v30, v13, 30
	v_sub_u32_e32 v39, 0, v38
	v_cndmask_b32_e64 v10, v10, v31, s[2:3]
	v_xor_b32_e32 v35, v35, v39
	v_alignbit_b32 v31, v34, v10, v36
	v_cndmask_b32_e64 v31, v31, v34, s[4:5]
	v_ffbh_u32_e32 v32, v35
	v_alignbit_b32 v13, v13, v31, 30
	v_min_u32_e32 v32, 32, v32
	v_alignbit_b32 v10, v31, v10, 30
	v_xor_b32_e32 v13, v13, v39
	v_sub_u32_e32 v33, 31, v32
	v_xor_b32_e32 v10, v10, v39
	v_alignbit_b32 v34, v35, v13, v33
	v_alignbit_b32 v10, v13, v10, v33
	v_alignbit_b32 v13, v34, v10, 9
	v_ffbh_u32_e32 v31, v13
	v_min_u32_e32 v31, 32, v31
	v_lshrrev_b32_e32 v37, 29, v30
	v_not_b32_e32 v33, v31
	v_alignbit_b32 v10, v13, v10, v33
	v_lshlrev_b32_e32 v13, 31, v37
	v_or_b32_e32 v33, 0x33000000, v13
	v_add_lshl_u32 v31, v31, v32, 23
	v_lshrrev_b32_e32 v10, 9, v10
	v_sub_u32_e32 v31, v33, v31
	v_or_b32_e32 v13, 0.5, v13
	v_lshlrev_b32_e32 v32, 23, v32
	v_or_b32_e32 v10, v31, v10
	v_lshrrev_b32_e32 v31, 9, v34
	v_sub_u32_e32 v13, v13, v32
	v_or_b32_e32 v13, v31, v13
	v_mul_f32_e32 v31, 0x3fc90fda, v13
	v_fma_f32 v32, v13, s35, -v31
	v_fmac_f32_e32 v32, 0x33a22168, v13
	v_fmac_f32_e32 v32, 0x3fc90fda, v10
	v_lshrrev_b32_e32 v10, 30, v30
	v_add_f32_e32 v31, v31, v32
	v_add_u32_e32 v13, v38, v10
                                        ; implicit-def: $vgpr32
	s_andn2_saveexec_b64 s[0:1], s[16:17]
	s_cbranch_execnz .LBB100_290
	s_branch .LBB100_291
.LBB100_289:                            ;   in Loop: Header=BB100_180 Depth=1
	s_andn2_saveexec_b64 s[0:1], s[16:17]
.LBB100_290:                            ;   in Loop: Header=BB100_180 Depth=1
	v_cvt_i32_f32_e32 v13, v32
	v_fma_f32 v31, v32, s37, |v2|
	v_fmac_f32_e32 v31, 0xb3a22168, v32
	v_fmac_f32_e32 v31, 0xa7c234c4, v32
.LBB100_291:                            ;   in Loop: Header=BB100_180 Depth=1
	s_or_b64 exec, exec, s[0:1]
	v_mul_f32_e32 v10, v12, v12
	v_mov_b32_e32 v30, 0x3c0881c4
	v_fmac_f32_e32 v30, 0xb94c1982, v10
	v_fma_f32 v30, v10, v30, v22
	v_mul_f32_e32 v30, v10, v30
	v_fmac_f32_e32 v12, v12, v30
	v_mov_b32_e32 v30, 0xbab64f3b
	v_fmac_f32_e32 v30, 0x37d75334, v10
	v_fma_f32 v30, v10, v30, v23
	v_fma_f32 v30, v10, v30, v24
	v_fma_f32 v10, v10, v30, 1.0
	v_and_b32_e32 v30, 1, v11
	v_lshlrev_b32_e32 v11, 30, v11
	v_cmp_eq_u32_e32 vcc, 0, v30
	v_and_b32_e32 v11, 0x80000000, v11
	v_cndmask_b32_e32 v10, v10, v12, vcc
	v_xor_b32_e32 v3, v3, v11
	v_xor_b32_e32 v3, v3, v10
	v_mul_f32_e32 v10, v31, v31
	v_mov_b32_e32 v11, 0x3c0881c4
	v_fmac_f32_e32 v11, 0xb94c1982, v10
	v_fma_f32 v11, v10, v11, v22
	v_mul_f32_e32 v11, v10, v11
	v_fmac_f32_e32 v31, v31, v11
	v_mov_b32_e32 v11, 0xbab64f3b
	v_fmac_f32_e32 v11, 0x37d75334, v10
	v_fma_f32 v11, v10, v11, v23
	v_fma_f32 v11, v10, v11, v24
	v_fma_f32 v10, v10, v11, 1.0
	v_and_b32_e32 v11, 1, v13
	v_cmp_eq_u32_e32 vcc, 0, v11
	v_lshlrev_b32_e32 v11, 30, v13
	v_cndmask_b32_e64 v10, -v31, v10, vcc
	v_and_b32_e32 v11, 0x80000000, v11
	v_xor_b32_e32 v3, v3, v2
	v_xor_b32_e32 v10, v11, v10
	v_mul_f32_e32 v3, v3, v10
	v_cmp_class_f32_e64 vcc, v2, s24
	v_cndmask_b32_e32 v2, v28, v3, vcc
.LBB100_292:                            ;   in Loop: Header=BB100_180 Depth=1
	s_or_b64 exec, exec, s[14:15]
	v_add_u32_e32 v9, -2.0, v9
	v_bfi_b32 v10, s22, 0, v2
.LBB100_293:                            ;   in Loop: Header=BB100_180 Depth=1
	s_or_b64 exec, exec, s[12:13]
.LBB100_294:                            ;   in Loop: Header=BB100_180 Depth=1
	s_or_b64 exec, exec, s[10:11]
	v_and_b32_e32 v3, 0x7fffffff, v5
	v_cmp_gt_u32_e32 vcc, s23, v3
                                        ; implicit-def: $vgpr30
	s_and_saveexec_b64 s[0:1], vcc
	s_xor_b64 s[10:11], exec, s[0:1]
	s_cbranch_execz .LBB100_316
; %bb.295:                              ;   in Loop: Header=BB100_180 Depth=1
	v_cmp_class_f32_e64 s[0:1], v4, s24
                                        ; implicit-def: $vgpr30
	s_and_saveexec_b64 s[2:3], s[0:1]
	s_xor_b64 s[12:13], exec, s[2:3]
	s_cbranch_execz .LBB100_313
; %bb.296:                              ;   in Loop: Header=BB100_180 Depth=1
	v_and_b32_e32 v2, 0x7fffffff, v4
	v_cmp_gt_u32_e32 vcc, s25, v3
                                        ; implicit-def: $vgpr30
	s_and_saveexec_b64 s[0:1], vcc
	s_xor_b64 s[14:15], exec, s[0:1]
	s_cbranch_execz .LBB100_302
; %bb.297:                              ;   in Loop: Header=BB100_180 Depth=1
	v_cmp_nlt_f32_e64 s[0:1], |v4|, s26
                                        ; implicit-def: $vgpr11
                                        ; implicit-def: $vgpr3
	s_and_saveexec_b64 s[2:3], s[0:1]
	s_xor_b64 s[16:17], exec, s[2:3]
	s_cbranch_execz .LBB100_299
; %bb.298:                              ;   in Loop: Header=BB100_180 Depth=1
	v_and_b32_e32 v3, 0x7fffff, v2
	v_or_b32_e32 v3, 0x800000, v3
	v_mad_u64_u32 v[11:12], s[0:1], v3, s27, 0
	v_mov_b32_e32 v13, v12
	v_mad_u64_u32 v[12:13], s[0:1], v3, s28, v[13:14]
	v_mad_u64_u32 v[30:31], s[0:1], v3, s29, v[13:14]
	v_mov_b32_e32 v13, v31
	v_mad_u64_u32 v[31:32], s[0:1], v3, s30, v[13:14]
	v_lshrrev_b32_e32 v13, 23, v2
	v_add_u32_e32 v34, 0xffffff88, v13
	v_mov_b32_e32 v13, v32
	v_mad_u64_u32 v[32:33], s[0:1], v3, s31, v[13:14]
	v_cmp_lt_u32_e32 vcc, 63, v34
	v_cndmask_b32_e32 v13, 0, v25, vcc
	v_add_u32_e32 v35, v13, v34
	v_mov_b32_e32 v13, v33
	v_mad_u64_u32 v[33:34], s[0:1], v3, s33, v[13:14]
	v_cmp_lt_u32_e64 s[0:1], 31, v35
	v_cndmask_b32_e64 v13, 0, v26, s[0:1]
	v_add_u32_e32 v36, v13, v35
	v_mov_b32_e32 v13, v34
	v_mad_u64_u32 v[34:35], s[2:3], v3, s34, v[13:14]
	v_cmp_lt_u32_e64 s[2:3], 31, v36
	v_cndmask_b32_e64 v3, 0, v26, s[2:3]
	v_cndmask_b32_e32 v13, v33, v31, vcc
	v_cndmask_b32_e32 v34, v34, v32, vcc
	;; [unrolled: 1-line block ×4, first 2 shown]
	v_add_u32_e32 v3, v3, v36
	v_cndmask_b32_e64 v35, v34, v13, s[0:1]
	v_cndmask_b32_e64 v33, v33, v34, s[0:1]
	v_cndmask_b32_e64 v13, v13, v32, s[0:1]
	v_cndmask_b32_e64 v33, v33, v35, s[2:3]
	v_cndmask_b32_e64 v34, v35, v13, s[2:3]
	v_sub_u32_e32 v35, 32, v3
	v_cmp_eq_u32_e64 s[4:5], 0, v3
	v_cndmask_b32_e32 v3, v31, v12, vcc
	v_cndmask_b32_e64 v12, v32, v3, s[0:1]
	v_alignbit_b32 v36, v33, v34, v35
	v_cndmask_b32_e64 v13, v13, v12, s[2:3]
	v_cndmask_b32_e64 v33, v36, v33, s[4:5]
	v_alignbit_b32 v31, v34, v13, v35
	v_cndmask_b32_e32 v11, v30, v11, vcc
	v_cndmask_b32_e64 v31, v31, v34, s[4:5]
	v_bfe_u32 v36, v33, 29, 1
	v_cndmask_b32_e64 v3, v3, v11, s[0:1]
	v_alignbit_b32 v32, v33, v31, 30
	v_sub_u32_e32 v37, 0, v36
	v_cndmask_b32_e64 v3, v12, v3, s[2:3]
	v_xor_b32_e32 v32, v32, v37
	v_alignbit_b32 v11, v13, v3, v35
	v_cndmask_b32_e64 v11, v11, v13, s[4:5]
	v_ffbh_u32_e32 v13, v32
	v_alignbit_b32 v12, v31, v11, 30
	v_min_u32_e32 v13, 32, v13
	v_alignbit_b32 v3, v11, v3, 30
	v_xor_b32_e32 v12, v12, v37
	v_sub_u32_e32 v30, 31, v13
	v_xor_b32_e32 v3, v3, v37
	v_alignbit_b32 v31, v32, v12, v30
	v_alignbit_b32 v3, v12, v3, v30
	;; [unrolled: 1-line block ×3, first 2 shown]
	v_ffbh_u32_e32 v12, v11
	v_min_u32_e32 v12, 32, v12
	v_lshrrev_b32_e32 v34, 29, v33
	v_not_b32_e32 v30, v12
	v_alignbit_b32 v3, v11, v3, v30
	v_lshlrev_b32_e32 v11, 31, v34
	v_or_b32_e32 v30, 0x33000000, v11
	v_add_lshl_u32 v12, v12, v13, 23
	v_lshrrev_b32_e32 v3, 9, v3
	v_sub_u32_e32 v12, v30, v12
	v_or_b32_e32 v11, 0.5, v11
	v_lshlrev_b32_e32 v13, 23, v13
	v_or_b32_e32 v3, v12, v3
	v_lshrrev_b32_e32 v12, 9, v31
	v_sub_u32_e32 v11, v11, v13
	v_or_b32_e32 v11, v12, v11
	v_mul_f32_e32 v12, 0x3fc90fda, v11
	v_fma_f32 v13, v11, s35, -v12
	v_fmac_f32_e32 v13, 0x33a22168, v11
	v_fmac_f32_e32 v13, 0x3fc90fda, v3
	v_lshrrev_b32_e32 v11, 30, v33
	v_add_f32_e32 v3, v12, v13
	v_add_u32_e32 v11, v36, v11
.LBB100_299:                            ;   in Loop: Header=BB100_180 Depth=1
	s_andn2_saveexec_b64 s[0:1], s[16:17]
; %bb.300:                              ;   in Loop: Header=BB100_180 Depth=1
	v_mul_f32_e64 v3, |v4|, s36
	v_rndne_f32_e32 v12, v3
	v_cvt_i32_f32_e32 v11, v12
	v_fma_f32 v3, v12, s37, |v4|
	v_fmac_f32_e32 v3, 0xb3a22168, v12
	v_fmac_f32_e32 v3, 0xa7c234c4, v12
; %bb.301:                              ;   in Loop: Header=BB100_180 Depth=1
	s_or_b64 exec, exec, s[0:1]
	v_mul_f32_e32 v12, v3, v3
	v_mov_b32_e32 v13, 0xbf039337
	v_fmac_f32_e32 v13, 0x3c971480, v12
	v_fma_f32 v13, v12, v13, v17
	v_rcp_f32_e32 v13, v13
	v_mov_b32_e32 v30, 0x3ec54587
	v_fmac_f32_e32 v30, 0xbc8cedd3, v12
	v_and_b32_e32 v11, 1, v11
	v_mul_f32_e32 v13, v30, v13
	v_mul_f32_e32 v12, v12, v13
	v_fma_f32 v13, v12, v3, v3
	v_rcp_f32_e32 v30, v13
	v_sub_f32_e32 v31, v13, v3
	v_fma_f32 v3, v12, v3, -v31
	v_cmp_eq_u32_e32 vcc, 0, v11
	v_fma_f32 v12, v13, -v30, 1.0
	v_fma_f32 v3, v3, -v30, v12
	v_add_f32_e64 v11, |v5|, s38
	v_fma_f32 v3, v3, -v30, -v30
	v_sub_f32_e64 v12, v11, |v5|
	v_cndmask_b32_e32 v3, v3, v13, vcc
	v_sub_f32_e32 v13, v12, v11
	v_add_f32_e64 v13, |v5|, v13
	v_add_f32_e32 v12, 0x3f317218, v12
	v_sub_f32_e32 v12, v13, v12
	v_add_f32_e32 v12, 0x3102e308, v12
	v_add_f32_e32 v13, v11, v12
	v_sub_f32_e32 v11, v11, v13
	v_add_f32_e32 v11, v12, v11
	v_mul_f32_e32 v12, 0x3fb8aa3b, v13
	v_rndne_f32_e32 v12, v12
	v_fmac_f32_e32 v13, 0xbf317200, v12
	v_add_f32_e32 v30, v11, v13
	v_sub_f32_e32 v13, v13, v30
	v_add_f32_e32 v11, v11, v13
	v_mul_f32_e32 v13, 0x35bfbc00, v12
	v_sub_f32_e32 v31, v30, v13
	v_sub_f32_e32 v30, v30, v31
	;; [unrolled: 1-line block ×3, first 2 shown]
	v_add_f32_e32 v11, v11, v13
	v_add_f32_e32 v13, v31, v11
	v_sub_f32_e32 v30, v31, v13
	v_add_f32_e32 v11, v11, v30
	v_mul_f32_e32 v30, 0x2ea39ef3, v12
	v_sub_f32_e32 v31, v13, v30
	v_sub_f32_e32 v13, v13, v31
	;; [unrolled: 1-line block ×3, first 2 shown]
	v_add_f32_e32 v11, v11, v13
	v_add_f32_e32 v13, v31, v11
	v_sub_f32_e32 v31, v31, v13
	v_mov_b32_e32 v30, 0x3c091de6
	v_add_f32_e32 v11, v11, v31
	v_mul_f32_e32 v32, v13, v13
	v_fmac_f32_e32 v30, 0x3ab42872, v13
	v_add_f32_e32 v31, v11, v11
	v_fma_f32 v33, v13, v13, -v32
	v_fma_f32 v30, v13, v30, v18
	v_fmac_f32_e32 v33, v13, v31
	v_fma_f32 v30, v13, v30, v19
	v_add_f32_e32 v31, v32, v33
	v_fma_f32 v30, v13, v30, v20
	v_sub_f32_e32 v32, v31, v32
	v_sub_f32_e32 v32, v33, v32
	v_mul_f32_e32 v33, v30, v31
	v_fma_f32 v31, v31, v30, -v33
	v_fmac_f32_e32 v31, v32, v30
	v_add_f32_e32 v30, v33, v31
	v_sub_f32_e32 v32, v30, v33
	v_sub_f32_e32 v31, v31, v32
	v_add_f32_e32 v32, v13, v30
	v_sub_f32_e32 v13, v32, v13
	v_sub_f32_e32 v13, v30, v13
	v_add_f32_e32 v11, v11, v31
	v_add_f32_e32 v11, v11, v13
	;; [unrolled: 1-line block ×3, first 2 shown]
	v_sub_f32_e32 v30, v13, v32
	v_sub_f32_e32 v11, v11, v30
	v_add_f32_e32 v30, 1.0, v13
	v_add_f32_e32 v31, -1.0, v30
	v_cvt_i32_f32_e32 v12, v12
	v_sub_f32_e32 v13, v13, v31
	v_add_f32_e32 v11, v11, v13
	v_add_f32_e32 v13, v30, v11
	v_ldexp_f32 v31, v13, v12
	v_rcp_f32_e32 v32, v31
	v_sub_f32_e32 v13, v13, v30
	v_sub_f32_e32 v11, v11, v13
	v_ldexp_f32 v11, v11, v12
	v_mul_f32_e32 v12, v31, v32
	v_fma_f32 v13, v32, v31, -v12
	v_fmac_f32_e32 v13, v32, v11
	v_add_f32_e32 v30, v12, v13
	v_sub_f32_e32 v33, 1.0, v30
	v_sub_f32_e32 v34, 1.0, v33
	v_sub_f32_e32 v12, v30, v12
	v_sub_f32_e32 v34, v34, v30
	;; [unrolled: 1-line block ×3, first 2 shown]
	v_add_f32_e32 v12, v12, v34
	v_add_f32_e32 v13, v33, v12
	v_mul_f32_e32 v30, v32, v13
	v_mul_f32_e32 v34, v31, v30
	v_fma_f32 v35, v30, v31, -v34
	v_fmac_f32_e32 v35, v30, v11
	v_sub_f32_e32 v33, v33, v13
	v_add_f32_e32 v12, v12, v33
	v_add_f32_e32 v33, v34, v35
	v_sub_f32_e32 v36, v13, v33
	v_sub_f32_e32 v13, v13, v36
	;; [unrolled: 1-line block ×4, first 2 shown]
	v_add_f32_e32 v12, v12, v13
	v_sub_f32_e32 v13, v34, v35
	v_add_f32_e32 v12, v13, v12
	v_add_f32_e32 v12, v36, v12
	;; [unrolled: 1-line block ×3, first 2 shown]
	v_mul_f32_e32 v12, v32, v12
	v_sub_f32_e32 v32, v13, v32
	v_sub_f32_e32 v30, v30, v32
	v_add_f32_e32 v12, v30, v12
	v_add_f32_e32 v30, v13, v12
	v_sub_f32_e32 v13, v30, v13
	v_sub_f32_e32 v12, v12, v13
	v_ldexp_f32 v13, v30, -2
	v_sub_f32_e32 v30, v31, v13
	v_sub_f32_e32 v31, v31, v30
	;; [unrolled: 1-line block ×3, first 2 shown]
	v_ldexp_f32 v12, v12, -2
	v_add_f32_e32 v11, v11, v13
	v_sub_f32_e32 v11, v11, v12
	v_add_f32_e32 v11, v30, v11
	v_cmp_ngt_f32_e64 vcc, |v5|, s39
	v_cndmask_b32_e32 v11, v27, v11, vcc
	v_cmp_lt_f32_e64 s[0:1], |v5|, s40
	v_cndmask_b32_e64 v11, v11, |v5|, s[0:1]
	v_xor_b32_e32 v5, 0x80000000, v5
	v_bfi_b32 v5, s22, v11, v5
	v_fma_f32 v11, v5, v5, 1.0
	v_mul_f32_e32 v12, 0x4f800000, v11
	v_cmp_gt_f32_e32 vcc, s41, v11
	v_cndmask_b32_e32 v11, v11, v12, vcc
	v_sqrt_f32_e32 v12, v11
	v_xor_b32_e32 v2, v2, v3
	v_xor_b32_e32 v2, v2, v4
	v_fma_f32 v3, v2, v2, 1.0
	v_add_u32_e32 v4, -1, v12
	v_fma_f32 v13, -v4, v12, v11
	v_cmp_ge_f32_e64 s[0:1], 0, v13
	v_add_u32_e32 v13, 1, v12
	v_cndmask_b32_e64 v4, v12, v4, s[0:1]
	v_fma_f32 v12, -v13, v12, v11
	v_cmp_lt_f32_e64 s[0:1], 0, v12
	v_cndmask_b32_e64 v4, v4, v13, s[0:1]
	v_mul_f32_e32 v12, 0x37800000, v4
	v_cndmask_b32_e32 v4, v4, v12, vcc
	v_cmp_class_f32_e32 vcc, v11, v21
	v_cndmask_b32_e32 v4, v4, v11, vcc
	v_mul_f32_e32 v11, v5, v3
	v_mul_f32_e32 v3, v4, v3
	v_fma_f32 v11, v5, v11, 1.0
	v_mul_f32_e32 v3, v5, v3
	v_div_scale_f32 v4, s[0:1], v11, v11, v3
	v_div_scale_f32 v5, vcc, v3, v11, v3
	v_div_scale_f32 v12, s[0:1], v11, v11, v2
	v_div_scale_f32 v13, s[0:1], v2, v11, v2
	v_rcp_f32_e32 v30, v4
	v_fma_f32 v31, -v4, v30, 1.0
	v_fmac_f32_e32 v30, v31, v30
	v_mul_f32_e32 v31, v5, v30
	v_fma_f32 v32, -v4, v31, v5
	v_fmac_f32_e32 v31, v32, v30
	v_rcp_f32_e32 v32, v12
	v_fma_f32 v4, -v4, v31, v5
	v_div_fmas_f32 v4, v4, v30, v31
	s_mov_b64 vcc, s[0:1]
	v_fma_f32 v5, -v12, v32, 1.0
	v_fmac_f32_e32 v32, v5, v32
	v_mul_f32_e32 v5, v13, v32
	v_fma_f32 v30, -v12, v5, v13
	v_fmac_f32_e32 v5, v30, v32
	v_fma_f32 v12, -v12, v5, v13
	v_div_fmas_f32 v5, v12, v32, v5
	v_div_fixup_f32 v30, v4, v11, v3
	v_div_fixup_f32 v12, v5, v11, v2
                                        ; implicit-def: $vgpr2_vgpr3_vgpr4_vgpr5
                                        ; implicit-def: $vgpr2
.LBB100_302:                            ;   in Loop: Header=BB100_180 Depth=1
	s_andn2_saveexec_b64 s[14:15], s[14:15]
	s_cbranch_execz .LBB100_312
; %bb.303:                              ;   in Loop: Header=BB100_180 Depth=1
	v_lshrrev_b32_e32 v3, 23, v2
	v_and_b32_e32 v11, 0x7fffff, v2
	v_cmp_nlt_f32_e64 s[16:17], |v4|, s26
	v_add_u32_e32 v30, 0xffffff88, v3
	v_or_b32_e32 v3, 0x800000, v11
                                        ; implicit-def: $vgpr11
                                        ; implicit-def: $vgpr12
	s_and_saveexec_b64 s[0:1], s[16:17]
	s_xor_b64 s[18:19], exec, s[0:1]
	s_cbranch_execz .LBB100_305
; %bb.304:                              ;   in Loop: Header=BB100_180 Depth=1
	v_mad_u64_u32 v[11:12], s[0:1], v3, s27, 0
	v_cmp_lt_u32_e32 vcc, 63, v30
	v_mov_b32_e32 v13, v12
	v_mad_u64_u32 v[12:13], s[0:1], v3, s28, v[13:14]
	v_mad_u64_u32 v[31:32], s[0:1], v3, s29, v[13:14]
	v_mov_b32_e32 v13, v32
	v_mad_u64_u32 v[32:33], s[0:1], v3, s30, v[13:14]
	v_cndmask_b32_e32 v13, 0, v25, vcc
	v_add_u32_e32 v35, v13, v30
	v_mov_b32_e32 v13, v33
	v_mad_u64_u32 v[33:34], s[0:1], v3, s31, v[13:14]
	v_cmp_lt_u32_e64 s[0:1], 31, v35
	v_cndmask_b32_e64 v13, 0, v26, s[0:1]
	v_add_u32_e32 v36, v13, v35
	v_mov_b32_e32 v13, v34
	v_mad_u64_u32 v[34:35], s[2:3], v3, s33, v[13:14]
	v_cmp_lt_u32_e64 s[2:3], 31, v36
	v_cndmask_b32_e64 v13, 0, v26, s[2:3]
	v_add_u32_e32 v37, v13, v36
	v_mov_b32_e32 v13, v35
	v_mad_u64_u32 v[35:36], s[4:5], v3, s34, v[13:14]
	v_cndmask_b32_e32 v13, v33, v31, vcc
	v_cndmask_b32_e32 v38, v34, v32, vcc
	;; [unrolled: 1-line block ×4, first 2 shown]
	v_cndmask_b32_e64 v39, v38, v13, s[0:1]
	v_cndmask_b32_e64 v35, v33, v38, s[0:1]
	;; [unrolled: 1-line block ×3, first 2 shown]
	v_cndmask_b32_e32 v12, v32, v12, vcc
	v_cndmask_b32_e64 v33, v33, v35, s[2:3]
	v_cndmask_b32_e64 v34, v35, v39, s[2:3]
	v_sub_u32_e32 v35, 32, v37
	v_cndmask_b32_e64 v13, v13, v12, s[0:1]
	v_alignbit_b32 v36, v33, v34, v35
	v_cmp_eq_u32_e64 s[4:5], 0, v37
	v_cndmask_b32_e64 v32, v39, v13, s[2:3]
	v_cndmask_b32_e64 v33, v36, v33, s[4:5]
	v_alignbit_b32 v36, v34, v32, v35
	v_cndmask_b32_e32 v11, v31, v11, vcc
	v_cndmask_b32_e64 v34, v36, v34, s[4:5]
	v_bfe_u32 v38, v33, 29, 1
	v_cndmask_b32_e64 v11, v12, v11, s[0:1]
	v_alignbit_b32 v36, v33, v34, 30
	v_sub_u32_e32 v39, 0, v38
	v_cndmask_b32_e64 v11, v13, v11, s[2:3]
	v_xor_b32_e32 v36, v36, v39
	v_alignbit_b32 v12, v32, v11, v35
	v_cndmask_b32_e64 v12, v12, v32, s[4:5]
	v_ffbh_u32_e32 v31, v36
	v_alignbit_b32 v13, v34, v12, 30
	v_min_u32_e32 v31, 32, v31
	v_alignbit_b32 v11, v12, v11, 30
	v_xor_b32_e32 v13, v13, v39
	v_sub_u32_e32 v32, 31, v31
	v_xor_b32_e32 v11, v11, v39
	v_alignbit_b32 v34, v36, v13, v32
	v_alignbit_b32 v11, v13, v11, v32
	;; [unrolled: 1-line block ×3, first 2 shown]
	v_ffbh_u32_e32 v13, v12
	v_min_u32_e32 v13, 32, v13
	v_lshrrev_b32_e32 v37, 29, v33
	v_not_b32_e32 v32, v13
	v_alignbit_b32 v11, v12, v11, v32
	v_lshlrev_b32_e32 v12, 31, v37
	v_or_b32_e32 v32, 0x33000000, v12
	v_add_lshl_u32 v13, v13, v31, 23
	v_lshrrev_b32_e32 v11, 9, v11
	v_sub_u32_e32 v13, v32, v13
	v_or_b32_e32 v12, 0.5, v12
	v_lshlrev_b32_e32 v31, 23, v31
	v_or_b32_e32 v11, v13, v11
	v_lshrrev_b32_e32 v13, 9, v34
	v_sub_u32_e32 v12, v12, v31
	v_or_b32_e32 v12, v13, v12
	v_mul_f32_e32 v13, 0x3fc90fda, v12
	v_fma_f32 v31, v12, s35, -v13
	v_fmac_f32_e32 v31, 0x33a22168, v12
	v_fmac_f32_e32 v31, 0x3fc90fda, v11
	v_lshrrev_b32_e32 v11, 30, v33
	v_add_f32_e32 v12, v13, v31
	v_add_u32_e32 v11, v38, v11
	s_andn2_saveexec_b64 s[0:1], s[18:19]
	s_branch .LBB100_306
.LBB100_305:                            ;   in Loop: Header=BB100_180 Depth=1
	s_andn2_saveexec_b64 s[0:1], s[18:19]
.LBB100_306:                            ;   in Loop: Header=BB100_180 Depth=1
	v_mul_f32_e64 v11, |v4|, s36
	v_rndne_f32_e32 v13, v11
	v_cvt_i32_f32_e32 v11, v13
	v_fma_f32 v12, v13, s37, |v4|
	v_fmac_f32_e32 v12, 0xb3a22168, v13
	v_fmac_f32_e32 v12, 0xa7c234c4, v13
; %bb.307:                              ;   in Loop: Header=BB100_180 Depth=1
	s_or_b64 exec, exec, s[0:1]
                                        ; implicit-def: $vgpr13
                                        ; implicit-def: $vgpr31
	s_and_saveexec_b64 s[0:1], s[16:17]
	s_xor_b64 s[16:17], exec, s[0:1]
	s_cbranch_execz .LBB100_309
; %bb.308:                              ;   in Loop: Header=BB100_180 Depth=1
	v_mad_u64_u32 v[31:32], s[0:1], v3, s27, 0
	v_cmp_lt_u32_e32 vcc, 63, v30
	v_mov_b32_e32 v13, v32
	v_mad_u64_u32 v[32:33], s[0:1], v3, s28, v[13:14]
	v_mov_b32_e32 v13, v33
	v_mad_u64_u32 v[33:34], s[0:1], v3, s29, v[13:14]
	;; [unrolled: 2-line block ×3, first 2 shown]
	v_cndmask_b32_e32 v13, 0, v25, vcc
	v_add_u32_e32 v30, v13, v30
	v_mov_b32_e32 v13, v35
	v_mad_u64_u32 v[35:36], s[0:1], v3, s31, v[13:14]
	v_cmp_lt_u32_e64 s[0:1], 31, v30
	v_cndmask_b32_e64 v13, 0, v26, s[0:1]
	v_add_u32_e32 v30, v13, v30
	v_mov_b32_e32 v13, v36
	v_mad_u64_u32 v[36:37], s[2:3], v3, s33, v[13:14]
	v_cmp_lt_u32_e64 s[2:3], 31, v30
	v_cndmask_b32_e64 v13, 0, v26, s[2:3]
	v_add_u32_e32 v30, v13, v30
	v_mov_b32_e32 v13, v37
	v_mad_u64_u32 v[37:38], s[4:5], v3, s34, v[13:14]
	v_cndmask_b32_e32 v3, v35, v33, vcc
	v_cndmask_b32_e32 v13, v36, v34, vcc
	;; [unrolled: 1-line block ×4, first 2 shown]
	v_cndmask_b32_e64 v39, v13, v3, s[0:1]
	v_cndmask_b32_e64 v13, v35, v13, s[0:1]
	;; [unrolled: 1-line block ×3, first 2 shown]
	v_cndmask_b32_e32 v32, v34, v32, vcc
	v_cndmask_b32_e64 v35, v35, v13, s[2:3]
	v_cndmask_b32_e64 v13, v13, v39, s[2:3]
	v_sub_u32_e32 v36, 32, v30
	v_cndmask_b32_e64 v3, v3, v32, s[0:1]
	v_alignbit_b32 v37, v35, v13, v36
	v_cmp_eq_u32_e64 s[4:5], 0, v30
	v_cndmask_b32_e64 v34, v39, v3, s[2:3]
	v_cndmask_b32_e64 v30, v37, v35, s[4:5]
	v_alignbit_b32 v35, v13, v34, v36
	v_cndmask_b32_e32 v31, v33, v31, vcc
	v_cndmask_b32_e64 v13, v35, v13, s[4:5]
	v_bfe_u32 v38, v30, 29, 1
	v_cndmask_b32_e64 v31, v32, v31, s[0:1]
	v_alignbit_b32 v35, v30, v13, 30
	v_sub_u32_e32 v39, 0, v38
	v_cndmask_b32_e64 v3, v3, v31, s[2:3]
	v_xor_b32_e32 v35, v35, v39
	v_alignbit_b32 v31, v34, v3, v36
	v_cndmask_b32_e64 v31, v31, v34, s[4:5]
	v_ffbh_u32_e32 v32, v35
	v_alignbit_b32 v13, v13, v31, 30
	v_min_u32_e32 v32, 32, v32
	v_alignbit_b32 v3, v31, v3, 30
	v_xor_b32_e32 v13, v13, v39
	v_sub_u32_e32 v33, 31, v32
	v_xor_b32_e32 v3, v3, v39
	v_alignbit_b32 v34, v35, v13, v33
	v_alignbit_b32 v3, v13, v3, v33
	v_alignbit_b32 v13, v34, v3, 9
	v_ffbh_u32_e32 v31, v13
	v_min_u32_e32 v31, 32, v31
	v_lshrrev_b32_e32 v37, 29, v30
	v_not_b32_e32 v33, v31
	v_alignbit_b32 v3, v13, v3, v33
	v_lshlrev_b32_e32 v13, 31, v37
	v_or_b32_e32 v33, 0x33000000, v13
	v_add_lshl_u32 v31, v31, v32, 23
	v_lshrrev_b32_e32 v3, 9, v3
	v_sub_u32_e32 v31, v33, v31
	v_or_b32_e32 v13, 0.5, v13
	v_lshlrev_b32_e32 v32, 23, v32
	v_or_b32_e32 v3, v31, v3
	v_lshrrev_b32_e32 v31, 9, v34
	v_sub_u32_e32 v13, v13, v32
	v_or_b32_e32 v13, v31, v13
	v_mul_f32_e32 v31, 0x3fc90fda, v13
	v_fma_f32 v32, v13, s35, -v31
	v_fmac_f32_e32 v32, 0x33a22168, v13
	v_fmac_f32_e32 v32, 0x3fc90fda, v3
	v_lshrrev_b32_e32 v3, 30, v30
	v_add_f32_e32 v31, v31, v32
	v_add_u32_e32 v13, v38, v3
	s_andn2_saveexec_b64 s[0:1], s[16:17]
	s_cbranch_execnz .LBB100_310
	s_branch .LBB100_311
.LBB100_309:                            ;   in Loop: Header=BB100_180 Depth=1
	s_andn2_saveexec_b64 s[0:1], s[16:17]
.LBB100_310:                            ;   in Loop: Header=BB100_180 Depth=1
	v_mul_f32_e64 v3, |v4|, s36
	v_rndne_f32_e32 v3, v3
	v_cvt_i32_f32_e32 v13, v3
	v_fma_f32 v31, v3, s37, |v4|
	v_fmac_f32_e32 v31, 0xb3a22168, v3
	v_fmac_f32_e32 v31, 0xa7c234c4, v3
.LBB100_311:                            ;   in Loop: Header=BB100_180 Depth=1
	s_or_b64 exec, exec, s[0:1]
	v_mul_f32_e32 v3, v12, v12
	v_mov_b32_e32 v30, 0x3c0881c4
	v_fmac_f32_e32 v30, 0xb94c1982, v3
	v_fma_f32 v30, v3, v30, v22
	v_mul_f32_e32 v30, v3, v30
	v_fmac_f32_e32 v12, v12, v30
	v_mov_b32_e32 v30, 0xbab64f3b
	v_fmac_f32_e32 v30, 0x37d75334, v3
	v_fma_f32 v30, v3, v30, v23
	v_fma_f32 v30, v3, v30, v24
	v_fma_f32 v3, v3, v30, 1.0
	v_and_b32_e32 v30, 1, v11
	v_lshlrev_b32_e32 v11, 30, v11
	v_and_b32_e32 v11, 0x80000000, v11
	v_cmp_eq_u32_e32 vcc, 0, v30
	v_xor_b32_e32 v2, v2, v11
	v_mul_f32_e64 v11, |v5|, s42
	v_cndmask_b32_e32 v3, v3, v12, vcc
	v_rndne_f32_e32 v12, v11
	v_sub_f32_e32 v30, v11, v12
	v_fma_f32 v11, |v5|, s42, -v11
	v_fma_f32 v11, |v5|, s43, v11
	v_add_f32_e32 v11, v30, v11
	v_exp_f32_e32 v11, v11
	v_cvt_i32_f32_e32 v12, v12
	v_xor_b32_e32 v2, v2, v3
	v_xor_b32_e32 v2, v2, v4
	v_cmp_ngt_f32_e64 vcc, |v5|, s44
	v_ldexp_f32 v3, v11, v12
	v_xor_b32_e32 v4, 0x80000000, v5
	v_cndmask_b32_e32 v3, 0, v3, vcc
	v_cmp_nlt_f32_e64 vcc, |v5|, s45
	v_bfi_b32 v30, s22, 1.0, v4
	v_mul_f32_e32 v4, v31, v31
	v_mov_b32_e32 v5, 0x3c0881c4
	v_fmac_f32_e32 v5, 0xb94c1982, v4
	v_fma_f32 v5, v4, v5, v22
	v_mul_f32_e32 v5, v4, v5
	v_fmac_f32_e32 v31, v31, v5
	v_mov_b32_e32 v5, 0xbab64f3b
	v_fmac_f32_e32 v5, 0x37d75334, v4
	v_fma_f32 v5, v4, v5, v23
	v_fma_f32 v5, v4, v5, v24
	v_fma_f32 v4, v4, v5, 1.0
	v_and_b32_e32 v5, 1, v13
	v_cndmask_b32_e32 v3, v27, v3, vcc
	v_cmp_eq_u32_e32 vcc, 0, v5
	v_lshlrev_b32_e32 v5, 30, v13
	v_cndmask_b32_e64 v4, -v31, v4, vcc
	v_and_b32_e32 v5, 0x80000000, v5
	v_mul_f32_e32 v2, 4.0, v2
	v_xor_b32_e32 v4, v5, v4
	v_mul_f32_e32 v2, v2, v4
	v_mul_f32_e32 v2, v3, v2
	;; [unrolled: 1-line block ×3, first 2 shown]
.LBB100_312:                            ;   in Loop: Header=BB100_180 Depth=1
	s_or_b64 exec, exec, s[14:15]
                                        ; implicit-def: $vgpr2_vgpr3_vgpr4_vgpr5
.LBB100_313:                            ;   in Loop: Header=BB100_180 Depth=1
	s_andn2_saveexec_b64 s[0:1], s[12:13]
; %bb.314:                              ;   in Loop: Header=BB100_180 Depth=1
	v_sub_f32_e32 v12, v4, v4
	v_mov_b32_e32 v30, v12
; %bb.315:                              ;   in Loop: Header=BB100_180 Depth=1
	s_or_b64 exec, exec, s[0:1]
                                        ; implicit-def: $vgpr2_vgpr3_vgpr4_vgpr5
.LBB100_316:                            ;   in Loop: Header=BB100_180 Depth=1
	s_andn2_saveexec_b64 s[10:11], s[10:11]
	s_cbranch_execz .LBB100_179
; %bb.317:                              ;   in Loop: Header=BB100_180 Depth=1
	v_xor_b32_e32 v30, 0x80000000, v5
	v_and_b32_e32 v2, 0x7fffff, v30
	v_cmp_ne_u32_e32 vcc, 0, v2
	s_and_saveexec_b64 s[0:1], vcc
	s_xor_b64 s[0:1], exec, s[0:1]
; %bb.318:                              ;   in Loop: Header=BB100_180 Depth=1
	v_mul_f32_e64 v2, v4, -v5
	v_cmp_eq_f32_e32 vcc, 0, v4
	v_cndmask_b32_e32 v12, v2, v4, vcc
                                        ; implicit-def: $vgpr2_vgpr3_vgpr4_vgpr5
; %bb.319:                              ;   in Loop: Header=BB100_180 Depth=1
	s_andn2_saveexec_b64 s[12:13], s[0:1]
	s_cbranch_execz .LBB100_178
; %bb.320:                              ;   in Loop: Header=BB100_180 Depth=1
	v_cmp_neq_f32_e64 s[0:1], |v4|, s23
	s_and_saveexec_b64 s[14:15], s[0:1]
	s_cbranch_execz .LBB100_177
; %bb.321:                              ;   in Loop: Header=BB100_180 Depth=1
	v_and_b32_e32 v2, 0x7fffffff, v4
	v_lshrrev_b32_e32 v3, 23, v2
	v_and_b32_e32 v5, 0x7fffff, v2
	v_cmp_nlt_f32_e64 s[16:17], |v4|, s26
	v_add_u32_e32 v12, 0xffffff88, v3
	v_or_b32_e32 v3, 0x800000, v5
                                        ; implicit-def: $vgpr5
                                        ; implicit-def: $vgpr11
	s_and_saveexec_b64 s[0:1], s[16:17]
	s_xor_b64 s[18:19], exec, s[0:1]
	s_cbranch_execz .LBB100_323
; %bb.322:                              ;   in Loop: Header=BB100_180 Depth=1
	v_mad_u64_u32 v[31:32], s[0:1], v3, s27, 0
	v_cmp_lt_u32_e32 vcc, 63, v12
	v_cndmask_b32_e32 v5, 0, v25, vcc
	v_mov_b32_e32 v13, v32
	v_mad_u64_u32 v[32:33], s[0:1], v3, s28, v[13:14]
	v_add_u32_e32 v5, v5, v12
	v_mov_b32_e32 v13, v33
	v_mad_u64_u32 v[33:34], s[0:1], v3, s29, v[13:14]
	v_mov_b32_e32 v13, v34
	v_mad_u64_u32 v[34:35], s[0:1], v3, s30, v[13:14]
	v_cndmask_b32_e32 v31, v33, v31, vcc
	v_mov_b32_e32 v13, v35
	v_mad_u64_u32 v[35:36], s[0:1], v3, s31, v[13:14]
	v_cmp_lt_u32_e64 s[0:1], 31, v5
	v_cndmask_b32_e64 v11, 0, v26, s[0:1]
	v_mov_b32_e32 v13, v36
	v_mad_u64_u32 v[36:37], s[2:3], v3, s33, v[13:14]
	v_add_u32_e32 v5, v11, v5
	v_cmp_lt_u32_e64 s[2:3], 31, v5
	v_mov_b32_e32 v13, v37
	v_mad_u64_u32 v[37:38], s[4:5], v3, s34, v[13:14]
	v_cndmask_b32_e64 v11, 0, v26, s[2:3]
	v_add_u32_e32 v5, v11, v5
	v_cndmask_b32_e32 v11, v35, v33, vcc
	v_cndmask_b32_e32 v13, v36, v34, vcc
	;; [unrolled: 1-line block ×4, first 2 shown]
	v_cndmask_b32_e64 v39, v13, v11, s[0:1]
	v_cndmask_b32_e64 v13, v35, v13, s[0:1]
	;; [unrolled: 1-line block ×3, first 2 shown]
	v_cndmask_b32_e32 v32, v34, v32, vcc
	v_cndmask_b32_e64 v35, v35, v13, s[2:3]
	v_cndmask_b32_e64 v13, v13, v39, s[2:3]
	v_sub_u32_e32 v36, 32, v5
	v_cndmask_b32_e64 v11, v11, v32, s[0:1]
	v_alignbit_b32 v37, v35, v13, v36
	v_cmp_eq_u32_e64 s[4:5], 0, v5
	v_cndmask_b32_e64 v34, v39, v11, s[2:3]
	v_cndmask_b32_e64 v5, v37, v35, s[4:5]
	v_alignbit_b32 v35, v13, v34, v36
	v_cndmask_b32_e64 v13, v35, v13, s[4:5]
	v_bfe_u32 v38, v5, 29, 1
	v_cndmask_b32_e64 v31, v32, v31, s[0:1]
	v_alignbit_b32 v35, v5, v13, 30
	v_sub_u32_e32 v39, 0, v38
	v_cndmask_b32_e64 v11, v11, v31, s[2:3]
	v_xor_b32_e32 v35, v35, v39
	v_alignbit_b32 v31, v34, v11, v36
	v_cndmask_b32_e64 v31, v31, v34, s[4:5]
	v_ffbh_u32_e32 v32, v35
	v_alignbit_b32 v13, v13, v31, 30
	v_min_u32_e32 v32, 32, v32
	v_alignbit_b32 v11, v31, v11, 30
	v_xor_b32_e32 v13, v13, v39
	v_sub_u32_e32 v33, 31, v32
	v_xor_b32_e32 v11, v11, v39
	v_alignbit_b32 v34, v35, v13, v33
	v_alignbit_b32 v11, v13, v11, v33
	;; [unrolled: 1-line block ×3, first 2 shown]
	v_ffbh_u32_e32 v31, v13
	v_min_u32_e32 v31, 32, v31
	v_lshrrev_b32_e32 v37, 29, v5
	v_not_b32_e32 v33, v31
	v_alignbit_b32 v11, v13, v11, v33
	v_lshlrev_b32_e32 v13, 31, v37
	v_or_b32_e32 v33, 0x33000000, v13
	v_add_lshl_u32 v31, v31, v32, 23
	v_lshrrev_b32_e32 v11, 9, v11
	v_sub_u32_e32 v31, v33, v31
	v_or_b32_e32 v13, 0.5, v13
	v_lshlrev_b32_e32 v32, 23, v32
	v_or_b32_e32 v11, v31, v11
	v_lshrrev_b32_e32 v31, 9, v34
	v_sub_u32_e32 v13, v13, v32
	v_or_b32_e32 v13, v31, v13
	v_mul_f32_e32 v31, 0x3fc90fda, v13
	v_fma_f32 v32, v13, s35, -v31
	v_fmac_f32_e32 v32, 0x33a22168, v13
	v_fmac_f32_e32 v32, 0x3fc90fda, v11
	v_lshrrev_b32_e32 v5, 30, v5
	v_add_f32_e32 v11, v31, v32
	v_add_u32_e32 v5, v38, v5
.LBB100_323:                            ;   in Loop: Header=BB100_180 Depth=1
	s_or_saveexec_b64 s[0:1], s[18:19]
	v_mul_f32_e64 v13, |v4|, s36
	v_rndne_f32_e32 v32, v13
	s_xor_b64 exec, exec, s[0:1]
; %bb.324:                              ;   in Loop: Header=BB100_180 Depth=1
	v_cvt_i32_f32_e32 v5, v32
	v_fma_f32 v11, v32, s37, |v4|
	v_fmac_f32_e32 v11, 0xb3a22168, v32
	v_fmac_f32_e32 v11, 0xa7c234c4, v32
; %bb.325:                              ;   in Loop: Header=BB100_180 Depth=1
	s_or_b64 exec, exec, s[0:1]
                                        ; implicit-def: $vgpr13
                                        ; implicit-def: $vgpr31
	s_and_saveexec_b64 s[0:1], s[16:17]
	s_xor_b64 s[16:17], exec, s[0:1]
	s_cbranch_execz .LBB100_327
; %bb.326:                              ;   in Loop: Header=BB100_180 Depth=1
	v_mad_u64_u32 v[31:32], s[0:1], v3, s27, 0
	v_cmp_lt_u32_e32 vcc, 63, v12
	v_mov_b32_e32 v13, v32
	v_mad_u64_u32 v[32:33], s[0:1], v3, s28, v[13:14]
	v_mov_b32_e32 v13, v33
	v_mad_u64_u32 v[33:34], s[0:1], v3, s29, v[13:14]
	;; [unrolled: 2-line block ×3, first 2 shown]
	v_cndmask_b32_e32 v13, 0, v25, vcc
	v_add_u32_e32 v36, v13, v12
	v_mov_b32_e32 v13, v35
	v_mad_u64_u32 v[12:13], s[0:1], v3, s31, v[13:14]
	v_cmp_lt_u32_e64 s[0:1], 31, v36
	v_cndmask_b32_e64 v35, 0, v26, s[0:1]
	v_add_u32_e32 v37, v35, v36
	v_mad_u64_u32 v[35:36], s[2:3], v3, s33, v[13:14]
	v_cmp_lt_u32_e64 s[2:3], 31, v37
	v_cndmask_b32_e64 v13, 0, v26, s[2:3]
	v_add_u32_e32 v38, v13, v37
	v_mov_b32_e32 v13, v36
	v_mad_u64_u32 v[36:37], s[4:5], v3, s34, v[13:14]
	v_cndmask_b32_e32 v3, v12, v33, vcc
	v_cndmask_b32_e32 v13, v35, v34, vcc
	;; [unrolled: 1-line block ×4, first 2 shown]
	v_cndmask_b32_e64 v39, v13, v3, s[0:1]
	v_cndmask_b32_e64 v13, v12, v13, s[0:1]
	;; [unrolled: 1-line block ×3, first 2 shown]
	v_cndmask_b32_e32 v32, v34, v32, vcc
	v_cndmask_b32_e64 v12, v12, v13, s[2:3]
	v_cndmask_b32_e64 v13, v13, v39, s[2:3]
	v_sub_u32_e32 v35, 32, v38
	v_cndmask_b32_e64 v3, v3, v32, s[0:1]
	v_alignbit_b32 v36, v12, v13, v35
	v_cmp_eq_u32_e64 s[4:5], 0, v38
	v_cndmask_b32_e64 v34, v39, v3, s[2:3]
	v_cndmask_b32_e64 v12, v36, v12, s[4:5]
	v_alignbit_b32 v36, v13, v34, v35
	v_cndmask_b32_e32 v31, v33, v31, vcc
	v_cndmask_b32_e64 v13, v36, v13, s[4:5]
	v_bfe_u32 v38, v12, 29, 1
	v_cndmask_b32_e64 v31, v32, v31, s[0:1]
	v_alignbit_b32 v36, v12, v13, 30
	v_sub_u32_e32 v39, 0, v38
	v_cndmask_b32_e64 v3, v3, v31, s[2:3]
	v_xor_b32_e32 v36, v36, v39
	v_alignbit_b32 v31, v34, v3, v35
	v_cndmask_b32_e64 v31, v31, v34, s[4:5]
	v_ffbh_u32_e32 v32, v36
	v_alignbit_b32 v13, v13, v31, 30
	v_min_u32_e32 v32, 32, v32
	v_alignbit_b32 v3, v31, v3, 30
	v_xor_b32_e32 v13, v13, v39
	v_sub_u32_e32 v33, 31, v32
	v_xor_b32_e32 v3, v3, v39
	v_alignbit_b32 v34, v36, v13, v33
	v_alignbit_b32 v3, v13, v3, v33
	;; [unrolled: 1-line block ×3, first 2 shown]
	v_ffbh_u32_e32 v31, v13
	v_min_u32_e32 v31, 32, v31
	v_lshrrev_b32_e32 v37, 29, v12
	v_not_b32_e32 v33, v31
	v_alignbit_b32 v3, v13, v3, v33
	v_lshlrev_b32_e32 v13, 31, v37
	v_or_b32_e32 v33, 0x33000000, v13
	v_add_lshl_u32 v31, v31, v32, 23
	v_lshrrev_b32_e32 v3, 9, v3
	v_sub_u32_e32 v31, v33, v31
	v_or_b32_e32 v13, 0.5, v13
	v_lshlrev_b32_e32 v32, 23, v32
	v_or_b32_e32 v3, v31, v3
	v_lshrrev_b32_e32 v31, 9, v34
	v_sub_u32_e32 v13, v13, v32
	v_or_b32_e32 v13, v31, v13
	v_mul_f32_e32 v31, 0x3fc90fda, v13
	v_fma_f32 v32, v13, s35, -v31
	v_fmac_f32_e32 v32, 0x33a22168, v13
	v_fmac_f32_e32 v32, 0x3fc90fda, v3
	v_lshrrev_b32_e32 v3, 30, v12
	v_add_f32_e32 v31, v31, v32
	v_add_u32_e32 v13, v38, v3
                                        ; implicit-def: $vgpr32
	s_andn2_saveexec_b64 s[0:1], s[16:17]
	s_cbranch_execz .LBB100_176
	s_branch .LBB100_328
.LBB100_327:                            ;   in Loop: Header=BB100_180 Depth=1
	s_andn2_saveexec_b64 s[0:1], s[16:17]
	s_cbranch_execz .LBB100_176
.LBB100_328:                            ;   in Loop: Header=BB100_180 Depth=1
	v_cvt_i32_f32_e32 v13, v32
	v_fma_f32 v31, v32, s37, |v4|
	v_fmac_f32_e32 v31, 0xb3a22168, v32
	v_fmac_f32_e32 v31, 0xa7c234c4, v32
	s_branch .LBB100_176
.LBB100_329:
	s_endpgm
	.section	.rodata,"a",@progbits
	.p2align	6, 0x0
	.amdhsa_kernel _ZN2at6native12_GLOBAL__N_125multi_tensor_apply_kernelINS1_18TensorListMetadataILi1EEENS1_14UnaryOpFunctorIN3c107complexIfEELi1ELi1ELi0EEEJNS0_3TanIS8_EEEEEvT_T0_DpT1_
		.amdhsa_group_segment_fixed_size 0
		.amdhsa_private_segment_fixed_size 0
		.amdhsa_kernarg_size 3632
		.amdhsa_user_sgpr_count 6
		.amdhsa_user_sgpr_private_segment_buffer 1
		.amdhsa_user_sgpr_dispatch_ptr 0
		.amdhsa_user_sgpr_queue_ptr 0
		.amdhsa_user_sgpr_kernarg_segment_ptr 1
		.amdhsa_user_sgpr_dispatch_id 0
		.amdhsa_user_sgpr_flat_scratch_init 0
		.amdhsa_user_sgpr_private_segment_size 0
		.amdhsa_uses_dynamic_stack 0
		.amdhsa_system_sgpr_private_segment_wavefront_offset 0
		.amdhsa_system_sgpr_workgroup_id_x 1
		.amdhsa_system_sgpr_workgroup_id_y 0
		.amdhsa_system_sgpr_workgroup_id_z 0
		.amdhsa_system_sgpr_workgroup_info 0
		.amdhsa_system_vgpr_workitem_id 0
		.amdhsa_next_free_vgpr 49
		.amdhsa_next_free_sgpr 66
		.amdhsa_reserve_vcc 1
		.amdhsa_reserve_flat_scratch 0
		.amdhsa_float_round_mode_32 0
		.amdhsa_float_round_mode_16_64 0
		.amdhsa_float_denorm_mode_32 3
		.amdhsa_float_denorm_mode_16_64 3
		.amdhsa_dx10_clamp 1
		.amdhsa_ieee_mode 1
		.amdhsa_fp16_overflow 0
		.amdhsa_exception_fp_ieee_invalid_op 0
		.amdhsa_exception_fp_denorm_src 0
		.amdhsa_exception_fp_ieee_div_zero 0
		.amdhsa_exception_fp_ieee_overflow 0
		.amdhsa_exception_fp_ieee_underflow 0
		.amdhsa_exception_fp_ieee_inexact 0
		.amdhsa_exception_int_div_zero 0
	.end_amdhsa_kernel
	.section	.text._ZN2at6native12_GLOBAL__N_125multi_tensor_apply_kernelINS1_18TensorListMetadataILi1EEENS1_14UnaryOpFunctorIN3c107complexIfEELi1ELi1ELi0EEEJNS0_3TanIS8_EEEEEvT_T0_DpT1_,"axG",@progbits,_ZN2at6native12_GLOBAL__N_125multi_tensor_apply_kernelINS1_18TensorListMetadataILi1EEENS1_14UnaryOpFunctorIN3c107complexIfEELi1ELi1ELi0EEEJNS0_3TanIS8_EEEEEvT_T0_DpT1_,comdat
.Lfunc_end100:
	.size	_ZN2at6native12_GLOBAL__N_125multi_tensor_apply_kernelINS1_18TensorListMetadataILi1EEENS1_14UnaryOpFunctorIN3c107complexIfEELi1ELi1ELi0EEEJNS0_3TanIS8_EEEEEvT_T0_DpT1_, .Lfunc_end100-_ZN2at6native12_GLOBAL__N_125multi_tensor_apply_kernelINS1_18TensorListMetadataILi1EEENS1_14UnaryOpFunctorIN3c107complexIfEELi1ELi1ELi0EEEJNS0_3TanIS8_EEEEEvT_T0_DpT1_
                                        ; -- End function
	.set _ZN2at6native12_GLOBAL__N_125multi_tensor_apply_kernelINS1_18TensorListMetadataILi1EEENS1_14UnaryOpFunctorIN3c107complexIfEELi1ELi1ELi0EEEJNS0_3TanIS8_EEEEEvT_T0_DpT1_.num_vgpr, 49
	.set _ZN2at6native12_GLOBAL__N_125multi_tensor_apply_kernelINS1_18TensorListMetadataILi1EEENS1_14UnaryOpFunctorIN3c107complexIfEELi1ELi1ELi0EEEJNS0_3TanIS8_EEEEEvT_T0_DpT1_.num_agpr, 0
	.set _ZN2at6native12_GLOBAL__N_125multi_tensor_apply_kernelINS1_18TensorListMetadataILi1EEENS1_14UnaryOpFunctorIN3c107complexIfEELi1ELi1ELi0EEEJNS0_3TanIS8_EEEEEvT_T0_DpT1_.numbered_sgpr, 66
	.set _ZN2at6native12_GLOBAL__N_125multi_tensor_apply_kernelINS1_18TensorListMetadataILi1EEENS1_14UnaryOpFunctorIN3c107complexIfEELi1ELi1ELi0EEEJNS0_3TanIS8_EEEEEvT_T0_DpT1_.num_named_barrier, 0
	.set _ZN2at6native12_GLOBAL__N_125multi_tensor_apply_kernelINS1_18TensorListMetadataILi1EEENS1_14UnaryOpFunctorIN3c107complexIfEELi1ELi1ELi0EEEJNS0_3TanIS8_EEEEEvT_T0_DpT1_.private_seg_size, 0
	.set _ZN2at6native12_GLOBAL__N_125multi_tensor_apply_kernelINS1_18TensorListMetadataILi1EEENS1_14UnaryOpFunctorIN3c107complexIfEELi1ELi1ELi0EEEJNS0_3TanIS8_EEEEEvT_T0_DpT1_.uses_vcc, 1
	.set _ZN2at6native12_GLOBAL__N_125multi_tensor_apply_kernelINS1_18TensorListMetadataILi1EEENS1_14UnaryOpFunctorIN3c107complexIfEELi1ELi1ELi0EEEJNS0_3TanIS8_EEEEEvT_T0_DpT1_.uses_flat_scratch, 0
	.set _ZN2at6native12_GLOBAL__N_125multi_tensor_apply_kernelINS1_18TensorListMetadataILi1EEENS1_14UnaryOpFunctorIN3c107complexIfEELi1ELi1ELi0EEEJNS0_3TanIS8_EEEEEvT_T0_DpT1_.has_dyn_sized_stack, 0
	.set _ZN2at6native12_GLOBAL__N_125multi_tensor_apply_kernelINS1_18TensorListMetadataILi1EEENS1_14UnaryOpFunctorIN3c107complexIfEELi1ELi1ELi0EEEJNS0_3TanIS8_EEEEEvT_T0_DpT1_.has_recursion, 0
	.set _ZN2at6native12_GLOBAL__N_125multi_tensor_apply_kernelINS1_18TensorListMetadataILi1EEENS1_14UnaryOpFunctorIN3c107complexIfEELi1ELi1ELi0EEEJNS0_3TanIS8_EEEEEvT_T0_DpT1_.has_indirect_call, 0
	.section	.AMDGPU.csdata,"",@progbits
; Kernel info:
; codeLenInByte = 38724
; TotalNumSgprs: 70
; NumVgprs: 49
; ScratchSize: 0
; MemoryBound: 1
; FloatMode: 240
; IeeeMode: 1
; LDSByteSize: 0 bytes/workgroup (compile time only)
; SGPRBlocks: 8
; VGPRBlocks: 12
; NumSGPRsForWavesPerEU: 70
; NumVGPRsForWavesPerEU: 49
; Occupancy: 4
; WaveLimiterHint : 0
; COMPUTE_PGM_RSRC2:SCRATCH_EN: 0
; COMPUTE_PGM_RSRC2:USER_SGPR: 6
; COMPUTE_PGM_RSRC2:TRAP_HANDLER: 0
; COMPUTE_PGM_RSRC2:TGID_X_EN: 1
; COMPUTE_PGM_RSRC2:TGID_Y_EN: 0
; COMPUTE_PGM_RSRC2:TGID_Z_EN: 0
; COMPUTE_PGM_RSRC2:TIDIG_COMP_CNT: 0
	.section	.text._ZN2at6native12_GLOBAL__N_125multi_tensor_apply_kernelINS1_18TensorListMetadataILi1EEENS1_14UnaryOpFunctorIN3c104HalfELi1ELi1ELi0EEEJNS0_3TanIfEEEEEvT_T0_DpT1_,"axG",@progbits,_ZN2at6native12_GLOBAL__N_125multi_tensor_apply_kernelINS1_18TensorListMetadataILi1EEENS1_14UnaryOpFunctorIN3c104HalfELi1ELi1ELi0EEEJNS0_3TanIfEEEEEvT_T0_DpT1_,comdat
	.globl	_ZN2at6native12_GLOBAL__N_125multi_tensor_apply_kernelINS1_18TensorListMetadataILi1EEENS1_14UnaryOpFunctorIN3c104HalfELi1ELi1ELi0EEEJNS0_3TanIfEEEEEvT_T0_DpT1_ ; -- Begin function _ZN2at6native12_GLOBAL__N_125multi_tensor_apply_kernelINS1_18TensorListMetadataILi1EEENS1_14UnaryOpFunctorIN3c104HalfELi1ELi1ELi0EEEJNS0_3TanIfEEEEEvT_T0_DpT1_
	.p2align	8
	.type	_ZN2at6native12_GLOBAL__N_125multi_tensor_apply_kernelINS1_18TensorListMetadataILi1EEENS1_14UnaryOpFunctorIN3c104HalfELi1ELi1ELi0EEEJNS0_3TanIfEEEEEvT_T0_DpT1_,@function
_ZN2at6native12_GLOBAL__N_125multi_tensor_apply_kernelINS1_18TensorListMetadataILi1EEENS1_14UnaryOpFunctorIN3c104HalfELi1ELi1ELi0EEEJNS0_3TanIfEEEEEvT_T0_DpT1_: ; @_ZN2at6native12_GLOBAL__N_125multi_tensor_apply_kernelINS1_18TensorListMetadataILi1EEENS1_14UnaryOpFunctorIN3c104HalfELi1ELi1ELi0EEEJNS0_3TanIfEEEEEvT_T0_DpT1_
; %bb.0:
	v_mov_b32_e32 v1, s6
	global_load_ubyte v1, v1, s[4:5] offset:1760
	s_add_u32 s0, s4, s6
	s_mul_hi_u32 s1, s6, 3
	s_mul_i32 s6, s6, 3
	s_addc_u32 s2, s5, 0
	s_add_u32 s0, s0, s6
	s_addc_u32 s1, s2, s1
	s_load_dword s0, s[0:1], 0x820
	s_mov_b32 s7, 0
	s_waitcnt vmcnt(0)
	v_readfirstlane_b32 s1, v1
	s_lshl_b32 s1, s1, 3
	s_load_dwordx2 s[2:3], s[4:5], s1 offset:0x370
	s_load_dwordx2 s[16:17], s[4:5], s1 offset:0x0
	s_waitcnt lgkmcnt(0)
	s_ashr_i32 s1, s0, 31
	s_lshl_b64 s[18:19], s[0:1], 17
	s_lshl_b64 s[0:1], s[0:1], 16
	s_and_b32 s6, s16, 7
	s_sub_u32 s20, s2, s0
	s_subb_u32 s21, s3, s1
	s_and_b32 s0, s2, 3
	s_mov_b32 s1, s7
	s_or_b64 s[0:1], s[6:7], s[0:1]
	s_cmp_eq_u64 s[0:1], 0
	s_cbranch_scc1 .LBB101_37
; %bb.1:
	v_cmp_lt_i64_e64 s[0:1], s[20:21], 1
	s_and_b64 vcc, exec, s[0:1]
	s_cbranch_vccnz .LBB101_36
; %bb.2:
	v_mov_b32_e32 v3, 0x10000
	s_load_dword s2, s[4:5], 0xd3c
	v_mov_b32_e32 v4, 0
	v_cmp_lt_i64_e32 vcc, s[20:21], v[3:4]
	v_lshlrev_b32_e32 v1, 1, v0
	s_and_b64 s[0:1], vcc, exec
	v_cmp_lt_u64_e32 vcc, s[20:21], v[3:4]
	s_cselect_b32 s23, s21, 0
	s_cselect_b32 s22, s20, 0x10000
	s_waitcnt lgkmcnt(0)
	s_and_b32 s2, s2, 0xffff
	s_and_b64 s[0:1], vcc, exec
	s_cselect_b32 s25, s21, 0
	s_cselect_b32 s24, s20, 0x10000
	s_lshl_b32 s3, s2, 1
	s_lshl_b32 s30, s2, 2
	s_add_u32 s6, s16, s18
	s_addc_u32 s7, s17, s19
	v_mov_b32_e32 v4, s7
	v_add_co_u32_e32 v3, vcc, s6, v1
	s_mul_i32 s0, s2, 3
	v_addc_co_u32_e32 v4, vcc, 0, v4, vcc
	v_add_co_u32_e32 v7, vcc, s0, v0
	v_addc_co_u32_e64 v8, s[0:1], 0, 0, vcc
	v_add_co_u32_e32 v9, vcc, s3, v0
	v_addc_co_u32_e64 v10, s[0:1], 0, 0, vcc
	v_add_co_u32_e32 v11, vcc, s2, v0
	v_lshlrev_b32_e32 v1, 1, v11
	v_addc_co_u32_e64 v12, s[0:1], 0, 0, vcc
	v_mov_b32_e32 v6, s7
	v_add_co_u32_e32 v5, vcc, s6, v1
	v_mov_b32_e32 v2, 0
	s_lshl_b32 s31, s2, 3
	s_mul_i32 s33, s2, 6
	v_addc_co_u32_e32 v6, vcc, 0, v6, vcc
	s_mov_b64 s[26:27], 0
	s_brev_b32 s34, 18
	s_mov_b32 s35, 0xfe5163ab
	s_mov_b32 s36, 0x3c439041
	;; [unrolled: 1-line block ×10, first 2 shown]
	v_mov_b32_e32 v13, 0x3f93f425
	s_movk_i32 s45, 0x1f8
	v_not_b32_e32 v14, 63
	v_not_b32_e32 v15, 31
	v_mov_b32_e32 v16, 0x7fc00000
	s_branch .LBB101_4
.LBB101_3:                              ;   in Loop: Header=BB101_4 Depth=1
	s_or_b64 exec, exec, s[0:1]
	s_add_u32 s26, s26, s30
	v_add_co_u32_e32 v3, vcc, s31, v3
	v_mov_b32_e32 v17, s22
	s_addc_u32 s27, s27, 0
	v_addc_co_u32_e32 v4, vcc, 0, v4, vcc
	v_mov_b32_e32 v18, s23
	v_cmp_ge_i64_e32 vcc, s[26:27], v[17:18]
	v_add_co_u32_e64 v5, s[0:1], s31, v5
	v_addc_co_u32_e64 v6, s[0:1], 0, v6, s[0:1]
	s_cbranch_vccnz .LBB101_36
.LBB101_4:                              ; =>This Inner Loop Header: Depth=1
	v_mov_b32_e32 v1, s27
	v_add_co_u32_e32 v17, vcc, s26, v0
	v_addc_co_u32_e32 v18, vcc, 0, v1, vcc
	v_cmp_gt_u64_e64 s[6:7], s[24:25], v[17:18]
	v_mov_b32_e32 v20, 0
	s_and_saveexec_b64 s[0:1], s[6:7]
	s_cbranch_execz .LBB101_6
; %bb.5:                                ;   in Loop: Header=BB101_4 Depth=1
	global_load_ushort v1, v[3:4], off
	s_waitcnt vmcnt(0)
	v_cvt_f32_f16_e32 v20, v1
.LBB101_6:                              ;   in Loop: Header=BB101_4 Depth=1
	s_or_b64 exec, exec, s[0:1]
	v_mov_b32_e32 v1, s27
	v_add_co_u32_e32 v17, vcc, s26, v11
	v_addc_co_u32_e32 v18, vcc, v12, v1, vcc
	v_cmp_gt_u64_e64 s[2:3], s[24:25], v[17:18]
	v_mov_b32_e32 v17, 0
	v_mov_b32_e32 v19, 0
	s_and_saveexec_b64 s[0:1], s[2:3]
	s_cbranch_execz .LBB101_8
; %bb.7:                                ;   in Loop: Header=BB101_4 Depth=1
	global_load_ushort v1, v[5:6], off
	s_waitcnt vmcnt(0)
	v_cvt_f32_f16_e32 v19, v1
.LBB101_8:                              ;   in Loop: Header=BB101_4 Depth=1
	s_or_b64 exec, exec, s[0:1]
	v_mov_b32_e32 v1, s27
	v_add_co_u32_e32 v21, vcc, s26, v9
	v_addc_co_u32_e32 v22, vcc, v10, v1, vcc
	v_cmp_gt_u64_e64 s[0:1], s[24:25], v[21:22]
	s_and_saveexec_b64 s[8:9], s[0:1]
	s_cbranch_execz .LBB101_10
; %bb.9:                                ;   in Loop: Header=BB101_4 Depth=1
	v_add_co_u32_e32 v17, vcc, s30, v3
	v_addc_co_u32_e32 v18, vcc, 0, v4, vcc
	global_load_ushort v1, v[17:18], off
	s_waitcnt vmcnt(0)
	v_cvt_f32_f16_e32 v17, v1
.LBB101_10:                             ;   in Loop: Header=BB101_4 Depth=1
	s_or_b64 exec, exec, s[8:9]
	v_mov_b32_e32 v1, s27
	v_add_co_u32_e32 v21, vcc, s26, v7
	v_addc_co_u32_e32 v22, vcc, v8, v1, vcc
	v_cmp_gt_u64_e32 vcc, s[24:25], v[21:22]
	v_mov_b32_e32 v18, 0
	s_and_saveexec_b64 s[10:11], vcc
	s_cbranch_execz .LBB101_12
; %bb.11:                               ;   in Loop: Header=BB101_4 Depth=1
	v_add_co_u32_e64 v21, s[8:9], s33, v3
	v_addc_co_u32_e64 v22, s[8:9], 0, v4, s[8:9]
	global_load_ushort v1, v[21:22], off
	s_waitcnt vmcnt(0)
	v_cvt_f32_f16_e32 v18, v1
.LBB101_12:                             ;   in Loop: Header=BB101_4 Depth=1
	s_or_b64 exec, exec, s[10:11]
	v_and_b32_e32 v21, 0x7fffffff, v20
	v_cmp_nlt_f32_e64 s[8:9], |v20|, s34
                                        ; implicit-def: $vgpr24
                                        ; implicit-def: $vgpr23
	s_and_saveexec_b64 s[10:11], s[8:9]
	s_xor_b64 s[28:29], exec, s[10:11]
	s_cbranch_execz .LBB101_14
; %bb.13:                               ;   in Loop: Header=BB101_4 Depth=1
	v_and_b32_e32 v1, 0x7fffff, v21
	v_or_b32_e32 v29, 0x800000, v1
	v_mad_u64_u32 v[22:23], s[8:9], v29, s35, 0
	v_mov_b32_e32 v1, v23
	v_mad_u64_u32 v[23:24], s[8:9], v29, s36, v[1:2]
	v_mov_b32_e32 v1, v24
	;; [unrolled: 2-line block ×3, first 2 shown]
	v_mad_u64_u32 v[25:26], s[8:9], v29, s38, v[1:2]
	v_lshrrev_b32_e32 v1, 23, v21
	v_add_u32_e32 v28, 0xffffff88, v1
	v_mov_b32_e32 v1, v26
	v_mad_u64_u32 v[26:27], s[8:9], v29, s39, v[1:2]
	v_cmp_lt_u32_e64 s[8:9], 63, v28
	v_cndmask_b32_e64 v1, 0, v14, s[8:9]
	v_add_u32_e32 v30, v1, v28
	v_mov_b32_e32 v1, v27
	v_mad_u64_u32 v[27:28], s[10:11], v29, s40, v[1:2]
	v_cmp_lt_u32_e64 s[10:11], 31, v30
	v_cndmask_b32_e64 v1, 0, v15, s[10:11]
	;; [unrolled: 5-line block ×3, first 2 shown]
	v_add_u32_e32 v1, v1, v30
	v_cndmask_b32_e64 v30, v27, v25, s[8:9]
	v_cndmask_b32_e64 v28, v28, v26, s[8:9]
	v_cndmask_b32_e64 v27, v29, v27, s[8:9]
	v_cndmask_b32_e64 v26, v26, v24, s[8:9]
	v_cndmask_b32_e64 v29, v28, v30, s[10:11]
	v_cndmask_b32_e64 v27, v27, v28, s[10:11]
	v_cndmask_b32_e64 v28, v30, v26, s[10:11]
	v_cndmask_b32_e64 v23, v25, v23, s[8:9]
	v_cndmask_b32_e64 v27, v27, v29, s[12:13]
	v_cndmask_b32_e64 v29, v29, v28, s[12:13]
	v_sub_u32_e32 v30, 32, v1
	v_cndmask_b32_e64 v25, v26, v23, s[10:11]
	v_alignbit_b32 v31, v27, v29, v30
	v_cmp_eq_u32_e64 s[14:15], 0, v1
	v_cndmask_b32_e64 v26, v28, v25, s[12:13]
	v_cndmask_b32_e64 v1, v31, v27, s[14:15]
	v_alignbit_b32 v27, v29, v26, v30
	v_cndmask_b32_e64 v22, v24, v22, s[8:9]
	v_cndmask_b32_e64 v27, v27, v29, s[14:15]
	v_bfe_u32 v31, v1, 29, 1
	v_cndmask_b32_e64 v22, v23, v22, s[10:11]
	v_alignbit_b32 v28, v1, v27, 30
	v_sub_u32_e32 v32, 0, v31
	v_cndmask_b32_e64 v22, v25, v22, s[12:13]
	v_xor_b32_e32 v28, v28, v32
	v_alignbit_b32 v23, v26, v22, v30
	v_cndmask_b32_e64 v23, v23, v26, s[14:15]
	v_ffbh_u32_e32 v25, v28
	v_alignbit_b32 v24, v27, v23, 30
	v_min_u32_e32 v25, 32, v25
	v_alignbit_b32 v22, v23, v22, 30
	v_xor_b32_e32 v24, v24, v32
	v_sub_u32_e32 v26, 31, v25
	v_xor_b32_e32 v22, v22, v32
	v_alignbit_b32 v27, v28, v24, v26
	v_alignbit_b32 v22, v24, v22, v26
	;; [unrolled: 1-line block ×3, first 2 shown]
	v_ffbh_u32_e32 v24, v23
	v_min_u32_e32 v24, 32, v24
	v_lshrrev_b32_e32 v29, 29, v1
	v_not_b32_e32 v26, v24
	v_alignbit_b32 v22, v23, v22, v26
	v_lshlrev_b32_e32 v23, 31, v29
	v_or_b32_e32 v26, 0x33000000, v23
	v_add_lshl_u32 v24, v24, v25, 23
	v_lshrrev_b32_e32 v22, 9, v22
	v_sub_u32_e32 v24, v26, v24
	v_or_b32_e32 v23, 0.5, v23
	v_lshlrev_b32_e32 v25, 23, v25
	v_or_b32_e32 v22, v24, v22
	v_lshrrev_b32_e32 v24, 9, v27
	v_sub_u32_e32 v23, v23, v25
	v_or_b32_e32 v23, v24, v23
	v_mul_f32_e32 v24, 0x3fc90fda, v23
	v_fma_f32 v25, v23, s42, -v24
	v_fmac_f32_e32 v25, 0x33a22168, v23
	v_fmac_f32_e32 v25, 0x3fc90fda, v22
	v_lshrrev_b32_e32 v1, 30, v1
	v_add_f32_e32 v23, v24, v25
	v_add_u32_e32 v24, v31, v1
.LBB101_14:                             ;   in Loop: Header=BB101_4 Depth=1
	s_andn2_saveexec_b64 s[8:9], s[28:29]
; %bb.15:                               ;   in Loop: Header=BB101_4 Depth=1
	v_mul_f32_e64 v1, |v20|, s43
	v_rndne_f32_e32 v1, v1
	v_cvt_i32_f32_e32 v24, v1
	v_fma_f32 v23, v1, s44, |v20|
	v_fmac_f32_e32 v23, 0xb3a22168, v1
	v_fmac_f32_e32 v23, 0xa7c234c4, v1
; %bb.16:                               ;   in Loop: Header=BB101_4 Depth=1
	s_or_b64 exec, exec, s[8:9]
	v_and_b32_e32 v22, 0x7fffffff, v19
	v_cmp_nlt_f32_e64 s[8:9], |v19|, s34
                                        ; implicit-def: $vgpr27
                                        ; implicit-def: $vgpr26
	s_and_saveexec_b64 s[10:11], s[8:9]
	s_xor_b64 s[28:29], exec, s[10:11]
	s_cbranch_execz .LBB101_18
; %bb.17:                               ;   in Loop: Header=BB101_4 Depth=1
	v_and_b32_e32 v1, 0x7fffff, v22
	v_or_b32_e32 v32, 0x800000, v1
	v_mad_u64_u32 v[25:26], s[8:9], v32, s35, 0
	v_mov_b32_e32 v1, v26
	v_mad_u64_u32 v[26:27], s[8:9], v32, s36, v[1:2]
	v_mov_b32_e32 v1, v27
	;; [unrolled: 2-line block ×3, first 2 shown]
	v_mad_u64_u32 v[28:29], s[8:9], v32, s38, v[1:2]
	v_lshrrev_b32_e32 v1, 23, v22
	v_add_u32_e32 v31, 0xffffff88, v1
	v_mov_b32_e32 v1, v29
	v_mad_u64_u32 v[29:30], s[8:9], v32, s39, v[1:2]
	v_cmp_lt_u32_e64 s[8:9], 63, v31
	v_cndmask_b32_e64 v1, 0, v14, s[8:9]
	v_add_u32_e32 v33, v1, v31
	v_mov_b32_e32 v1, v30
	v_mad_u64_u32 v[30:31], s[10:11], v32, s40, v[1:2]
	v_cmp_lt_u32_e64 s[10:11], 31, v33
	v_cndmask_b32_e64 v1, 0, v15, s[10:11]
	;; [unrolled: 5-line block ×3, first 2 shown]
	v_add_u32_e32 v1, v1, v33
	v_cndmask_b32_e64 v33, v30, v28, s[8:9]
	v_cndmask_b32_e64 v31, v31, v29, s[8:9]
	v_cndmask_b32_e64 v30, v32, v30, s[8:9]
	v_cndmask_b32_e64 v29, v29, v27, s[8:9]
	v_cndmask_b32_e64 v32, v31, v33, s[10:11]
	v_cndmask_b32_e64 v30, v30, v31, s[10:11]
	v_cndmask_b32_e64 v31, v33, v29, s[10:11]
	v_cndmask_b32_e64 v26, v28, v26, s[8:9]
	v_cndmask_b32_e64 v30, v30, v32, s[12:13]
	v_cndmask_b32_e64 v32, v32, v31, s[12:13]
	v_sub_u32_e32 v33, 32, v1
	v_cndmask_b32_e64 v28, v29, v26, s[10:11]
	v_alignbit_b32 v34, v30, v32, v33
	v_cmp_eq_u32_e64 s[14:15], 0, v1
	v_cndmask_b32_e64 v29, v31, v28, s[12:13]
	v_cndmask_b32_e64 v1, v34, v30, s[14:15]
	v_alignbit_b32 v30, v32, v29, v33
	v_cndmask_b32_e64 v25, v27, v25, s[8:9]
	v_cndmask_b32_e64 v30, v30, v32, s[14:15]
	v_bfe_u32 v34, v1, 29, 1
	v_cndmask_b32_e64 v25, v26, v25, s[10:11]
	v_alignbit_b32 v31, v1, v30, 30
	v_sub_u32_e32 v35, 0, v34
	v_cndmask_b32_e64 v25, v28, v25, s[12:13]
	v_xor_b32_e32 v31, v31, v35
	v_alignbit_b32 v26, v29, v25, v33
	v_cndmask_b32_e64 v26, v26, v29, s[14:15]
	v_ffbh_u32_e32 v28, v31
	v_alignbit_b32 v27, v30, v26, 30
	v_min_u32_e32 v28, 32, v28
	v_alignbit_b32 v25, v26, v25, 30
	v_xor_b32_e32 v27, v27, v35
	v_sub_u32_e32 v29, 31, v28
	v_xor_b32_e32 v25, v25, v35
	v_alignbit_b32 v30, v31, v27, v29
	v_alignbit_b32 v25, v27, v25, v29
	;; [unrolled: 1-line block ×3, first 2 shown]
	v_ffbh_u32_e32 v27, v26
	v_min_u32_e32 v27, 32, v27
	v_lshrrev_b32_e32 v32, 29, v1
	v_not_b32_e32 v29, v27
	v_alignbit_b32 v25, v26, v25, v29
	v_lshlrev_b32_e32 v26, 31, v32
	v_or_b32_e32 v29, 0x33000000, v26
	v_add_lshl_u32 v27, v27, v28, 23
	v_lshrrev_b32_e32 v25, 9, v25
	v_sub_u32_e32 v27, v29, v27
	v_or_b32_e32 v26, 0.5, v26
	v_lshlrev_b32_e32 v28, 23, v28
	v_or_b32_e32 v25, v27, v25
	v_lshrrev_b32_e32 v27, 9, v30
	v_sub_u32_e32 v26, v26, v28
	v_or_b32_e32 v26, v27, v26
	v_mul_f32_e32 v27, 0x3fc90fda, v26
	v_fma_f32 v28, v26, s42, -v27
	v_fmac_f32_e32 v28, 0x33a22168, v26
	v_fmac_f32_e32 v28, 0x3fc90fda, v25
	v_lshrrev_b32_e32 v1, 30, v1
	v_add_f32_e32 v26, v27, v28
	v_add_u32_e32 v27, v34, v1
.LBB101_18:                             ;   in Loop: Header=BB101_4 Depth=1
	s_andn2_saveexec_b64 s[8:9], s[28:29]
; %bb.19:                               ;   in Loop: Header=BB101_4 Depth=1
	v_mul_f32_e64 v1, |v19|, s43
	v_rndne_f32_e32 v1, v1
	v_cvt_i32_f32_e32 v27, v1
	v_fma_f32 v26, v1, s44, |v19|
	v_fmac_f32_e32 v26, 0xb3a22168, v1
	v_fmac_f32_e32 v26, 0xa7c234c4, v1
; %bb.20:                               ;   in Loop: Header=BB101_4 Depth=1
	s_or_b64 exec, exec, s[8:9]
	v_and_b32_e32 v25, 0x7fffffff, v17
	v_cmp_nlt_f32_e64 s[8:9], |v17|, s34
                                        ; implicit-def: $vgpr30
                                        ; implicit-def: $vgpr29
	s_and_saveexec_b64 s[10:11], s[8:9]
	s_xor_b64 s[28:29], exec, s[10:11]
	s_cbranch_execz .LBB101_22
; %bb.21:                               ;   in Loop: Header=BB101_4 Depth=1
	v_and_b32_e32 v1, 0x7fffff, v25
	v_or_b32_e32 v35, 0x800000, v1
	v_mad_u64_u32 v[28:29], s[8:9], v35, s35, 0
	v_mov_b32_e32 v1, v29
	v_mad_u64_u32 v[29:30], s[8:9], v35, s36, v[1:2]
	v_mov_b32_e32 v1, v30
	;; [unrolled: 2-line block ×3, first 2 shown]
	v_mad_u64_u32 v[31:32], s[8:9], v35, s38, v[1:2]
	v_lshrrev_b32_e32 v1, 23, v25
	v_add_u32_e32 v34, 0xffffff88, v1
	v_mov_b32_e32 v1, v32
	v_mad_u64_u32 v[32:33], s[8:9], v35, s39, v[1:2]
	v_cmp_lt_u32_e64 s[8:9], 63, v34
	v_cndmask_b32_e64 v1, 0, v14, s[8:9]
	v_add_u32_e32 v36, v1, v34
	v_mov_b32_e32 v1, v33
	v_mad_u64_u32 v[33:34], s[10:11], v35, s40, v[1:2]
	v_cmp_lt_u32_e64 s[10:11], 31, v36
	v_cndmask_b32_e64 v1, 0, v15, s[10:11]
	;; [unrolled: 5-line block ×3, first 2 shown]
	v_add_u32_e32 v1, v1, v36
	v_cndmask_b32_e64 v36, v33, v31, s[8:9]
	v_cndmask_b32_e64 v34, v34, v32, s[8:9]
	;; [unrolled: 1-line block ×10, first 2 shown]
	v_sub_u32_e32 v36, 32, v1
	v_cndmask_b32_e64 v31, v32, v29, s[10:11]
	v_alignbit_b32 v37, v33, v35, v36
	v_cmp_eq_u32_e64 s[14:15], 0, v1
	v_cndmask_b32_e64 v32, v34, v31, s[12:13]
	v_cndmask_b32_e64 v1, v37, v33, s[14:15]
	v_alignbit_b32 v33, v35, v32, v36
	v_cndmask_b32_e64 v28, v30, v28, s[8:9]
	v_cndmask_b32_e64 v33, v33, v35, s[14:15]
	v_bfe_u32 v37, v1, 29, 1
	v_cndmask_b32_e64 v28, v29, v28, s[10:11]
	v_alignbit_b32 v34, v1, v33, 30
	v_sub_u32_e32 v38, 0, v37
	v_cndmask_b32_e64 v28, v31, v28, s[12:13]
	v_xor_b32_e32 v34, v34, v38
	v_alignbit_b32 v29, v32, v28, v36
	v_cndmask_b32_e64 v29, v29, v32, s[14:15]
	v_ffbh_u32_e32 v31, v34
	v_alignbit_b32 v30, v33, v29, 30
	v_min_u32_e32 v31, 32, v31
	v_alignbit_b32 v28, v29, v28, 30
	v_xor_b32_e32 v30, v30, v38
	v_sub_u32_e32 v32, 31, v31
	v_xor_b32_e32 v28, v28, v38
	v_alignbit_b32 v33, v34, v30, v32
	v_alignbit_b32 v28, v30, v28, v32
	;; [unrolled: 1-line block ×3, first 2 shown]
	v_ffbh_u32_e32 v30, v29
	v_min_u32_e32 v30, 32, v30
	v_lshrrev_b32_e32 v35, 29, v1
	v_not_b32_e32 v32, v30
	v_alignbit_b32 v28, v29, v28, v32
	v_lshlrev_b32_e32 v29, 31, v35
	v_or_b32_e32 v32, 0x33000000, v29
	v_add_lshl_u32 v30, v30, v31, 23
	v_lshrrev_b32_e32 v28, 9, v28
	v_sub_u32_e32 v30, v32, v30
	v_or_b32_e32 v29, 0.5, v29
	v_lshlrev_b32_e32 v31, 23, v31
	v_or_b32_e32 v28, v30, v28
	v_lshrrev_b32_e32 v30, 9, v33
	v_sub_u32_e32 v29, v29, v31
	v_or_b32_e32 v29, v30, v29
	v_mul_f32_e32 v30, 0x3fc90fda, v29
	v_fma_f32 v31, v29, s42, -v30
	v_fmac_f32_e32 v31, 0x33a22168, v29
	v_fmac_f32_e32 v31, 0x3fc90fda, v28
	v_lshrrev_b32_e32 v1, 30, v1
	v_add_f32_e32 v29, v30, v31
	v_add_u32_e32 v30, v37, v1
.LBB101_22:                             ;   in Loop: Header=BB101_4 Depth=1
	s_andn2_saveexec_b64 s[8:9], s[28:29]
; %bb.23:                               ;   in Loop: Header=BB101_4 Depth=1
	v_mul_f32_e64 v1, |v17|, s43
	v_rndne_f32_e32 v1, v1
	v_cvt_i32_f32_e32 v30, v1
	v_fma_f32 v29, v1, s44, |v17|
	v_fmac_f32_e32 v29, 0xb3a22168, v1
	v_fmac_f32_e32 v29, 0xa7c234c4, v1
; %bb.24:                               ;   in Loop: Header=BB101_4 Depth=1
	s_or_b64 exec, exec, s[8:9]
	v_and_b32_e32 v28, 0x7fffffff, v18
	v_cmp_nlt_f32_e64 s[8:9], |v18|, s34
                                        ; implicit-def: $vgpr31
                                        ; implicit-def: $vgpr1
	s_and_saveexec_b64 s[10:11], s[8:9]
	s_xor_b64 s[28:29], exec, s[10:11]
	s_cbranch_execnz .LBB101_30
; %bb.25:                               ;   in Loop: Header=BB101_4 Depth=1
	s_andn2_saveexec_b64 s[8:9], s[28:29]
	s_cbranch_execnz .LBB101_31
.LBB101_26:                             ;   in Loop: Header=BB101_4 Depth=1
	s_or_b64 exec, exec, s[8:9]
	s_and_saveexec_b64 s[8:9], s[6:7]
	s_xor_b64 s[8:9], exec, s[8:9]
	s_cbranch_execnz .LBB101_32
.LBB101_27:                             ;   in Loop: Header=BB101_4 Depth=1
	s_or_b64 exec, exec, s[8:9]
	s_and_saveexec_b64 s[6:7], s[2:3]
	s_cbranch_execnz .LBB101_33
.LBB101_28:                             ;   in Loop: Header=BB101_4 Depth=1
	s_or_b64 exec, exec, s[6:7]
	s_and_saveexec_b64 s[2:3], s[0:1]
	s_cbranch_execnz .LBB101_34
.LBB101_29:                             ;   in Loop: Header=BB101_4 Depth=1
	s_or_b64 exec, exec, s[2:3]
	s_and_saveexec_b64 s[0:1], vcc
	s_cbranch_execz .LBB101_3
	s_branch .LBB101_35
.LBB101_30:                             ;   in Loop: Header=BB101_4 Depth=1
	v_and_b32_e32 v1, 0x7fffff, v28
	v_or_b32_e32 v38, 0x800000, v1
	v_mad_u64_u32 v[31:32], s[8:9], v38, s35, 0
	v_mov_b32_e32 v1, v32
	v_mad_u64_u32 v[32:33], s[8:9], v38, s36, v[1:2]
	v_mov_b32_e32 v1, v33
	;; [unrolled: 2-line block ×3, first 2 shown]
	v_mad_u64_u32 v[34:35], s[8:9], v38, s38, v[1:2]
	v_lshrrev_b32_e32 v1, 23, v28
	v_add_u32_e32 v37, 0xffffff88, v1
	v_mov_b32_e32 v1, v35
	v_mad_u64_u32 v[35:36], s[10:11], v38, s39, v[1:2]
	v_cmp_lt_u32_e64 s[8:9], 63, v37
	v_cndmask_b32_e64 v1, 0, v14, s[8:9]
	v_add_u32_e32 v39, v1, v37
	v_mov_b32_e32 v1, v36
	v_mad_u64_u32 v[36:37], s[12:13], v38, s40, v[1:2]
	v_cmp_lt_u32_e64 s[10:11], 31, v39
	v_cndmask_b32_e64 v1, 0, v15, s[10:11]
	v_add_u32_e32 v39, v1, v39
	v_mov_b32_e32 v1, v37
	v_mad_u64_u32 v[37:38], s[14:15], v38, s41, v[1:2]
	v_cmp_lt_u32_e64 s[12:13], 31, v39
	v_cndmask_b32_e64 v1, 0, v15, s[12:13]
	v_add_u32_e32 v1, v1, v39
	v_cndmask_b32_e64 v39, v36, v34, s[8:9]
	v_cndmask_b32_e64 v37, v37, v35, s[8:9]
	;; [unrolled: 1-line block ×7, first 2 shown]
	v_sub_u32_e32 v39, 32, v1
	v_cmp_eq_u32_e64 s[14:15], 0, v1
	v_cndmask_b32_e64 v1, v34, v32, s[8:9]
	v_cndmask_b32_e64 v36, v36, v38, s[12:13]
	;; [unrolled: 1-line block ×4, first 2 shown]
	v_alignbit_b32 v40, v36, v38, v39
	v_cndmask_b32_e64 v34, v37, v32, s[12:13]
	v_cndmask_b32_e64 v36, v40, v36, s[14:15]
	v_alignbit_b32 v35, v38, v34, v39
	v_cndmask_b32_e64 v31, v33, v31, s[8:9]
	v_cndmask_b32_e64 v35, v35, v38, s[14:15]
	v_bfe_u32 v40, v36, 29, 1
	v_cndmask_b32_e64 v1, v1, v31, s[10:11]
	v_alignbit_b32 v37, v36, v35, 30
	v_sub_u32_e32 v41, 0, v40
	v_cndmask_b32_e64 v1, v32, v1, s[12:13]
	v_xor_b32_e32 v37, v37, v41
	v_alignbit_b32 v31, v34, v1, v39
	v_cndmask_b32_e64 v31, v31, v34, s[14:15]
	v_ffbh_u32_e32 v33, v37
	v_alignbit_b32 v32, v35, v31, 30
	v_min_u32_e32 v33, 32, v33
	v_alignbit_b32 v1, v31, v1, 30
	v_xor_b32_e32 v32, v32, v41
	v_sub_u32_e32 v34, 31, v33
	v_xor_b32_e32 v1, v1, v41
	v_alignbit_b32 v35, v37, v32, v34
	v_alignbit_b32 v1, v32, v1, v34
	;; [unrolled: 1-line block ×3, first 2 shown]
	v_ffbh_u32_e32 v32, v31
	v_min_u32_e32 v32, 32, v32
	v_lshrrev_b32_e32 v38, 29, v36
	v_not_b32_e32 v34, v32
	v_alignbit_b32 v1, v31, v1, v34
	v_lshlrev_b32_e32 v31, 31, v38
	v_or_b32_e32 v34, 0x33000000, v31
	v_add_lshl_u32 v32, v32, v33, 23
	v_lshrrev_b32_e32 v1, 9, v1
	v_sub_u32_e32 v32, v34, v32
	v_or_b32_e32 v31, 0.5, v31
	v_lshlrev_b32_e32 v33, 23, v33
	v_or_b32_e32 v1, v32, v1
	v_lshrrev_b32_e32 v32, 9, v35
	v_sub_u32_e32 v31, v31, v33
	v_or_b32_e32 v31, v32, v31
	v_mul_f32_e32 v32, 0x3fc90fda, v31
	v_fma_f32 v33, v31, s42, -v32
	v_fmac_f32_e32 v33, 0x33a22168, v31
	v_fmac_f32_e32 v33, 0x3fc90fda, v1
	v_lshrrev_b32_e32 v31, 30, v36
	v_add_f32_e32 v1, v32, v33
	v_add_u32_e32 v31, v40, v31
	s_andn2_saveexec_b64 s[8:9], s[28:29]
	s_cbranch_execz .LBB101_26
.LBB101_31:                             ;   in Loop: Header=BB101_4 Depth=1
	v_mul_f32_e64 v1, |v18|, s43
	v_rndne_f32_e32 v32, v1
	v_cvt_i32_f32_e32 v31, v32
	v_fma_f32 v1, v32, s44, |v18|
	v_fmac_f32_e32 v1, 0xb3a22168, v32
	v_fmac_f32_e32 v1, 0xa7c234c4, v32
	s_or_b64 exec, exec, s[8:9]
	s_and_saveexec_b64 s[8:9], s[6:7]
	s_xor_b64 s[8:9], exec, s[8:9]
	s_cbranch_execz .LBB101_27
.LBB101_32:                             ;   in Loop: Header=BB101_4 Depth=1
	v_mul_f32_e32 v32, v23, v23
	v_mov_b32_e32 v34, 0xbf039337
	v_fmac_f32_e32 v34, 0x3c971480, v32
	v_fma_f32 v34, v32, v34, v13
	v_rcp_f32_e32 v34, v34
	v_mov_b32_e32 v33, 0x3ec54587
	v_fmac_f32_e32 v33, 0xbc8cedd3, v32
	v_and_b32_e32 v24, 1, v24
	v_mul_f32_e32 v33, v33, v34
	v_mul_f32_e32 v32, v32, v33
	v_fma_f32 v33, v32, v23, v23
	v_sub_f32_e32 v34, v33, v23
	v_fma_f32 v23, v32, v23, -v34
	v_rcp_f32_e32 v32, v33
	v_cmp_eq_u32_e64 s[6:7], 0, v24
	v_xor_b32_e32 v21, v21, v20
	v_fma_f32 v34, v33, -v32, 1.0
	v_fma_f32 v23, v23, -v32, v34
	v_fma_f32 v23, v23, -v32, -v32
	v_cndmask_b32_e64 v23, v23, v33, s[6:7]
	v_xor_b32_e32 v21, v21, v23
	v_cmp_class_f32_e64 s[6:7], v20, s45
	v_cndmask_b32_e64 v20, v16, v21, s[6:7]
	v_cvt_f16_f32_e32 v20, v20
	global_store_short v[3:4], v20, off
	s_or_b64 exec, exec, s[8:9]
	s_and_saveexec_b64 s[6:7], s[2:3]
	s_cbranch_execz .LBB101_28
.LBB101_33:                             ;   in Loop: Header=BB101_4 Depth=1
	v_mul_f32_e32 v20, v26, v26
	v_mov_b32_e32 v21, 0xbf039337
	v_fmac_f32_e32 v21, 0x3c971480, v20
	v_fma_f32 v21, v20, v21, v13
	v_rcp_f32_e32 v21, v21
	v_mov_b32_e32 v23, 0x3ec54587
	v_fmac_f32_e32 v23, 0xbc8cedd3, v20
	v_and_b32_e32 v24, 1, v27
	v_mul_f32_e32 v21, v23, v21
	v_mul_f32_e32 v20, v20, v21
	v_fma_f32 v21, v20, v26, v26
	v_rcp_f32_e32 v23, v21
	v_sub_f32_e32 v27, v21, v26
	v_fma_f32 v20, v20, v26, -v27
	v_cmp_eq_u32_e64 s[2:3], 0, v24
	v_fma_f32 v26, v21, -v23, 1.0
	v_fma_f32 v20, v20, -v23, v26
	v_fma_f32 v20, v20, -v23, -v23
	v_cndmask_b32_e64 v20, v20, v21, s[2:3]
	v_xor_b32_e32 v21, v22, v19
	v_xor_b32_e32 v20, v21, v20
	v_cmp_class_f32_e64 s[2:3], v19, s45
	v_cndmask_b32_e64 v19, v16, v20, s[2:3]
	v_cvt_f16_f32_e32 v19, v19
	global_store_short v[5:6], v19, off
	s_or_b64 exec, exec, s[6:7]
	s_and_saveexec_b64 s[2:3], s[0:1]
	s_cbranch_execz .LBB101_29
.LBB101_34:                             ;   in Loop: Header=BB101_4 Depth=1
	v_mul_f32_e32 v19, v29, v29
	v_mov_b32_e32 v20, 0xbf039337
	v_fmac_f32_e32 v20, 0x3c971480, v19
	v_fma_f32 v20, v19, v20, v13
	v_rcp_f32_e32 v20, v20
	v_mov_b32_e32 v21, 0x3ec54587
	v_fmac_f32_e32 v21, 0xbc8cedd3, v19
	v_and_b32_e32 v22, 1, v30
	v_mul_f32_e32 v20, v21, v20
	v_mul_f32_e32 v19, v19, v20
	v_fma_f32 v20, v19, v29, v29
	v_rcp_f32_e32 v21, v20
	v_sub_f32_e32 v23, v20, v29
	v_fma_f32 v19, v19, v29, -v23
	v_cmp_eq_u32_e64 s[0:1], 0, v22
	v_fma_f32 v23, v20, -v21, 1.0
	v_fma_f32 v19, v19, -v21, v23
	v_fma_f32 v19, v19, -v21, -v21
	v_cndmask_b32_e64 v19, v19, v20, s[0:1]
	v_xor_b32_e32 v20, v25, v17
	v_xor_b32_e32 v19, v20, v19
	v_cmp_class_f32_e64 s[0:1], v17, s45
	v_cndmask_b32_e64 v17, v16, v19, s[0:1]
	v_cvt_f16_f32_e32 v17, v17
	v_add_co_u32_e64 v19, s[0:1], s30, v3
	v_addc_co_u32_e64 v20, s[0:1], 0, v4, s[0:1]
	global_store_short v[19:20], v17, off
	s_or_b64 exec, exec, s[2:3]
	s_and_saveexec_b64 s[0:1], vcc
	s_cbranch_execz .LBB101_3
.LBB101_35:                             ;   in Loop: Header=BB101_4 Depth=1
	v_mul_f32_e32 v17, v1, v1
	v_mov_b32_e32 v19, 0xbf039337
	v_fmac_f32_e32 v19, 0x3c971480, v17
	v_fma_f32 v19, v17, v19, v13
	v_rcp_f32_e32 v19, v19
	v_mov_b32_e32 v20, 0x3ec54587
	v_fmac_f32_e32 v20, 0xbc8cedd3, v17
	v_and_b32_e32 v21, 1, v31
	v_mul_f32_e32 v19, v20, v19
	v_mul_f32_e32 v17, v17, v19
	v_fma_f32 v19, v17, v1, v1
	v_rcp_f32_e32 v20, v19
	v_sub_f32_e32 v22, v19, v1
	v_fma_f32 v1, v17, v1, -v22
	v_cmp_eq_u32_e32 vcc, 0, v21
	v_fma_f32 v17, v19, -v20, 1.0
	v_fma_f32 v1, v1, -v20, v17
	v_fma_f32 v1, v1, -v20, -v20
	v_cndmask_b32_e32 v1, v1, v19, vcc
	v_xor_b32_e32 v17, v28, v18
	v_xor_b32_e32 v1, v17, v1
	v_cmp_class_f32_e64 vcc, v18, s45
	v_cndmask_b32_e32 v1, v16, v1, vcc
	v_cvt_f16_f32_e32 v1, v1
	v_add_co_u32_e32 v17, vcc, s33, v3
	v_addc_co_u32_e32 v18, vcc, 0, v4, vcc
	global_store_short v[17:18], v1, off
	s_branch .LBB101_3
.LBB101_36:
	s_cbranch_execz .LBB101_38
	s_branch .LBB101_57
.LBB101_37:
.LBB101_38:
	v_mov_b32_e32 v1, 0x10000
	v_mov_b32_e32 v2, 0
	v_cmp_lt_i64_e32 vcc, s[20:21], v[1:2]
	v_mov_b32_e32 v3, 0
	s_and_b64 s[0:1], vcc, exec
	s_cselect_b32 s7, s21, 0
	s_cselect_b32 s6, s20, 0x10000
	v_lshlrev_b32_e32 v2, 2, v0
	v_cmp_gt_i64_e32 vcc, s[6:7], v[2:3]
	s_and_saveexec_b64 s[0:1], vcc
	s_cbranch_execz .LBB101_57
; %bb.39:
	s_load_dword s0, s[4:5], 0xd3c
	v_lshlrev_b32_e32 v2, 3, v0
	v_mov_b32_e32 v1, v3
	s_mov_b64 s[8:9], 0
	s_brev_b32 s14, 18
	s_waitcnt lgkmcnt(0)
	s_and_b32 s12, s0, 0xffff
	s_add_u32 s0, s16, s18
	s_addc_u32 s1, s17, s19
	v_mov_b32_e32 v4, s1
	v_add_co_u32_e32 v2, vcc, s0, v2
	v_addc_co_u32_e32 v5, vcc, 0, v4, vcc
	v_add_co_u32_e32 v4, vcc, 4, v2
	v_addc_co_u32_e32 v5, vcc, 0, v5, vcc
	s_lshl_b32 s13, s12, 3
	s_mov_b32 s15, 0xfe5163ab
	s_mov_b32 s16, 0x3c439041
	;; [unrolled: 1-line block ×10, first 2 shown]
	v_mov_b32_e32 v8, 0x3f93f425
	s_movk_i32 s25, 0x1f8
	v_not_b32_e32 v9, 63
	v_not_b32_e32 v10, 31
	v_mov_b32_e32 v11, 0x7fc00000
	s_branch .LBB101_41
.LBB101_40:                             ;   in Loop: Header=BB101_41 Depth=1
	s_or_b64 exec, exec, s[0:1]
	v_mul_f32_e32 v25, v22, v22
	v_mov_b32_e32 v26, 0xbf039337
	v_fmac_f32_e32 v26, 0x3c971480, v25
	v_fma_f32 v26, v25, v26, v8
	v_rcp_f32_e32 v26, v26
	v_mov_b32_e32 v27, 0x3ec54587
	v_fmac_f32_e32 v27, 0xbc8cedd3, v25
	v_and_b32_e32 v23, 1, v23
	v_mul_f32_e32 v26, v27, v26
	v_mul_f32_e32 v25, v25, v26
	v_fma_f32 v26, v25, v22, v22
	v_rcp_f32_e32 v27, v26
	v_sub_f32_e32 v28, v26, v22
	v_fma_f32 v22, v25, v22, -v28
	v_cmp_eq_u32_e32 vcc, 0, v23
	v_fma_f32 v25, v26, -v27, 1.0
	v_fma_f32 v22, v22, -v27, v25
	v_fma_f32 v22, v22, -v27, -v27
	v_cndmask_b32_e32 v22, v22, v26, vcc
	v_xor_b32_e32 v20, v20, v19
	v_xor_b32_e32 v20, v20, v22
	v_cmp_class_f32_e64 vcc, v19, s25
	v_cndmask_b32_e32 v19, v11, v20, vcc
	v_mul_f32_e32 v20, v17, v17
	v_mov_b32_e32 v22, 0xbf039337
	v_fmac_f32_e32 v22, 0x3c971480, v20
	v_fma_f32 v22, v20, v22, v8
	v_rcp_f32_e32 v22, v22
	v_mov_b32_e32 v23, 0x3ec54587
	v_fmac_f32_e32 v23, 0xbc8cedd3, v20
	v_and_b32_e32 v18, 1, v18
	v_mul_f32_e32 v22, v23, v22
	v_mul_f32_e32 v20, v20, v22
	v_fma_f32 v22, v20, v17, v17
	v_rcp_f32_e32 v23, v22
	v_sub_f32_e32 v25, v22, v17
	v_fma_f32 v17, v20, v17, -v25
	v_cmp_eq_u32_e32 vcc, 0, v18
	v_fma_f32 v20, v22, -v23, 1.0
	v_fma_f32 v17, v17, -v23, v20
	v_fma_f32 v17, v17, -v23, -v23
	v_cndmask_b32_e32 v17, v17, v22, vcc
	v_xor_b32_e32 v16, v16, v6
	v_xor_b32_e32 v16, v16, v17
	v_cmp_class_f32_e64 vcc, v6, s25
	v_cndmask_b32_e32 v6, v11, v16, vcc
	v_mul_f32_e32 v16, v14, v14
	v_mov_b32_e32 v17, 0xbf039337
	v_fmac_f32_e32 v17, 0x3c971480, v16
	v_fma_f32 v17, v16, v17, v8
	v_rcp_f32_e32 v17, v17
	v_mov_b32_e32 v18, 0x3ec54587
	v_fmac_f32_e32 v18, 0xbc8cedd3, v16
	v_and_b32_e32 v15, 1, v15
	v_mul_f32_e32 v17, v18, v17
	v_mul_f32_e32 v16, v16, v17
	v_fma_f32 v17, v16, v14, v14
	v_rcp_f32_e32 v18, v17
	v_sub_f32_e32 v20, v17, v14
	v_fma_f32 v14, v16, v14, -v20
	v_cmp_eq_u32_e32 vcc, 0, v15
	v_fma_f32 v16, v17, -v18, 1.0
	v_fma_f32 v14, v14, -v18, v16
	v_mul_f32_e32 v15, v2, v2
	v_mov_b32_e32 v16, 0xbf039337
	v_fmac_f32_e32 v16, 0x3c971480, v15
	v_fma_f32 v16, v15, v16, v8
	v_fma_f32 v14, v14, -v18, -v18
	v_rcp_f32_e32 v16, v16
	v_cndmask_b32_e32 v14, v14, v17, vcc
	v_xor_b32_e32 v13, v13, v12
	v_xor_b32_e32 v13, v13, v14
	v_mov_b32_e32 v14, 0x3ec54587
	v_fmac_f32_e32 v14, 0xbc8cedd3, v15
	v_mul_f32_e32 v14, v14, v16
	v_mul_f32_e32 v14, v15, v14
	v_fma_f32 v15, v14, v2, v2
	v_rcp_f32_e32 v16, v15
	v_sub_f32_e32 v18, v15, v2
	v_fma_f32 v2, v14, v2, -v18
	v_and_b32_e32 v17, 1, v24
	v_fma_f32 v14, v15, -v16, 1.0
	v_fma_f32 v2, v2, -v16, v14
	v_fma_f32 v2, v2, -v16, -v16
	v_cmp_eq_u32_e32 vcc, 0, v17
	v_cndmask_b32_e32 v2, v2, v15, vcc
	v_xor_b32_e32 v14, v21, v7
	v_xor_b32_e32 v2, v14, v2
	v_cmp_class_f32_e64 vcc, v7, s25
	v_cndmask_b32_e32 v2, v11, v2, vcc
	v_cmp_class_f32_e64 vcc, v12, s25
	v_cndmask_b32_e32 v7, v11, v13, vcc
	v_add_co_u32_e32 v0, vcc, s12, v0
	v_cvt_f16_f32_e32 v19, v19
	v_cvt_f16_f32_e32 v6, v6
	;; [unrolled: 1-line block ×4, first 2 shown]
	v_addc_co_u32_e32 v1, vcc, 0, v1, vcc
	v_lshlrev_b64 v[12:13], 2, v[0:1]
	v_pack_b32_f16 v7, v19, v2
	v_cmp_le_i64_e32 vcc, s[6:7], v[12:13]
	v_pack_b32_f16 v6, v14, v6
	global_store_dwordx2 v[4:5], v[6:7], off offset:-4
	s_or_b64 s[8:9], vcc, s[8:9]
	v_add_co_u32_e32 v4, vcc, s13, v4
	v_addc_co_u32_e32 v5, vcc, 0, v5, vcc
	s_andn2_b64 exec, exec, s[8:9]
	s_cbranch_execz .LBB101_57
.LBB101_41:                             ; =>This Inner Loop Header: Depth=1
	global_load_dwordx2 v[6:7], v[4:5], off offset:-4
                                        ; implicit-def: $vgpr15
                                        ; implicit-def: $vgpr14
	s_waitcnt vmcnt(0)
	v_cvt_f32_f16_e32 v12, v6
	v_and_b32_e32 v13, 0x7fffffff, v12
	v_cmp_nlt_f32_e64 s[0:1], |v12|, s14
	s_and_saveexec_b64 s[2:3], s[0:1]
	s_xor_b64 s[10:11], exec, s[2:3]
	s_cbranch_execz .LBB101_43
; %bb.42:                               ;   in Loop: Header=BB101_41 Depth=1
	v_and_b32_e32 v2, 0x7fffff, v13
	v_or_b32_e32 v21, 0x800000, v2
	v_mad_u64_u32 v[14:15], s[0:1], v21, s15, 0
	v_mov_b32_e32 v2, v15
	v_mad_u64_u32 v[15:16], s[0:1], v21, s16, v[2:3]
	v_mov_b32_e32 v2, v16
	;; [unrolled: 2-line block ×3, first 2 shown]
	v_mad_u64_u32 v[17:18], s[0:1], v21, s18, v[2:3]
	v_lshrrev_b32_e32 v2, 23, v13
	v_add_u32_e32 v20, 0xffffff88, v2
	v_mov_b32_e32 v2, v18
	v_mad_u64_u32 v[18:19], s[0:1], v21, s19, v[2:3]
	v_cmp_lt_u32_e32 vcc, 63, v20
	v_cndmask_b32_e32 v2, 0, v9, vcc
	v_add_u32_e32 v22, v2, v20
	v_mov_b32_e32 v2, v19
	v_mad_u64_u32 v[19:20], s[0:1], v21, s20, v[2:3]
	v_cmp_lt_u32_e64 s[0:1], 31, v22
	v_cndmask_b32_e64 v2, 0, v10, s[0:1]
	v_add_u32_e32 v22, v2, v22
	v_mov_b32_e32 v2, v20
	v_mad_u64_u32 v[20:21], s[2:3], v21, s21, v[2:3]
	v_cmp_lt_u32_e64 s[2:3], 31, v22
	v_cndmask_b32_e64 v2, 0, v10, s[2:3]
	v_add_u32_e32 v2, v2, v22
	v_cndmask_b32_e32 v22, v19, v17, vcc
	v_cndmask_b32_e32 v19, v21, v19, vcc
	;; [unrolled: 1-line block ×4, first 2 shown]
	v_cndmask_b32_e64 v21, v20, v22, s[0:1]
	v_cndmask_b32_e64 v19, v19, v20, s[0:1]
	;; [unrolled: 1-line block ×3, first 2 shown]
	v_cndmask_b32_e32 v15, v17, v15, vcc
	v_cndmask_b32_e64 v19, v19, v21, s[2:3]
	v_cndmask_b32_e64 v21, v21, v20, s[2:3]
	v_sub_u32_e32 v22, 32, v2
	v_cndmask_b32_e64 v17, v18, v15, s[0:1]
	v_alignbit_b32 v23, v19, v21, v22
	v_cmp_eq_u32_e64 s[4:5], 0, v2
	v_cndmask_b32_e64 v18, v20, v17, s[2:3]
	v_cndmask_b32_e64 v2, v23, v19, s[4:5]
	v_alignbit_b32 v19, v21, v18, v22
	v_cndmask_b32_e32 v14, v16, v14, vcc
	v_cndmask_b32_e64 v19, v19, v21, s[4:5]
	v_bfe_u32 v23, v2, 29, 1
	v_cndmask_b32_e64 v14, v15, v14, s[0:1]
	v_alignbit_b32 v20, v2, v19, 30
	v_sub_u32_e32 v24, 0, v23
	v_cndmask_b32_e64 v14, v17, v14, s[2:3]
	v_xor_b32_e32 v20, v20, v24
	v_alignbit_b32 v15, v18, v14, v22
	v_cndmask_b32_e64 v15, v15, v18, s[4:5]
	v_ffbh_u32_e32 v17, v20
	v_alignbit_b32 v16, v19, v15, 30
	v_min_u32_e32 v17, 32, v17
	v_alignbit_b32 v14, v15, v14, 30
	v_xor_b32_e32 v16, v16, v24
	v_sub_u32_e32 v18, 31, v17
	v_xor_b32_e32 v14, v14, v24
	v_alignbit_b32 v19, v20, v16, v18
	v_alignbit_b32 v14, v16, v14, v18
	v_alignbit_b32 v15, v19, v14, 9
	v_ffbh_u32_e32 v16, v15
	v_min_u32_e32 v16, 32, v16
	v_lshrrev_b32_e32 v21, 29, v2
	v_not_b32_e32 v18, v16
	v_alignbit_b32 v14, v15, v14, v18
	v_lshlrev_b32_e32 v15, 31, v21
	v_or_b32_e32 v18, 0x33000000, v15
	v_add_lshl_u32 v16, v16, v17, 23
	v_lshrrev_b32_e32 v14, 9, v14
	v_sub_u32_e32 v16, v18, v16
	v_or_b32_e32 v15, 0.5, v15
	v_lshlrev_b32_e32 v17, 23, v17
	v_or_b32_e32 v14, v16, v14
	v_lshrrev_b32_e32 v16, 9, v19
	v_sub_u32_e32 v15, v15, v17
	v_or_b32_e32 v15, v16, v15
	v_mul_f32_e32 v16, 0x3fc90fda, v15
	v_fma_f32 v17, v15, s22, -v16
	v_fmac_f32_e32 v17, 0x33a22168, v15
	v_fmac_f32_e32 v17, 0x3fc90fda, v14
	v_lshrrev_b32_e32 v2, 30, v2
	v_add_f32_e32 v14, v16, v17
	v_add_u32_e32 v15, v23, v2
.LBB101_43:                             ;   in Loop: Header=BB101_41 Depth=1
	s_andn2_saveexec_b64 s[0:1], s[10:11]
; %bb.44:                               ;   in Loop: Header=BB101_41 Depth=1
	v_mul_f32_e64 v2, |v12|, s23
	v_rndne_f32_e32 v2, v2
	v_cvt_i32_f32_e32 v15, v2
	v_fma_f32 v14, v2, s24, |v12|
	v_fmac_f32_e32 v14, 0xb3a22168, v2
	v_fmac_f32_e32 v14, 0xa7c234c4, v2
; %bb.45:                               ;   in Loop: Header=BB101_41 Depth=1
	s_or_b64 exec, exec, s[0:1]
	v_cvt_f32_f16_sdwa v6, v6 dst_sel:DWORD dst_unused:UNUSED_PAD src0_sel:WORD_1
                                        ; implicit-def: $vgpr18
                                        ; implicit-def: $vgpr17
	v_and_b32_e32 v16, 0x7fffffff, v6
	v_cmp_nlt_f32_e64 s[0:1], |v6|, s14
	s_and_saveexec_b64 s[2:3], s[0:1]
	s_xor_b64 s[10:11], exec, s[2:3]
	s_cbranch_execz .LBB101_47
; %bb.46:                               ;   in Loop: Header=BB101_41 Depth=1
	v_and_b32_e32 v2, 0x7fffff, v16
	v_or_b32_e32 v24, 0x800000, v2
	v_mad_u64_u32 v[17:18], s[0:1], v24, s15, 0
	v_mov_b32_e32 v2, v18
	v_mad_u64_u32 v[18:19], s[0:1], v24, s16, v[2:3]
	v_mov_b32_e32 v2, v19
	v_mad_u64_u32 v[19:20], s[0:1], v24, s17, v[2:3]
	v_mov_b32_e32 v2, v20
	v_mad_u64_u32 v[20:21], s[0:1], v24, s18, v[2:3]
	v_lshrrev_b32_e32 v2, 23, v16
	v_add_u32_e32 v23, 0xffffff88, v2
	v_mov_b32_e32 v2, v21
	v_mad_u64_u32 v[21:22], s[0:1], v24, s19, v[2:3]
	v_cmp_lt_u32_e32 vcc, 63, v23
	v_cndmask_b32_e32 v2, 0, v9, vcc
	v_add_u32_e32 v25, v2, v23
	v_mov_b32_e32 v2, v22
	v_mad_u64_u32 v[22:23], s[0:1], v24, s20, v[2:3]
	v_cmp_lt_u32_e64 s[0:1], 31, v25
	v_cndmask_b32_e64 v2, 0, v10, s[0:1]
	v_add_u32_e32 v25, v2, v25
	v_mov_b32_e32 v2, v23
	v_mad_u64_u32 v[23:24], s[2:3], v24, s21, v[2:3]
	v_cmp_lt_u32_e64 s[2:3], 31, v25
	v_cndmask_b32_e64 v2, 0, v10, s[2:3]
	v_add_u32_e32 v2, v2, v25
	v_cndmask_b32_e32 v25, v22, v20, vcc
	v_cndmask_b32_e32 v23, v23, v21, vcc
	;; [unrolled: 1-line block ×4, first 2 shown]
	v_cndmask_b32_e64 v24, v23, v25, s[0:1]
	v_cndmask_b32_e64 v22, v22, v23, s[0:1]
	;; [unrolled: 1-line block ×3, first 2 shown]
	v_cndmask_b32_e32 v18, v20, v18, vcc
	v_cndmask_b32_e64 v22, v22, v24, s[2:3]
	v_cndmask_b32_e64 v24, v24, v23, s[2:3]
	v_sub_u32_e32 v25, 32, v2
	v_cndmask_b32_e64 v20, v21, v18, s[0:1]
	v_alignbit_b32 v26, v22, v24, v25
	v_cmp_eq_u32_e64 s[4:5], 0, v2
	v_cndmask_b32_e64 v21, v23, v20, s[2:3]
	v_cndmask_b32_e64 v2, v26, v22, s[4:5]
	v_alignbit_b32 v22, v24, v21, v25
	v_cndmask_b32_e32 v17, v19, v17, vcc
	v_cndmask_b32_e64 v22, v22, v24, s[4:5]
	v_bfe_u32 v26, v2, 29, 1
	v_cndmask_b32_e64 v17, v18, v17, s[0:1]
	v_alignbit_b32 v23, v2, v22, 30
	v_sub_u32_e32 v27, 0, v26
	v_cndmask_b32_e64 v17, v20, v17, s[2:3]
	v_xor_b32_e32 v23, v23, v27
	v_alignbit_b32 v18, v21, v17, v25
	v_cndmask_b32_e64 v18, v18, v21, s[4:5]
	v_ffbh_u32_e32 v20, v23
	v_alignbit_b32 v19, v22, v18, 30
	v_min_u32_e32 v20, 32, v20
	v_alignbit_b32 v17, v18, v17, 30
	v_xor_b32_e32 v19, v19, v27
	v_sub_u32_e32 v21, 31, v20
	v_xor_b32_e32 v17, v17, v27
	v_alignbit_b32 v22, v23, v19, v21
	v_alignbit_b32 v17, v19, v17, v21
	;; [unrolled: 1-line block ×3, first 2 shown]
	v_ffbh_u32_e32 v19, v18
	v_min_u32_e32 v19, 32, v19
	v_lshrrev_b32_e32 v24, 29, v2
	v_not_b32_e32 v21, v19
	v_alignbit_b32 v17, v18, v17, v21
	v_lshlrev_b32_e32 v18, 31, v24
	v_or_b32_e32 v21, 0x33000000, v18
	v_add_lshl_u32 v19, v19, v20, 23
	v_lshrrev_b32_e32 v17, 9, v17
	v_sub_u32_e32 v19, v21, v19
	v_or_b32_e32 v18, 0.5, v18
	v_lshlrev_b32_e32 v20, 23, v20
	v_or_b32_e32 v17, v19, v17
	v_lshrrev_b32_e32 v19, 9, v22
	v_sub_u32_e32 v18, v18, v20
	v_or_b32_e32 v18, v19, v18
	v_mul_f32_e32 v19, 0x3fc90fda, v18
	v_fma_f32 v20, v18, s22, -v19
	v_fmac_f32_e32 v20, 0x33a22168, v18
	v_fmac_f32_e32 v20, 0x3fc90fda, v17
	v_lshrrev_b32_e32 v2, 30, v2
	v_add_f32_e32 v17, v19, v20
	v_add_u32_e32 v18, v26, v2
.LBB101_47:                             ;   in Loop: Header=BB101_41 Depth=1
	s_andn2_saveexec_b64 s[0:1], s[10:11]
; %bb.48:                               ;   in Loop: Header=BB101_41 Depth=1
	v_mul_f32_e64 v2, |v6|, s23
	v_rndne_f32_e32 v2, v2
	v_cvt_i32_f32_e32 v18, v2
	v_fma_f32 v17, v2, s24, |v6|
	v_fmac_f32_e32 v17, 0xb3a22168, v2
	v_fmac_f32_e32 v17, 0xa7c234c4, v2
; %bb.49:                               ;   in Loop: Header=BB101_41 Depth=1
	s_or_b64 exec, exec, s[0:1]
	v_cvt_f32_f16_e32 v19, v7
                                        ; implicit-def: $vgpr23
                                        ; implicit-def: $vgpr22
	v_and_b32_e32 v20, 0x7fffffff, v19
	v_cmp_nlt_f32_e64 s[0:1], |v19|, s14
	s_and_saveexec_b64 s[2:3], s[0:1]
	s_xor_b64 s[10:11], exec, s[2:3]
	s_cbranch_execz .LBB101_51
; %bb.50:                               ;   in Loop: Header=BB101_41 Depth=1
	v_and_b32_e32 v2, 0x7fffff, v20
	v_or_b32_e32 v28, 0x800000, v2
	v_mad_u64_u32 v[21:22], s[0:1], v28, s15, 0
	v_mov_b32_e32 v2, v22
	v_mad_u64_u32 v[22:23], s[0:1], v28, s16, v[2:3]
	v_mov_b32_e32 v2, v23
	;; [unrolled: 2-line block ×3, first 2 shown]
	v_mad_u64_u32 v[24:25], s[0:1], v28, s18, v[2:3]
	v_lshrrev_b32_e32 v2, 23, v20
	v_add_u32_e32 v27, 0xffffff88, v2
	v_mov_b32_e32 v2, v25
	v_mad_u64_u32 v[25:26], s[0:1], v28, s19, v[2:3]
	v_cmp_lt_u32_e32 vcc, 63, v27
	v_cndmask_b32_e32 v2, 0, v9, vcc
	v_add_u32_e32 v29, v2, v27
	v_mov_b32_e32 v2, v26
	v_mad_u64_u32 v[26:27], s[0:1], v28, s20, v[2:3]
	v_cmp_lt_u32_e64 s[0:1], 31, v29
	v_cndmask_b32_e64 v2, 0, v10, s[0:1]
	v_add_u32_e32 v29, v2, v29
	v_mov_b32_e32 v2, v27
	v_mad_u64_u32 v[27:28], s[2:3], v28, s21, v[2:3]
	v_cmp_lt_u32_e64 s[2:3], 31, v29
	v_cndmask_b32_e64 v2, 0, v10, s[2:3]
	v_add_u32_e32 v2, v2, v29
	v_cndmask_b32_e32 v29, v26, v24, vcc
	v_cndmask_b32_e32 v27, v27, v25, vcc
	;; [unrolled: 1-line block ×4, first 2 shown]
	v_cndmask_b32_e64 v28, v27, v29, s[0:1]
	v_cndmask_b32_e64 v26, v26, v27, s[0:1]
	;; [unrolled: 1-line block ×3, first 2 shown]
	v_cndmask_b32_e32 v22, v24, v22, vcc
	v_cndmask_b32_e64 v26, v26, v28, s[2:3]
	v_cndmask_b32_e64 v28, v28, v27, s[2:3]
	v_sub_u32_e32 v29, 32, v2
	v_cndmask_b32_e64 v24, v25, v22, s[0:1]
	v_alignbit_b32 v30, v26, v28, v29
	v_cmp_eq_u32_e64 s[4:5], 0, v2
	v_cndmask_b32_e64 v25, v27, v24, s[2:3]
	v_cndmask_b32_e64 v2, v30, v26, s[4:5]
	v_alignbit_b32 v26, v28, v25, v29
	v_cndmask_b32_e32 v21, v23, v21, vcc
	v_cndmask_b32_e64 v26, v26, v28, s[4:5]
	v_bfe_u32 v30, v2, 29, 1
	v_cndmask_b32_e64 v21, v22, v21, s[0:1]
	v_alignbit_b32 v27, v2, v26, 30
	v_sub_u32_e32 v31, 0, v30
	v_cndmask_b32_e64 v21, v24, v21, s[2:3]
	v_xor_b32_e32 v27, v27, v31
	v_alignbit_b32 v22, v25, v21, v29
	v_cndmask_b32_e64 v22, v22, v25, s[4:5]
	v_ffbh_u32_e32 v24, v27
	v_alignbit_b32 v23, v26, v22, 30
	v_min_u32_e32 v24, 32, v24
	v_alignbit_b32 v21, v22, v21, 30
	v_xor_b32_e32 v23, v23, v31
	v_sub_u32_e32 v25, 31, v24
	v_xor_b32_e32 v21, v21, v31
	v_alignbit_b32 v26, v27, v23, v25
	v_alignbit_b32 v21, v23, v21, v25
	;; [unrolled: 1-line block ×3, first 2 shown]
	v_ffbh_u32_e32 v23, v22
	v_min_u32_e32 v23, 32, v23
	v_lshrrev_b32_e32 v28, 29, v2
	v_not_b32_e32 v25, v23
	v_alignbit_b32 v21, v22, v21, v25
	v_lshlrev_b32_e32 v22, 31, v28
	v_or_b32_e32 v25, 0x33000000, v22
	v_add_lshl_u32 v23, v23, v24, 23
	v_lshrrev_b32_e32 v21, 9, v21
	v_sub_u32_e32 v23, v25, v23
	v_or_b32_e32 v22, 0.5, v22
	v_lshlrev_b32_e32 v24, 23, v24
	v_or_b32_e32 v21, v23, v21
	v_lshrrev_b32_e32 v23, 9, v26
	v_sub_u32_e32 v22, v22, v24
	v_or_b32_e32 v22, v23, v22
	v_mul_f32_e32 v23, 0x3fc90fda, v22
	v_fma_f32 v24, v22, s22, -v23
	v_fmac_f32_e32 v24, 0x33a22168, v22
	v_fmac_f32_e32 v24, 0x3fc90fda, v21
	v_lshrrev_b32_e32 v2, 30, v2
	v_add_f32_e32 v22, v23, v24
	v_add_u32_e32 v23, v30, v2
.LBB101_51:                             ;   in Loop: Header=BB101_41 Depth=1
	s_andn2_saveexec_b64 s[0:1], s[10:11]
; %bb.52:                               ;   in Loop: Header=BB101_41 Depth=1
	v_mul_f32_e64 v2, |v19|, s23
	v_rndne_f32_e32 v2, v2
	v_cvt_i32_f32_e32 v23, v2
	v_fma_f32 v22, v2, s24, |v19|
	v_fmac_f32_e32 v22, 0xb3a22168, v2
	v_fmac_f32_e32 v22, 0xa7c234c4, v2
; %bb.53:                               ;   in Loop: Header=BB101_41 Depth=1
	s_or_b64 exec, exec, s[0:1]
	v_cvt_f32_f16_sdwa v7, v7 dst_sel:DWORD dst_unused:UNUSED_PAD src0_sel:WORD_1
                                        ; implicit-def: $vgpr24
                                        ; implicit-def: $vgpr2
	v_and_b32_e32 v21, 0x7fffffff, v7
	v_cmp_nlt_f32_e64 s[0:1], |v7|, s14
	s_and_saveexec_b64 s[2:3], s[0:1]
	s_xor_b64 s[10:11], exec, s[2:3]
	s_cbranch_execz .LBB101_55
; %bb.54:                               ;   in Loop: Header=BB101_41 Depth=1
	v_and_b32_e32 v2, 0x7fffff, v21
	v_or_b32_e32 v31, 0x800000, v2
	v_mad_u64_u32 v[24:25], s[0:1], v31, s15, 0
	v_mov_b32_e32 v2, v25
	v_mad_u64_u32 v[25:26], s[0:1], v31, s16, v[2:3]
	v_mov_b32_e32 v2, v26
	;; [unrolled: 2-line block ×3, first 2 shown]
	v_mad_u64_u32 v[27:28], s[0:1], v31, s18, v[2:3]
	v_lshrrev_b32_e32 v2, 23, v21
	v_add_u32_e32 v30, 0xffffff88, v2
	v_mov_b32_e32 v2, v28
	v_mad_u64_u32 v[28:29], s[0:1], v31, s19, v[2:3]
	v_cmp_lt_u32_e32 vcc, 63, v30
	v_cndmask_b32_e32 v2, 0, v9, vcc
	v_add_u32_e32 v32, v2, v30
	v_mov_b32_e32 v2, v29
	v_mad_u64_u32 v[29:30], s[0:1], v31, s20, v[2:3]
	v_cmp_lt_u32_e64 s[0:1], 31, v32
	v_cndmask_b32_e64 v2, 0, v10, s[0:1]
	v_add_u32_e32 v32, v2, v32
	v_mov_b32_e32 v2, v30
	v_mad_u64_u32 v[30:31], s[2:3], v31, s21, v[2:3]
	v_cmp_lt_u32_e64 s[2:3], 31, v32
	v_cndmask_b32_e64 v2, 0, v10, s[2:3]
	v_add_u32_e32 v2, v2, v32
	v_cndmask_b32_e32 v32, v29, v27, vcc
	v_cndmask_b32_e32 v30, v30, v28, vcc
	v_cndmask_b32_e32 v29, v31, v29, vcc
	v_cndmask_b32_e32 v28, v28, v26, vcc
	v_cndmask_b32_e64 v31, v30, v32, s[0:1]
	v_cndmask_b32_e64 v29, v29, v30, s[0:1]
	;; [unrolled: 1-line block ×3, first 2 shown]
	v_sub_u32_e32 v32, 32, v2
	v_cmp_eq_u32_e64 s[4:5], 0, v2
	v_cndmask_b32_e32 v2, v27, v25, vcc
	v_cndmask_b32_e64 v29, v29, v31, s[2:3]
	v_cndmask_b32_e64 v31, v31, v30, s[2:3]
	;; [unrolled: 1-line block ×3, first 2 shown]
	v_alignbit_b32 v33, v29, v31, v32
	v_cndmask_b32_e64 v27, v30, v25, s[2:3]
	v_cndmask_b32_e64 v29, v33, v29, s[4:5]
	v_alignbit_b32 v28, v31, v27, v32
	v_cndmask_b32_e32 v24, v26, v24, vcc
	v_cndmask_b32_e64 v28, v28, v31, s[4:5]
	v_bfe_u32 v33, v29, 29, 1
	v_cndmask_b32_e64 v2, v2, v24, s[0:1]
	v_alignbit_b32 v30, v29, v28, 30
	v_sub_u32_e32 v34, 0, v33
	v_cndmask_b32_e64 v2, v25, v2, s[2:3]
	v_xor_b32_e32 v30, v30, v34
	v_alignbit_b32 v24, v27, v2, v32
	v_cndmask_b32_e64 v24, v24, v27, s[4:5]
	v_ffbh_u32_e32 v26, v30
	v_alignbit_b32 v25, v28, v24, 30
	v_min_u32_e32 v26, 32, v26
	v_alignbit_b32 v2, v24, v2, 30
	v_xor_b32_e32 v25, v25, v34
	v_sub_u32_e32 v27, 31, v26
	v_xor_b32_e32 v2, v2, v34
	v_alignbit_b32 v28, v30, v25, v27
	v_alignbit_b32 v2, v25, v2, v27
	;; [unrolled: 1-line block ×3, first 2 shown]
	v_ffbh_u32_e32 v25, v24
	v_min_u32_e32 v25, 32, v25
	v_lshrrev_b32_e32 v31, 29, v29
	v_not_b32_e32 v27, v25
	v_alignbit_b32 v2, v24, v2, v27
	v_lshlrev_b32_e32 v24, 31, v31
	v_or_b32_e32 v27, 0x33000000, v24
	v_add_lshl_u32 v25, v25, v26, 23
	v_lshrrev_b32_e32 v2, 9, v2
	v_sub_u32_e32 v25, v27, v25
	v_or_b32_e32 v24, 0.5, v24
	v_lshlrev_b32_e32 v26, 23, v26
	v_or_b32_e32 v2, v25, v2
	v_lshrrev_b32_e32 v25, 9, v28
	v_sub_u32_e32 v24, v24, v26
	v_or_b32_e32 v24, v25, v24
	v_mul_f32_e32 v25, 0x3fc90fda, v24
	v_fma_f32 v26, v24, s22, -v25
	v_fmac_f32_e32 v26, 0x33a22168, v24
	v_fmac_f32_e32 v26, 0x3fc90fda, v2
	v_lshrrev_b32_e32 v24, 30, v29
	v_add_f32_e32 v2, v25, v26
	v_add_u32_e32 v24, v33, v24
.LBB101_55:                             ;   in Loop: Header=BB101_41 Depth=1
	s_andn2_saveexec_b64 s[0:1], s[10:11]
	s_cbranch_execz .LBB101_40
; %bb.56:                               ;   in Loop: Header=BB101_41 Depth=1
	v_mul_f32_e64 v2, |v7|, s23
	v_rndne_f32_e32 v25, v2
	v_cvt_i32_f32_e32 v24, v25
	v_fma_f32 v2, v25, s24, |v7|
	v_fmac_f32_e32 v2, 0xb3a22168, v25
	v_fmac_f32_e32 v2, 0xa7c234c4, v25
	s_branch .LBB101_40
.LBB101_57:
	s_endpgm
	.section	.rodata,"a",@progbits
	.p2align	6, 0x0
	.amdhsa_kernel _ZN2at6native12_GLOBAL__N_125multi_tensor_apply_kernelINS1_18TensorListMetadataILi1EEENS1_14UnaryOpFunctorIN3c104HalfELi1ELi1ELi0EEEJNS0_3TanIfEEEEEvT_T0_DpT1_
		.amdhsa_group_segment_fixed_size 0
		.amdhsa_private_segment_fixed_size 0
		.amdhsa_kernarg_size 3632
		.amdhsa_user_sgpr_count 6
		.amdhsa_user_sgpr_private_segment_buffer 1
		.amdhsa_user_sgpr_dispatch_ptr 0
		.amdhsa_user_sgpr_queue_ptr 0
		.amdhsa_user_sgpr_kernarg_segment_ptr 1
		.amdhsa_user_sgpr_dispatch_id 0
		.amdhsa_user_sgpr_flat_scratch_init 0
		.amdhsa_user_sgpr_private_segment_size 0
		.amdhsa_uses_dynamic_stack 0
		.amdhsa_system_sgpr_private_segment_wavefront_offset 0
		.amdhsa_system_sgpr_workgroup_id_x 1
		.amdhsa_system_sgpr_workgroup_id_y 0
		.amdhsa_system_sgpr_workgroup_id_z 0
		.amdhsa_system_sgpr_workgroup_info 0
		.amdhsa_system_vgpr_workitem_id 0
		.amdhsa_next_free_vgpr 42
		.amdhsa_next_free_sgpr 46
		.amdhsa_reserve_vcc 1
		.amdhsa_reserve_flat_scratch 0
		.amdhsa_float_round_mode_32 0
		.amdhsa_float_round_mode_16_64 0
		.amdhsa_float_denorm_mode_32 3
		.amdhsa_float_denorm_mode_16_64 3
		.amdhsa_dx10_clamp 1
		.amdhsa_ieee_mode 1
		.amdhsa_fp16_overflow 0
		.amdhsa_exception_fp_ieee_invalid_op 0
		.amdhsa_exception_fp_denorm_src 0
		.amdhsa_exception_fp_ieee_div_zero 0
		.amdhsa_exception_fp_ieee_overflow 0
		.amdhsa_exception_fp_ieee_underflow 0
		.amdhsa_exception_fp_ieee_inexact 0
		.amdhsa_exception_int_div_zero 0
	.end_amdhsa_kernel
	.section	.text._ZN2at6native12_GLOBAL__N_125multi_tensor_apply_kernelINS1_18TensorListMetadataILi1EEENS1_14UnaryOpFunctorIN3c104HalfELi1ELi1ELi0EEEJNS0_3TanIfEEEEEvT_T0_DpT1_,"axG",@progbits,_ZN2at6native12_GLOBAL__N_125multi_tensor_apply_kernelINS1_18TensorListMetadataILi1EEENS1_14UnaryOpFunctorIN3c104HalfELi1ELi1ELi0EEEJNS0_3TanIfEEEEEvT_T0_DpT1_,comdat
.Lfunc_end101:
	.size	_ZN2at6native12_GLOBAL__N_125multi_tensor_apply_kernelINS1_18TensorListMetadataILi1EEENS1_14UnaryOpFunctorIN3c104HalfELi1ELi1ELi0EEEJNS0_3TanIfEEEEEvT_T0_DpT1_, .Lfunc_end101-_ZN2at6native12_GLOBAL__N_125multi_tensor_apply_kernelINS1_18TensorListMetadataILi1EEENS1_14UnaryOpFunctorIN3c104HalfELi1ELi1ELi0EEEJNS0_3TanIfEEEEEvT_T0_DpT1_
                                        ; -- End function
	.set _ZN2at6native12_GLOBAL__N_125multi_tensor_apply_kernelINS1_18TensorListMetadataILi1EEENS1_14UnaryOpFunctorIN3c104HalfELi1ELi1ELi0EEEJNS0_3TanIfEEEEEvT_T0_DpT1_.num_vgpr, 42
	.set _ZN2at6native12_GLOBAL__N_125multi_tensor_apply_kernelINS1_18TensorListMetadataILi1EEENS1_14UnaryOpFunctorIN3c104HalfELi1ELi1ELi0EEEJNS0_3TanIfEEEEEvT_T0_DpT1_.num_agpr, 0
	.set _ZN2at6native12_GLOBAL__N_125multi_tensor_apply_kernelINS1_18TensorListMetadataILi1EEENS1_14UnaryOpFunctorIN3c104HalfELi1ELi1ELi0EEEJNS0_3TanIfEEEEEvT_T0_DpT1_.numbered_sgpr, 46
	.set _ZN2at6native12_GLOBAL__N_125multi_tensor_apply_kernelINS1_18TensorListMetadataILi1EEENS1_14UnaryOpFunctorIN3c104HalfELi1ELi1ELi0EEEJNS0_3TanIfEEEEEvT_T0_DpT1_.num_named_barrier, 0
	.set _ZN2at6native12_GLOBAL__N_125multi_tensor_apply_kernelINS1_18TensorListMetadataILi1EEENS1_14UnaryOpFunctorIN3c104HalfELi1ELi1ELi0EEEJNS0_3TanIfEEEEEvT_T0_DpT1_.private_seg_size, 0
	.set _ZN2at6native12_GLOBAL__N_125multi_tensor_apply_kernelINS1_18TensorListMetadataILi1EEENS1_14UnaryOpFunctorIN3c104HalfELi1ELi1ELi0EEEJNS0_3TanIfEEEEEvT_T0_DpT1_.uses_vcc, 1
	.set _ZN2at6native12_GLOBAL__N_125multi_tensor_apply_kernelINS1_18TensorListMetadataILi1EEENS1_14UnaryOpFunctorIN3c104HalfELi1ELi1ELi0EEEJNS0_3TanIfEEEEEvT_T0_DpT1_.uses_flat_scratch, 0
	.set _ZN2at6native12_GLOBAL__N_125multi_tensor_apply_kernelINS1_18TensorListMetadataILi1EEENS1_14UnaryOpFunctorIN3c104HalfELi1ELi1ELi0EEEJNS0_3TanIfEEEEEvT_T0_DpT1_.has_dyn_sized_stack, 0
	.set _ZN2at6native12_GLOBAL__N_125multi_tensor_apply_kernelINS1_18TensorListMetadataILi1EEENS1_14UnaryOpFunctorIN3c104HalfELi1ELi1ELi0EEEJNS0_3TanIfEEEEEvT_T0_DpT1_.has_recursion, 0
	.set _ZN2at6native12_GLOBAL__N_125multi_tensor_apply_kernelINS1_18TensorListMetadataILi1EEENS1_14UnaryOpFunctorIN3c104HalfELi1ELi1ELi0EEEJNS0_3TanIfEEEEEvT_T0_DpT1_.has_indirect_call, 0
	.section	.AMDGPU.csdata,"",@progbits
; Kernel info:
; codeLenInByte = 7292
; TotalNumSgprs: 50
; NumVgprs: 42
; ScratchSize: 0
; MemoryBound: 0
; FloatMode: 240
; IeeeMode: 1
; LDSByteSize: 0 bytes/workgroup (compile time only)
; SGPRBlocks: 6
; VGPRBlocks: 10
; NumSGPRsForWavesPerEU: 50
; NumVGPRsForWavesPerEU: 42
; Occupancy: 5
; WaveLimiterHint : 0
; COMPUTE_PGM_RSRC2:SCRATCH_EN: 0
; COMPUTE_PGM_RSRC2:USER_SGPR: 6
; COMPUTE_PGM_RSRC2:TRAP_HANDLER: 0
; COMPUTE_PGM_RSRC2:TGID_X_EN: 1
; COMPUTE_PGM_RSRC2:TGID_Y_EN: 0
; COMPUTE_PGM_RSRC2:TGID_Z_EN: 0
; COMPUTE_PGM_RSRC2:TIDIG_COMP_CNT: 0
	.section	.text._ZN2at6native12_GLOBAL__N_125multi_tensor_apply_kernelINS1_18TensorListMetadataILi1EEENS1_14UnaryOpFunctorIN3c108BFloat16ELi1ELi1ELi0EEEJNS0_3TanIfEEEEEvT_T0_DpT1_,"axG",@progbits,_ZN2at6native12_GLOBAL__N_125multi_tensor_apply_kernelINS1_18TensorListMetadataILi1EEENS1_14UnaryOpFunctorIN3c108BFloat16ELi1ELi1ELi0EEEJNS0_3TanIfEEEEEvT_T0_DpT1_,comdat
	.globl	_ZN2at6native12_GLOBAL__N_125multi_tensor_apply_kernelINS1_18TensorListMetadataILi1EEENS1_14UnaryOpFunctorIN3c108BFloat16ELi1ELi1ELi0EEEJNS0_3TanIfEEEEEvT_T0_DpT1_ ; -- Begin function _ZN2at6native12_GLOBAL__N_125multi_tensor_apply_kernelINS1_18TensorListMetadataILi1EEENS1_14UnaryOpFunctorIN3c108BFloat16ELi1ELi1ELi0EEEJNS0_3TanIfEEEEEvT_T0_DpT1_
	.p2align	8
	.type	_ZN2at6native12_GLOBAL__N_125multi_tensor_apply_kernelINS1_18TensorListMetadataILi1EEENS1_14UnaryOpFunctorIN3c108BFloat16ELi1ELi1ELi0EEEJNS0_3TanIfEEEEEvT_T0_DpT1_,@function
_ZN2at6native12_GLOBAL__N_125multi_tensor_apply_kernelINS1_18TensorListMetadataILi1EEENS1_14UnaryOpFunctorIN3c108BFloat16ELi1ELi1ELi0EEEJNS0_3TanIfEEEEEvT_T0_DpT1_: ; @_ZN2at6native12_GLOBAL__N_125multi_tensor_apply_kernelINS1_18TensorListMetadataILi1EEENS1_14UnaryOpFunctorIN3c108BFloat16ELi1ELi1ELi0EEEJNS0_3TanIfEEEEEvT_T0_DpT1_
; %bb.0:
	v_mov_b32_e32 v1, s6
	global_load_ubyte v1, v1, s[4:5] offset:1760
	s_add_u32 s0, s4, s6
	s_mul_hi_u32 s1, s6, 3
	s_mul_i32 s6, s6, 3
	s_addc_u32 s2, s5, 0
	s_add_u32 s0, s0, s6
	s_addc_u32 s1, s2, s1
	s_load_dword s0, s[0:1], 0x820
	s_mov_b32 s7, 0
	s_waitcnt vmcnt(0)
	v_readfirstlane_b32 s1, v1
	s_lshl_b32 s1, s1, 3
	s_load_dwordx2 s[2:3], s[4:5], s1 offset:0x370
	s_load_dwordx2 s[16:17], s[4:5], s1 offset:0x0
	s_waitcnt lgkmcnt(0)
	s_ashr_i32 s1, s0, 31
	s_lshl_b64 s[18:19], s[0:1], 17
	s_lshl_b64 s[0:1], s[0:1], 16
	s_and_b32 s6, s16, 7
	s_sub_u32 s20, s2, s0
	s_subb_u32 s21, s3, s1
	s_and_b32 s0, s2, 3
	s_mov_b32 s1, s7
	s_or_b64 s[0:1], s[6:7], s[0:1]
	s_cmp_eq_u64 s[0:1], 0
	s_cbranch_scc1 .LBB102_37
; %bb.1:
	v_cmp_lt_i64_e64 s[0:1], s[20:21], 1
	s_and_b64 vcc, exec, s[0:1]
	s_cbranch_vccnz .LBB102_36
; %bb.2:
	v_mov_b32_e32 v3, 0x10000
	s_load_dword s2, s[4:5], 0xd3c
	v_mov_b32_e32 v4, 0
	v_cmp_lt_i64_e32 vcc, s[20:21], v[3:4]
	v_lshlrev_b32_e32 v1, 1, v0
	s_and_b64 s[0:1], vcc, exec
	v_cmp_lt_u64_e32 vcc, s[20:21], v[3:4]
	s_cselect_b32 s23, s21, 0
	s_cselect_b32 s22, s20, 0x10000
	s_waitcnt lgkmcnt(0)
	s_and_b32 s2, s2, 0xffff
	s_and_b64 s[0:1], vcc, exec
	s_cselect_b32 s25, s21, 0
	s_cselect_b32 s24, s20, 0x10000
	s_lshl_b32 s3, s2, 1
	s_lshl_b32 s30, s2, 2
	s_add_u32 s6, s16, s18
	s_addc_u32 s7, s17, s19
	v_mov_b32_e32 v4, s7
	v_add_co_u32_e32 v3, vcc, s6, v1
	s_mul_i32 s0, s2, 3
	v_addc_co_u32_e32 v4, vcc, 0, v4, vcc
	v_add_co_u32_e32 v7, vcc, s0, v0
	v_addc_co_u32_e64 v8, s[0:1], 0, 0, vcc
	v_add_co_u32_e32 v9, vcc, s3, v0
	v_addc_co_u32_e64 v10, s[0:1], 0, 0, vcc
	v_add_co_u32_e32 v11, vcc, s2, v0
	v_lshlrev_b32_e32 v1, 1, v11
	v_addc_co_u32_e64 v12, s[0:1], 0, 0, vcc
	v_mov_b32_e32 v6, s7
	v_add_co_u32_e32 v5, vcc, s6, v1
	v_mov_b32_e32 v2, 0
	s_lshl_b32 s31, s2, 3
	s_mul_i32 s33, s2, 6
	v_addc_co_u32_e32 v6, vcc, 0, v6, vcc
	s_mov_b64 s[26:27], 0
	s_brev_b32 s34, 18
	s_mov_b32 s35, 0xfe5163ab
	s_mov_b32 s36, 0x3c439041
	;; [unrolled: 1-line block ×10, first 2 shown]
	v_mov_b32_e32 v13, 0x3f93f425
	s_movk_i32 s45, 0x1f8
	s_movk_i32 s46, 0x7fff
	v_not_b32_e32 v14, 63
	v_not_b32_e32 v15, 31
	v_mov_b32_e32 v16, 0x7fc00000
	v_mov_b32_e32 v17, 0x7fc0
	s_branch .LBB102_4
.LBB102_3:                              ;   in Loop: Header=BB102_4 Depth=1
	s_or_b64 exec, exec, s[2:3]
	s_add_u32 s26, s26, s30
	v_add_co_u32_e32 v3, vcc, s31, v3
	v_mov_b32_e32 v18, s22
	s_addc_u32 s27, s27, 0
	v_addc_co_u32_e32 v4, vcc, 0, v4, vcc
	v_mov_b32_e32 v19, s23
	v_cmp_ge_i64_e32 vcc, s[26:27], v[18:19]
	v_add_co_u32_e64 v5, s[0:1], s31, v5
	v_addc_co_u32_e64 v6, s[0:1], 0, v6, s[0:1]
	s_cbranch_vccnz .LBB102_36
.LBB102_4:                              ; =>This Inner Loop Header: Depth=1
	v_mov_b32_e32 v1, s27
	v_add_co_u32_e32 v18, vcc, s26, v0
	v_addc_co_u32_e32 v19, vcc, 0, v1, vcc
	v_cmp_gt_u64_e32 vcc, s[24:25], v[18:19]
	v_mov_b32_e32 v21, 0
	s_and_saveexec_b64 s[0:1], vcc
	s_cbranch_execz .LBB102_6
; %bb.5:                                ;   in Loop: Header=BB102_4 Depth=1
	global_load_ushort v1, v[3:4], off
	s_waitcnt vmcnt(0)
	v_lshlrev_b32_e32 v21, 16, v1
.LBB102_6:                              ;   in Loop: Header=BB102_4 Depth=1
	s_or_b64 exec, exec, s[0:1]
	v_mov_b32_e32 v1, s27
	v_add_co_u32_e64 v18, s[0:1], s26, v11
	v_addc_co_u32_e64 v19, s[0:1], v12, v1, s[0:1]
	v_cmp_gt_u64_e64 s[6:7], s[24:25], v[18:19]
	v_mov_b32_e32 v19, 0
	v_mov_b32_e32 v20, 0
	s_and_saveexec_b64 s[0:1], s[6:7]
	s_cbranch_execz .LBB102_8
; %bb.7:                                ;   in Loop: Header=BB102_4 Depth=1
	global_load_ushort v1, v[5:6], off
	s_waitcnt vmcnt(0)
	v_lshlrev_b32_e32 v20, 16, v1
.LBB102_8:                              ;   in Loop: Header=BB102_4 Depth=1
	s_or_b64 exec, exec, s[0:1]
	v_mov_b32_e32 v1, s27
	v_add_co_u32_e64 v22, s[0:1], s26, v9
	v_addc_co_u32_e64 v23, s[0:1], v10, v1, s[0:1]
	v_cmp_gt_u64_e64 s[2:3], s[24:25], v[22:23]
	s_and_saveexec_b64 s[8:9], s[2:3]
	s_cbranch_execz .LBB102_10
; %bb.9:                                ;   in Loop: Header=BB102_4 Depth=1
	v_add_co_u32_e64 v18, s[0:1], s30, v3
	v_addc_co_u32_e64 v19, s[0:1], 0, v4, s[0:1]
	global_load_ushort v1, v[18:19], off
	s_waitcnt vmcnt(0)
	v_lshlrev_b32_e32 v19, 16, v1
.LBB102_10:                             ;   in Loop: Header=BB102_4 Depth=1
	s_or_b64 exec, exec, s[8:9]
	v_mov_b32_e32 v1, s27
	v_add_co_u32_e64 v22, s[0:1], s26, v7
	v_addc_co_u32_e64 v23, s[0:1], v8, v1, s[0:1]
	v_cmp_gt_u64_e64 s[0:1], s[24:25], v[22:23]
	v_mov_b32_e32 v18, 0
	s_and_saveexec_b64 s[10:11], s[0:1]
	s_cbranch_execz .LBB102_12
; %bb.11:                               ;   in Loop: Header=BB102_4 Depth=1
	v_add_co_u32_e64 v22, s[8:9], s33, v3
	v_addc_co_u32_e64 v23, s[8:9], 0, v4, s[8:9]
	global_load_ushort v1, v[22:23], off
	s_waitcnt vmcnt(0)
	v_lshlrev_b32_e32 v18, 16, v1
.LBB102_12:                             ;   in Loop: Header=BB102_4 Depth=1
	s_or_b64 exec, exec, s[10:11]
	v_and_b32_e32 v22, 0x7fffffff, v21
	v_cmp_nlt_f32_e64 s[8:9], |v21|, s34
                                        ; implicit-def: $vgpr25
                                        ; implicit-def: $vgpr24
	s_and_saveexec_b64 s[10:11], s[8:9]
	s_xor_b64 s[28:29], exec, s[10:11]
	s_cbranch_execz .LBB102_14
; %bb.13:                               ;   in Loop: Header=BB102_4 Depth=1
	v_and_b32_e32 v1, 0x7fffff, v22
	v_or_b32_e32 v30, 0x800000, v1
	v_mad_u64_u32 v[23:24], s[8:9], v30, s35, 0
	v_mov_b32_e32 v1, v24
	v_mad_u64_u32 v[24:25], s[8:9], v30, s36, v[1:2]
	v_mov_b32_e32 v1, v25
	;; [unrolled: 2-line block ×3, first 2 shown]
	v_mad_u64_u32 v[26:27], s[8:9], v30, s38, v[1:2]
	v_lshrrev_b32_e32 v1, 23, v22
	v_add_u32_e32 v29, 0xffffff88, v1
	v_mov_b32_e32 v1, v27
	v_mad_u64_u32 v[27:28], s[8:9], v30, s39, v[1:2]
	v_cmp_lt_u32_e64 s[8:9], 63, v29
	v_cndmask_b32_e64 v1, 0, v14, s[8:9]
	v_add_u32_e32 v31, v1, v29
	v_mov_b32_e32 v1, v28
	v_mad_u64_u32 v[28:29], s[10:11], v30, s40, v[1:2]
	v_cmp_lt_u32_e64 s[10:11], 31, v31
	v_cndmask_b32_e64 v1, 0, v15, s[10:11]
	;; [unrolled: 5-line block ×3, first 2 shown]
	v_add_u32_e32 v1, v1, v31
	v_cndmask_b32_e64 v31, v28, v26, s[8:9]
	v_cndmask_b32_e64 v29, v29, v27, s[8:9]
	v_cndmask_b32_e64 v28, v30, v28, s[8:9]
	v_cndmask_b32_e64 v27, v27, v25, s[8:9]
	v_cndmask_b32_e64 v30, v29, v31, s[10:11]
	v_cndmask_b32_e64 v28, v28, v29, s[10:11]
	v_cndmask_b32_e64 v29, v31, v27, s[10:11]
	v_cndmask_b32_e64 v24, v26, v24, s[8:9]
	v_cndmask_b32_e64 v28, v28, v30, s[12:13]
	v_cndmask_b32_e64 v30, v30, v29, s[12:13]
	v_sub_u32_e32 v31, 32, v1
	v_cndmask_b32_e64 v26, v27, v24, s[10:11]
	v_alignbit_b32 v32, v28, v30, v31
	v_cmp_eq_u32_e64 s[14:15], 0, v1
	v_cndmask_b32_e64 v27, v29, v26, s[12:13]
	v_cndmask_b32_e64 v1, v32, v28, s[14:15]
	v_alignbit_b32 v28, v30, v27, v31
	v_cndmask_b32_e64 v23, v25, v23, s[8:9]
	v_cndmask_b32_e64 v28, v28, v30, s[14:15]
	v_bfe_u32 v32, v1, 29, 1
	v_cndmask_b32_e64 v23, v24, v23, s[10:11]
	v_alignbit_b32 v29, v1, v28, 30
	v_sub_u32_e32 v33, 0, v32
	v_cndmask_b32_e64 v23, v26, v23, s[12:13]
	v_xor_b32_e32 v29, v29, v33
	v_alignbit_b32 v24, v27, v23, v31
	v_cndmask_b32_e64 v24, v24, v27, s[14:15]
	v_ffbh_u32_e32 v26, v29
	v_alignbit_b32 v25, v28, v24, 30
	v_min_u32_e32 v26, 32, v26
	v_alignbit_b32 v23, v24, v23, 30
	v_xor_b32_e32 v25, v25, v33
	v_sub_u32_e32 v27, 31, v26
	v_xor_b32_e32 v23, v23, v33
	v_alignbit_b32 v28, v29, v25, v27
	v_alignbit_b32 v23, v25, v23, v27
	;; [unrolled: 1-line block ×3, first 2 shown]
	v_ffbh_u32_e32 v25, v24
	v_min_u32_e32 v25, 32, v25
	v_lshrrev_b32_e32 v30, 29, v1
	v_not_b32_e32 v27, v25
	v_alignbit_b32 v23, v24, v23, v27
	v_lshlrev_b32_e32 v24, 31, v30
	v_or_b32_e32 v27, 0x33000000, v24
	v_add_lshl_u32 v25, v25, v26, 23
	v_lshrrev_b32_e32 v23, 9, v23
	v_sub_u32_e32 v25, v27, v25
	v_or_b32_e32 v24, 0.5, v24
	v_lshlrev_b32_e32 v26, 23, v26
	v_or_b32_e32 v23, v25, v23
	v_lshrrev_b32_e32 v25, 9, v28
	v_sub_u32_e32 v24, v24, v26
	v_or_b32_e32 v24, v25, v24
	v_mul_f32_e32 v25, 0x3fc90fda, v24
	v_fma_f32 v26, v24, s42, -v25
	v_fmac_f32_e32 v26, 0x33a22168, v24
	v_fmac_f32_e32 v26, 0x3fc90fda, v23
	v_lshrrev_b32_e32 v1, 30, v1
	v_add_f32_e32 v24, v25, v26
	v_add_u32_e32 v25, v32, v1
.LBB102_14:                             ;   in Loop: Header=BB102_4 Depth=1
	s_andn2_saveexec_b64 s[8:9], s[28:29]
; %bb.15:                               ;   in Loop: Header=BB102_4 Depth=1
	v_mul_f32_e64 v1, |v21|, s43
	v_rndne_f32_e32 v1, v1
	v_cvt_i32_f32_e32 v25, v1
	v_fma_f32 v24, v1, s44, |v21|
	v_fmac_f32_e32 v24, 0xb3a22168, v1
	v_fmac_f32_e32 v24, 0xa7c234c4, v1
; %bb.16:                               ;   in Loop: Header=BB102_4 Depth=1
	s_or_b64 exec, exec, s[8:9]
	v_and_b32_e32 v23, 0x7fffffff, v20
	v_cmp_nlt_f32_e64 s[8:9], |v20|, s34
                                        ; implicit-def: $vgpr28
                                        ; implicit-def: $vgpr27
	s_and_saveexec_b64 s[10:11], s[8:9]
	s_xor_b64 s[28:29], exec, s[10:11]
	s_cbranch_execz .LBB102_18
; %bb.17:                               ;   in Loop: Header=BB102_4 Depth=1
	v_and_b32_e32 v1, 0x7fffff, v23
	v_or_b32_e32 v33, 0x800000, v1
	v_mad_u64_u32 v[26:27], s[8:9], v33, s35, 0
	v_mov_b32_e32 v1, v27
	v_mad_u64_u32 v[27:28], s[8:9], v33, s36, v[1:2]
	v_mov_b32_e32 v1, v28
	;; [unrolled: 2-line block ×3, first 2 shown]
	v_mad_u64_u32 v[29:30], s[8:9], v33, s38, v[1:2]
	v_lshrrev_b32_e32 v1, 23, v23
	v_add_u32_e32 v32, 0xffffff88, v1
	v_mov_b32_e32 v1, v30
	v_mad_u64_u32 v[30:31], s[8:9], v33, s39, v[1:2]
	v_cmp_lt_u32_e64 s[8:9], 63, v32
	v_cndmask_b32_e64 v1, 0, v14, s[8:9]
	v_add_u32_e32 v34, v1, v32
	v_mov_b32_e32 v1, v31
	v_mad_u64_u32 v[31:32], s[10:11], v33, s40, v[1:2]
	v_cmp_lt_u32_e64 s[10:11], 31, v34
	v_cndmask_b32_e64 v1, 0, v15, s[10:11]
	;; [unrolled: 5-line block ×3, first 2 shown]
	v_add_u32_e32 v1, v1, v34
	v_cndmask_b32_e64 v34, v31, v29, s[8:9]
	v_cndmask_b32_e64 v32, v32, v30, s[8:9]
	;; [unrolled: 1-line block ×10, first 2 shown]
	v_sub_u32_e32 v34, 32, v1
	v_cndmask_b32_e64 v29, v30, v27, s[10:11]
	v_alignbit_b32 v35, v31, v33, v34
	v_cmp_eq_u32_e64 s[14:15], 0, v1
	v_cndmask_b32_e64 v30, v32, v29, s[12:13]
	v_cndmask_b32_e64 v1, v35, v31, s[14:15]
	v_alignbit_b32 v31, v33, v30, v34
	v_cndmask_b32_e64 v26, v28, v26, s[8:9]
	v_cndmask_b32_e64 v31, v31, v33, s[14:15]
	v_bfe_u32 v35, v1, 29, 1
	v_cndmask_b32_e64 v26, v27, v26, s[10:11]
	v_alignbit_b32 v32, v1, v31, 30
	v_sub_u32_e32 v36, 0, v35
	v_cndmask_b32_e64 v26, v29, v26, s[12:13]
	v_xor_b32_e32 v32, v32, v36
	v_alignbit_b32 v27, v30, v26, v34
	v_cndmask_b32_e64 v27, v27, v30, s[14:15]
	v_ffbh_u32_e32 v29, v32
	v_alignbit_b32 v28, v31, v27, 30
	v_min_u32_e32 v29, 32, v29
	v_alignbit_b32 v26, v27, v26, 30
	v_xor_b32_e32 v28, v28, v36
	v_sub_u32_e32 v30, 31, v29
	v_xor_b32_e32 v26, v26, v36
	v_alignbit_b32 v31, v32, v28, v30
	v_alignbit_b32 v26, v28, v26, v30
	;; [unrolled: 1-line block ×3, first 2 shown]
	v_ffbh_u32_e32 v28, v27
	v_min_u32_e32 v28, 32, v28
	v_lshrrev_b32_e32 v33, 29, v1
	v_not_b32_e32 v30, v28
	v_alignbit_b32 v26, v27, v26, v30
	v_lshlrev_b32_e32 v27, 31, v33
	v_or_b32_e32 v30, 0x33000000, v27
	v_add_lshl_u32 v28, v28, v29, 23
	v_lshrrev_b32_e32 v26, 9, v26
	v_sub_u32_e32 v28, v30, v28
	v_or_b32_e32 v27, 0.5, v27
	v_lshlrev_b32_e32 v29, 23, v29
	v_or_b32_e32 v26, v28, v26
	v_lshrrev_b32_e32 v28, 9, v31
	v_sub_u32_e32 v27, v27, v29
	v_or_b32_e32 v27, v28, v27
	v_mul_f32_e32 v28, 0x3fc90fda, v27
	v_fma_f32 v29, v27, s42, -v28
	v_fmac_f32_e32 v29, 0x33a22168, v27
	v_fmac_f32_e32 v29, 0x3fc90fda, v26
	v_lshrrev_b32_e32 v1, 30, v1
	v_add_f32_e32 v27, v28, v29
	v_add_u32_e32 v28, v35, v1
.LBB102_18:                             ;   in Loop: Header=BB102_4 Depth=1
	s_andn2_saveexec_b64 s[8:9], s[28:29]
; %bb.19:                               ;   in Loop: Header=BB102_4 Depth=1
	v_mul_f32_e64 v1, |v20|, s43
	v_rndne_f32_e32 v1, v1
	v_cvt_i32_f32_e32 v28, v1
	v_fma_f32 v27, v1, s44, |v20|
	v_fmac_f32_e32 v27, 0xb3a22168, v1
	v_fmac_f32_e32 v27, 0xa7c234c4, v1
; %bb.20:                               ;   in Loop: Header=BB102_4 Depth=1
	s_or_b64 exec, exec, s[8:9]
	v_and_b32_e32 v26, 0x7fffffff, v19
	v_cmp_nlt_f32_e64 s[8:9], |v19|, s34
                                        ; implicit-def: $vgpr31
                                        ; implicit-def: $vgpr30
	s_and_saveexec_b64 s[10:11], s[8:9]
	s_xor_b64 s[28:29], exec, s[10:11]
	s_cbranch_execz .LBB102_22
; %bb.21:                               ;   in Loop: Header=BB102_4 Depth=1
	v_and_b32_e32 v1, 0x7fffff, v26
	v_or_b32_e32 v36, 0x800000, v1
	v_mad_u64_u32 v[29:30], s[8:9], v36, s35, 0
	v_mov_b32_e32 v1, v30
	v_mad_u64_u32 v[30:31], s[8:9], v36, s36, v[1:2]
	v_mov_b32_e32 v1, v31
	;; [unrolled: 2-line block ×3, first 2 shown]
	v_mad_u64_u32 v[32:33], s[8:9], v36, s38, v[1:2]
	v_lshrrev_b32_e32 v1, 23, v26
	v_add_u32_e32 v35, 0xffffff88, v1
	v_mov_b32_e32 v1, v33
	v_mad_u64_u32 v[33:34], s[10:11], v36, s39, v[1:2]
	v_cmp_lt_u32_e64 s[8:9], 63, v35
	v_cndmask_b32_e64 v1, 0, v14, s[8:9]
	v_add_u32_e32 v37, v1, v35
	v_mov_b32_e32 v1, v34
	v_mad_u64_u32 v[34:35], s[12:13], v36, s40, v[1:2]
	v_cmp_lt_u32_e64 s[10:11], 31, v37
	v_cndmask_b32_e64 v1, 0, v15, s[10:11]
	;; [unrolled: 5-line block ×3, first 2 shown]
	v_add_u32_e32 v1, v1, v37
	v_cndmask_b32_e64 v37, v34, v32, s[8:9]
	v_cndmask_b32_e64 v35, v35, v33, s[8:9]
	;; [unrolled: 1-line block ×10, first 2 shown]
	v_sub_u32_e32 v37, 32, v1
	v_cndmask_b32_e64 v32, v33, v30, s[10:11]
	v_alignbit_b32 v38, v34, v36, v37
	v_cmp_eq_u32_e64 s[14:15], 0, v1
	v_cndmask_b32_e64 v33, v35, v32, s[12:13]
	v_cndmask_b32_e64 v1, v38, v34, s[14:15]
	v_alignbit_b32 v34, v36, v33, v37
	v_cndmask_b32_e64 v29, v31, v29, s[8:9]
	v_cndmask_b32_e64 v34, v34, v36, s[14:15]
	v_bfe_u32 v38, v1, 29, 1
	v_cndmask_b32_e64 v29, v30, v29, s[10:11]
	v_alignbit_b32 v35, v1, v34, 30
	v_sub_u32_e32 v39, 0, v38
	v_cndmask_b32_e64 v29, v32, v29, s[12:13]
	v_xor_b32_e32 v35, v35, v39
	v_alignbit_b32 v30, v33, v29, v37
	v_cndmask_b32_e64 v30, v30, v33, s[14:15]
	v_ffbh_u32_e32 v32, v35
	v_alignbit_b32 v31, v34, v30, 30
	v_min_u32_e32 v32, 32, v32
	v_alignbit_b32 v29, v30, v29, 30
	v_xor_b32_e32 v31, v31, v39
	v_sub_u32_e32 v33, 31, v32
	v_xor_b32_e32 v29, v29, v39
	v_alignbit_b32 v34, v35, v31, v33
	v_alignbit_b32 v29, v31, v29, v33
	;; [unrolled: 1-line block ×3, first 2 shown]
	v_ffbh_u32_e32 v31, v30
	v_min_u32_e32 v31, 32, v31
	v_lshrrev_b32_e32 v36, 29, v1
	v_not_b32_e32 v33, v31
	v_alignbit_b32 v29, v30, v29, v33
	v_lshlrev_b32_e32 v30, 31, v36
	v_or_b32_e32 v33, 0x33000000, v30
	v_add_lshl_u32 v31, v31, v32, 23
	v_lshrrev_b32_e32 v29, 9, v29
	v_sub_u32_e32 v31, v33, v31
	v_or_b32_e32 v30, 0.5, v30
	v_lshlrev_b32_e32 v32, 23, v32
	v_or_b32_e32 v29, v31, v29
	v_lshrrev_b32_e32 v31, 9, v34
	v_sub_u32_e32 v30, v30, v32
	v_or_b32_e32 v30, v31, v30
	v_mul_f32_e32 v31, 0x3fc90fda, v30
	v_fma_f32 v32, v30, s42, -v31
	v_fmac_f32_e32 v32, 0x33a22168, v30
	v_fmac_f32_e32 v32, 0x3fc90fda, v29
	v_lshrrev_b32_e32 v1, 30, v1
	v_add_f32_e32 v30, v31, v32
	v_add_u32_e32 v31, v38, v1
.LBB102_22:                             ;   in Loop: Header=BB102_4 Depth=1
	s_andn2_saveexec_b64 s[8:9], s[28:29]
; %bb.23:                               ;   in Loop: Header=BB102_4 Depth=1
	v_mul_f32_e64 v1, |v19|, s43
	v_rndne_f32_e32 v1, v1
	v_cvt_i32_f32_e32 v31, v1
	v_fma_f32 v30, v1, s44, |v19|
	v_fmac_f32_e32 v30, 0xb3a22168, v1
	v_fmac_f32_e32 v30, 0xa7c234c4, v1
; %bb.24:                               ;   in Loop: Header=BB102_4 Depth=1
	s_or_b64 exec, exec, s[8:9]
	v_and_b32_e32 v29, 0x7fffffff, v18
	v_cmp_nlt_f32_e64 s[8:9], |v18|, s34
                                        ; implicit-def: $vgpr32
                                        ; implicit-def: $vgpr1
	s_and_saveexec_b64 s[10:11], s[8:9]
	s_xor_b64 s[28:29], exec, s[10:11]
	s_cbranch_execnz .LBB102_30
; %bb.25:                               ;   in Loop: Header=BB102_4 Depth=1
	s_andn2_saveexec_b64 s[8:9], s[28:29]
	s_cbranch_execnz .LBB102_31
.LBB102_26:                             ;   in Loop: Header=BB102_4 Depth=1
	s_or_b64 exec, exec, s[8:9]
	s_and_saveexec_b64 s[8:9], vcc
	s_xor_b64 s[8:9], exec, s[8:9]
	s_cbranch_execnz .LBB102_32
.LBB102_27:                             ;   in Loop: Header=BB102_4 Depth=1
	s_or_b64 exec, exec, s[8:9]
	s_and_saveexec_b64 s[8:9], s[6:7]
	s_cbranch_execnz .LBB102_33
.LBB102_28:                             ;   in Loop: Header=BB102_4 Depth=1
	s_or_b64 exec, exec, s[8:9]
	s_and_saveexec_b64 s[6:7], s[2:3]
	s_cbranch_execnz .LBB102_34
.LBB102_29:                             ;   in Loop: Header=BB102_4 Depth=1
	s_or_b64 exec, exec, s[6:7]
	s_and_saveexec_b64 s[2:3], s[0:1]
	s_cbranch_execz .LBB102_3
	s_branch .LBB102_35
.LBB102_30:                             ;   in Loop: Header=BB102_4 Depth=1
	v_and_b32_e32 v1, 0x7fffff, v29
	v_or_b32_e32 v39, 0x800000, v1
	v_mad_u64_u32 v[32:33], s[8:9], v39, s35, 0
	v_mov_b32_e32 v1, v33
	v_mad_u64_u32 v[33:34], s[8:9], v39, s36, v[1:2]
	v_mov_b32_e32 v1, v34
	v_mad_u64_u32 v[34:35], s[8:9], v39, s37, v[1:2]
	v_mov_b32_e32 v1, v35
	v_mad_u64_u32 v[35:36], s[8:9], v39, s38, v[1:2]
	v_lshrrev_b32_e32 v1, 23, v29
	v_add_u32_e32 v38, 0xffffff88, v1
	v_mov_b32_e32 v1, v36
	v_mad_u64_u32 v[36:37], s[8:9], v39, s39, v[1:2]
	v_cmp_lt_u32_e64 s[8:9], 63, v38
	v_cndmask_b32_e64 v1, 0, v14, s[8:9]
	v_add_u32_e32 v40, v1, v38
	v_mov_b32_e32 v1, v37
	v_mad_u64_u32 v[37:38], s[10:11], v39, s40, v[1:2]
	v_cmp_lt_u32_e64 s[10:11], 31, v40
	v_cndmask_b32_e64 v1, 0, v15, s[10:11]
	;; [unrolled: 5-line block ×3, first 2 shown]
	v_add_u32_e32 v1, v1, v40
	v_cndmask_b32_e64 v40, v37, v35, s[8:9]
	v_cndmask_b32_e64 v38, v38, v36, s[8:9]
	;; [unrolled: 1-line block ×7, first 2 shown]
	v_sub_u32_e32 v40, 32, v1
	v_cmp_eq_u32_e64 s[14:15], 0, v1
	v_cndmask_b32_e64 v1, v35, v33, s[8:9]
	v_cndmask_b32_e64 v37, v37, v39, s[12:13]
	;; [unrolled: 1-line block ×4, first 2 shown]
	v_alignbit_b32 v41, v37, v39, v40
	v_cndmask_b32_e64 v35, v38, v33, s[12:13]
	v_cndmask_b32_e64 v37, v41, v37, s[14:15]
	v_alignbit_b32 v36, v39, v35, v40
	v_cndmask_b32_e64 v32, v34, v32, s[8:9]
	v_cndmask_b32_e64 v36, v36, v39, s[14:15]
	v_bfe_u32 v41, v37, 29, 1
	v_cndmask_b32_e64 v1, v1, v32, s[10:11]
	v_alignbit_b32 v38, v37, v36, 30
	v_sub_u32_e32 v42, 0, v41
	v_cndmask_b32_e64 v1, v33, v1, s[12:13]
	v_xor_b32_e32 v38, v38, v42
	v_alignbit_b32 v32, v35, v1, v40
	v_cndmask_b32_e64 v32, v32, v35, s[14:15]
	v_ffbh_u32_e32 v34, v38
	v_alignbit_b32 v33, v36, v32, 30
	v_min_u32_e32 v34, 32, v34
	v_alignbit_b32 v1, v32, v1, 30
	v_xor_b32_e32 v33, v33, v42
	v_sub_u32_e32 v35, 31, v34
	v_xor_b32_e32 v1, v1, v42
	v_alignbit_b32 v36, v38, v33, v35
	v_alignbit_b32 v1, v33, v1, v35
	;; [unrolled: 1-line block ×3, first 2 shown]
	v_ffbh_u32_e32 v33, v32
	v_min_u32_e32 v33, 32, v33
	v_lshrrev_b32_e32 v39, 29, v37
	v_not_b32_e32 v35, v33
	v_alignbit_b32 v1, v32, v1, v35
	v_lshlrev_b32_e32 v32, 31, v39
	v_or_b32_e32 v35, 0x33000000, v32
	v_add_lshl_u32 v33, v33, v34, 23
	v_lshrrev_b32_e32 v1, 9, v1
	v_sub_u32_e32 v33, v35, v33
	v_or_b32_e32 v32, 0.5, v32
	v_lshlrev_b32_e32 v34, 23, v34
	v_or_b32_e32 v1, v33, v1
	v_lshrrev_b32_e32 v33, 9, v36
	v_sub_u32_e32 v32, v32, v34
	v_or_b32_e32 v32, v33, v32
	v_mul_f32_e32 v33, 0x3fc90fda, v32
	v_fma_f32 v34, v32, s42, -v33
	v_fmac_f32_e32 v34, 0x33a22168, v32
	v_fmac_f32_e32 v34, 0x3fc90fda, v1
	v_lshrrev_b32_e32 v32, 30, v37
	v_add_f32_e32 v1, v33, v34
	v_add_u32_e32 v32, v41, v32
	s_andn2_saveexec_b64 s[8:9], s[28:29]
	s_cbranch_execz .LBB102_26
.LBB102_31:                             ;   in Loop: Header=BB102_4 Depth=1
	v_mul_f32_e64 v1, |v18|, s43
	v_rndne_f32_e32 v33, v1
	v_cvt_i32_f32_e32 v32, v33
	v_fma_f32 v1, v33, s44, |v18|
	v_fmac_f32_e32 v1, 0xb3a22168, v33
	v_fmac_f32_e32 v1, 0xa7c234c4, v33
	s_or_b64 exec, exec, s[8:9]
	s_and_saveexec_b64 s[8:9], vcc
	s_xor_b64 s[8:9], exec, s[8:9]
	s_cbranch_execz .LBB102_27
.LBB102_32:                             ;   in Loop: Header=BB102_4 Depth=1
	v_mul_f32_e32 v33, v24, v24
	v_mov_b32_e32 v34, 0xbf039337
	v_fmac_f32_e32 v34, 0x3c971480, v33
	v_fma_f32 v34, v33, v34, v13
	v_rcp_f32_e32 v34, v34
	v_mov_b32_e32 v35, 0x3ec54587
	v_fmac_f32_e32 v35, 0xbc8cedd3, v33
	v_and_b32_e32 v25, 1, v25
	v_mul_f32_e32 v34, v35, v34
	v_mul_f32_e32 v33, v33, v34
	v_fma_f32 v34, v33, v24, v24
	v_rcp_f32_e32 v35, v34
	v_sub_f32_e32 v36, v34, v24
	v_fma_f32 v24, v33, v24, -v36
	v_cmp_eq_u32_e32 vcc, 0, v25
	v_fma_f32 v33, v34, -v35, 1.0
	v_fma_f32 v24, v24, -v35, v33
	v_fma_f32 v24, v24, -v35, -v35
	v_cndmask_b32_e32 v24, v24, v34, vcc
	v_xor_b32_e32 v22, v22, v24
	v_xor_b32_e32 v22, v22, v21
	v_cmp_class_f32_e64 vcc, v21, s45
	v_cndmask_b32_e32 v21, v16, v22, vcc
	v_bfe_u32 v22, v21, 16, 1
	v_add3_u32 v22, v21, v22, s46
	v_cmp_o_f32_e32 vcc, v21, v21
	v_cndmask_b32_sdwa v21, v17, v22, vcc dst_sel:DWORD dst_unused:UNUSED_PAD src0_sel:DWORD src1_sel:WORD_1
	global_store_short v[3:4], v21, off
	s_or_b64 exec, exec, s[8:9]
	s_and_saveexec_b64 s[8:9], s[6:7]
	s_cbranch_execz .LBB102_28
.LBB102_33:                             ;   in Loop: Header=BB102_4 Depth=1
	v_mul_f32_e32 v21, v27, v27
	v_mov_b32_e32 v22, 0xbf039337
	v_fmac_f32_e32 v22, 0x3c971480, v21
	v_fma_f32 v22, v21, v22, v13
	v_rcp_f32_e32 v22, v22
	v_mov_b32_e32 v24, 0x3ec54587
	v_fmac_f32_e32 v24, 0xbc8cedd3, v21
	v_and_b32_e32 v25, 1, v28
	v_mul_f32_e32 v22, v24, v22
	v_mul_f32_e32 v21, v21, v22
	v_fma_f32 v22, v21, v27, v27
	v_rcp_f32_e32 v24, v22
	v_sub_f32_e32 v28, v22, v27
	v_fma_f32 v21, v21, v27, -v28
	v_cmp_eq_u32_e32 vcc, 0, v25
	v_fma_f32 v27, v22, -v24, 1.0
	v_fma_f32 v21, v21, -v24, v27
	v_fma_f32 v21, v21, -v24, -v24
	v_cndmask_b32_e32 v21, v21, v22, vcc
	v_xor_b32_e32 v21, v23, v21
	v_xor_b32_e32 v21, v21, v20
	v_cmp_class_f32_e64 vcc, v20, s45
	v_cndmask_b32_e32 v20, v16, v21, vcc
	v_bfe_u32 v21, v20, 16, 1
	v_add3_u32 v21, v20, v21, s46
	v_cmp_o_f32_e32 vcc, v20, v20
	v_cndmask_b32_sdwa v20, v17, v21, vcc dst_sel:DWORD dst_unused:UNUSED_PAD src0_sel:DWORD src1_sel:WORD_1
	global_store_short v[5:6], v20, off
	s_or_b64 exec, exec, s[8:9]
	s_and_saveexec_b64 s[6:7], s[2:3]
	s_cbranch_execz .LBB102_29
.LBB102_34:                             ;   in Loop: Header=BB102_4 Depth=1
	v_mul_f32_e32 v20, v30, v30
	v_mov_b32_e32 v21, 0xbf039337
	v_fmac_f32_e32 v21, 0x3c971480, v20
	v_fma_f32 v21, v20, v21, v13
	v_rcp_f32_e32 v21, v21
	v_mov_b32_e32 v22, 0x3ec54587
	v_fmac_f32_e32 v22, 0xbc8cedd3, v20
	v_and_b32_e32 v23, 1, v31
	v_mul_f32_e32 v21, v22, v21
	v_mul_f32_e32 v20, v20, v21
	v_fma_f32 v21, v20, v30, v30
	v_rcp_f32_e32 v22, v21
	v_sub_f32_e32 v24, v21, v30
	v_fma_f32 v20, v20, v30, -v24
	v_cmp_eq_u32_e32 vcc, 0, v23
	v_fma_f32 v24, v21, -v22, 1.0
	v_fma_f32 v20, v20, -v22, v24
	v_fma_f32 v20, v20, -v22, -v22
	v_cndmask_b32_e32 v20, v20, v21, vcc
	v_xor_b32_e32 v20, v26, v20
	v_xor_b32_e32 v20, v20, v19
	v_cmp_class_f32_e64 vcc, v19, s45
	v_cndmask_b32_e32 v19, v16, v20, vcc
	v_bfe_u32 v20, v19, 16, 1
	v_add3_u32 v20, v19, v20, s46
	v_cmp_o_f32_e32 vcc, v19, v19
	v_cndmask_b32_sdwa v21, v17, v20, vcc dst_sel:DWORD dst_unused:UNUSED_PAD src0_sel:DWORD src1_sel:WORD_1
	v_add_co_u32_e32 v19, vcc, s30, v3
	v_addc_co_u32_e32 v20, vcc, 0, v4, vcc
	global_store_short v[19:20], v21, off
	s_or_b64 exec, exec, s[6:7]
	s_and_saveexec_b64 s[2:3], s[0:1]
	s_cbranch_execz .LBB102_3
.LBB102_35:                             ;   in Loop: Header=BB102_4 Depth=1
	v_mul_f32_e32 v19, v1, v1
	v_mov_b32_e32 v20, 0xbf039337
	v_fmac_f32_e32 v20, 0x3c971480, v19
	v_fma_f32 v20, v19, v20, v13
	v_rcp_f32_e32 v20, v20
	v_mov_b32_e32 v21, 0x3ec54587
	v_fmac_f32_e32 v21, 0xbc8cedd3, v19
	v_and_b32_e32 v22, 1, v32
	v_mul_f32_e32 v20, v21, v20
	v_mul_f32_e32 v19, v19, v20
	v_fma_f32 v20, v19, v1, v1
	v_rcp_f32_e32 v21, v20
	v_sub_f32_e32 v23, v20, v1
	v_fma_f32 v1, v19, v1, -v23
	v_cmp_eq_u32_e32 vcc, 0, v22
	v_fma_f32 v19, v20, -v21, 1.0
	v_fma_f32 v1, v1, -v21, v19
	v_fma_f32 v1, v1, -v21, -v21
	v_cndmask_b32_e32 v1, v1, v20, vcc
	v_xor_b32_e32 v1, v29, v1
	v_xor_b32_e32 v1, v1, v18
	v_cmp_class_f32_e64 vcc, v18, s45
	v_cndmask_b32_e32 v1, v16, v1, vcc
	v_bfe_u32 v18, v1, 16, 1
	v_add3_u32 v18, v1, v18, s46
	v_cmp_o_f32_e32 vcc, v1, v1
	v_cndmask_b32_sdwa v1, v17, v18, vcc dst_sel:DWORD dst_unused:UNUSED_PAD src0_sel:DWORD src1_sel:WORD_1
	v_add_co_u32_e32 v18, vcc, s33, v3
	v_addc_co_u32_e32 v19, vcc, 0, v4, vcc
	global_store_short v[18:19], v1, off
	s_branch .LBB102_3
.LBB102_36:
	s_cbranch_execz .LBB102_38
	s_branch .LBB102_57
.LBB102_37:
.LBB102_38:
	v_mov_b32_e32 v1, 0x10000
	v_mov_b32_e32 v2, 0
	v_cmp_lt_i64_e32 vcc, s[20:21], v[1:2]
	v_mov_b32_e32 v3, 0
	s_and_b64 s[0:1], vcc, exec
	s_cselect_b32 s7, s21, 0
	s_cselect_b32 s6, s20, 0x10000
	v_lshlrev_b32_e32 v2, 2, v0
	v_cmp_gt_i64_e32 vcc, s[6:7], v[2:3]
	s_and_saveexec_b64 s[0:1], vcc
	s_cbranch_execz .LBB102_57
; %bb.39:
	s_load_dword s0, s[4:5], 0xd3c
	v_lshlrev_b32_e32 v2, 3, v0
	v_mov_b32_e32 v1, v3
	s_mov_b64 s[8:9], 0
	s_brev_b32 s14, 18
	s_waitcnt lgkmcnt(0)
	s_and_b32 s12, s0, 0xffff
	s_add_u32 s0, s16, s18
	s_addc_u32 s1, s17, s19
	v_mov_b32_e32 v5, s1
	v_add_co_u32_e32 v4, vcc, s0, v2
	v_addc_co_u32_e32 v5, vcc, 0, v5, vcc
	s_lshl_b32 s13, s12, 3
	s_mov_b32 s15, 0xfe5163ab
	s_mov_b32 s16, 0x3c439041
	;; [unrolled: 1-line block ×10, first 2 shown]
	v_mov_b32_e32 v8, 0x3f93f425
	s_movk_i32 s25, 0x1f8
	s_movk_i32 s26, 0x7fff
	v_not_b32_e32 v9, 63
	v_not_b32_e32 v10, 31
	v_mov_b32_e32 v11, 0x7fc00000
	v_mov_b32_e32 v12, 0x7fc0
	s_branch .LBB102_41
.LBB102_40:                             ;   in Loop: Header=BB102_41 Depth=1
	s_or_b64 exec, exec, s[0:1]
	v_mul_f32_e32 v26, v23, v23
	v_mov_b32_e32 v27, 0xbf039337
	v_fmac_f32_e32 v27, 0x3c971480, v26
	v_fma_f32 v27, v26, v27, v8
	v_rcp_f32_e32 v27, v27
	v_mov_b32_e32 v28, 0x3ec54587
	v_fmac_f32_e32 v28, 0xbc8cedd3, v26
	v_and_b32_e32 v24, 1, v24
	v_mul_f32_e32 v27, v28, v27
	v_mul_f32_e32 v26, v26, v27
	v_fma_f32 v27, v26, v23, v23
	v_rcp_f32_e32 v28, v27
	v_sub_f32_e32 v29, v27, v23
	v_fma_f32 v23, v26, v23, -v29
	v_cmp_eq_u32_e32 vcc, 0, v24
	v_fma_f32 v26, v27, -v28, 1.0
	v_fma_f32 v23, v23, -v28, v26
	v_fma_f32 v23, v23, -v28, -v28
	v_cndmask_b32_e32 v23, v23, v27, vcc
	v_xor_b32_e32 v21, v21, v23
	v_mul_f32_e32 v23, v19, v19
	v_mov_b32_e32 v24, 0xbf039337
	v_fmac_f32_e32 v24, 0x3c971480, v23
	v_fma_f32 v24, v23, v24, v8
	v_rcp_f32_e32 v24, v24
	v_mov_b32_e32 v26, 0x3ec54587
	v_fmac_f32_e32 v26, 0xbc8cedd3, v23
	v_xor_b32_e32 v21, v21, v6
	v_mul_f32_e32 v24, v26, v24
	v_mul_f32_e32 v23, v23, v24
	v_fma_f32 v24, v23, v19, v19
	v_rcp_f32_e32 v26, v24
	v_sub_f32_e32 v27, v24, v19
	v_fma_f32 v19, v23, v19, -v27
	v_cmp_class_f32_e64 vcc, v6, s25
	v_fma_f32 v23, v24, -v26, 1.0
	v_and_b32_e32 v20, 1, v20
	v_fma_f32 v19, v19, -v26, v23
	v_cndmask_b32_e32 v6, v11, v21, vcc
	v_fma_f32 v19, v19, -v26, -v26
	v_cmp_eq_u32_e32 vcc, 0, v20
	v_cndmask_b32_e32 v19, v19, v24, vcc
	v_xor_b32_e32 v18, v18, v19
	v_mul_f32_e32 v19, v15, v15
	v_mov_b32_e32 v20, 0xbf039337
	v_fmac_f32_e32 v20, 0x3c971480, v19
	v_fma_f32 v20, v19, v20, v8
	v_rcp_f32_e32 v20, v20
	v_mov_b32_e32 v23, 0x3ec54587
	v_fmac_f32_e32 v23, 0xbc8cedd3, v19
	v_xor_b32_e32 v18, v18, v17
	v_mul_f32_e32 v20, v23, v20
	v_mul_f32_e32 v19, v19, v20
	v_fma_f32 v20, v19, v15, v15
	v_rcp_f32_e32 v23, v20
	v_sub_f32_e32 v24, v20, v15
	v_fma_f32 v15, v19, v15, -v24
	v_cmp_class_f32_e64 vcc, v17, s25
	v_fma_f32 v19, v20, -v23, 1.0
	v_and_b32_e32 v16, 1, v16
	v_fma_f32 v15, v15, -v23, v19
	v_cndmask_b32_e32 v17, v11, v18, vcc
	v_fma_f32 v15, v15, -v23, -v23
	v_cmp_eq_u32_e32 vcc, 0, v16
	v_cndmask_b32_e32 v15, v15, v20, vcc
	v_xor_b32_e32 v14, v14, v15
	v_mul_f32_e32 v15, v2, v2
	v_mov_b32_e32 v16, 0xbf039337
	v_fmac_f32_e32 v16, 0x3c971480, v15
	v_fma_f32 v16, v15, v16, v8
	v_rcp_f32_e32 v16, v16
	v_mov_b32_e32 v19, 0x3ec54587
	v_fmac_f32_e32 v19, 0xbc8cedd3, v15
	v_xor_b32_e32 v14, v14, v13
	v_mul_f32_e32 v16, v19, v16
	v_mul_f32_e32 v15, v15, v16
	v_fma_f32 v16, v15, v2, v2
	v_rcp_f32_e32 v19, v16
	v_sub_f32_e32 v23, v16, v2
	v_fma_f32 v2, v15, v2, -v23
	v_cmp_class_f32_e64 vcc, v13, s25
	v_fma_f32 v15, v16, -v19, 1.0
	v_and_b32_e32 v20, 1, v25
	v_fma_f32 v2, v2, -v19, v15
	v_cndmask_b32_e32 v13, v11, v14, vcc
	v_fma_f32 v2, v2, -v19, -v19
	v_cmp_eq_u32_e32 vcc, 0, v20
	v_cndmask_b32_e32 v2, v2, v16, vcc
	v_xor_b32_e32 v2, v22, v2
	v_xor_b32_e32 v2, v2, v7
	v_cmp_class_f32_e64 vcc, v7, s25
	v_cndmask_b32_e32 v2, v11, v2, vcc
	v_bfe_u32 v7, v2, 16, 1
	v_bfe_u32 v21, v6, 16, 1
	v_add3_u32 v7, v2, v7, s26
	v_add3_u32 v21, v6, v21, s26
	v_bfe_u32 v18, v17, 16, 1
	v_and_b32_e32 v7, 0xffff0000, v7
	v_cmp_o_f32_e32 vcc, v2, v2
	v_lshrrev_b32_e32 v21, 16, v21
	v_add3_u32 v18, v17, v18, s26
	v_bfe_u32 v14, v13, 16, 1
	v_cndmask_b32_e32 v2, v11, v7, vcc
	v_cmp_o_f32_e32 vcc, v6, v6
	v_and_b32_e32 v18, 0xffff0000, v18
	v_add3_u32 v14, v13, v14, s26
	v_cndmask_b32_e32 v6, v12, v21, vcc
	v_cmp_o_f32_e32 vcc, v17, v17
	v_lshrrev_b32_e32 v14, 16, v14
	v_cndmask_b32_e32 v7, v11, v18, vcc
	v_cmp_o_f32_e32 vcc, v13, v13
	v_cndmask_b32_e32 v13, v12, v14, vcc
	v_add_co_u32_e32 v0, vcc, s12, v0
	v_addc_co_u32_e32 v1, vcc, 0, v1, vcc
	v_or_b32_e32 v15, v7, v13
	v_lshlrev_b64 v[13:14], 2, v[0:1]
	v_or3_b32 v7, 0, v6, v2
	v_cmp_le_i64_e32 vcc, s[6:7], v[13:14]
	v_or3_b32 v6, v15, 0, 0
	global_store_dwordx2 v[4:5], v[6:7], off
	s_or_b64 s[8:9], vcc, s[8:9]
	v_add_co_u32_e32 v4, vcc, s13, v4
	v_addc_co_u32_e32 v5, vcc, 0, v5, vcc
	s_andn2_b64 exec, exec, s[8:9]
	s_cbranch_execz .LBB102_57
.LBB102_41:                             ; =>This Inner Loop Header: Depth=1
	global_load_dwordx2 v[6:7], v[4:5], off
                                        ; implicit-def: $vgpr16
                                        ; implicit-def: $vgpr15
	s_waitcnt vmcnt(0)
	v_lshlrev_b32_e32 v13, 16, v6
	v_and_b32_e32 v14, 0x7fffffff, v13
	v_cmp_nlt_f32_e64 s[0:1], |v13|, s14
	s_and_saveexec_b64 s[2:3], s[0:1]
	s_xor_b64 s[10:11], exec, s[2:3]
	s_cbranch_execz .LBB102_43
; %bb.42:                               ;   in Loop: Header=BB102_41 Depth=1
	v_and_b32_e32 v2, 0x7fffff, v14
	v_or_b32_e32 v22, 0x800000, v2
	v_mad_u64_u32 v[15:16], s[0:1], v22, s15, 0
	v_mov_b32_e32 v2, v16
	v_mad_u64_u32 v[16:17], s[0:1], v22, s16, v[2:3]
	v_mov_b32_e32 v2, v17
	;; [unrolled: 2-line block ×3, first 2 shown]
	v_mad_u64_u32 v[18:19], s[0:1], v22, s18, v[2:3]
	v_lshrrev_b32_e32 v2, 23, v14
	v_add_u32_e32 v21, 0xffffff88, v2
	v_mov_b32_e32 v2, v19
	v_mad_u64_u32 v[19:20], s[0:1], v22, s19, v[2:3]
	v_cmp_lt_u32_e32 vcc, 63, v21
	v_cndmask_b32_e32 v2, 0, v9, vcc
	v_add_u32_e32 v23, v2, v21
	v_mov_b32_e32 v2, v20
	v_mad_u64_u32 v[20:21], s[0:1], v22, s20, v[2:3]
	v_cmp_lt_u32_e64 s[0:1], 31, v23
	v_cndmask_b32_e64 v2, 0, v10, s[0:1]
	v_add_u32_e32 v23, v2, v23
	v_mov_b32_e32 v2, v21
	v_mad_u64_u32 v[21:22], s[2:3], v22, s21, v[2:3]
	v_cmp_lt_u32_e64 s[2:3], 31, v23
	v_cndmask_b32_e64 v2, 0, v10, s[2:3]
	v_add_u32_e32 v2, v2, v23
	v_cndmask_b32_e32 v23, v20, v18, vcc
	v_cndmask_b32_e32 v20, v22, v20, vcc
	;; [unrolled: 1-line block ×4, first 2 shown]
	v_cndmask_b32_e64 v22, v21, v23, s[0:1]
	v_cndmask_b32_e64 v20, v20, v21, s[0:1]
	v_cndmask_b32_e64 v21, v23, v19, s[0:1]
	v_cndmask_b32_e32 v16, v18, v16, vcc
	v_cndmask_b32_e64 v20, v20, v22, s[2:3]
	v_cndmask_b32_e64 v22, v22, v21, s[2:3]
	v_sub_u32_e32 v23, 32, v2
	v_cndmask_b32_e64 v18, v19, v16, s[0:1]
	v_alignbit_b32 v24, v20, v22, v23
	v_cmp_eq_u32_e64 s[4:5], 0, v2
	v_cndmask_b32_e64 v19, v21, v18, s[2:3]
	v_cndmask_b32_e64 v2, v24, v20, s[4:5]
	v_alignbit_b32 v20, v22, v19, v23
	v_cndmask_b32_e32 v15, v17, v15, vcc
	v_cndmask_b32_e64 v20, v20, v22, s[4:5]
	v_bfe_u32 v24, v2, 29, 1
	v_cndmask_b32_e64 v15, v16, v15, s[0:1]
	v_alignbit_b32 v21, v2, v20, 30
	v_sub_u32_e32 v25, 0, v24
	v_cndmask_b32_e64 v15, v18, v15, s[2:3]
	v_xor_b32_e32 v21, v21, v25
	v_alignbit_b32 v16, v19, v15, v23
	v_cndmask_b32_e64 v16, v16, v19, s[4:5]
	v_ffbh_u32_e32 v18, v21
	v_alignbit_b32 v17, v20, v16, 30
	v_min_u32_e32 v18, 32, v18
	v_alignbit_b32 v15, v16, v15, 30
	v_xor_b32_e32 v17, v17, v25
	v_sub_u32_e32 v19, 31, v18
	v_xor_b32_e32 v15, v15, v25
	v_alignbit_b32 v20, v21, v17, v19
	v_alignbit_b32 v15, v17, v15, v19
	;; [unrolled: 1-line block ×3, first 2 shown]
	v_ffbh_u32_e32 v17, v16
	v_min_u32_e32 v17, 32, v17
	v_lshrrev_b32_e32 v22, 29, v2
	v_not_b32_e32 v19, v17
	v_alignbit_b32 v15, v16, v15, v19
	v_lshlrev_b32_e32 v16, 31, v22
	v_or_b32_e32 v19, 0x33000000, v16
	v_add_lshl_u32 v17, v17, v18, 23
	v_lshrrev_b32_e32 v15, 9, v15
	v_sub_u32_e32 v17, v19, v17
	v_or_b32_e32 v16, 0.5, v16
	v_lshlrev_b32_e32 v18, 23, v18
	v_or_b32_e32 v15, v17, v15
	v_lshrrev_b32_e32 v17, 9, v20
	v_sub_u32_e32 v16, v16, v18
	v_or_b32_e32 v16, v17, v16
	v_mul_f32_e32 v17, 0x3fc90fda, v16
	v_fma_f32 v18, v16, s22, -v17
	v_fmac_f32_e32 v18, 0x33a22168, v16
	v_fmac_f32_e32 v18, 0x3fc90fda, v15
	v_lshrrev_b32_e32 v2, 30, v2
	v_add_f32_e32 v15, v17, v18
	v_add_u32_e32 v16, v24, v2
.LBB102_43:                             ;   in Loop: Header=BB102_41 Depth=1
	s_andn2_saveexec_b64 s[0:1], s[10:11]
; %bb.44:                               ;   in Loop: Header=BB102_41 Depth=1
	v_mul_f32_e64 v2, |v13|, s23
	v_rndne_f32_e32 v2, v2
	v_cvt_i32_f32_e32 v16, v2
	v_fma_f32 v15, v2, s24, |v13|
	v_fmac_f32_e32 v15, 0xb3a22168, v2
	v_fmac_f32_e32 v15, 0xa7c234c4, v2
; %bb.45:                               ;   in Loop: Header=BB102_41 Depth=1
	s_or_b64 exec, exec, s[0:1]
	v_and_b32_e32 v17, 0xffff0000, v6
	v_and_b32_e32 v18, 0x7fffffff, v17
	v_cmp_nlt_f32_e64 s[0:1], |v17|, s14
                                        ; implicit-def: $vgpr20
                                        ; implicit-def: $vgpr19
	s_and_saveexec_b64 s[2:3], s[0:1]
	s_xor_b64 s[10:11], exec, s[2:3]
	s_cbranch_execz .LBB102_47
; %bb.46:                               ;   in Loop: Header=BB102_41 Depth=1
	v_and_b32_e32 v2, 0x7fffff, v18
	v_or_b32_e32 v26, 0x800000, v2
	v_mad_u64_u32 v[19:20], s[0:1], v26, s15, 0
	v_mov_b32_e32 v2, v20
	v_mad_u64_u32 v[20:21], s[0:1], v26, s16, v[2:3]
	v_mov_b32_e32 v2, v21
	;; [unrolled: 2-line block ×3, first 2 shown]
	v_mad_u64_u32 v[22:23], s[0:1], v26, s18, v[2:3]
	v_lshrrev_b32_e32 v2, 23, v18
	v_add_u32_e32 v25, 0xffffff88, v2
	v_mov_b32_e32 v2, v23
	v_mad_u64_u32 v[23:24], s[0:1], v26, s19, v[2:3]
	v_cmp_lt_u32_e32 vcc, 63, v25
	v_cndmask_b32_e32 v2, 0, v9, vcc
	v_add_u32_e32 v27, v2, v25
	v_mov_b32_e32 v2, v24
	v_mad_u64_u32 v[24:25], s[0:1], v26, s20, v[2:3]
	v_cmp_lt_u32_e64 s[0:1], 31, v27
	v_cndmask_b32_e64 v2, 0, v10, s[0:1]
	v_add_u32_e32 v27, v2, v27
	v_mov_b32_e32 v2, v25
	v_mad_u64_u32 v[25:26], s[2:3], v26, s21, v[2:3]
	v_cmp_lt_u32_e64 s[2:3], 31, v27
	v_cndmask_b32_e64 v2, 0, v10, s[2:3]
	v_add_u32_e32 v2, v2, v27
	v_cndmask_b32_e32 v27, v24, v22, vcc
	v_cndmask_b32_e32 v25, v25, v23, vcc
	v_cndmask_b32_e32 v24, v26, v24, vcc
	v_cndmask_b32_e32 v23, v23, v21, vcc
	v_cndmask_b32_e64 v26, v25, v27, s[0:1]
	v_cndmask_b32_e64 v24, v24, v25, s[0:1]
	;; [unrolled: 1-line block ×3, first 2 shown]
	v_cndmask_b32_e32 v20, v22, v20, vcc
	v_cndmask_b32_e64 v24, v24, v26, s[2:3]
	v_cndmask_b32_e64 v26, v26, v25, s[2:3]
	v_sub_u32_e32 v27, 32, v2
	v_cndmask_b32_e64 v22, v23, v20, s[0:1]
	v_alignbit_b32 v28, v24, v26, v27
	v_cmp_eq_u32_e64 s[4:5], 0, v2
	v_cndmask_b32_e64 v23, v25, v22, s[2:3]
	v_cndmask_b32_e64 v2, v28, v24, s[4:5]
	v_alignbit_b32 v24, v26, v23, v27
	v_cndmask_b32_e32 v19, v21, v19, vcc
	v_cndmask_b32_e64 v24, v24, v26, s[4:5]
	v_bfe_u32 v28, v2, 29, 1
	v_cndmask_b32_e64 v19, v20, v19, s[0:1]
	v_alignbit_b32 v25, v2, v24, 30
	v_sub_u32_e32 v29, 0, v28
	v_cndmask_b32_e64 v19, v22, v19, s[2:3]
	v_xor_b32_e32 v25, v25, v29
	v_alignbit_b32 v20, v23, v19, v27
	v_cndmask_b32_e64 v20, v20, v23, s[4:5]
	v_ffbh_u32_e32 v22, v25
	v_alignbit_b32 v21, v24, v20, 30
	v_min_u32_e32 v22, 32, v22
	v_alignbit_b32 v19, v20, v19, 30
	v_xor_b32_e32 v21, v21, v29
	v_sub_u32_e32 v23, 31, v22
	v_xor_b32_e32 v19, v19, v29
	v_alignbit_b32 v24, v25, v21, v23
	v_alignbit_b32 v19, v21, v19, v23
	;; [unrolled: 1-line block ×3, first 2 shown]
	v_ffbh_u32_e32 v21, v20
	v_min_u32_e32 v21, 32, v21
	v_lshrrev_b32_e32 v26, 29, v2
	v_not_b32_e32 v23, v21
	v_alignbit_b32 v19, v20, v19, v23
	v_lshlrev_b32_e32 v20, 31, v26
	v_or_b32_e32 v23, 0x33000000, v20
	v_add_lshl_u32 v21, v21, v22, 23
	v_lshrrev_b32_e32 v19, 9, v19
	v_sub_u32_e32 v21, v23, v21
	v_or_b32_e32 v20, 0.5, v20
	v_lshlrev_b32_e32 v22, 23, v22
	v_or_b32_e32 v19, v21, v19
	v_lshrrev_b32_e32 v21, 9, v24
	v_sub_u32_e32 v20, v20, v22
	v_or_b32_e32 v20, v21, v20
	v_mul_f32_e32 v21, 0x3fc90fda, v20
	v_fma_f32 v22, v20, s22, -v21
	v_fmac_f32_e32 v22, 0x33a22168, v20
	v_fmac_f32_e32 v22, 0x3fc90fda, v19
	v_lshrrev_b32_e32 v2, 30, v2
	v_add_f32_e32 v19, v21, v22
	v_add_u32_e32 v20, v28, v2
.LBB102_47:                             ;   in Loop: Header=BB102_41 Depth=1
	s_andn2_saveexec_b64 s[0:1], s[10:11]
; %bb.48:                               ;   in Loop: Header=BB102_41 Depth=1
	v_mul_f32_e64 v2, |v17|, s23
	v_rndne_f32_e32 v2, v2
	v_cvt_i32_f32_e32 v20, v2
	v_fma_f32 v19, v2, s24, |v17|
	v_fmac_f32_e32 v19, 0xb3a22168, v2
	v_fmac_f32_e32 v19, 0xa7c234c4, v2
; %bb.49:                               ;   in Loop: Header=BB102_41 Depth=1
	s_or_b64 exec, exec, s[0:1]
	v_alignbit_b32 v2, v7, v6, 16
	v_and_b32_e32 v6, 0xffff0000, v2
	v_and_b32_e32 v21, 0x7fffffff, v6
	v_cmp_nlt_f32_e64 s[0:1], |v6|, s14
                                        ; implicit-def: $vgpr24
                                        ; implicit-def: $vgpr23
	s_and_saveexec_b64 s[2:3], s[0:1]
	s_xor_b64 s[10:11], exec, s[2:3]
	s_cbranch_execz .LBB102_51
; %bb.50:                               ;   in Loop: Header=BB102_41 Depth=1
	v_and_b32_e32 v2, 0x7fffff, v21
	v_or_b32_e32 v29, 0x800000, v2
	v_mad_u64_u32 v[22:23], s[0:1], v29, s15, 0
	v_mov_b32_e32 v2, v23
	v_mad_u64_u32 v[23:24], s[0:1], v29, s16, v[2:3]
	v_mov_b32_e32 v2, v24
	;; [unrolled: 2-line block ×3, first 2 shown]
	v_mad_u64_u32 v[25:26], s[0:1], v29, s18, v[2:3]
	v_lshrrev_b32_e32 v2, 23, v21
	v_add_u32_e32 v28, 0xffffff88, v2
	v_mov_b32_e32 v2, v26
	v_mad_u64_u32 v[26:27], s[0:1], v29, s19, v[2:3]
	v_cmp_lt_u32_e32 vcc, 63, v28
	v_cndmask_b32_e32 v2, 0, v9, vcc
	v_add_u32_e32 v30, v2, v28
	v_mov_b32_e32 v2, v27
	v_mad_u64_u32 v[27:28], s[0:1], v29, s20, v[2:3]
	v_cmp_lt_u32_e64 s[0:1], 31, v30
	v_cndmask_b32_e64 v2, 0, v10, s[0:1]
	v_add_u32_e32 v30, v2, v30
	v_mov_b32_e32 v2, v28
	v_mad_u64_u32 v[28:29], s[2:3], v29, s21, v[2:3]
	v_cmp_lt_u32_e64 s[2:3], 31, v30
	v_cndmask_b32_e64 v2, 0, v10, s[2:3]
	v_add_u32_e32 v2, v2, v30
	v_cndmask_b32_e32 v30, v27, v25, vcc
	v_cndmask_b32_e32 v28, v28, v26, vcc
	;; [unrolled: 1-line block ×4, first 2 shown]
	v_cndmask_b32_e64 v29, v28, v30, s[0:1]
	v_cndmask_b32_e64 v27, v27, v28, s[0:1]
	;; [unrolled: 1-line block ×3, first 2 shown]
	v_cndmask_b32_e32 v23, v25, v23, vcc
	v_cndmask_b32_e64 v27, v27, v29, s[2:3]
	v_cndmask_b32_e64 v29, v29, v28, s[2:3]
	v_sub_u32_e32 v30, 32, v2
	v_cndmask_b32_e64 v25, v26, v23, s[0:1]
	v_alignbit_b32 v31, v27, v29, v30
	v_cmp_eq_u32_e64 s[4:5], 0, v2
	v_cndmask_b32_e64 v26, v28, v25, s[2:3]
	v_cndmask_b32_e64 v2, v31, v27, s[4:5]
	v_alignbit_b32 v27, v29, v26, v30
	v_cndmask_b32_e32 v22, v24, v22, vcc
	v_cndmask_b32_e64 v27, v27, v29, s[4:5]
	v_bfe_u32 v31, v2, 29, 1
	v_cndmask_b32_e64 v22, v23, v22, s[0:1]
	v_alignbit_b32 v28, v2, v27, 30
	v_sub_u32_e32 v32, 0, v31
	v_cndmask_b32_e64 v22, v25, v22, s[2:3]
	v_xor_b32_e32 v28, v28, v32
	v_alignbit_b32 v23, v26, v22, v30
	v_cndmask_b32_e64 v23, v23, v26, s[4:5]
	v_ffbh_u32_e32 v25, v28
	v_alignbit_b32 v24, v27, v23, 30
	v_min_u32_e32 v25, 32, v25
	v_alignbit_b32 v22, v23, v22, 30
	v_xor_b32_e32 v24, v24, v32
	v_sub_u32_e32 v26, 31, v25
	v_xor_b32_e32 v22, v22, v32
	v_alignbit_b32 v27, v28, v24, v26
	v_alignbit_b32 v22, v24, v22, v26
	;; [unrolled: 1-line block ×3, first 2 shown]
	v_ffbh_u32_e32 v24, v23
	v_min_u32_e32 v24, 32, v24
	v_lshrrev_b32_e32 v29, 29, v2
	v_not_b32_e32 v26, v24
	v_alignbit_b32 v22, v23, v22, v26
	v_lshlrev_b32_e32 v23, 31, v29
	v_or_b32_e32 v26, 0x33000000, v23
	v_add_lshl_u32 v24, v24, v25, 23
	v_lshrrev_b32_e32 v22, 9, v22
	v_sub_u32_e32 v24, v26, v24
	v_or_b32_e32 v23, 0.5, v23
	v_lshlrev_b32_e32 v25, 23, v25
	v_or_b32_e32 v22, v24, v22
	v_lshrrev_b32_e32 v24, 9, v27
	v_sub_u32_e32 v23, v23, v25
	v_or_b32_e32 v23, v24, v23
	v_mul_f32_e32 v24, 0x3fc90fda, v23
	v_fma_f32 v25, v23, s22, -v24
	v_fmac_f32_e32 v25, 0x33a22168, v23
	v_fmac_f32_e32 v25, 0x3fc90fda, v22
	v_lshrrev_b32_e32 v2, 30, v2
	v_add_f32_e32 v23, v24, v25
	v_add_u32_e32 v24, v31, v2
.LBB102_51:                             ;   in Loop: Header=BB102_41 Depth=1
	s_andn2_saveexec_b64 s[0:1], s[10:11]
; %bb.52:                               ;   in Loop: Header=BB102_41 Depth=1
	v_mul_f32_e64 v2, |v6|, s23
	v_rndne_f32_e32 v2, v2
	v_cvt_i32_f32_e32 v24, v2
	v_fma_f32 v23, v2, s24, |v6|
	v_fmac_f32_e32 v23, 0xb3a22168, v2
	v_fmac_f32_e32 v23, 0xa7c234c4, v2
; %bb.53:                               ;   in Loop: Header=BB102_41 Depth=1
	s_or_b64 exec, exec, s[0:1]
	v_and_b32_e32 v7, 0xffff0000, v7
	v_and_b32_e32 v22, 0x7fffffff, v7
	v_cmp_nlt_f32_e64 s[0:1], |v7|, s14
                                        ; implicit-def: $vgpr25
                                        ; implicit-def: $vgpr2
	s_and_saveexec_b64 s[2:3], s[0:1]
	s_xor_b64 s[10:11], exec, s[2:3]
	s_cbranch_execz .LBB102_55
; %bb.54:                               ;   in Loop: Header=BB102_41 Depth=1
	v_and_b32_e32 v2, 0x7fffff, v22
	v_or_b32_e32 v32, 0x800000, v2
	v_mad_u64_u32 v[25:26], s[0:1], v32, s15, 0
	v_mov_b32_e32 v2, v26
	v_mad_u64_u32 v[26:27], s[0:1], v32, s16, v[2:3]
	v_mov_b32_e32 v2, v27
	;; [unrolled: 2-line block ×3, first 2 shown]
	v_mad_u64_u32 v[28:29], s[0:1], v32, s18, v[2:3]
	v_lshrrev_b32_e32 v2, 23, v22
	v_add_u32_e32 v31, 0xffffff88, v2
	v_mov_b32_e32 v2, v29
	v_mad_u64_u32 v[29:30], s[0:1], v32, s19, v[2:3]
	v_cmp_lt_u32_e32 vcc, 63, v31
	v_cndmask_b32_e32 v2, 0, v9, vcc
	v_add_u32_e32 v33, v2, v31
	v_mov_b32_e32 v2, v30
	v_mad_u64_u32 v[30:31], s[0:1], v32, s20, v[2:3]
	v_cmp_lt_u32_e64 s[0:1], 31, v33
	v_cndmask_b32_e64 v2, 0, v10, s[0:1]
	v_add_u32_e32 v33, v2, v33
	v_mov_b32_e32 v2, v31
	v_mad_u64_u32 v[31:32], s[2:3], v32, s21, v[2:3]
	v_cmp_lt_u32_e64 s[2:3], 31, v33
	v_cndmask_b32_e64 v2, 0, v10, s[2:3]
	v_add_u32_e32 v2, v2, v33
	v_cndmask_b32_e32 v33, v30, v28, vcc
	v_cndmask_b32_e32 v31, v31, v29, vcc
	;; [unrolled: 1-line block ×4, first 2 shown]
	v_cndmask_b32_e64 v32, v31, v33, s[0:1]
	v_cndmask_b32_e64 v30, v30, v31, s[0:1]
	;; [unrolled: 1-line block ×3, first 2 shown]
	v_sub_u32_e32 v33, 32, v2
	v_cmp_eq_u32_e64 s[4:5], 0, v2
	v_cndmask_b32_e32 v2, v28, v26, vcc
	v_cndmask_b32_e64 v30, v30, v32, s[2:3]
	v_cndmask_b32_e64 v32, v32, v31, s[2:3]
	;; [unrolled: 1-line block ×3, first 2 shown]
	v_alignbit_b32 v34, v30, v32, v33
	v_cndmask_b32_e64 v28, v31, v26, s[2:3]
	v_cndmask_b32_e64 v30, v34, v30, s[4:5]
	v_alignbit_b32 v29, v32, v28, v33
	v_cndmask_b32_e32 v25, v27, v25, vcc
	v_cndmask_b32_e64 v29, v29, v32, s[4:5]
	v_bfe_u32 v34, v30, 29, 1
	v_cndmask_b32_e64 v2, v2, v25, s[0:1]
	v_alignbit_b32 v31, v30, v29, 30
	v_sub_u32_e32 v35, 0, v34
	v_cndmask_b32_e64 v2, v26, v2, s[2:3]
	v_xor_b32_e32 v31, v31, v35
	v_alignbit_b32 v25, v28, v2, v33
	v_cndmask_b32_e64 v25, v25, v28, s[4:5]
	v_ffbh_u32_e32 v27, v31
	v_alignbit_b32 v26, v29, v25, 30
	v_min_u32_e32 v27, 32, v27
	v_alignbit_b32 v2, v25, v2, 30
	v_xor_b32_e32 v26, v26, v35
	v_sub_u32_e32 v28, 31, v27
	v_xor_b32_e32 v2, v2, v35
	v_alignbit_b32 v29, v31, v26, v28
	v_alignbit_b32 v2, v26, v2, v28
	;; [unrolled: 1-line block ×3, first 2 shown]
	v_ffbh_u32_e32 v26, v25
	v_min_u32_e32 v26, 32, v26
	v_lshrrev_b32_e32 v32, 29, v30
	v_not_b32_e32 v28, v26
	v_alignbit_b32 v2, v25, v2, v28
	v_lshlrev_b32_e32 v25, 31, v32
	v_or_b32_e32 v28, 0x33000000, v25
	v_add_lshl_u32 v26, v26, v27, 23
	v_lshrrev_b32_e32 v2, 9, v2
	v_sub_u32_e32 v26, v28, v26
	v_or_b32_e32 v25, 0.5, v25
	v_lshlrev_b32_e32 v27, 23, v27
	v_or_b32_e32 v2, v26, v2
	v_lshrrev_b32_e32 v26, 9, v29
	v_sub_u32_e32 v25, v25, v27
	v_or_b32_e32 v25, v26, v25
	v_mul_f32_e32 v26, 0x3fc90fda, v25
	v_fma_f32 v27, v25, s22, -v26
	v_fmac_f32_e32 v27, 0x33a22168, v25
	v_fmac_f32_e32 v27, 0x3fc90fda, v2
	v_lshrrev_b32_e32 v25, 30, v30
	v_add_f32_e32 v2, v26, v27
	v_add_u32_e32 v25, v34, v25
.LBB102_55:                             ;   in Loop: Header=BB102_41 Depth=1
	s_andn2_saveexec_b64 s[0:1], s[10:11]
	s_cbranch_execz .LBB102_40
; %bb.56:                               ;   in Loop: Header=BB102_41 Depth=1
	v_mul_f32_e64 v2, |v7|, s23
	v_rndne_f32_e32 v26, v2
	v_cvt_i32_f32_e32 v25, v26
	v_fma_f32 v2, v26, s24, |v7|
	v_fmac_f32_e32 v2, 0xb3a22168, v26
	v_fmac_f32_e32 v2, 0xa7c234c4, v26
	s_branch .LBB102_40
.LBB102_57:
	s_endpgm
	.section	.rodata,"a",@progbits
	.p2align	6, 0x0
	.amdhsa_kernel _ZN2at6native12_GLOBAL__N_125multi_tensor_apply_kernelINS1_18TensorListMetadataILi1EEENS1_14UnaryOpFunctorIN3c108BFloat16ELi1ELi1ELi0EEEJNS0_3TanIfEEEEEvT_T0_DpT1_
		.amdhsa_group_segment_fixed_size 0
		.amdhsa_private_segment_fixed_size 0
		.amdhsa_kernarg_size 3632
		.amdhsa_user_sgpr_count 6
		.amdhsa_user_sgpr_private_segment_buffer 1
		.amdhsa_user_sgpr_dispatch_ptr 0
		.amdhsa_user_sgpr_queue_ptr 0
		.amdhsa_user_sgpr_kernarg_segment_ptr 1
		.amdhsa_user_sgpr_dispatch_id 0
		.amdhsa_user_sgpr_flat_scratch_init 0
		.amdhsa_user_sgpr_private_segment_size 0
		.amdhsa_uses_dynamic_stack 0
		.amdhsa_system_sgpr_private_segment_wavefront_offset 0
		.amdhsa_system_sgpr_workgroup_id_x 1
		.amdhsa_system_sgpr_workgroup_id_y 0
		.amdhsa_system_sgpr_workgroup_id_z 0
		.amdhsa_system_sgpr_workgroup_info 0
		.amdhsa_system_vgpr_workitem_id 0
		.amdhsa_next_free_vgpr 43
		.amdhsa_next_free_sgpr 47
		.amdhsa_reserve_vcc 1
		.amdhsa_reserve_flat_scratch 0
		.amdhsa_float_round_mode_32 0
		.amdhsa_float_round_mode_16_64 0
		.amdhsa_float_denorm_mode_32 3
		.amdhsa_float_denorm_mode_16_64 3
		.amdhsa_dx10_clamp 1
		.amdhsa_ieee_mode 1
		.amdhsa_fp16_overflow 0
		.amdhsa_exception_fp_ieee_invalid_op 0
		.amdhsa_exception_fp_denorm_src 0
		.amdhsa_exception_fp_ieee_div_zero 0
		.amdhsa_exception_fp_ieee_overflow 0
		.amdhsa_exception_fp_ieee_underflow 0
		.amdhsa_exception_fp_ieee_inexact 0
		.amdhsa_exception_int_div_zero 0
	.end_amdhsa_kernel
	.section	.text._ZN2at6native12_GLOBAL__N_125multi_tensor_apply_kernelINS1_18TensorListMetadataILi1EEENS1_14UnaryOpFunctorIN3c108BFloat16ELi1ELi1ELi0EEEJNS0_3TanIfEEEEEvT_T0_DpT1_,"axG",@progbits,_ZN2at6native12_GLOBAL__N_125multi_tensor_apply_kernelINS1_18TensorListMetadataILi1EEENS1_14UnaryOpFunctorIN3c108BFloat16ELi1ELi1ELi0EEEJNS0_3TanIfEEEEEvT_T0_DpT1_,comdat
.Lfunc_end102:
	.size	_ZN2at6native12_GLOBAL__N_125multi_tensor_apply_kernelINS1_18TensorListMetadataILi1EEENS1_14UnaryOpFunctorIN3c108BFloat16ELi1ELi1ELi0EEEJNS0_3TanIfEEEEEvT_T0_DpT1_, .Lfunc_end102-_ZN2at6native12_GLOBAL__N_125multi_tensor_apply_kernelINS1_18TensorListMetadataILi1EEENS1_14UnaryOpFunctorIN3c108BFloat16ELi1ELi1ELi0EEEJNS0_3TanIfEEEEEvT_T0_DpT1_
                                        ; -- End function
	.set _ZN2at6native12_GLOBAL__N_125multi_tensor_apply_kernelINS1_18TensorListMetadataILi1EEENS1_14UnaryOpFunctorIN3c108BFloat16ELi1ELi1ELi0EEEJNS0_3TanIfEEEEEvT_T0_DpT1_.num_vgpr, 43
	.set _ZN2at6native12_GLOBAL__N_125multi_tensor_apply_kernelINS1_18TensorListMetadataILi1EEENS1_14UnaryOpFunctorIN3c108BFloat16ELi1ELi1ELi0EEEJNS0_3TanIfEEEEEvT_T0_DpT1_.num_agpr, 0
	.set _ZN2at6native12_GLOBAL__N_125multi_tensor_apply_kernelINS1_18TensorListMetadataILi1EEENS1_14UnaryOpFunctorIN3c108BFloat16ELi1ELi1ELi0EEEJNS0_3TanIfEEEEEvT_T0_DpT1_.numbered_sgpr, 47
	.set _ZN2at6native12_GLOBAL__N_125multi_tensor_apply_kernelINS1_18TensorListMetadataILi1EEENS1_14UnaryOpFunctorIN3c108BFloat16ELi1ELi1ELi0EEEJNS0_3TanIfEEEEEvT_T0_DpT1_.num_named_barrier, 0
	.set _ZN2at6native12_GLOBAL__N_125multi_tensor_apply_kernelINS1_18TensorListMetadataILi1EEENS1_14UnaryOpFunctorIN3c108BFloat16ELi1ELi1ELi0EEEJNS0_3TanIfEEEEEvT_T0_DpT1_.private_seg_size, 0
	.set _ZN2at6native12_GLOBAL__N_125multi_tensor_apply_kernelINS1_18TensorListMetadataILi1EEENS1_14UnaryOpFunctorIN3c108BFloat16ELi1ELi1ELi0EEEJNS0_3TanIfEEEEEvT_T0_DpT1_.uses_vcc, 1
	.set _ZN2at6native12_GLOBAL__N_125multi_tensor_apply_kernelINS1_18TensorListMetadataILi1EEENS1_14UnaryOpFunctorIN3c108BFloat16ELi1ELi1ELi0EEEJNS0_3TanIfEEEEEvT_T0_DpT1_.uses_flat_scratch, 0
	.set _ZN2at6native12_GLOBAL__N_125multi_tensor_apply_kernelINS1_18TensorListMetadataILi1EEENS1_14UnaryOpFunctorIN3c108BFloat16ELi1ELi1ELi0EEEJNS0_3TanIfEEEEEvT_T0_DpT1_.has_dyn_sized_stack, 0
	.set _ZN2at6native12_GLOBAL__N_125multi_tensor_apply_kernelINS1_18TensorListMetadataILi1EEENS1_14UnaryOpFunctorIN3c108BFloat16ELi1ELi1ELi0EEEJNS0_3TanIfEEEEEvT_T0_DpT1_.has_recursion, 0
	.set _ZN2at6native12_GLOBAL__N_125multi_tensor_apply_kernelINS1_18TensorListMetadataILi1EEENS1_14UnaryOpFunctorIN3c108BFloat16ELi1ELi1ELi0EEEJNS0_3TanIfEEEEEvT_T0_DpT1_.has_indirect_call, 0
	.section	.AMDGPU.csdata,"",@progbits
; Kernel info:
; codeLenInByte = 7512
; TotalNumSgprs: 51
; NumVgprs: 43
; ScratchSize: 0
; MemoryBound: 0
; FloatMode: 240
; IeeeMode: 1
; LDSByteSize: 0 bytes/workgroup (compile time only)
; SGPRBlocks: 6
; VGPRBlocks: 10
; NumSGPRsForWavesPerEU: 51
; NumVGPRsForWavesPerEU: 43
; Occupancy: 5
; WaveLimiterHint : 0
; COMPUTE_PGM_RSRC2:SCRATCH_EN: 0
; COMPUTE_PGM_RSRC2:USER_SGPR: 6
; COMPUTE_PGM_RSRC2:TRAP_HANDLER: 0
; COMPUTE_PGM_RSRC2:TGID_X_EN: 1
; COMPUTE_PGM_RSRC2:TGID_Y_EN: 0
; COMPUTE_PGM_RSRC2:TGID_Z_EN: 0
; COMPUTE_PGM_RSRC2:TIDIG_COMP_CNT: 0
	.section	.text._ZN2at6native12_GLOBAL__N_125multi_tensor_apply_kernelINS1_18TensorListMetadataILi2EEENS1_14UnaryOpFunctorIdLi2ELi1ELi1EEEJNS0_3SinIdEEEEEvT_T0_DpT1_,"axG",@progbits,_ZN2at6native12_GLOBAL__N_125multi_tensor_apply_kernelINS1_18TensorListMetadataILi2EEENS1_14UnaryOpFunctorIdLi2ELi1ELi1EEEJNS0_3SinIdEEEEEvT_T0_DpT1_,comdat
	.globl	_ZN2at6native12_GLOBAL__N_125multi_tensor_apply_kernelINS1_18TensorListMetadataILi2EEENS1_14UnaryOpFunctorIdLi2ELi1ELi1EEEJNS0_3SinIdEEEEEvT_T0_DpT1_ ; -- Begin function _ZN2at6native12_GLOBAL__N_125multi_tensor_apply_kernelINS1_18TensorListMetadataILi2EEENS1_14UnaryOpFunctorIdLi2ELi1ELi1EEEJNS0_3SinIdEEEEEvT_T0_DpT1_
	.p2align	8
	.type	_ZN2at6native12_GLOBAL__N_125multi_tensor_apply_kernelINS1_18TensorListMetadataILi2EEENS1_14UnaryOpFunctorIdLi2ELi1ELi1EEEJNS0_3SinIdEEEEEvT_T0_DpT1_,@function
_ZN2at6native12_GLOBAL__N_125multi_tensor_apply_kernelINS1_18TensorListMetadataILi2EEENS1_14UnaryOpFunctorIdLi2ELi1ELi1EEEJNS0_3SinIdEEEEEvT_T0_DpT1_: ; @_ZN2at6native12_GLOBAL__N_125multi_tensor_apply_kernelINS1_18TensorListMetadataILi2EEENS1_14UnaryOpFunctorIdLi2ELi1ELi1EEEJNS0_3SinIdEEEEEvT_T0_DpT1_
; %bb.0:
	v_mov_b32_e32 v1, s6
	global_load_ubyte v1, v1, s[4:5] offset:1536
	s_add_u32 s0, s4, s6
	s_mul_hi_u32 s3, s6, 3
	s_mul_i32 s6, s6, 3
	s_addc_u32 s7, s5, 0
	s_add_u32 s2, s0, s6
	s_addc_u32 s3, s7, s3
	s_load_dword s8, s[2:3], 0x740
	s_mov_b32 s1, 0
	s_mov_b32 s13, s1
	s_waitcnt lgkmcnt(0)
	s_ashr_i32 s9, s8, 31
	s_lshl_b64 s[10:11], s[8:9], 19
	s_lshl_b64 s[8:9], s[8:9], 16
	s_waitcnt vmcnt(0)
	v_readfirstlane_b32 s0, v1
	s_lshl_b32 s0, s0, 3
	s_load_dwordx2 s[14:15], s[4:5], s0 offset:0x400
	s_load_dwordx2 s[6:7], s[4:5], s0 offset:0x0
	;; [unrolled: 1-line block ×3, first 2 shown]
	s_waitcnt lgkmcnt(0)
	s_add_u32 s0, s6, s10
	s_and_b32 s12, s2, 31
	s_and_b32 s0, s0, 31
	s_sub_u32 s8, s14, s8
	s_subb_u32 s9, s15, s9
	s_and_b32 s14, s14, 3
	s_mov_b32 s15, s1
	s_or_b64 s[12:13], s[12:13], s[14:15]
	s_or_b64 s[0:1], s[12:13], s[0:1]
	s_cmp_eq_u64 s[0:1], 0
	s_mov_b64 s[0:1], -1
	s_cbranch_scc0 .LBB103_21
; %bb.1:
	v_mov_b32_e32 v1, 0x10000
	v_mov_b32_e32 v2, 0
	v_cmp_lt_i64_e32 vcc, s[8:9], v[1:2]
	v_mov_b32_e32 v9, 0
	s_and_b64 s[0:1], vcc, exec
	s_cselect_b32 s13, s9, 0
	s_cselect_b32 s12, s8, 0x10000
	v_lshlrev_b32_e32 v1, 2, v0
	v_mov_b32_e32 v2, v9
	v_cmp_gt_i64_e32 vcc, s[12:13], v[1:2]
	s_and_saveexec_b64 s[14:15], vcc
	s_cbranch_execz .LBB103_20
; %bb.2:
	s_load_dword s0, s[4:5], 0xc5c
	v_mov_b32_e32 v1, v9
	v_lshlrev_b32_e32 v2, 5, v0
	v_mov_b32_e32 v3, s11
	v_add_co_u32_e32 v33, vcc, s10, v2
	s_waitcnt lgkmcnt(0)
	s_and_b32 s33, s0, 0xffff
	s_mov_b32 s18, 0
	s_mov_b32 s20, 0
	;; [unrolled: 1-line block ×18, first 2 shown]
	v_mov_b32_e32 v12, v1
	v_addc_co_u32_e32 v34, vcc, 0, v3, vcc
	s_lshl_b32 s66, s33, 5
	s_mov_b64 s[16:17], 0
	v_mov_b32_e32 v35, s7
	s_mov_b32 s19, 0x41d00000
	s_mov_b32 s21, 0x7b000000
	s_movk_i32 s67, 0xff80
	s_mov_b32 s23, 0x7ff00000
	s_mov_b32 s25, 0x3ff921fb
	;; [unrolled: 1-line block ×20, first 2 shown]
	s_movk_i32 s68, 0x1f8
	v_mov_b32_e32 v36, 0x40100000
	v_mov_b32_e32 v37, 0x3ff00000
	;; [unrolled: 1-line block ×4, first 2 shown]
	s_branch .LBB103_4
.LBB103_3:                              ;   in Loop: Header=BB103_4 Depth=1
	s_or_b64 exec, exec, s[0:1]
	v_mul_f64 v[43:44], v[29:30], v[29:30]
	v_mul_f64 v[51:52], v[31:32], 0.5
	s_mov_b32 s62, s50
	v_and_b32_e32 v10, 1, v42
	v_cmp_eq_u32_e32 vcc, 0, v10
	v_mul_f64 v[25:26], v[43:44], 0.5
	v_mul_f64 v[47:48], v[43:44], v[43:44]
	v_add_f64 v[45:46], -v[25:26], 1.0
	v_add_f64 v[27:28], -v[45:46], 1.0
	v_add_f64 v[25:26], v[27:28], -v[25:26]
	v_mov_b32_e32 v27, s40
	v_mov_b32_e32 v28, s41
	v_fma_f64 v[49:50], v[43:44], s[42:43], v[27:28]
	v_fma_f64 v[25:26], v[29:30], -v[31:32], v[25:26]
	v_fma_f64 v[49:50], v[43:44], v[49:50], s[44:45]
	v_fma_f64 v[49:50], v[43:44], v[49:50], s[46:47]
	;; [unrolled: 1-line block ×5, first 2 shown]
	v_mul_f64 v[49:50], v[29:30], -v[43:44]
	v_add_f64 v[45:46], v[45:46], v[25:26]
	v_mov_b32_e32 v25, s52
	v_mov_b32_e32 v26, s53
	v_fma_f64 v[47:48], v[43:44], s[54:55], v[25:26]
	v_fma_f64 v[47:48], v[43:44], v[47:48], s[56:57]
	;; [unrolled: 1-line block ×5, first 2 shown]
	v_fma_f64 v[31:32], v[43:44], v[47:48], -v[31:32]
	v_fma_f64 v[31:32], v[49:50], s[62:63], v[31:32]
	v_add_f64 v[29:30], v[29:30], -v[31:32]
	v_cndmask_b32_e32 v10, v45, v29, vcc
	v_cndmask_b32_e32 v29, v46, v30, vcc
	v_cmp_class_f64_e64 vcc, v[1:2], s68
	v_lshlrev_b32_e32 v30, 30, v42
	v_xor_b32_e32 v30, v30, v2
	v_and_b32_e32 v30, 0x80000000, v30
	v_xor_b32_e32 v29, v29, v30
	v_cndmask_b32_e32 v2, v38, v29, vcc
	v_mul_f64 v[29:30], v[17:18], v[17:18]
	v_cndmask_b32_e32 v1, 0, v10, vcc
	v_and_b32_e32 v10, 1, v40
	v_cmp_eq_u32_e32 vcc, 0, v10
	v_mul_f64 v[31:32], v[29:30], 0.5
	v_fma_f64 v[46:47], v[29:30], s[42:43], v[27:28]
	v_add_f64 v[42:43], -v[31:32], 1.0
	v_fma_f64 v[46:47], v[29:30], v[46:47], s[44:45]
	v_add_f64 v[44:45], -v[42:43], 1.0
	v_fma_f64 v[46:47], v[29:30], v[46:47], s[46:47]
	v_add_f64 v[31:32], v[44:45], -v[31:32]
	v_fma_f64 v[46:47], v[29:30], v[46:47], s[48:49]
	v_mul_f64 v[44:45], v[29:30], v[29:30]
	v_fma_f64 v[31:32], v[17:18], -v[19:20], v[31:32]
	v_fma_f64 v[46:47], v[29:30], v[46:47], s[50:51]
	v_fma_f64 v[31:32], v[44:45], v[46:47], v[31:32]
	v_mul_f64 v[44:45], v[17:18], -v[29:30]
	v_mul_f64 v[46:47], v[19:20], 0.5
	v_add_f64 v[31:32], v[42:43], v[31:32]
	v_fma_f64 v[42:43], v[29:30], s[54:55], v[25:26]
	v_fma_f64 v[42:43], v[29:30], v[42:43], s[56:57]
	;; [unrolled: 1-line block ×5, first 2 shown]
	v_fma_f64 v[19:20], v[29:30], v[42:43], -v[19:20]
	v_fma_f64 v[19:20], v[44:45], s[62:63], v[19:20]
	v_add_f64 v[17:18], v[17:18], -v[19:20]
	v_cndmask_b32_e32 v10, v31, v17, vcc
	v_cndmask_b32_e32 v17, v32, v18, vcc
	v_cmp_class_f64_e64 vcc, v[7:8], s68
	v_lshlrev_b32_e32 v18, 30, v40
	v_xor_b32_e32 v18, v18, v8
	v_and_b32_e32 v18, 0x80000000, v18
	v_xor_b32_e32 v17, v17, v18
	v_cndmask_b32_e32 v8, v38, v17, vcc
	v_mul_f64 v[17:18], v[13:14], v[13:14]
	v_cndmask_b32_e32 v7, 0, v10, vcc
	v_and_b32_e32 v10, 1, v39
	v_cmp_eq_u32_e32 vcc, 0, v10
	v_mul_f64 v[19:20], v[17:18], 0.5
	v_fma_f64 v[42:43], v[17:18], s[42:43], v[27:28]
	v_add_f64 v[29:30], -v[19:20], 1.0
	v_fma_f64 v[42:43], v[17:18], v[42:43], s[44:45]
	v_add_f64 v[31:32], -v[29:30], 1.0
	v_fma_f64 v[42:43], v[17:18], v[42:43], s[46:47]
	v_add_f64 v[19:20], v[31:32], -v[19:20]
	v_fma_f64 v[42:43], v[17:18], v[42:43], s[48:49]
	v_mul_f64 v[31:32], v[17:18], v[17:18]
	v_fma_f64 v[19:20], v[13:14], -v[15:16], v[19:20]
	v_fma_f64 v[42:43], v[17:18], v[42:43], s[50:51]
	v_fma_f64 v[19:20], v[31:32], v[42:43], v[19:20]
	v_mul_f64 v[31:32], v[13:14], -v[17:18]
	v_mul_f64 v[42:43], v[15:16], 0.5
	v_add_f64 v[19:20], v[29:30], v[19:20]
	v_fma_f64 v[29:30], v[17:18], s[54:55], v[25:26]
	v_fma_f64 v[29:30], v[17:18], v[29:30], s[56:57]
	;; [unrolled: 1-line block ×5, first 2 shown]
	v_fma_f64 v[15:16], v[17:18], v[29:30], -v[15:16]
	v_fma_f64 v[15:16], v[31:32], s[62:63], v[15:16]
	v_add_f64 v[13:14], v[13:14], -v[15:16]
	v_cndmask_b32_e32 v10, v19, v13, vcc
	v_cndmask_b32_e32 v13, v20, v14, vcc
	v_cmp_class_f64_e64 vcc, v[5:6], s68
	v_lshlrev_b32_e32 v14, 30, v39
	v_xor_b32_e32 v14, v14, v6
	v_and_b32_e32 v14, 0x80000000, v14
	v_xor_b32_e32 v13, v13, v14
	v_cndmask_b32_e32 v6, v38, v13, vcc
	v_mul_f64 v[13:14], v[21:22], v[21:22]
	v_cndmask_b32_e32 v5, 0, v10, vcc
	v_and_b32_e32 v10, 1, v41
	v_cmp_eq_u32_e32 vcc, 0, v10
	v_mul_f64 v[15:16], v[13:14], 0.5
	v_fma_f64 v[27:28], v[13:14], s[42:43], v[27:28]
	v_add_f64 v[17:18], -v[15:16], 1.0
	v_fma_f64 v[27:28], v[13:14], v[27:28], s[44:45]
	v_add_f64 v[19:20], -v[17:18], 1.0
	v_fma_f64 v[27:28], v[13:14], v[27:28], s[46:47]
	v_add_f64 v[15:16], v[19:20], -v[15:16]
	v_fma_f64 v[27:28], v[13:14], v[27:28], s[48:49]
	v_mul_f64 v[19:20], v[13:14], v[13:14]
	v_fma_f64 v[15:16], v[21:22], -v[23:24], v[15:16]
	v_fma_f64 v[27:28], v[13:14], v[27:28], s[50:51]
	v_fma_f64 v[15:16], v[19:20], v[27:28], v[15:16]
	v_mul_f64 v[19:20], v[21:22], -v[13:14]
	v_add_f64 v[15:16], v[17:18], v[15:16]
	v_fma_f64 v[17:18], v[13:14], s[54:55], v[25:26]
	v_mul_f64 v[25:26], v[23:24], 0.5
	v_fma_f64 v[17:18], v[13:14], v[17:18], s[56:57]
	v_fma_f64 v[17:18], v[13:14], v[17:18], s[58:59]
	v_fma_f64 v[17:18], v[13:14], v[17:18], s[60:61]
	v_fma_f64 v[17:18], v[19:20], v[17:18], v[25:26]
	v_fma_f64 v[13:14], v[13:14], v[17:18], -v[23:24]
	v_fma_f64 v[13:14], v[19:20], s[62:63], v[13:14]
	v_add_f64 v[13:14], v[21:22], -v[13:14]
	v_cndmask_b32_e32 v10, v15, v13, vcc
	v_cndmask_b32_e32 v13, v16, v14, vcc
	v_cmp_class_f64_e64 vcc, v[3:4], s68
	v_lshlrev_b32_e32 v14, 30, v41
	v_xor_b32_e32 v14, v14, v4
	v_and_b32_e32 v14, 0x80000000, v14
	v_xor_b32_e32 v13, v13, v14
	v_cndmask_b32_e32 v3, 0, v10, vcc
	v_cndmask_b32_e32 v4, v38, v13, vcc
	v_add_co_u32_e32 v13, vcc, s2, v33
	v_mov_b32_e32 v10, s3
	v_addc_co_u32_e32 v14, vcc, v10, v34, vcc
	v_add_co_u32_e32 v11, vcc, s33, v11
	v_addc_co_u32_e32 v12, vcc, 0, v12, vcc
	global_store_dwordx4 v[13:14], v[5:8], off
	global_store_dwordx4 v[13:14], v[1:4], off offset:16
	v_add_co_u32_e32 v33, vcc, s66, v33
	v_lshlrev_b64 v[1:2], 2, v[11:12]
	v_addc_co_u32_e32 v34, vcc, 0, v34, vcc
	v_cmp_le_i64_e32 vcc, s[12:13], v[1:2]
	s_or_b64 s[16:17], vcc, s[16:17]
	s_andn2_b64 exec, exec, s[16:17]
	s_cbranch_execz .LBB103_20
.LBB103_4:                              ; =>This Inner Loop Header: Depth=1
	v_add_co_u32_e32 v1, vcc, s6, v33
	v_addc_co_u32_e32 v2, vcc, v35, v34, vcc
	global_load_dwordx4 v[5:8], v[1:2], off
	s_nop 0
	global_load_dwordx4 v[1:4], v[1:2], off offset:16
                                        ; implicit-def: $vgpr39
                                        ; implicit-def: $vgpr13_vgpr14
                                        ; implicit-def: $vgpr15_vgpr16
	s_waitcnt vmcnt(1)
	v_cmp_nlt_f64_e64 s[0:1], |v[5:6]|, s[18:19]
	s_and_saveexec_b64 s[64:65], s[0:1]
	s_xor_b64 s[64:65], exec, s[64:65]
	s_cbranch_execz .LBB103_6
; %bb.5:                                ;   in Loop: Header=BB103_4 Depth=1
	v_trig_preop_f64 v[13:14], |v[5:6]|, 0
	v_ldexp_f64 v[17:18], |v[5:6]|, s67
	v_cmp_ge_f64_e64 vcc, |v[5:6]|, s[20:21]
	v_trig_preop_f64 v[15:16], |v[5:6]|, 1
	v_and_b32_e32 v10, 0x7fffffff, v6
	v_trig_preop_f64 v[25:26], |v[5:6]|, 2
	s_mov_b32 s24, s26
	s_mov_b32 s31, s29
	v_cndmask_b32_e32 v18, v10, v18, vcc
	v_cndmask_b32_e32 v17, v5, v17, vcc
	v_mul_f64 v[19:20], v[13:14], v[17:18]
	v_mul_f64 v[21:22], v[15:16], v[17:18]
	;; [unrolled: 1-line block ×3, first 2 shown]
	v_fma_f64 v[13:14], v[13:14], v[17:18], -v[19:20]
	v_fma_f64 v[15:16], v[15:16], v[17:18], -v[21:22]
	;; [unrolled: 1-line block ×3, first 2 shown]
	v_add_f64 v[23:24], v[21:22], v[13:14]
	v_add_f64 v[27:28], v[23:24], -v[21:22]
	v_add_f64 v[39:40], v[19:20], v[23:24]
	v_add_f64 v[29:30], v[23:24], -v[27:28]
	v_add_f64 v[13:14], v[13:14], -v[27:28]
	v_add_f64 v[27:28], v[31:32], v[15:16]
	v_add_f64 v[19:20], v[39:40], -v[19:20]
	v_add_f64 v[21:22], v[21:22], -v[29:30]
	v_ldexp_f64 v[29:30], v[39:40], -2
	v_add_f64 v[41:42], v[27:28], -v[31:32]
	v_add_f64 v[19:20], v[23:24], -v[19:20]
	v_add_f64 v[13:14], v[13:14], v[21:22]
	v_fract_f64_e32 v[21:22], v[29:30]
	v_cmp_neq_f64_e64 vcc, |v[29:30]|, s[22:23]
	v_add_f64 v[15:16], v[15:16], -v[41:42]
	v_add_f64 v[23:24], v[27:28], v[13:14]
	v_ldexp_f64 v[21:22], v[21:22], 2
	v_add_f64 v[29:30], v[19:20], v[23:24]
	v_cndmask_b32_e32 v22, 0, v22, vcc
	v_cndmask_b32_e32 v21, 0, v21, vcc
	v_add_f64 v[43:44], v[23:24], -v[27:28]
	v_add_f64 v[39:40], v[29:30], v[21:22]
	v_add_f64 v[19:20], v[29:30], -v[19:20]
	v_add_f64 v[45:46], v[23:24], -v[43:44]
	;; [unrolled: 1-line block ×3, first 2 shown]
	v_cmp_gt_f64_e32 vcc, 0, v[39:40]
	v_add_f64 v[39:40], v[27:28], -v[41:42]
	v_add_f64 v[19:20], v[23:24], -v[19:20]
	;; [unrolled: 1-line block ×3, first 2 shown]
	v_cndmask_b32_e32 v10, 0, v36, vcc
	v_add_f64 v[21:22], v[21:22], v[9:10]
	v_add_f64 v[39:40], v[31:32], -v[39:40]
	v_add_f64 v[13:14], v[13:14], v[27:28]
	v_add_f64 v[47:48], v[29:30], v[21:22]
	;; [unrolled: 1-line block ×3, first 2 shown]
	v_cvt_i32_f64_e32 v10, v[47:48]
	v_add_f64 v[13:14], v[15:16], v[13:14]
	v_cvt_f64_i32_e32 v[41:42], v10
	v_add_f64 v[21:22], v[21:22], -v[41:42]
	v_add_f64 v[13:14], v[17:18], v[13:14]
	v_add_f64 v[15:16], v[29:30], v[21:22]
	;; [unrolled: 1-line block ×3, first 2 shown]
	v_add_f64 v[17:18], v[15:16], -v[21:22]
	v_cmp_le_f64_e32 vcc, 0.5, v[15:16]
	v_add_f64 v[17:18], v[29:30], -v[17:18]
	v_addc_co_u32_e64 v39, s[0:1], 0, v10, vcc
	v_cndmask_b32_e32 v10, 0, v37, vcc
	v_add_f64 v[15:16], v[15:16], -v[9:10]
	v_add_f64 v[13:14], v[13:14], v[17:18]
	v_add_f64 v[17:18], v[15:16], v[13:14]
	v_mul_f64 v[19:20], v[17:18], s[24:25]
	v_add_f64 v[15:16], v[17:18], -v[15:16]
	v_fma_f64 v[21:22], v[17:18], s[24:25], -v[19:20]
	v_add_f64 v[13:14], v[13:14], -v[15:16]
	v_fma_f64 v[15:16], v[17:18], s[30:31], v[21:22]
	v_fma_f64 v[15:16], v[13:14], s[24:25], v[15:16]
	v_add_f64 v[13:14], v[19:20], v[15:16]
	v_add_f64 v[17:18], v[13:14], -v[19:20]
	v_add_f64 v[15:16], v[15:16], -v[17:18]
.LBB103_6:                              ;   in Loop: Header=BB103_4 Depth=1
	s_andn2_saveexec_b64 s[0:1], s[64:65]
	s_cbranch_execz .LBB103_8
; %bb.7:                                ;   in Loop: Header=BB103_4 Depth=1
	v_mul_f64 v[13:14], |v[5:6]|, s[34:35]
	s_mov_b32 s28, s36
	v_rndne_f64_e32 v[17:18], v[13:14]
	v_fma_f64 v[13:14], v[17:18], s[26:27], |v[5:6]|
	v_mul_f64 v[15:16], v[17:18], s[36:37]
	v_cvt_i32_f64_e32 v39, v[17:18]
	v_fma_f64 v[23:24], v[17:18], s[36:37], v[13:14]
	v_add_f64 v[19:20], v[13:14], v[15:16]
	v_add_f64 v[21:22], v[13:14], -v[19:20]
	v_add_f64 v[19:20], v[19:20], -v[23:24]
	v_add_f64 v[13:14], v[21:22], v[15:16]
	v_fma_f64 v[15:16], v[17:18], s[28:29], v[15:16]
	v_add_f64 v[13:14], v[19:20], v[13:14]
	v_add_f64 v[13:14], v[13:14], -v[15:16]
	v_fma_f64 v[15:16], v[17:18], s[38:39], v[13:14]
	v_add_f64 v[13:14], v[23:24], v[15:16]
	v_add_f64 v[19:20], v[13:14], -v[23:24]
	v_add_f64 v[15:16], v[15:16], -v[19:20]
.LBB103_8:                              ;   in Loop: Header=BB103_4 Depth=1
	s_or_b64 exec, exec, s[0:1]
	v_cmp_nlt_f64_e64 s[0:1], |v[7:8]|, s[18:19]
                                        ; implicit-def: $vgpr40
                                        ; implicit-def: $vgpr17_vgpr18
                                        ; implicit-def: $vgpr19_vgpr20
	s_and_saveexec_b64 s[64:65], s[0:1]
	s_xor_b64 s[64:65], exec, s[64:65]
	s_cbranch_execz .LBB103_10
; %bb.9:                                ;   in Loop: Header=BB103_4 Depth=1
	v_trig_preop_f64 v[17:18], |v[7:8]|, 0
	v_ldexp_f64 v[21:22], |v[7:8]|, s67
	v_cmp_ge_f64_e64 vcc, |v[7:8]|, s[20:21]
	v_trig_preop_f64 v[19:20], |v[7:8]|, 1
	v_and_b32_e32 v10, 0x7fffffff, v8
	v_trig_preop_f64 v[29:30], |v[7:8]|, 2
	s_mov_b32 s24, s26
	s_mov_b32 s31, s29
	v_cndmask_b32_e32 v22, v10, v22, vcc
	v_cndmask_b32_e32 v21, v7, v21, vcc
	v_mul_f64 v[23:24], v[17:18], v[21:22]
	v_mul_f64 v[25:26], v[19:20], v[21:22]
	;; [unrolled: 1-line block ×3, first 2 shown]
	v_fma_f64 v[17:18], v[17:18], v[21:22], -v[23:24]
	v_fma_f64 v[19:20], v[19:20], v[21:22], -v[25:26]
	v_fma_f64 v[21:22], v[29:30], v[21:22], -v[42:43]
	v_add_f64 v[27:28], v[25:26], v[17:18]
	v_add_f64 v[31:32], v[27:28], -v[25:26]
	v_add_f64 v[44:45], v[23:24], v[27:28]
	v_add_f64 v[40:41], v[27:28], -v[31:32]
	v_add_f64 v[17:18], v[17:18], -v[31:32]
	v_add_f64 v[31:32], v[42:43], v[19:20]
	v_add_f64 v[23:24], v[44:45], -v[23:24]
	v_add_f64 v[25:26], v[25:26], -v[40:41]
	v_ldexp_f64 v[40:41], v[44:45], -2
	v_add_f64 v[46:47], v[31:32], -v[42:43]
	v_add_f64 v[23:24], v[27:28], -v[23:24]
	v_add_f64 v[17:18], v[17:18], v[25:26]
	v_fract_f64_e32 v[25:26], v[40:41]
	v_cmp_neq_f64_e64 vcc, |v[40:41]|, s[22:23]
	v_add_f64 v[19:20], v[19:20], -v[46:47]
	v_add_f64 v[27:28], v[31:32], v[17:18]
	v_ldexp_f64 v[25:26], v[25:26], 2
	v_add_f64 v[40:41], v[23:24], v[27:28]
	v_cndmask_b32_e32 v26, 0, v26, vcc
	v_cndmask_b32_e32 v25, 0, v25, vcc
	v_add_f64 v[48:49], v[27:28], -v[31:32]
	v_add_f64 v[44:45], v[40:41], v[25:26]
	v_add_f64 v[23:24], v[40:41], -v[23:24]
	v_add_f64 v[50:51], v[27:28], -v[48:49]
	;; [unrolled: 1-line block ×3, first 2 shown]
	v_cmp_gt_f64_e32 vcc, 0, v[44:45]
	v_add_f64 v[44:45], v[31:32], -v[46:47]
	v_add_f64 v[23:24], v[27:28], -v[23:24]
	;; [unrolled: 1-line block ×3, first 2 shown]
	v_cndmask_b32_e32 v10, 0, v36, vcc
	v_add_f64 v[25:26], v[25:26], v[9:10]
	v_add_f64 v[44:45], v[42:43], -v[44:45]
	v_add_f64 v[17:18], v[17:18], v[31:32]
	v_add_f64 v[52:53], v[40:41], v[25:26]
	;; [unrolled: 1-line block ×3, first 2 shown]
	v_cvt_i32_f64_e32 v10, v[52:53]
	v_add_f64 v[17:18], v[19:20], v[17:18]
	v_cvt_f64_i32_e32 v[46:47], v10
	v_add_f64 v[25:26], v[25:26], -v[46:47]
	v_add_f64 v[17:18], v[21:22], v[17:18]
	v_add_f64 v[19:20], v[40:41], v[25:26]
	;; [unrolled: 1-line block ×3, first 2 shown]
	v_add_f64 v[21:22], v[19:20], -v[25:26]
	v_cmp_le_f64_e32 vcc, 0.5, v[19:20]
	v_add_f64 v[21:22], v[40:41], -v[21:22]
	v_addc_co_u32_e64 v40, s[0:1], 0, v10, vcc
	v_cndmask_b32_e32 v10, 0, v37, vcc
	v_add_f64 v[19:20], v[19:20], -v[9:10]
	v_add_f64 v[17:18], v[17:18], v[21:22]
	v_add_f64 v[21:22], v[19:20], v[17:18]
	v_mul_f64 v[23:24], v[21:22], s[24:25]
	v_add_f64 v[19:20], v[21:22], -v[19:20]
	v_fma_f64 v[25:26], v[21:22], s[24:25], -v[23:24]
	v_add_f64 v[17:18], v[17:18], -v[19:20]
	v_fma_f64 v[19:20], v[21:22], s[30:31], v[25:26]
	v_fma_f64 v[19:20], v[17:18], s[24:25], v[19:20]
	v_add_f64 v[17:18], v[23:24], v[19:20]
	v_add_f64 v[21:22], v[17:18], -v[23:24]
	v_add_f64 v[19:20], v[19:20], -v[21:22]
.LBB103_10:                             ;   in Loop: Header=BB103_4 Depth=1
	s_andn2_saveexec_b64 s[0:1], s[64:65]
	s_cbranch_execz .LBB103_12
; %bb.11:                               ;   in Loop: Header=BB103_4 Depth=1
	v_mul_f64 v[17:18], |v[7:8]|, s[34:35]
	s_mov_b32 s28, s36
	v_rndne_f64_e32 v[21:22], v[17:18]
	v_fma_f64 v[17:18], v[21:22], s[26:27], |v[7:8]|
	v_mul_f64 v[19:20], v[21:22], s[36:37]
	v_cvt_i32_f64_e32 v40, v[21:22]
	v_fma_f64 v[27:28], v[21:22], s[36:37], v[17:18]
	v_add_f64 v[23:24], v[17:18], v[19:20]
	v_add_f64 v[25:26], v[17:18], -v[23:24]
	v_add_f64 v[23:24], v[23:24], -v[27:28]
	v_add_f64 v[17:18], v[25:26], v[19:20]
	v_fma_f64 v[19:20], v[21:22], s[28:29], v[19:20]
	v_add_f64 v[17:18], v[23:24], v[17:18]
	v_add_f64 v[17:18], v[17:18], -v[19:20]
	v_fma_f64 v[19:20], v[21:22], s[38:39], v[17:18]
	v_add_f64 v[17:18], v[27:28], v[19:20]
	v_add_f64 v[23:24], v[17:18], -v[27:28]
	v_add_f64 v[19:20], v[19:20], -v[23:24]
.LBB103_12:                             ;   in Loop: Header=BB103_4 Depth=1
	s_or_b64 exec, exec, s[0:1]
	s_waitcnt vmcnt(0)
	v_cmp_nlt_f64_e64 s[0:1], |v[1:2]|, s[18:19]
                                        ; implicit-def: $vgpr42
                                        ; implicit-def: $vgpr29_vgpr30
                                        ; implicit-def: $vgpr31_vgpr32
	s_and_saveexec_b64 s[64:65], s[0:1]
	s_xor_b64 s[64:65], exec, s[64:65]
	s_cbranch_execz .LBB103_14
; %bb.13:                               ;   in Loop: Header=BB103_4 Depth=1
	v_trig_preop_f64 v[21:22], |v[1:2]|, 0
	v_ldexp_f64 v[25:26], |v[1:2]|, s67
	v_cmp_ge_f64_e64 vcc, |v[1:2]|, s[20:21]
	v_trig_preop_f64 v[23:24], |v[1:2]|, 1
	v_and_b32_e32 v10, 0x7fffffff, v2
	v_trig_preop_f64 v[41:42], |v[1:2]|, 2
	s_mov_b32 s24, s26
	s_mov_b32 s31, s29
	v_cndmask_b32_e32 v26, v10, v26, vcc
	v_cndmask_b32_e32 v25, v1, v25, vcc
	v_mul_f64 v[27:28], v[21:22], v[25:26]
	v_mul_f64 v[29:30], v[23:24], v[25:26]
	;; [unrolled: 1-line block ×3, first 2 shown]
	v_fma_f64 v[21:22], v[21:22], v[25:26], -v[27:28]
	v_fma_f64 v[23:24], v[23:24], v[25:26], -v[29:30]
	;; [unrolled: 1-line block ×3, first 2 shown]
	v_add_f64 v[31:32], v[29:30], v[21:22]
	v_add_f64 v[43:44], v[31:32], -v[29:30]
	v_add_f64 v[49:50], v[27:28], v[31:32]
	v_add_f64 v[45:46], v[31:32], -v[43:44]
	v_add_f64 v[21:22], v[21:22], -v[43:44]
	v_add_f64 v[43:44], v[47:48], v[23:24]
	v_add_f64 v[27:28], v[49:50], -v[27:28]
	v_add_f64 v[29:30], v[29:30], -v[45:46]
	v_ldexp_f64 v[45:46], v[49:50], -2
	v_add_f64 v[51:52], v[43:44], -v[47:48]
	v_add_f64 v[27:28], v[31:32], -v[27:28]
	v_add_f64 v[21:22], v[21:22], v[29:30]
	v_fract_f64_e32 v[29:30], v[45:46]
	v_cmp_neq_f64_e64 vcc, |v[45:46]|, s[22:23]
	v_add_f64 v[23:24], v[23:24], -v[51:52]
	v_add_f64 v[31:32], v[43:44], v[21:22]
	v_ldexp_f64 v[29:30], v[29:30], 2
	v_add_f64 v[45:46], v[27:28], v[31:32]
	v_cndmask_b32_e32 v30, 0, v30, vcc
	v_cndmask_b32_e32 v29, 0, v29, vcc
	v_add_f64 v[53:54], v[31:32], -v[43:44]
	v_add_f64 v[49:50], v[45:46], v[29:30]
	v_add_f64 v[27:28], v[45:46], -v[27:28]
	v_add_f64 v[55:56], v[31:32], -v[53:54]
	v_add_f64 v[21:22], v[21:22], -v[53:54]
	v_cmp_gt_f64_e32 vcc, 0, v[49:50]
	v_add_f64 v[49:50], v[43:44], -v[51:52]
	v_add_f64 v[27:28], v[31:32], -v[27:28]
	;; [unrolled: 1-line block ×3, first 2 shown]
	v_cndmask_b32_e32 v10, 0, v36, vcc
	v_add_f64 v[29:30], v[29:30], v[9:10]
	v_add_f64 v[49:50], v[47:48], -v[49:50]
	v_add_f64 v[21:22], v[21:22], v[43:44]
	v_add_f64 v[57:58], v[45:46], v[29:30]
	;; [unrolled: 1-line block ×3, first 2 shown]
	v_cvt_i32_f64_e32 v10, v[57:58]
	v_add_f64 v[21:22], v[23:24], v[21:22]
	v_cvt_f64_i32_e32 v[51:52], v10
	v_add_f64 v[29:30], v[29:30], -v[51:52]
	v_add_f64 v[21:22], v[25:26], v[21:22]
	v_add_f64 v[23:24], v[45:46], v[29:30]
	v_add_f64 v[21:22], v[27:28], v[21:22]
	v_add_f64 v[25:26], v[23:24], -v[29:30]
	v_cmp_le_f64_e32 vcc, 0.5, v[23:24]
	v_add_f64 v[25:26], v[45:46], -v[25:26]
	v_addc_co_u32_e64 v42, s[0:1], 0, v10, vcc
	v_cndmask_b32_e32 v10, 0, v37, vcc
	v_add_f64 v[23:24], v[23:24], -v[9:10]
	v_add_f64 v[21:22], v[21:22], v[25:26]
	v_add_f64 v[25:26], v[23:24], v[21:22]
	v_mul_f64 v[27:28], v[25:26], s[24:25]
	v_add_f64 v[23:24], v[25:26], -v[23:24]
	v_fma_f64 v[29:30], v[25:26], s[24:25], -v[27:28]
	v_add_f64 v[21:22], v[21:22], -v[23:24]
	v_fma_f64 v[23:24], v[25:26], s[30:31], v[29:30]
	v_fma_f64 v[21:22], v[21:22], s[24:25], v[23:24]
	v_add_f64 v[29:30], v[27:28], v[21:22]
	v_add_f64 v[23:24], v[29:30], -v[27:28]
	v_add_f64 v[31:32], v[21:22], -v[23:24]
.LBB103_14:                             ;   in Loop: Header=BB103_4 Depth=1
	s_andn2_saveexec_b64 s[0:1], s[64:65]
	s_cbranch_execz .LBB103_16
; %bb.15:                               ;   in Loop: Header=BB103_4 Depth=1
	v_mul_f64 v[21:22], |v[1:2]|, s[34:35]
	s_mov_b32 s28, s36
	v_rndne_f64_e32 v[21:22], v[21:22]
	v_fma_f64 v[23:24], v[21:22], s[26:27], |v[1:2]|
	v_mul_f64 v[25:26], v[21:22], s[36:37]
	v_cvt_i32_f64_e32 v42, v[21:22]
	v_add_f64 v[27:28], v[23:24], v[25:26]
	v_add_f64 v[29:30], v[23:24], -v[27:28]
	v_fma_f64 v[23:24], v[21:22], s[36:37], v[23:24]
	v_add_f64 v[29:30], v[29:30], v[25:26]
	v_add_f64 v[27:28], v[27:28], -v[23:24]
	v_fma_f64 v[25:26], v[21:22], s[28:29], v[25:26]
	v_add_f64 v[27:28], v[27:28], v[29:30]
	v_add_f64 v[25:26], v[27:28], -v[25:26]
	v_fma_f64 v[25:26], v[21:22], s[38:39], v[25:26]
	v_add_f64 v[29:30], v[23:24], v[25:26]
	v_add_f64 v[23:24], v[29:30], -v[23:24]
	v_add_f64 v[31:32], v[25:26], -v[23:24]
.LBB103_16:                             ;   in Loop: Header=BB103_4 Depth=1
	s_or_b64 exec, exec, s[0:1]
	v_cmp_nlt_f64_e64 s[0:1], |v[3:4]|, s[18:19]
                                        ; implicit-def: $vgpr41
                                        ; implicit-def: $vgpr21_vgpr22
                                        ; implicit-def: $vgpr23_vgpr24
	s_and_saveexec_b64 s[64:65], s[0:1]
	s_xor_b64 s[64:65], exec, s[64:65]
	s_cbranch_execz .LBB103_18
; %bb.17:                               ;   in Loop: Header=BB103_4 Depth=1
	v_trig_preop_f64 v[21:22], |v[3:4]|, 0
	v_cmp_ge_f64_e64 vcc, |v[3:4]|, s[20:21]
	v_ldexp_f64 v[25:26], |v[3:4]|, s67
	v_trig_preop_f64 v[23:24], |v[3:4]|, 1
	v_and_b32_e32 v10, 0x7fffffff, v4
	s_mov_b32 s24, s26
	s_mov_b32 s31, s29
	v_cndmask_b32_e32 v26, v10, v26, vcc
	v_cndmask_b32_e32 v25, v3, v25, vcc
	v_mul_f64 v[43:44], v[21:22], v[25:26]
	v_mul_f64 v[27:28], v[23:24], v[25:26]
	v_fma_f64 v[21:22], v[21:22], v[25:26], -v[43:44]
	v_fma_f64 v[23:24], v[23:24], v[25:26], -v[27:28]
	v_add_f64 v[45:46], v[27:28], v[21:22]
	v_add_f64 v[53:54], v[45:46], -v[27:28]
	v_add_f64 v[47:48], v[43:44], v[45:46]
	v_add_f64 v[21:22], v[21:22], -v[53:54]
	v_add_f64 v[53:54], v[45:46], -v[53:54]
	v_ldexp_f64 v[49:50], v[47:48], -2
	v_add_f64 v[43:44], v[47:48], -v[43:44]
	v_add_f64 v[53:54], v[27:28], -v[53:54]
	v_trig_preop_f64 v[27:28], |v[3:4]|, 2
	v_fract_f64_e32 v[51:52], v[49:50]
	v_add_f64 v[43:44], v[45:46], -v[43:44]
	v_cmp_neq_f64_e64 vcc, |v[49:50]|, s[22:23]
	v_add_f64 v[21:22], v[21:22], v[53:54]
	v_mul_f64 v[53:54], v[27:28], v[25:26]
	v_add_f64 v[55:56], v[53:54], v[23:24]
	v_add_f64 v[57:58], v[55:56], v[21:22]
	v_add_f64 v[47:48], v[57:58], -v[55:56]
	v_add_f64 v[45:46], v[43:44], v[57:58]
	v_add_f64 v[21:22], v[21:22], -v[47:48]
	v_add_f64 v[47:48], v[57:58], -v[47:48]
	;; [unrolled: 1-line block ×5, first 2 shown]
	v_add_f64 v[21:22], v[21:22], v[47:48]
	v_add_f64 v[47:48], v[55:56], -v[53:54]
	v_add_f64 v[23:24], v[23:24], -v[47:48]
	;; [unrolled: 1-line block ×4, first 2 shown]
	v_add_f64 v[23:24], v[23:24], v[47:48]
	v_add_f64 v[21:22], v[23:24], v[21:22]
	v_fma_f64 v[23:24], v[27:28], v[25:26], -v[53:54]
	v_add_f64 v[21:22], v[23:24], v[21:22]
	v_ldexp_f64 v[23:24], v[51:52], 2
	v_add_f64 v[21:22], v[43:44], v[21:22]
	v_cndmask_b32_e32 v24, 0, v24, vcc
	v_cndmask_b32_e32 v23, 0, v23, vcc
	v_add_f64 v[25:26], v[45:46], v[23:24]
	v_cmp_gt_f64_e32 vcc, 0, v[25:26]
	v_cndmask_b32_e32 v10, 0, v36, vcc
	v_add_f64 v[23:24], v[23:24], v[9:10]
	v_add_f64 v[25:26], v[45:46], v[23:24]
	v_cvt_i32_f64_e32 v10, v[25:26]
	v_cvt_f64_i32_e32 v[25:26], v10
	v_add_f64 v[23:24], v[23:24], -v[25:26]
	v_add_f64 v[25:26], v[45:46], v[23:24]
	v_add_f64 v[23:24], v[25:26], -v[23:24]
	v_cmp_le_f64_e32 vcc, 0.5, v[25:26]
	v_add_f64 v[23:24], v[45:46], -v[23:24]
	v_addc_co_u32_e64 v41, s[0:1], 0, v10, vcc
	v_cndmask_b32_e32 v10, 0, v37, vcc
	v_add_f64 v[21:22], v[21:22], v[23:24]
	v_add_f64 v[23:24], v[25:26], -v[9:10]
	v_add_f64 v[25:26], v[23:24], v[21:22]
	v_add_f64 v[23:24], v[25:26], -v[23:24]
	v_add_f64 v[21:22], v[21:22], -v[23:24]
	v_mul_f64 v[23:24], v[25:26], s[24:25]
	v_fma_f64 v[27:28], v[25:26], s[24:25], -v[23:24]
	v_fma_f64 v[25:26], v[25:26], s[30:31], v[27:28]
	v_fma_f64 v[25:26], v[21:22], s[24:25], v[25:26]
	v_add_f64 v[21:22], v[23:24], v[25:26]
	v_add_f64 v[23:24], v[21:22], -v[23:24]
	v_add_f64 v[23:24], v[25:26], -v[23:24]
.LBB103_18:                             ;   in Loop: Header=BB103_4 Depth=1
	s_andn2_saveexec_b64 s[0:1], s[64:65]
	s_cbranch_execz .LBB103_3
; %bb.19:                               ;   in Loop: Header=BB103_4 Depth=1
	v_mul_f64 v[21:22], |v[3:4]|, s[34:35]
	s_mov_b32 s28, s36
	v_rndne_f64_e32 v[25:26], v[21:22]
	v_fma_f64 v[21:22], v[25:26], s[26:27], |v[3:4]|
	v_mul_f64 v[23:24], v[25:26], s[36:37]
	v_cvt_i32_f64_e32 v41, v[25:26]
	v_fma_f64 v[45:46], v[25:26], s[36:37], v[21:22]
	v_add_f64 v[27:28], v[21:22], v[23:24]
	v_add_f64 v[43:44], v[21:22], -v[27:28]
	v_add_f64 v[27:28], v[27:28], -v[45:46]
	v_add_f64 v[21:22], v[43:44], v[23:24]
	v_fma_f64 v[23:24], v[25:26], s[28:29], v[23:24]
	v_add_f64 v[21:22], v[27:28], v[21:22]
	v_add_f64 v[21:22], v[21:22], -v[23:24]
	v_fma_f64 v[23:24], v[25:26], s[38:39], v[21:22]
	v_add_f64 v[21:22], v[45:46], v[23:24]
	v_add_f64 v[27:28], v[21:22], -v[45:46]
	v_add_f64 v[23:24], v[23:24], -v[27:28]
	s_branch .LBB103_3
.LBB103_20:
	s_or_b64 exec, exec, s[14:15]
	s_mov_b64 s[0:1], 0
.LBB103_21:
	s_andn2_b64 vcc, exec, s[0:1]
	s_cbranch_vccnz .LBB103_57
; %bb.22:
	v_cmp_lt_i64_e64 s[0:1], s[8:9], 1
	s_and_b64 vcc, exec, s[0:1]
	s_cbranch_vccnz .LBB103_57
; %bb.23:
	v_mov_b32_e32 v2, 0x10000
	s_load_dword s4, s[4:5], 0xc5c
	v_mov_b32_e32 v3, 0
	v_cmp_lt_i64_e32 vcc, s[8:9], v[2:3]
	v_mov_b32_e32 v1, 0
	s_and_b64 s[0:1], vcc, exec
	v_cmp_lt_u64_e32 vcc, s[8:9], v[2:3]
	s_cselect_b32 s13, s9, 0
	s_cselect_b32 s12, s8, 0x10000
	s_waitcnt lgkmcnt(0)
	s_and_b32 s4, s4, 0xffff
	v_lshlrev_b32_e32 v2, 3, v0
	s_and_b64 s[0:1], vcc, exec
	v_mov_b32_e32 v3, v1
	v_mov_b32_e32 v4, s7
	v_add_co_u32_e32 v31, vcc, s6, v2
	v_addc_co_u32_e32 v32, vcc, 0, v4, vcc
	v_mad_u64_u32 v[3:4], s[0:1], s4, 24, v[2:3]
	v_mov_b32_e32 v5, s3
	v_add_co_u32_e32 v33, vcc, s2, v2
	v_addc_co_u32_e32 v34, vcc, 0, v5, vcc
	v_mov_b32_e32 v5, s7
	v_add_co_u32_e32 v35, vcc, s6, v3
	v_addc_co_u32_e32 v36, vcc, v5, v4, vcc
	v_mov_b32_e32 v5, s3
	v_add_co_u32_e32 v37, vcc, s2, v3
	s_cselect_b32 s15, s9, 0
	s_cselect_b32 s14, s8, 0x10000
	v_addc_co_u32_e32 v38, vcc, v5, v4, vcc
	s_lshl_b32 s0, s4, 4
	v_add_co_u32_e32 v2, vcc, s0, v2
	v_addc_co_u32_e64 v3, s[0:1], 0, 0, vcc
	v_mov_b32_e32 v4, s7
	v_add_co_u32_e32 v39, vcc, s6, v2
	v_addc_co_u32_e32 v40, vcc, v4, v3, vcc
	v_mov_b32_e32 v4, s3
	v_add_co_u32_e32 v41, vcc, s2, v2
	v_addc_co_u32_e32 v42, vcc, v4, v3, vcc
	v_add_co_u32_e32 v43, vcc, s4, v0
	v_lshlrev_b32_e32 v2, 3, v43
	v_addc_co_u32_e64 v44, s[0:1], 0, 0, vcc
	v_mov_b32_e32 v3, s7
	v_add_co_u32_e32 v45, vcc, s6, v2
	v_addc_co_u32_e32 v46, vcc, 0, v3, vcc
	v_mov_b32_e32 v3, s3
	v_add_co_u32_e32 v47, vcc, s2, v2
	s_mul_i32 s8, s4, 3
	v_addc_co_u32_e32 v48, vcc, 0, v3, vcc
	s_lshl_b32 s5, s4, 1
	v_add_co_u32_e32 v49, vcc, s8, v0
	s_mov_b32 s18, 0
	s_mov_b32 s20, 0
	;; [unrolled: 1-line block ×16, first 2 shown]
	v_addc_co_u32_e64 v50, s[0:1], 0, 0, vcc
	v_add_co_u32_e32 v51, vcc, s5, v0
	s_lshl_b32 s33, s4, 2
	s_lshl_b32 s62, s4, 5
	s_mov_b64 s[16:17], 0
	s_mov_b32 s19, 0x41d00000
	s_mov_b32 s21, 0x7b000000
	s_movk_i32 s63, 0xff80
	s_mov_b32 s23, 0x7ff00000
	s_mov_b32 s25, 0x3ff921fb
	;; [unrolled: 1-line block ×18, first 2 shown]
	s_movk_i32 s64, 0x1f8
	v_mov_b32_e32 v3, 0x9037ab78
	v_mov_b32_e32 v4, 0x3e21eeb6
	;; [unrolled: 1-line block ×4, first 2 shown]
	v_addc_co_u32_e64 v52, s[0:1], 0, 0, vcc
	v_mov_b32_e32 v53, 0x40100000
	v_mov_b32_e32 v54, 0x3ff00000
	;; [unrolled: 1-line block ×3, first 2 shown]
	s_branch .LBB103_25
.LBB103_24:                             ;   in Loop: Header=BB103_25 Depth=1
	s_or_b64 exec, exec, s[2:3]
	v_add_co_u32_e32 v31, vcc, s62, v31
	v_addc_co_u32_e32 v32, vcc, 0, v32, vcc
	v_add_co_u32_e32 v33, vcc, s62, v33
	v_addc_co_u32_e32 v34, vcc, 0, v34, vcc
	;; [unrolled: 2-line block ×6, first 2 shown]
	s_add_u32 s16, s16, s33
	v_add_co_u32_e32 v45, vcc, s62, v45
	v_mov_b32_e32 v7, s12
	s_addc_u32 s17, s17, 0
	v_addc_co_u32_e32 v46, vcc, 0, v46, vcc
	v_mov_b32_e32 v8, s13
	v_cmp_ge_i64_e32 vcc, s[16:17], v[7:8]
	v_add_co_u32_e64 v47, s[0:1], s62, v47
	v_addc_co_u32_e64 v48, s[0:1], 0, v48, s[0:1]
	s_cbranch_vccnz .LBB103_57
.LBB103_25:                             ; =>This Inner Loop Header: Depth=1
	v_mov_b32_e32 v2, s17
	v_add_co_u32_e32 v7, vcc, s16, v0
	v_addc_co_u32_e32 v8, vcc, 0, v2, vcc
	v_cmp_gt_u64_e64 s[4:5], s[14:15], v[7:8]
	v_mov_b32_e32 v13, 0
	v_mov_b32_e32 v14, 0
	s_and_saveexec_b64 s[0:1], s[4:5]
	s_cbranch_execz .LBB103_27
; %bb.26:                               ;   in Loop: Header=BB103_25 Depth=1
	v_mov_b32_e32 v2, s11
	v_add_co_u32_e32 v7, vcc, s10, v31
	v_addc_co_u32_e32 v8, vcc, v32, v2, vcc
	global_load_dwordx2 v[13:14], v[7:8], off
.LBB103_27:                             ;   in Loop: Header=BB103_25 Depth=1
	s_or_b64 exec, exec, s[0:1]
	v_mov_b32_e32 v2, s17
	v_add_co_u32_e32 v7, vcc, s16, v43
	v_addc_co_u32_e32 v8, vcc, v44, v2, vcc
	v_cmp_gt_u64_e64 s[2:3], s[14:15], v[7:8]
	v_mov_b32_e32 v9, 0
	v_mov_b32_e32 v11, 0
	v_mov_b32_e32 v12, 0
	s_and_saveexec_b64 s[0:1], s[2:3]
	s_cbranch_execz .LBB103_29
; %bb.28:                               ;   in Loop: Header=BB103_25 Depth=1
	v_mov_b32_e32 v2, s11
	v_add_co_u32_e32 v7, vcc, s10, v45
	v_addc_co_u32_e32 v8, vcc, v46, v2, vcc
	global_load_dwordx2 v[11:12], v[7:8], off
.LBB103_29:                             ;   in Loop: Header=BB103_25 Depth=1
	s_or_b64 exec, exec, s[0:1]
	v_mov_b32_e32 v2, s17
	v_add_co_u32_e32 v7, vcc, s16, v51
	v_addc_co_u32_e32 v8, vcc, v52, v2, vcc
	v_cmp_gt_u64_e64 s[0:1], s[14:15], v[7:8]
	v_mov_b32_e32 v10, 0
	s_and_saveexec_b64 s[6:7], s[0:1]
	s_cbranch_execz .LBB103_31
; %bb.30:                               ;   in Loop: Header=BB103_25 Depth=1
	v_mov_b32_e32 v2, s11
	v_add_co_u32_e32 v7, vcc, s10, v39
	v_addc_co_u32_e32 v8, vcc, v40, v2, vcc
	global_load_dwordx2 v[9:10], v[7:8], off
.LBB103_31:                             ;   in Loop: Header=BB103_25 Depth=1
	s_or_b64 exec, exec, s[6:7]
	v_mov_b32_e32 v2, s17
	v_add_co_u32_e32 v7, vcc, s16, v49
	v_addc_co_u32_e32 v8, vcc, v50, v2, vcc
	v_cmp_gt_u64_e32 vcc, s[14:15], v[7:8]
	v_mov_b32_e32 v7, 0
	v_mov_b32_e32 v8, 0
	s_and_saveexec_b64 s[8:9], vcc
	s_cbranch_execz .LBB103_33
; %bb.32:                               ;   in Loop: Header=BB103_25 Depth=1
	v_mov_b32_e32 v2, s11
	v_add_co_u32_e64 v7, s[6:7], s10, v35
	v_addc_co_u32_e64 v8, s[6:7], v36, v2, s[6:7]
	global_load_dwordx2 v[7:8], v[7:8], off
.LBB103_33:                             ;   in Loop: Header=BB103_25 Depth=1
	s_or_b64 exec, exec, s[8:9]
	s_waitcnt vmcnt(0)
	v_cmp_nlt_f64_e64 s[6:7], |v[13:14]|, s[18:19]
                                        ; implicit-def: $vgpr56
                                        ; implicit-def: $vgpr15_vgpr16
                                        ; implicit-def: $vgpr17_vgpr18
	s_and_saveexec_b64 s[8:9], s[6:7]
	s_xor_b64 s[60:61], exec, s[8:9]
	s_cbranch_execz .LBB103_35
; %bb.34:                               ;   in Loop: Header=BB103_25 Depth=1
	v_trig_preop_f64 v[15:16], |v[13:14]|, 0
	v_ldexp_f64 v[19:20], |v[13:14]|, s63
	v_cmp_ge_f64_e64 s[6:7], |v[13:14]|, s[20:21]
	v_trig_preop_f64 v[17:18], |v[13:14]|, 1
	v_and_b32_e32 v2, 0x7fffffff, v14
	v_trig_preop_f64 v[27:28], |v[13:14]|, 2
	s_mov_b32 s24, s26
	s_mov_b32 s31, s29
	v_cndmask_b32_e64 v20, v2, v20, s[6:7]
	v_cndmask_b32_e64 v19, v13, v19, s[6:7]
	v_mul_f64 v[21:22], v[15:16], v[19:20]
	v_mul_f64 v[23:24], v[17:18], v[19:20]
	;; [unrolled: 1-line block ×3, first 2 shown]
	v_fma_f64 v[15:16], v[15:16], v[19:20], -v[21:22]
	v_fma_f64 v[17:18], v[17:18], v[19:20], -v[23:24]
	;; [unrolled: 1-line block ×3, first 2 shown]
	v_add_f64 v[25:26], v[23:24], v[15:16]
	v_add_f64 v[29:30], v[25:26], -v[23:24]
	v_add_f64 v[60:61], v[21:22], v[25:26]
	v_add_f64 v[56:57], v[25:26], -v[29:30]
	v_add_f64 v[15:16], v[15:16], -v[29:30]
	v_add_f64 v[29:30], v[58:59], v[17:18]
	v_add_f64 v[21:22], v[60:61], -v[21:22]
	v_add_f64 v[23:24], v[23:24], -v[56:57]
	v_ldexp_f64 v[56:57], v[60:61], -2
	v_add_f64 v[62:63], v[29:30], -v[58:59]
	v_add_f64 v[21:22], v[25:26], -v[21:22]
	v_add_f64 v[15:16], v[15:16], v[23:24]
	v_fract_f64_e32 v[23:24], v[56:57]
	v_cmp_neq_f64_e64 s[6:7], |v[56:57]|, s[22:23]
	v_add_f64 v[17:18], v[17:18], -v[62:63]
	v_add_f64 v[25:26], v[29:30], v[15:16]
	v_ldexp_f64 v[23:24], v[23:24], 2
	v_add_f64 v[56:57], v[21:22], v[25:26]
	v_cndmask_b32_e64 v24, 0, v24, s[6:7]
	v_cndmask_b32_e64 v23, 0, v23, s[6:7]
	v_add_f64 v[64:65], v[25:26], -v[29:30]
	v_add_f64 v[60:61], v[56:57], v[23:24]
	v_add_f64 v[21:22], v[56:57], -v[21:22]
	v_add_f64 v[66:67], v[25:26], -v[64:65]
	;; [unrolled: 1-line block ×3, first 2 shown]
	v_cmp_gt_f64_e64 s[6:7], 0, v[60:61]
	v_add_f64 v[60:61], v[29:30], -v[62:63]
	v_add_f64 v[21:22], v[25:26], -v[21:22]
	;; [unrolled: 1-line block ×3, first 2 shown]
	v_cndmask_b32_e64 v2, 0, v53, s[6:7]
	v_add_f64 v[23:24], v[23:24], v[1:2]
	v_add_f64 v[60:61], v[58:59], -v[60:61]
	v_add_f64 v[15:16], v[15:16], v[29:30]
	v_add_f64 v[68:69], v[56:57], v[23:24]
	v_add_f64 v[17:18], v[17:18], v[60:61]
	v_cvt_i32_f64_e32 v2, v[68:69]
	v_add_f64 v[15:16], v[17:18], v[15:16]
	v_cvt_f64_i32_e32 v[62:63], v2
	v_add_f64 v[23:24], v[23:24], -v[62:63]
	v_add_f64 v[15:16], v[19:20], v[15:16]
	v_add_f64 v[17:18], v[56:57], v[23:24]
	;; [unrolled: 1-line block ×3, first 2 shown]
	v_add_f64 v[19:20], v[17:18], -v[23:24]
	v_cmp_le_f64_e64 s[6:7], 0.5, v[17:18]
	v_add_f64 v[19:20], v[56:57], -v[19:20]
	v_addc_co_u32_e64 v56, s[8:9], 0, v2, s[6:7]
	v_cndmask_b32_e64 v2, 0, v54, s[6:7]
	v_add_f64 v[17:18], v[17:18], -v[1:2]
	v_add_f64 v[15:16], v[15:16], v[19:20]
	v_add_f64 v[19:20], v[17:18], v[15:16]
	v_mul_f64 v[21:22], v[19:20], s[24:25]
	v_add_f64 v[17:18], v[19:20], -v[17:18]
	v_fma_f64 v[23:24], v[19:20], s[24:25], -v[21:22]
	v_add_f64 v[15:16], v[15:16], -v[17:18]
	v_fma_f64 v[17:18], v[19:20], s[30:31], v[23:24]
	v_fma_f64 v[17:18], v[15:16], s[24:25], v[17:18]
	v_add_f64 v[15:16], v[21:22], v[17:18]
	v_add_f64 v[19:20], v[15:16], -v[21:22]
	v_add_f64 v[17:18], v[17:18], -v[19:20]
.LBB103_35:                             ;   in Loop: Header=BB103_25 Depth=1
	s_andn2_saveexec_b64 s[6:7], s[60:61]
	s_cbranch_execz .LBB103_37
; %bb.36:                               ;   in Loop: Header=BB103_25 Depth=1
	v_mul_f64 v[15:16], |v[13:14]|, s[34:35]
	s_mov_b32 s28, s36
	v_rndne_f64_e32 v[19:20], v[15:16]
	v_fma_f64 v[15:16], v[19:20], s[26:27], |v[13:14]|
	v_mul_f64 v[17:18], v[19:20], s[36:37]
	v_cvt_i32_f64_e32 v56, v[19:20]
	v_fma_f64 v[25:26], v[19:20], s[36:37], v[15:16]
	v_add_f64 v[21:22], v[15:16], v[17:18]
	v_add_f64 v[23:24], v[15:16], -v[21:22]
	v_add_f64 v[21:22], v[21:22], -v[25:26]
	v_add_f64 v[15:16], v[23:24], v[17:18]
	v_fma_f64 v[17:18], v[19:20], s[28:29], v[17:18]
	v_add_f64 v[15:16], v[21:22], v[15:16]
	v_add_f64 v[15:16], v[15:16], -v[17:18]
	v_fma_f64 v[17:18], v[19:20], s[38:39], v[15:16]
	v_add_f64 v[15:16], v[25:26], v[17:18]
	v_add_f64 v[21:22], v[15:16], -v[25:26]
	v_add_f64 v[17:18], v[17:18], -v[21:22]
.LBB103_37:                             ;   in Loop: Header=BB103_25 Depth=1
	s_or_b64 exec, exec, s[6:7]
	v_cmp_nlt_f64_e64 s[6:7], |v[11:12]|, s[18:19]
                                        ; implicit-def: $vgpr57
                                        ; implicit-def: $vgpr19_vgpr20
                                        ; implicit-def: $vgpr21_vgpr22
	s_and_saveexec_b64 s[8:9], s[6:7]
	s_xor_b64 s[60:61], exec, s[8:9]
	s_cbranch_execz .LBB103_39
; %bb.38:                               ;   in Loop: Header=BB103_25 Depth=1
	v_trig_preop_f64 v[19:20], |v[11:12]|, 0
	v_ldexp_f64 v[23:24], |v[11:12]|, s63
	v_cmp_ge_f64_e64 s[6:7], |v[11:12]|, s[20:21]
	v_trig_preop_f64 v[21:22], |v[11:12]|, 1
	v_and_b32_e32 v2, 0x7fffffff, v12
	v_trig_preop_f64 v[57:58], |v[11:12]|, 2
	s_mov_b32 s24, s26
	s_mov_b32 s31, s29
	v_cndmask_b32_e64 v24, v2, v24, s[6:7]
	v_cndmask_b32_e64 v23, v11, v23, s[6:7]
	v_mul_f64 v[25:26], v[19:20], v[23:24]
	v_mul_f64 v[27:28], v[21:22], v[23:24]
	;; [unrolled: 1-line block ×3, first 2 shown]
	v_fma_f64 v[19:20], v[19:20], v[23:24], -v[25:26]
	v_fma_f64 v[21:22], v[21:22], v[23:24], -v[27:28]
	;; [unrolled: 1-line block ×3, first 2 shown]
	v_add_f64 v[29:30], v[27:28], v[19:20]
	v_add_f64 v[59:60], v[29:30], -v[27:28]
	v_add_f64 v[65:66], v[25:26], v[29:30]
	v_add_f64 v[61:62], v[29:30], -v[59:60]
	v_add_f64 v[19:20], v[19:20], -v[59:60]
	v_add_f64 v[59:60], v[63:64], v[21:22]
	v_add_f64 v[25:26], v[65:66], -v[25:26]
	v_add_f64 v[27:28], v[27:28], -v[61:62]
	v_ldexp_f64 v[61:62], v[65:66], -2
	v_add_f64 v[67:68], v[59:60], -v[63:64]
	v_add_f64 v[25:26], v[29:30], -v[25:26]
	v_add_f64 v[19:20], v[19:20], v[27:28]
	v_fract_f64_e32 v[27:28], v[61:62]
	v_cmp_neq_f64_e64 s[6:7], |v[61:62]|, s[22:23]
	v_add_f64 v[21:22], v[21:22], -v[67:68]
	v_add_f64 v[29:30], v[59:60], v[19:20]
	v_ldexp_f64 v[27:28], v[27:28], 2
	v_add_f64 v[61:62], v[25:26], v[29:30]
	v_cndmask_b32_e64 v28, 0, v28, s[6:7]
	v_cndmask_b32_e64 v27, 0, v27, s[6:7]
	v_add_f64 v[69:70], v[29:30], -v[59:60]
	v_add_f64 v[65:66], v[61:62], v[27:28]
	v_add_f64 v[25:26], v[61:62], -v[25:26]
	v_add_f64 v[71:72], v[29:30], -v[69:70]
	;; [unrolled: 1-line block ×3, first 2 shown]
	v_cmp_gt_f64_e64 s[6:7], 0, v[65:66]
	v_add_f64 v[65:66], v[59:60], -v[67:68]
	v_add_f64 v[25:26], v[29:30], -v[25:26]
	;; [unrolled: 1-line block ×3, first 2 shown]
	v_cndmask_b32_e64 v2, 0, v53, s[6:7]
	v_add_f64 v[27:28], v[27:28], v[1:2]
	v_add_f64 v[65:66], v[63:64], -v[65:66]
	v_add_f64 v[19:20], v[19:20], v[59:60]
	v_add_f64 v[73:74], v[61:62], v[27:28]
	;; [unrolled: 1-line block ×3, first 2 shown]
	v_cvt_i32_f64_e32 v2, v[73:74]
	v_add_f64 v[19:20], v[21:22], v[19:20]
	v_cvt_f64_i32_e32 v[67:68], v2
	v_add_f64 v[27:28], v[27:28], -v[67:68]
	v_add_f64 v[19:20], v[23:24], v[19:20]
	v_add_f64 v[21:22], v[61:62], v[27:28]
	;; [unrolled: 1-line block ×3, first 2 shown]
	v_add_f64 v[23:24], v[21:22], -v[27:28]
	v_cmp_le_f64_e64 s[6:7], 0.5, v[21:22]
	v_add_f64 v[23:24], v[61:62], -v[23:24]
	v_addc_co_u32_e64 v57, s[8:9], 0, v2, s[6:7]
	v_cndmask_b32_e64 v2, 0, v54, s[6:7]
	v_add_f64 v[21:22], v[21:22], -v[1:2]
	v_add_f64 v[19:20], v[19:20], v[23:24]
	v_add_f64 v[23:24], v[21:22], v[19:20]
	v_mul_f64 v[25:26], v[23:24], s[24:25]
	v_add_f64 v[21:22], v[23:24], -v[21:22]
	v_fma_f64 v[27:28], v[23:24], s[24:25], -v[25:26]
	v_add_f64 v[19:20], v[19:20], -v[21:22]
	v_fma_f64 v[21:22], v[23:24], s[30:31], v[27:28]
	v_fma_f64 v[21:22], v[19:20], s[24:25], v[21:22]
	v_add_f64 v[19:20], v[25:26], v[21:22]
	v_add_f64 v[23:24], v[19:20], -v[25:26]
	v_add_f64 v[21:22], v[21:22], -v[23:24]
.LBB103_39:                             ;   in Loop: Header=BB103_25 Depth=1
	s_andn2_saveexec_b64 s[6:7], s[60:61]
	s_cbranch_execz .LBB103_41
; %bb.40:                               ;   in Loop: Header=BB103_25 Depth=1
	v_mul_f64 v[19:20], |v[11:12]|, s[34:35]
	s_mov_b32 s28, s36
	v_rndne_f64_e32 v[23:24], v[19:20]
	v_fma_f64 v[19:20], v[23:24], s[26:27], |v[11:12]|
	v_mul_f64 v[21:22], v[23:24], s[36:37]
	v_cvt_i32_f64_e32 v57, v[23:24]
	v_fma_f64 v[29:30], v[23:24], s[36:37], v[19:20]
	v_add_f64 v[25:26], v[19:20], v[21:22]
	v_add_f64 v[27:28], v[19:20], -v[25:26]
	v_add_f64 v[25:26], v[25:26], -v[29:30]
	v_add_f64 v[19:20], v[27:28], v[21:22]
	v_fma_f64 v[21:22], v[23:24], s[28:29], v[21:22]
	v_add_f64 v[19:20], v[25:26], v[19:20]
	v_add_f64 v[19:20], v[19:20], -v[21:22]
	v_fma_f64 v[21:22], v[23:24], s[38:39], v[19:20]
	v_add_f64 v[19:20], v[29:30], v[21:22]
	v_add_f64 v[25:26], v[19:20], -v[29:30]
	v_add_f64 v[21:22], v[21:22], -v[25:26]
.LBB103_41:                             ;   in Loop: Header=BB103_25 Depth=1
	s_or_b64 exec, exec, s[6:7]
	v_cmp_nlt_f64_e64 s[6:7], |v[9:10]|, s[18:19]
                                        ; implicit-def: $vgpr58
                                        ; implicit-def: $vgpr23_vgpr24
                                        ; implicit-def: $vgpr25_vgpr26
	s_and_saveexec_b64 s[8:9], s[6:7]
	s_xor_b64 s[60:61], exec, s[8:9]
	s_cbranch_execz .LBB103_43
; %bb.42:                               ;   in Loop: Header=BB103_25 Depth=1
	v_trig_preop_f64 v[23:24], |v[9:10]|, 0
	v_ldexp_f64 v[27:28], |v[9:10]|, s63
	v_cmp_ge_f64_e64 s[6:7], |v[9:10]|, s[20:21]
	v_trig_preop_f64 v[25:26], |v[9:10]|, 1
	v_and_b32_e32 v2, 0x7fffffff, v10
	v_trig_preop_f64 v[62:63], |v[9:10]|, 2
	s_mov_b32 s24, s26
	s_mov_b32 s31, s29
	v_cndmask_b32_e64 v28, v2, v28, s[6:7]
	v_cndmask_b32_e64 v27, v9, v27, s[6:7]
	v_mul_f64 v[29:30], v[23:24], v[27:28]
	v_mul_f64 v[58:59], v[25:26], v[27:28]
	;; [unrolled: 1-line block ×3, first 2 shown]
	v_fma_f64 v[23:24], v[23:24], v[27:28], -v[29:30]
	v_fma_f64 v[25:26], v[25:26], v[27:28], -v[58:59]
	;; [unrolled: 1-line block ×3, first 2 shown]
	v_add_f64 v[60:61], v[58:59], v[23:24]
	v_add_f64 v[64:65], v[60:61], -v[58:59]
	v_add_f64 v[70:71], v[29:30], v[60:61]
	v_add_f64 v[66:67], v[60:61], -v[64:65]
	v_add_f64 v[23:24], v[23:24], -v[64:65]
	v_add_f64 v[64:65], v[68:69], v[25:26]
	v_add_f64 v[29:30], v[70:71], -v[29:30]
	v_add_f64 v[58:59], v[58:59], -v[66:67]
	v_ldexp_f64 v[66:67], v[70:71], -2
	v_add_f64 v[72:73], v[64:65], -v[68:69]
	v_add_f64 v[29:30], v[60:61], -v[29:30]
	v_add_f64 v[23:24], v[23:24], v[58:59]
	v_fract_f64_e32 v[58:59], v[66:67]
	v_cmp_neq_f64_e64 s[6:7], |v[66:67]|, s[22:23]
	v_add_f64 v[25:26], v[25:26], -v[72:73]
	v_add_f64 v[60:61], v[64:65], v[23:24]
	v_ldexp_f64 v[58:59], v[58:59], 2
	v_add_f64 v[66:67], v[29:30], v[60:61]
	v_cndmask_b32_e64 v59, 0, v59, s[6:7]
	v_cndmask_b32_e64 v58, 0, v58, s[6:7]
	v_add_f64 v[74:75], v[60:61], -v[64:65]
	v_add_f64 v[70:71], v[66:67], v[58:59]
	v_add_f64 v[29:30], v[66:67], -v[29:30]
	v_add_f64 v[76:77], v[60:61], -v[74:75]
	;; [unrolled: 1-line block ×3, first 2 shown]
	v_cmp_gt_f64_e64 s[6:7], 0, v[70:71]
	v_add_f64 v[70:71], v[64:65], -v[72:73]
	v_add_f64 v[29:30], v[60:61], -v[29:30]
	v_add_f64 v[64:65], v[64:65], -v[76:77]
	v_cndmask_b32_e64 v2, 0, v53, s[6:7]
	v_add_f64 v[58:59], v[58:59], v[1:2]
	v_add_f64 v[70:71], v[68:69], -v[70:71]
	v_add_f64 v[23:24], v[23:24], v[64:65]
	v_add_f64 v[78:79], v[66:67], v[58:59]
	;; [unrolled: 1-line block ×3, first 2 shown]
	v_cvt_i32_f64_e32 v2, v[78:79]
	v_add_f64 v[23:24], v[25:26], v[23:24]
	v_cvt_f64_i32_e32 v[72:73], v2
	v_add_f64 v[58:59], v[58:59], -v[72:73]
	v_add_f64 v[23:24], v[27:28], v[23:24]
	v_add_f64 v[25:26], v[66:67], v[58:59]
	;; [unrolled: 1-line block ×3, first 2 shown]
	v_add_f64 v[27:28], v[25:26], -v[58:59]
	v_cmp_le_f64_e64 s[6:7], 0.5, v[25:26]
	v_add_f64 v[27:28], v[66:67], -v[27:28]
	v_addc_co_u32_e64 v58, s[8:9], 0, v2, s[6:7]
	v_cndmask_b32_e64 v2, 0, v54, s[6:7]
	v_add_f64 v[25:26], v[25:26], -v[1:2]
	v_add_f64 v[23:24], v[23:24], v[27:28]
	v_add_f64 v[27:28], v[25:26], v[23:24]
	v_mul_f64 v[29:30], v[27:28], s[24:25]
	v_add_f64 v[25:26], v[27:28], -v[25:26]
	v_fma_f64 v[59:60], v[27:28], s[24:25], -v[29:30]
	v_add_f64 v[23:24], v[23:24], -v[25:26]
	v_fma_f64 v[25:26], v[27:28], s[30:31], v[59:60]
	v_fma_f64 v[25:26], v[23:24], s[24:25], v[25:26]
	v_add_f64 v[23:24], v[29:30], v[25:26]
	v_add_f64 v[27:28], v[23:24], -v[29:30]
	v_add_f64 v[25:26], v[25:26], -v[27:28]
.LBB103_43:                             ;   in Loop: Header=BB103_25 Depth=1
	s_andn2_saveexec_b64 s[6:7], s[60:61]
	s_cbranch_execz .LBB103_45
; %bb.44:                               ;   in Loop: Header=BB103_25 Depth=1
	v_mul_f64 v[23:24], |v[9:10]|, s[34:35]
	s_mov_b32 s28, s36
	v_rndne_f64_e32 v[27:28], v[23:24]
	v_fma_f64 v[23:24], v[27:28], s[26:27], |v[9:10]|
	v_mul_f64 v[25:26], v[27:28], s[36:37]
	v_fma_f64 v[60:61], v[27:28], s[36:37], v[23:24]
	v_add_f64 v[29:30], v[23:24], v[25:26]
	v_add_f64 v[58:59], v[23:24], -v[29:30]
	v_add_f64 v[29:30], v[29:30], -v[60:61]
	v_add_f64 v[23:24], v[58:59], v[25:26]
	v_fma_f64 v[25:26], v[27:28], s[28:29], v[25:26]
	v_cvt_i32_f64_e32 v58, v[27:28]
	v_add_f64 v[23:24], v[29:30], v[23:24]
	v_add_f64 v[23:24], v[23:24], -v[25:26]
	v_fma_f64 v[25:26], v[27:28], s[38:39], v[23:24]
	v_add_f64 v[23:24], v[60:61], v[25:26]
	v_add_f64 v[29:30], v[23:24], -v[60:61]
	v_add_f64 v[25:26], v[25:26], -v[29:30]
.LBB103_45:                             ;   in Loop: Header=BB103_25 Depth=1
	s_or_b64 exec, exec, s[6:7]
	v_cmp_nlt_f64_e64 s[6:7], |v[7:8]|, s[18:19]
                                        ; implicit-def: $vgpr59
                                        ; implicit-def: $vgpr27_vgpr28
                                        ; implicit-def: $vgpr29_vgpr30
	s_and_saveexec_b64 s[8:9], s[6:7]
	s_xor_b64 s[60:61], exec, s[8:9]
	s_cbranch_execnz .LBB103_51
; %bb.46:                               ;   in Loop: Header=BB103_25 Depth=1
	s_andn2_saveexec_b64 s[6:7], s[60:61]
	s_cbranch_execnz .LBB103_52
.LBB103_47:                             ;   in Loop: Header=BB103_25 Depth=1
	s_or_b64 exec, exec, s[6:7]
	s_and_saveexec_b64 s[6:7], s[4:5]
	s_xor_b64 s[60:61], exec, s[6:7]
	s_cbranch_execnz .LBB103_53
.LBB103_48:                             ;   in Loop: Header=BB103_25 Depth=1
	s_or_b64 exec, exec, s[60:61]
	s_and_saveexec_b64 s[6:7], s[2:3]
	s_cbranch_execnz .LBB103_54
.LBB103_49:                             ;   in Loop: Header=BB103_25 Depth=1
	s_or_b64 exec, exec, s[6:7]
	s_and_saveexec_b64 s[4:5], s[0:1]
	s_cbranch_execnz .LBB103_55
.LBB103_50:                             ;   in Loop: Header=BB103_25 Depth=1
	s_or_b64 exec, exec, s[4:5]
	s_and_saveexec_b64 s[2:3], vcc
	s_cbranch_execz .LBB103_24
	s_branch .LBB103_56
.LBB103_51:                             ;   in Loop: Header=BB103_25 Depth=1
	v_trig_preop_f64 v[27:28], |v[7:8]|, 0
	v_cmp_ge_f64_e64 s[6:7], |v[7:8]|, s[20:21]
	v_ldexp_f64 v[59:60], |v[7:8]|, s63
	v_trig_preop_f64 v[29:30], |v[7:8]|, 1
	v_and_b32_e32 v2, 0x7fffffff, v8
	s_mov_b32 s24, s26
	s_mov_b32 s31, s29
	v_cndmask_b32_e64 v60, v2, v60, s[6:7]
	v_cndmask_b32_e64 v59, v7, v59, s[6:7]
	v_mul_f64 v[63:64], v[27:28], v[59:60]
	v_mul_f64 v[61:62], v[29:30], v[59:60]
	v_fma_f64 v[27:28], v[27:28], v[59:60], -v[63:64]
	v_fma_f64 v[29:30], v[29:30], v[59:60], -v[61:62]
	v_add_f64 v[65:66], v[61:62], v[27:28]
	v_add_f64 v[73:74], v[65:66], -v[61:62]
	v_add_f64 v[67:68], v[63:64], v[65:66]
	v_add_f64 v[27:28], v[27:28], -v[73:74]
	v_add_f64 v[73:74], v[65:66], -v[73:74]
	v_ldexp_f64 v[69:70], v[67:68], -2
	v_add_f64 v[63:64], v[67:68], -v[63:64]
	v_add_f64 v[73:74], v[61:62], -v[73:74]
	v_trig_preop_f64 v[61:62], |v[7:8]|, 2
	v_fract_f64_e32 v[71:72], v[69:70]
	v_add_f64 v[63:64], v[65:66], -v[63:64]
	v_cmp_neq_f64_e64 s[6:7], |v[69:70]|, s[22:23]
	v_add_f64 v[27:28], v[27:28], v[73:74]
	v_mul_f64 v[73:74], v[61:62], v[59:60]
	v_add_f64 v[75:76], v[73:74], v[29:30]
	v_add_f64 v[77:78], v[75:76], v[27:28]
	v_add_f64 v[67:68], v[77:78], -v[75:76]
	v_add_f64 v[65:66], v[63:64], v[77:78]
	v_add_f64 v[27:28], v[27:28], -v[67:68]
	v_add_f64 v[67:68], v[77:78], -v[67:68]
	;; [unrolled: 1-line block ×5, first 2 shown]
	v_add_f64 v[27:28], v[27:28], v[67:68]
	v_add_f64 v[67:68], v[75:76], -v[73:74]
	v_add_f64 v[29:30], v[29:30], -v[67:68]
	;; [unrolled: 1-line block ×4, first 2 shown]
	v_add_f64 v[29:30], v[29:30], v[67:68]
	v_add_f64 v[27:28], v[29:30], v[27:28]
	v_fma_f64 v[29:30], v[61:62], v[59:60], -v[73:74]
	v_add_f64 v[27:28], v[29:30], v[27:28]
	v_ldexp_f64 v[29:30], v[71:72], 2
	v_add_f64 v[27:28], v[63:64], v[27:28]
	v_cndmask_b32_e64 v30, 0, v30, s[6:7]
	v_cndmask_b32_e64 v29, 0, v29, s[6:7]
	v_add_f64 v[59:60], v[65:66], v[29:30]
	v_cmp_gt_f64_e64 s[6:7], 0, v[59:60]
	v_cndmask_b32_e64 v2, 0, v53, s[6:7]
	v_add_f64 v[29:30], v[29:30], v[1:2]
	v_add_f64 v[59:60], v[65:66], v[29:30]
	v_cvt_i32_f64_e32 v2, v[59:60]
	v_cvt_f64_i32_e32 v[59:60], v2
	v_add_f64 v[29:30], v[29:30], -v[59:60]
	v_add_f64 v[60:61], v[65:66], v[29:30]
	v_add_f64 v[29:30], v[60:61], -v[29:30]
	v_cmp_le_f64_e64 s[6:7], 0.5, v[60:61]
	v_add_f64 v[29:30], v[65:66], -v[29:30]
	v_addc_co_u32_e64 v59, s[8:9], 0, v2, s[6:7]
	v_cndmask_b32_e64 v2, 0, v54, s[6:7]
	v_add_f64 v[27:28], v[27:28], v[29:30]
	v_add_f64 v[29:30], v[60:61], -v[1:2]
	v_add_f64 v[60:61], v[29:30], v[27:28]
	v_add_f64 v[29:30], v[60:61], -v[29:30]
	v_add_f64 v[27:28], v[27:28], -v[29:30]
	v_mul_f64 v[29:30], v[60:61], s[24:25]
	v_fma_f64 v[62:63], v[60:61], s[24:25], -v[29:30]
	v_fma_f64 v[60:61], v[60:61], s[30:31], v[62:63]
	v_fma_f64 v[60:61], v[27:28], s[24:25], v[60:61]
	v_add_f64 v[27:28], v[29:30], v[60:61]
	v_add_f64 v[29:30], v[27:28], -v[29:30]
	v_add_f64 v[29:30], v[60:61], -v[29:30]
	s_andn2_saveexec_b64 s[6:7], s[60:61]
	s_cbranch_execz .LBB103_47
.LBB103_52:                             ;   in Loop: Header=BB103_25 Depth=1
	v_mul_f64 v[27:28], |v[7:8]|, s[34:35]
	s_mov_b32 s28, s36
	v_rndne_f64_e32 v[59:60], v[27:28]
	v_fma_f64 v[27:28], v[59:60], s[26:27], |v[7:8]|
	v_mul_f64 v[29:30], v[59:60], s[36:37]
	v_fma_f64 v[65:66], v[59:60], s[36:37], v[27:28]
	v_add_f64 v[61:62], v[27:28], v[29:30]
	v_add_f64 v[63:64], v[27:28], -v[61:62]
	v_add_f64 v[61:62], v[61:62], -v[65:66]
	v_add_f64 v[27:28], v[63:64], v[29:30]
	v_fma_f64 v[29:30], v[59:60], s[28:29], v[29:30]
	v_add_f64 v[27:28], v[61:62], v[27:28]
	v_add_f64 v[27:28], v[27:28], -v[29:30]
	v_fma_f64 v[29:30], v[59:60], s[38:39], v[27:28]
	v_cvt_i32_f64_e32 v59, v[59:60]
	v_add_f64 v[27:28], v[65:66], v[29:30]
	v_add_f64 v[61:62], v[27:28], -v[65:66]
	v_add_f64 v[29:30], v[29:30], -v[61:62]
	s_or_b64 exec, exec, s[6:7]
	s_and_saveexec_b64 s[6:7], s[4:5]
	s_xor_b64 s[60:61], exec, s[6:7]
	s_cbranch_execz .LBB103_48
.LBB103_53:                             ;   in Loop: Header=BB103_25 Depth=1
	v_mul_f64 v[60:61], v[15:16], v[15:16]
	v_mul_f64 v[70:71], v[17:18], 0.5
	s_mov_b32 s58, s48
	v_cmp_class_f64_e64 s[4:5], v[13:14], s64
	v_and_b32_e32 v2, 1, v56
	v_cmp_eq_u32_e64 s[8:9], 0, v2
	v_add_co_u32_e64 v13, s[6:7], s10, v33
	v_fma_f64 v[62:63], v[60:61], s[50:51], v[5:6]
	v_fma_f64 v[64:65], v[60:61], s[40:41], v[3:4]
	v_mul_f64 v[66:67], v[60:61], 0.5
	v_mul_f64 v[72:73], v[15:16], -v[60:61]
	v_fma_f64 v[62:63], v[60:61], v[62:63], s[52:53]
	v_fma_f64 v[64:65], v[60:61], v[64:65], s[42:43]
	v_add_f64 v[68:69], -v[66:67], 1.0
	v_fma_f64 v[62:63], v[60:61], v[62:63], s[54:55]
	v_fma_f64 v[64:65], v[60:61], v[64:65], s[44:45]
	v_add_f64 v[74:75], -v[68:69], 1.0
	v_fma_f64 v[62:63], v[60:61], v[62:63], s[56:57]
	v_fma_f64 v[64:65], v[60:61], v[64:65], s[46:47]
	v_add_f64 v[66:67], v[74:75], -v[66:67]
	v_fma_f64 v[62:63], v[72:73], v[62:63], v[70:71]
	v_mul_f64 v[70:71], v[60:61], v[60:61]
	v_fma_f64 v[64:65], v[60:61], v[64:65], s[48:49]
	v_fma_f64 v[66:67], v[15:16], -v[17:18], v[66:67]
	v_fma_f64 v[17:18], v[60:61], v[62:63], -v[17:18]
	v_fma_f64 v[60:61], v[70:71], v[64:65], v[66:67]
	v_fma_f64 v[17:18], v[72:73], s[58:59], v[17:18]
	v_add_f64 v[60:61], v[68:69], v[60:61]
	v_add_f64 v[15:16], v[15:16], -v[17:18]
	v_lshlrev_b32_e32 v17, 30, v56
	v_xor_b32_e32 v2, v17, v14
	v_and_b32_e32 v2, 0x80000000, v2
	v_mov_b32_e32 v18, s11
	v_cndmask_b32_e64 v14, v60, v15, s[8:9]
	v_cndmask_b32_e64 v15, v61, v16, s[8:9]
	v_xor_b32_e32 v2, v15, v2
	v_cndmask_b32_e64 v15, 0, v14, s[4:5]
	v_cndmask_b32_e64 v16, v55, v2, s[4:5]
	v_addc_co_u32_e64 v14, s[4:5], v34, v18, s[6:7]
	global_store_dwordx2 v[13:14], v[15:16], off
	s_or_b64 exec, exec, s[60:61]
	s_and_saveexec_b64 s[6:7], s[2:3]
	s_cbranch_execz .LBB103_49
.LBB103_54:                             ;   in Loop: Header=BB103_25 Depth=1
	v_mul_f64 v[13:14], v[19:20], v[19:20]
	v_mul_f64 v[64:65], v[21:22], 0.5
	s_mov_b32 s58, s48
	v_cmp_class_f64_e64 s[4:5], v[11:12], s64
	v_and_b32_e32 v2, 1, v57
	v_lshlrev_b32_e32 v11, 30, v57
	v_cmp_eq_u32_e64 s[2:3], 0, v2
	v_xor_b32_e32 v11, v11, v12
	v_fma_f64 v[15:16], v[13:14], s[50:51], v[5:6]
	v_fma_f64 v[17:18], v[13:14], s[40:41], v[3:4]
	v_mul_f64 v[60:61], v[13:14], 0.5
	v_mul_f64 v[66:67], v[19:20], -v[13:14]
	v_and_b32_e32 v11, 0x80000000, v11
	v_fma_f64 v[15:16], v[13:14], v[15:16], s[52:53]
	v_fma_f64 v[17:18], v[13:14], v[17:18], s[42:43]
	v_add_f64 v[62:63], -v[60:61], 1.0
	v_fma_f64 v[15:16], v[13:14], v[15:16], s[54:55]
	v_fma_f64 v[17:18], v[13:14], v[17:18], s[44:45]
	v_add_f64 v[68:69], -v[62:63], 1.0
	v_fma_f64 v[15:16], v[13:14], v[15:16], s[56:57]
	v_fma_f64 v[17:18], v[13:14], v[17:18], s[46:47]
	v_add_f64 v[60:61], v[68:69], -v[60:61]
	v_fma_f64 v[15:16], v[66:67], v[15:16], v[64:65]
	v_mul_f64 v[64:65], v[13:14], v[13:14]
	v_fma_f64 v[17:18], v[13:14], v[17:18], s[48:49]
	v_fma_f64 v[60:61], v[19:20], -v[21:22], v[60:61]
	v_fma_f64 v[13:14], v[13:14], v[15:16], -v[21:22]
	v_fma_f64 v[15:16], v[64:65], v[17:18], v[60:61]
	v_fma_f64 v[13:14], v[66:67], s[58:59], v[13:14]
	v_add_f64 v[15:16], v[62:63], v[15:16]
	v_add_f64 v[13:14], v[19:20], -v[13:14]
	v_cndmask_b32_e64 v12, v16, v14, s[2:3]
	v_cndmask_b32_e64 v2, v15, v13, s[2:3]
	v_mov_b32_e32 v15, s11
	v_xor_b32_e32 v12, v12, v11
	v_add_co_u32_e64 v13, s[2:3], s10, v47
	v_cndmask_b32_e64 v11, 0, v2, s[4:5]
	v_cndmask_b32_e64 v12, v55, v12, s[4:5]
	v_addc_co_u32_e64 v14, s[2:3], v48, v15, s[2:3]
	global_store_dwordx2 v[13:14], v[11:12], off
	s_or_b64 exec, exec, s[6:7]
	s_and_saveexec_b64 s[4:5], s[0:1]
	s_cbranch_execz .LBB103_50
.LBB103_55:                             ;   in Loop: Header=BB103_25 Depth=1
	v_mul_f64 v[11:12], v[23:24], v[23:24]
	v_mul_f64 v[21:22], v[25:26], 0.5
	s_mov_b32 s58, s48
	v_cmp_class_f64_e64 s[2:3], v[9:10], s64
	v_and_b32_e32 v2, 1, v58
	v_lshlrev_b32_e32 v9, 30, v58
	v_cmp_eq_u32_e64 s[0:1], 0, v2
	v_xor_b32_e32 v9, v9, v10
	v_fma_f64 v[13:14], v[11:12], s[50:51], v[5:6]
	v_fma_f64 v[15:16], v[11:12], s[40:41], v[3:4]
	v_mul_f64 v[17:18], v[11:12], 0.5
	v_mul_f64 v[56:57], v[23:24], -v[11:12]
	v_and_b32_e32 v9, 0x80000000, v9
	v_fma_f64 v[13:14], v[11:12], v[13:14], s[52:53]
	v_fma_f64 v[15:16], v[11:12], v[15:16], s[42:43]
	v_add_f64 v[19:20], -v[17:18], 1.0
	v_fma_f64 v[13:14], v[11:12], v[13:14], s[54:55]
	v_fma_f64 v[15:16], v[11:12], v[15:16], s[44:45]
	v_add_f64 v[60:61], -v[19:20], 1.0
	v_fma_f64 v[13:14], v[11:12], v[13:14], s[56:57]
	v_fma_f64 v[15:16], v[11:12], v[15:16], s[46:47]
	v_add_f64 v[17:18], v[60:61], -v[17:18]
	v_fma_f64 v[13:14], v[56:57], v[13:14], v[21:22]
	v_mul_f64 v[21:22], v[11:12], v[11:12]
	v_fma_f64 v[15:16], v[11:12], v[15:16], s[48:49]
	v_fma_f64 v[17:18], v[23:24], -v[25:26], v[17:18]
	v_fma_f64 v[11:12], v[11:12], v[13:14], -v[25:26]
	v_fma_f64 v[13:14], v[21:22], v[15:16], v[17:18]
	v_fma_f64 v[11:12], v[56:57], s[58:59], v[11:12]
	v_add_f64 v[13:14], v[19:20], v[13:14]
	v_add_f64 v[11:12], v[23:24], -v[11:12]
	v_cndmask_b32_e64 v10, v14, v12, s[0:1]
	v_cndmask_b32_e64 v2, v13, v11, s[0:1]
	v_mov_b32_e32 v13, s11
	v_xor_b32_e32 v10, v10, v9
	v_add_co_u32_e64 v11, s[0:1], s10, v41
	v_cndmask_b32_e64 v9, 0, v2, s[2:3]
	v_cndmask_b32_e64 v10, v55, v10, s[2:3]
	v_addc_co_u32_e64 v12, s[0:1], v42, v13, s[0:1]
	global_store_dwordx2 v[11:12], v[9:10], off
	s_or_b64 exec, exec, s[4:5]
	s_and_saveexec_b64 s[2:3], vcc
	s_cbranch_execz .LBB103_24
.LBB103_56:                             ;   in Loop: Header=BB103_25 Depth=1
	v_mul_f64 v[9:10], v[27:28], v[27:28]
	v_mul_f64 v[19:20], v[29:30], 0.5
	s_mov_b32 s58, s48
	v_cmp_class_f64_e64 s[0:1], v[7:8], s64
	v_and_b32_e32 v2, 1, v59
	v_lshlrev_b32_e32 v7, 30, v59
	v_cmp_eq_u32_e32 vcc, 0, v2
	v_xor_b32_e32 v7, v7, v8
	v_fma_f64 v[11:12], v[9:10], s[50:51], v[5:6]
	v_fma_f64 v[13:14], v[9:10], s[40:41], v[3:4]
	v_mul_f64 v[15:16], v[9:10], 0.5
	v_mul_f64 v[21:22], v[27:28], -v[9:10]
	v_and_b32_e32 v7, 0x80000000, v7
	v_fma_f64 v[11:12], v[9:10], v[11:12], s[52:53]
	v_fma_f64 v[13:14], v[9:10], v[13:14], s[42:43]
	v_add_f64 v[17:18], -v[15:16], 1.0
	v_fma_f64 v[11:12], v[9:10], v[11:12], s[54:55]
	v_fma_f64 v[13:14], v[9:10], v[13:14], s[44:45]
	v_add_f64 v[23:24], -v[17:18], 1.0
	v_fma_f64 v[11:12], v[9:10], v[11:12], s[56:57]
	v_fma_f64 v[13:14], v[9:10], v[13:14], s[46:47]
	v_add_f64 v[15:16], v[23:24], -v[15:16]
	v_fma_f64 v[11:12], v[21:22], v[11:12], v[19:20]
	v_mul_f64 v[19:20], v[9:10], v[9:10]
	v_fma_f64 v[13:14], v[9:10], v[13:14], s[48:49]
	v_fma_f64 v[15:16], v[27:28], -v[29:30], v[15:16]
	v_fma_f64 v[9:10], v[9:10], v[11:12], -v[29:30]
	v_fma_f64 v[11:12], v[19:20], v[13:14], v[15:16]
	v_fma_f64 v[9:10], v[21:22], s[58:59], v[9:10]
	v_add_f64 v[11:12], v[17:18], v[11:12]
	v_add_f64 v[9:10], v[27:28], -v[9:10]
	v_cndmask_b32_e32 v8, v12, v10, vcc
	v_cndmask_b32_e32 v2, v11, v9, vcc
	v_mov_b32_e32 v11, s11
	v_xor_b32_e32 v8, v8, v7
	v_add_co_u32_e32 v9, vcc, s10, v37
	v_cndmask_b32_e64 v7, 0, v2, s[0:1]
	v_cndmask_b32_e64 v8, v55, v8, s[0:1]
	v_addc_co_u32_e32 v10, vcc, v38, v11, vcc
	global_store_dwordx2 v[9:10], v[7:8], off
	s_branch .LBB103_24
.LBB103_57:
	s_endpgm
	.section	.rodata,"a",@progbits
	.p2align	6, 0x0
	.amdhsa_kernel _ZN2at6native12_GLOBAL__N_125multi_tensor_apply_kernelINS1_18TensorListMetadataILi2EEENS1_14UnaryOpFunctorIdLi2ELi1ELi1EEEJNS0_3SinIdEEEEEvT_T0_DpT1_
		.amdhsa_group_segment_fixed_size 0
		.amdhsa_private_segment_fixed_size 0
		.amdhsa_kernarg_size 3408
		.amdhsa_user_sgpr_count 6
		.amdhsa_user_sgpr_private_segment_buffer 1
		.amdhsa_user_sgpr_dispatch_ptr 0
		.amdhsa_user_sgpr_queue_ptr 0
		.amdhsa_user_sgpr_kernarg_segment_ptr 1
		.amdhsa_user_sgpr_dispatch_id 0
		.amdhsa_user_sgpr_flat_scratch_init 0
		.amdhsa_user_sgpr_private_segment_size 0
		.amdhsa_uses_dynamic_stack 0
		.amdhsa_system_sgpr_private_segment_wavefront_offset 0
		.amdhsa_system_sgpr_workgroup_id_x 1
		.amdhsa_system_sgpr_workgroup_id_y 0
		.amdhsa_system_sgpr_workgroup_id_z 0
		.amdhsa_system_sgpr_workgroup_info 0
		.amdhsa_system_vgpr_workitem_id 0
		.amdhsa_next_free_vgpr 80
		.amdhsa_next_free_sgpr 69
		.amdhsa_reserve_vcc 1
		.amdhsa_reserve_flat_scratch 0
		.amdhsa_float_round_mode_32 0
		.amdhsa_float_round_mode_16_64 0
		.amdhsa_float_denorm_mode_32 3
		.amdhsa_float_denorm_mode_16_64 3
		.amdhsa_dx10_clamp 1
		.amdhsa_ieee_mode 1
		.amdhsa_fp16_overflow 0
		.amdhsa_exception_fp_ieee_invalid_op 0
		.amdhsa_exception_fp_denorm_src 0
		.amdhsa_exception_fp_ieee_div_zero 0
		.amdhsa_exception_fp_ieee_overflow 0
		.amdhsa_exception_fp_ieee_underflow 0
		.amdhsa_exception_fp_ieee_inexact 0
		.amdhsa_exception_int_div_zero 0
	.end_amdhsa_kernel
	.section	.text._ZN2at6native12_GLOBAL__N_125multi_tensor_apply_kernelINS1_18TensorListMetadataILi2EEENS1_14UnaryOpFunctorIdLi2ELi1ELi1EEEJNS0_3SinIdEEEEEvT_T0_DpT1_,"axG",@progbits,_ZN2at6native12_GLOBAL__N_125multi_tensor_apply_kernelINS1_18TensorListMetadataILi2EEENS1_14UnaryOpFunctorIdLi2ELi1ELi1EEEJNS0_3SinIdEEEEEvT_T0_DpT1_,comdat
.Lfunc_end103:
	.size	_ZN2at6native12_GLOBAL__N_125multi_tensor_apply_kernelINS1_18TensorListMetadataILi2EEENS1_14UnaryOpFunctorIdLi2ELi1ELi1EEEJNS0_3SinIdEEEEEvT_T0_DpT1_, .Lfunc_end103-_ZN2at6native12_GLOBAL__N_125multi_tensor_apply_kernelINS1_18TensorListMetadataILi2EEENS1_14UnaryOpFunctorIdLi2ELi1ELi1EEEJNS0_3SinIdEEEEEvT_T0_DpT1_
                                        ; -- End function
	.set _ZN2at6native12_GLOBAL__N_125multi_tensor_apply_kernelINS1_18TensorListMetadataILi2EEENS1_14UnaryOpFunctorIdLi2ELi1ELi1EEEJNS0_3SinIdEEEEEvT_T0_DpT1_.num_vgpr, 80
	.set _ZN2at6native12_GLOBAL__N_125multi_tensor_apply_kernelINS1_18TensorListMetadataILi2EEENS1_14UnaryOpFunctorIdLi2ELi1ELi1EEEJNS0_3SinIdEEEEEvT_T0_DpT1_.num_agpr, 0
	.set _ZN2at6native12_GLOBAL__N_125multi_tensor_apply_kernelINS1_18TensorListMetadataILi2EEENS1_14UnaryOpFunctorIdLi2ELi1ELi1EEEJNS0_3SinIdEEEEEvT_T0_DpT1_.numbered_sgpr, 69
	.set _ZN2at6native12_GLOBAL__N_125multi_tensor_apply_kernelINS1_18TensorListMetadataILi2EEENS1_14UnaryOpFunctorIdLi2ELi1ELi1EEEJNS0_3SinIdEEEEEvT_T0_DpT1_.num_named_barrier, 0
	.set _ZN2at6native12_GLOBAL__N_125multi_tensor_apply_kernelINS1_18TensorListMetadataILi2EEENS1_14UnaryOpFunctorIdLi2ELi1ELi1EEEJNS0_3SinIdEEEEEvT_T0_DpT1_.private_seg_size, 0
	.set _ZN2at6native12_GLOBAL__N_125multi_tensor_apply_kernelINS1_18TensorListMetadataILi2EEENS1_14UnaryOpFunctorIdLi2ELi1ELi1EEEJNS0_3SinIdEEEEEvT_T0_DpT1_.uses_vcc, 1
	.set _ZN2at6native12_GLOBAL__N_125multi_tensor_apply_kernelINS1_18TensorListMetadataILi2EEENS1_14UnaryOpFunctorIdLi2ELi1ELi1EEEJNS0_3SinIdEEEEEvT_T0_DpT1_.uses_flat_scratch, 0
	.set _ZN2at6native12_GLOBAL__N_125multi_tensor_apply_kernelINS1_18TensorListMetadataILi2EEENS1_14UnaryOpFunctorIdLi2ELi1ELi1EEEJNS0_3SinIdEEEEEvT_T0_DpT1_.has_dyn_sized_stack, 0
	.set _ZN2at6native12_GLOBAL__N_125multi_tensor_apply_kernelINS1_18TensorListMetadataILi2EEENS1_14UnaryOpFunctorIdLi2ELi1ELi1EEEJNS0_3SinIdEEEEEvT_T0_DpT1_.has_recursion, 0
	.set _ZN2at6native12_GLOBAL__N_125multi_tensor_apply_kernelINS1_18TensorListMetadataILi2EEENS1_14UnaryOpFunctorIdLi2ELi1ELi1EEEJNS0_3SinIdEEEEEvT_T0_DpT1_.has_indirect_call, 0
	.section	.AMDGPU.csdata,"",@progbits
; Kernel info:
; codeLenInByte = 9816
; TotalNumSgprs: 73
; NumVgprs: 80
; ScratchSize: 0
; MemoryBound: 0
; FloatMode: 240
; IeeeMode: 1
; LDSByteSize: 0 bytes/workgroup (compile time only)
; SGPRBlocks: 9
; VGPRBlocks: 19
; NumSGPRsForWavesPerEU: 73
; NumVGPRsForWavesPerEU: 80
; Occupancy: 3
; WaveLimiterHint : 0
; COMPUTE_PGM_RSRC2:SCRATCH_EN: 0
; COMPUTE_PGM_RSRC2:USER_SGPR: 6
; COMPUTE_PGM_RSRC2:TRAP_HANDLER: 0
; COMPUTE_PGM_RSRC2:TGID_X_EN: 1
; COMPUTE_PGM_RSRC2:TGID_Y_EN: 0
; COMPUTE_PGM_RSRC2:TGID_Z_EN: 0
; COMPUTE_PGM_RSRC2:TIDIG_COMP_CNT: 0
	.section	.text._ZN2at6native12_GLOBAL__N_125multi_tensor_apply_kernelINS1_18TensorListMetadataILi2EEENS1_14UnaryOpFunctorIfLi2ELi1ELi1EEEJNS0_3SinIfEEEEEvT_T0_DpT1_,"axG",@progbits,_ZN2at6native12_GLOBAL__N_125multi_tensor_apply_kernelINS1_18TensorListMetadataILi2EEENS1_14UnaryOpFunctorIfLi2ELi1ELi1EEEJNS0_3SinIfEEEEEvT_T0_DpT1_,comdat
	.globl	_ZN2at6native12_GLOBAL__N_125multi_tensor_apply_kernelINS1_18TensorListMetadataILi2EEENS1_14UnaryOpFunctorIfLi2ELi1ELi1EEEJNS0_3SinIfEEEEEvT_T0_DpT1_ ; -- Begin function _ZN2at6native12_GLOBAL__N_125multi_tensor_apply_kernelINS1_18TensorListMetadataILi2EEENS1_14UnaryOpFunctorIfLi2ELi1ELi1EEEJNS0_3SinIfEEEEEvT_T0_DpT1_
	.p2align	8
	.type	_ZN2at6native12_GLOBAL__N_125multi_tensor_apply_kernelINS1_18TensorListMetadataILi2EEENS1_14UnaryOpFunctorIfLi2ELi1ELi1EEEJNS0_3SinIfEEEEEvT_T0_DpT1_,@function
_ZN2at6native12_GLOBAL__N_125multi_tensor_apply_kernelINS1_18TensorListMetadataILi2EEENS1_14UnaryOpFunctorIfLi2ELi1ELi1EEEJNS0_3SinIfEEEEEvT_T0_DpT1_: ; @_ZN2at6native12_GLOBAL__N_125multi_tensor_apply_kernelINS1_18TensorListMetadataILi2EEENS1_14UnaryOpFunctorIfLi2ELi1ELi1EEEJNS0_3SinIfEEEEEvT_T0_DpT1_
; %bb.0:
	v_mov_b32_e32 v1, s6
	global_load_ubyte v1, v1, s[4:5] offset:1536
	s_add_u32 s0, s4, s6
	s_mul_hi_u32 s2, s6, 3
	s_mul_i32 s6, s6, 3
	s_addc_u32 s7, s5, 0
	s_add_u32 s6, s0, s6
	s_addc_u32 s7, s7, s2
	s_load_dword s6, s[6:7], 0x740
	s_mov_b32 s1, 0
	s_mov_b32 s3, s1
	s_waitcnt lgkmcnt(0)
	s_ashr_i32 s7, s6, 31
	s_lshl_b64 s[14:15], s[6:7], 18
	s_lshl_b64 s[6:7], s[6:7], 16
	s_waitcnt vmcnt(0)
	v_readfirstlane_b32 s0, v1
	s_lshl_b32 s0, s0, 3
	s_load_dwordx2 s[16:17], s[4:5], s0 offset:0x400
	s_load_dwordx2 s[10:11], s[4:5], s0 offset:0x0
	;; [unrolled: 1-line block ×3, first 2 shown]
	s_waitcnt lgkmcnt(0)
	s_add_u32 s0, s10, s14
	s_and_b32 s2, s8, 15
	s_and_b32 s0, s0, 15
	s_sub_u32 s12, s16, s6
	s_subb_u32 s13, s17, s7
	s_and_b32 s6, s16, 3
	s_mov_b32 s7, s1
	s_or_b64 s[2:3], s[2:3], s[6:7]
	s_or_b64 s[0:1], s[2:3], s[0:1]
	s_cmp_eq_u64 s[0:1], 0
	s_mov_b64 s[0:1], -1
	s_cbranch_scc0 .LBB104_21
; %bb.1:
	v_mov_b32_e32 v1, 0x10000
	v_mov_b32_e32 v2, 0
	v_cmp_lt_i64_e32 vcc, s[12:13], v[1:2]
	v_mov_b32_e32 v6, 0
	s_and_b64 s[0:1], vcc, exec
	s_cselect_b32 s17, s13, 0
	s_cselect_b32 s16, s12, 0x10000
	v_lshlrev_b32_e32 v5, 2, v0
	v_cmp_gt_i64_e32 vcc, s[16:17], v[5:6]
	s_and_saveexec_b64 s[18:19], vcc
	s_cbranch_execz .LBB104_20
; %bb.2:
	s_load_dword s0, s[4:5], 0xc5c
	v_mov_b32_e32 v1, v6
	v_lshlrev_b32_e32 v2, 4, v0
	v_mov_b32_e32 v3, s15
	v_add_co_u32_e32 v9, vcc, s14, v2
	s_waitcnt lgkmcnt(0)
	s_and_b32 s24, s0, 0xffff
	v_mov_b32_e32 v8, v1
	v_addc_co_u32_e32 v10, vcc, 0, v3, vcc
	s_lshl_b32 s25, s24, 4
	s_mov_b64 s[20:21], 0
	v_mov_b32_e32 v11, s11
	s_brev_b32 s26, 18
	s_mov_b32 s27, 0xfe5163ab
	s_mov_b32 s28, 0x3c439041
	;; [unrolled: 1-line block ×10, first 2 shown]
	v_mov_b32_e32 v12, 0xbe2aaa9d
	v_mov_b32_e32 v13, 0x3d2aabf7
	;; [unrolled: 1-line block ×3, first 2 shown]
	s_movk_i32 s38, 0x1f8
	v_not_b32_e32 v15, 63
	v_not_b32_e32 v16, 31
	v_mov_b32_e32 v17, 0x7fc00000
	v_mov_b32_e32 v7, v0
	s_branch .LBB104_4
.LBB104_3:                              ;   in Loop: Header=BB104_4 Depth=1
	s_or_b64 exec, exec, s[0:1]
	v_mul_f32_e32 v29, v27, v27
	v_mov_b32_e32 v30, 0x3c0881c4
	v_fmac_f32_e32 v30, 0xb94c1982, v29
	v_fma_f32 v30, v29, v30, v12
	v_mul_f32_e32 v30, v29, v30
	v_fmac_f32_e32 v27, v27, v30
	v_mov_b32_e32 v30, 0xbab64f3b
	v_fmac_f32_e32 v30, 0x37d75334, v29
	v_fma_f32 v30, v29, v30, v13
	v_fma_f32 v30, v29, v30, v14
	v_fma_f32 v29, v29, v30, 1.0
	v_and_b32_e32 v30, 1, v26
	v_lshlrev_b32_e32 v26, 30, v26
	v_cmp_eq_u32_e32 vcc, 0, v30
	v_and_b32_e32 v26, 0x80000000, v26
	v_xor_b32_e32 v24, v24, v3
	v_cndmask_b32_e32 v27, v29, v27, vcc
	v_xor_b32_e32 v24, v24, v26
	v_xor_b32_e32 v24, v24, v27
	v_cmp_class_f32_e64 vcc, v3, s38
	v_cndmask_b32_e32 v3, v17, v24, vcc
	v_mul_f32_e32 v24, v23, v23
	v_mov_b32_e32 v26, 0x3c0881c4
	v_fmac_f32_e32 v26, 0xb94c1982, v24
	v_fma_f32 v26, v24, v26, v12
	v_mul_f32_e32 v26, v24, v26
	v_fmac_f32_e32 v23, v23, v26
	v_mov_b32_e32 v26, 0xbab64f3b
	v_fmac_f32_e32 v26, 0x37d75334, v24
	v_fma_f32 v26, v24, v26, v13
	v_fma_f32 v26, v24, v26, v14
	v_fma_f32 v24, v24, v26, 1.0
	v_and_b32_e32 v26, 1, v22
	v_lshlrev_b32_e32 v22, 30, v22
	v_cmp_eq_u32_e32 vcc, 0, v26
	v_and_b32_e32 v22, 0x80000000, v22
	v_xor_b32_e32 v21, v21, v2
	v_cndmask_b32_e32 v23, v24, v23, vcc
	v_xor_b32_e32 v21, v21, v22
	v_xor_b32_e32 v21, v21, v23
	v_cmp_class_f32_e64 vcc, v2, s38
	v_cndmask_b32_e32 v2, v17, v21, vcc
	;; [unrolled: 21-line block ×4, first 2 shown]
	v_add_co_u32_e32 v7, vcc, s24, v7
	v_addc_co_u32_e32 v8, vcc, 0, v8, vcc
	v_mov_b32_e32 v5, s9
	v_lshlrev_b64 v[18:19], 2, v[7:8]
	v_add_co_u32_e32 v20, vcc, s8, v9
	v_addc_co_u32_e32 v21, vcc, v5, v10, vcc
	v_cmp_le_i64_e32 vcc, s[16:17], v[18:19]
	global_store_dwordx4 v[20:21], v[1:4], off
	s_or_b64 s[20:21], vcc, s[20:21]
	v_add_co_u32_e32 v9, vcc, s25, v9
	v_addc_co_u32_e32 v10, vcc, 0, v10, vcc
	s_andn2_b64 exec, exec, s[20:21]
	s_cbranch_execz .LBB104_20
.LBB104_4:                              ; =>This Inner Loop Header: Depth=1
	v_add_co_u32_e32 v1, vcc, s10, v9
	v_addc_co_u32_e32 v2, vcc, v11, v10, vcc
	global_load_dwordx4 v[1:4], v[1:2], off
                                        ; implicit-def: $vgpr19
                                        ; implicit-def: $vgpr20
	s_waitcnt vmcnt(0)
	v_and_b32_e32 v18, 0x7fffffff, v1
	v_cmp_nlt_f32_e64 s[0:1], |v1|, s26
	s_and_saveexec_b64 s[2:3], s[0:1]
	s_xor_b64 s[22:23], exec, s[2:3]
	s_cbranch_execz .LBB104_6
; %bb.5:                                ;   in Loop: Header=BB104_4 Depth=1
	v_and_b32_e32 v5, 0x7fffff, v18
	v_or_b32_e32 v26, 0x800000, v5
	v_mad_u64_u32 v[19:20], s[0:1], v26, s27, 0
	v_mov_b32_e32 v5, v20
	v_mad_u64_u32 v[20:21], s[0:1], v26, s28, v[5:6]
	v_mov_b32_e32 v5, v21
	v_mad_u64_u32 v[21:22], s[0:1], v26, s29, v[5:6]
	v_mov_b32_e32 v5, v22
	v_mad_u64_u32 v[22:23], s[0:1], v26, s30, v[5:6]
	v_lshrrev_b32_e32 v5, 23, v18
	v_add_u32_e32 v25, 0xffffff88, v5
	v_mov_b32_e32 v5, v23
	v_mad_u64_u32 v[23:24], s[0:1], v26, s31, v[5:6]
	v_cmp_lt_u32_e32 vcc, 63, v25
	v_cndmask_b32_e32 v5, 0, v15, vcc
	v_add_u32_e32 v27, v5, v25
	v_mov_b32_e32 v5, v24
	v_mad_u64_u32 v[24:25], s[0:1], v26, s33, v[5:6]
	v_cmp_lt_u32_e64 s[0:1], 31, v27
	v_cndmask_b32_e64 v5, 0, v16, s[0:1]
	v_add_u32_e32 v27, v5, v27
	v_mov_b32_e32 v5, v25
	v_mad_u64_u32 v[25:26], s[2:3], v26, s34, v[5:6]
	v_cmp_lt_u32_e64 s[2:3], 31, v27
	v_cndmask_b32_e64 v5, 0, v16, s[2:3]
	v_add_u32_e32 v5, v5, v27
	v_cndmask_b32_e32 v27, v24, v22, vcc
	v_cndmask_b32_e32 v25, v25, v23, vcc
	;; [unrolled: 1-line block ×4, first 2 shown]
	v_cndmask_b32_e64 v26, v25, v27, s[0:1]
	v_cndmask_b32_e64 v24, v24, v25, s[0:1]
	;; [unrolled: 1-line block ×3, first 2 shown]
	v_cndmask_b32_e32 v20, v22, v20, vcc
	v_cndmask_b32_e64 v24, v24, v26, s[2:3]
	v_cndmask_b32_e64 v26, v26, v25, s[2:3]
	v_sub_u32_e32 v27, 32, v5
	v_cndmask_b32_e64 v22, v23, v20, s[0:1]
	v_alignbit_b32 v28, v24, v26, v27
	v_cmp_eq_u32_e64 s[6:7], 0, v5
	v_cndmask_b32_e64 v23, v25, v22, s[2:3]
	v_cndmask_b32_e64 v5, v28, v24, s[6:7]
	v_alignbit_b32 v24, v26, v23, v27
	v_cndmask_b32_e32 v19, v21, v19, vcc
	v_cndmask_b32_e64 v24, v24, v26, s[6:7]
	v_bfe_u32 v28, v5, 29, 1
	v_cndmask_b32_e64 v19, v20, v19, s[0:1]
	v_alignbit_b32 v25, v5, v24, 30
	v_sub_u32_e32 v29, 0, v28
	v_cndmask_b32_e64 v19, v22, v19, s[2:3]
	v_xor_b32_e32 v25, v25, v29
	v_alignbit_b32 v20, v23, v19, v27
	v_cndmask_b32_e64 v20, v20, v23, s[6:7]
	v_ffbh_u32_e32 v22, v25
	v_alignbit_b32 v21, v24, v20, 30
	v_min_u32_e32 v22, 32, v22
	v_alignbit_b32 v19, v20, v19, 30
	v_xor_b32_e32 v21, v21, v29
	v_sub_u32_e32 v23, 31, v22
	v_xor_b32_e32 v19, v19, v29
	v_alignbit_b32 v24, v25, v21, v23
	v_alignbit_b32 v19, v21, v19, v23
	;; [unrolled: 1-line block ×3, first 2 shown]
	v_ffbh_u32_e32 v21, v20
	v_min_u32_e32 v21, 32, v21
	v_lshrrev_b32_e32 v26, 29, v5
	v_not_b32_e32 v23, v21
	v_alignbit_b32 v19, v20, v19, v23
	v_lshlrev_b32_e32 v20, 31, v26
	v_or_b32_e32 v23, 0x33000000, v20
	v_add_lshl_u32 v21, v21, v22, 23
	v_lshrrev_b32_e32 v19, 9, v19
	v_sub_u32_e32 v21, v23, v21
	v_or_b32_e32 v20, 0.5, v20
	v_lshlrev_b32_e32 v22, 23, v22
	v_or_b32_e32 v19, v21, v19
	v_lshrrev_b32_e32 v21, 9, v24
	v_sub_u32_e32 v20, v20, v22
	v_or_b32_e32 v20, v21, v20
	v_mul_f32_e32 v21, 0x3fc90fda, v20
	v_fma_f32 v22, v20, s35, -v21
	v_fmac_f32_e32 v22, 0x33a22168, v20
	v_fmac_f32_e32 v22, 0x3fc90fda, v19
	v_lshrrev_b32_e32 v5, 30, v5
	v_add_f32_e32 v20, v21, v22
	v_add_u32_e32 v19, v28, v5
.LBB104_6:                              ;   in Loop: Header=BB104_4 Depth=1
	s_andn2_saveexec_b64 s[0:1], s[22:23]
; %bb.7:                                ;   in Loop: Header=BB104_4 Depth=1
	v_mul_f32_e64 v5, |v1|, s36
	v_rndne_f32_e32 v5, v5
	v_cvt_i32_f32_e32 v19, v5
	v_fma_f32 v20, v5, s37, |v1|
	v_fmac_f32_e32 v20, 0xb3a22168, v5
	v_fmac_f32_e32 v20, 0xa7c234c4, v5
; %bb.8:                                ;   in Loop: Header=BB104_4 Depth=1
	s_or_b64 exec, exec, s[0:1]
	v_and_b32_e32 v21, 0x7fffffff, v2
	v_cmp_nlt_f32_e64 s[0:1], |v2|, s26
                                        ; implicit-def: $vgpr22
                                        ; implicit-def: $vgpr23
	s_and_saveexec_b64 s[2:3], s[0:1]
	s_xor_b64 s[22:23], exec, s[2:3]
	s_cbranch_execz .LBB104_10
; %bb.9:                                ;   in Loop: Header=BB104_4 Depth=1
	v_and_b32_e32 v5, 0x7fffff, v21
	v_or_b32_e32 v29, 0x800000, v5
	v_mad_u64_u32 v[22:23], s[0:1], v29, s27, 0
	v_mov_b32_e32 v5, v23
	v_mad_u64_u32 v[23:24], s[0:1], v29, s28, v[5:6]
	v_mov_b32_e32 v5, v24
	;; [unrolled: 2-line block ×3, first 2 shown]
	v_mad_u64_u32 v[25:26], s[0:1], v29, s30, v[5:6]
	v_lshrrev_b32_e32 v5, 23, v21
	v_add_u32_e32 v28, 0xffffff88, v5
	v_mov_b32_e32 v5, v26
	v_mad_u64_u32 v[26:27], s[0:1], v29, s31, v[5:6]
	v_cmp_lt_u32_e32 vcc, 63, v28
	v_cndmask_b32_e32 v5, 0, v15, vcc
	v_add_u32_e32 v30, v5, v28
	v_mov_b32_e32 v5, v27
	v_mad_u64_u32 v[27:28], s[0:1], v29, s33, v[5:6]
	v_cmp_lt_u32_e64 s[0:1], 31, v30
	v_cndmask_b32_e64 v5, 0, v16, s[0:1]
	v_add_u32_e32 v30, v5, v30
	v_mov_b32_e32 v5, v28
	v_mad_u64_u32 v[28:29], s[2:3], v29, s34, v[5:6]
	v_cmp_lt_u32_e64 s[2:3], 31, v30
	v_cndmask_b32_e64 v5, 0, v16, s[2:3]
	v_add_u32_e32 v5, v5, v30
	v_cndmask_b32_e32 v30, v27, v25, vcc
	v_cndmask_b32_e32 v28, v28, v26, vcc
	;; [unrolled: 1-line block ×4, first 2 shown]
	v_cndmask_b32_e64 v29, v28, v30, s[0:1]
	v_cndmask_b32_e64 v27, v27, v28, s[0:1]
	;; [unrolled: 1-line block ×3, first 2 shown]
	v_cndmask_b32_e32 v23, v25, v23, vcc
	v_cndmask_b32_e64 v27, v27, v29, s[2:3]
	v_cndmask_b32_e64 v29, v29, v28, s[2:3]
	v_sub_u32_e32 v30, 32, v5
	v_cndmask_b32_e64 v25, v26, v23, s[0:1]
	v_alignbit_b32 v31, v27, v29, v30
	v_cmp_eq_u32_e64 s[6:7], 0, v5
	v_cndmask_b32_e64 v26, v28, v25, s[2:3]
	v_cndmask_b32_e64 v5, v31, v27, s[6:7]
	v_alignbit_b32 v27, v29, v26, v30
	v_cndmask_b32_e32 v22, v24, v22, vcc
	v_cndmask_b32_e64 v27, v27, v29, s[6:7]
	v_bfe_u32 v31, v5, 29, 1
	v_cndmask_b32_e64 v22, v23, v22, s[0:1]
	v_alignbit_b32 v28, v5, v27, 30
	v_sub_u32_e32 v32, 0, v31
	v_cndmask_b32_e64 v22, v25, v22, s[2:3]
	v_xor_b32_e32 v28, v28, v32
	v_alignbit_b32 v23, v26, v22, v30
	v_cndmask_b32_e64 v23, v23, v26, s[6:7]
	v_ffbh_u32_e32 v25, v28
	v_alignbit_b32 v24, v27, v23, 30
	v_min_u32_e32 v25, 32, v25
	v_alignbit_b32 v22, v23, v22, 30
	v_xor_b32_e32 v24, v24, v32
	v_sub_u32_e32 v26, 31, v25
	v_xor_b32_e32 v22, v22, v32
	v_alignbit_b32 v27, v28, v24, v26
	v_alignbit_b32 v22, v24, v22, v26
	;; [unrolled: 1-line block ×3, first 2 shown]
	v_ffbh_u32_e32 v24, v23
	v_min_u32_e32 v24, 32, v24
	v_lshrrev_b32_e32 v29, 29, v5
	v_not_b32_e32 v26, v24
	v_alignbit_b32 v22, v23, v22, v26
	v_lshlrev_b32_e32 v23, 31, v29
	v_or_b32_e32 v26, 0x33000000, v23
	v_add_lshl_u32 v24, v24, v25, 23
	v_lshrrev_b32_e32 v22, 9, v22
	v_sub_u32_e32 v24, v26, v24
	v_or_b32_e32 v23, 0.5, v23
	v_lshlrev_b32_e32 v25, 23, v25
	v_or_b32_e32 v22, v24, v22
	v_lshrrev_b32_e32 v24, 9, v27
	v_sub_u32_e32 v23, v23, v25
	v_or_b32_e32 v23, v24, v23
	v_mul_f32_e32 v24, 0x3fc90fda, v23
	v_fma_f32 v25, v23, s35, -v24
	v_fmac_f32_e32 v25, 0x33a22168, v23
	v_fmac_f32_e32 v25, 0x3fc90fda, v22
	v_lshrrev_b32_e32 v5, 30, v5
	v_add_f32_e32 v23, v24, v25
	v_add_u32_e32 v22, v31, v5
.LBB104_10:                             ;   in Loop: Header=BB104_4 Depth=1
	s_andn2_saveexec_b64 s[0:1], s[22:23]
; %bb.11:                               ;   in Loop: Header=BB104_4 Depth=1
	v_mul_f32_e64 v5, |v2|, s36
	v_rndne_f32_e32 v5, v5
	v_cvt_i32_f32_e32 v22, v5
	v_fma_f32 v23, v5, s37, |v2|
	v_fmac_f32_e32 v23, 0xb3a22168, v5
	v_fmac_f32_e32 v23, 0xa7c234c4, v5
; %bb.12:                               ;   in Loop: Header=BB104_4 Depth=1
	s_or_b64 exec, exec, s[0:1]
	v_and_b32_e32 v24, 0x7fffffff, v3
	v_cmp_nlt_f32_e64 s[0:1], |v3|, s26
                                        ; implicit-def: $vgpr26
                                        ; implicit-def: $vgpr27
	s_and_saveexec_b64 s[2:3], s[0:1]
	s_xor_b64 s[22:23], exec, s[2:3]
	s_cbranch_execz .LBB104_14
; %bb.13:                               ;   in Loop: Header=BB104_4 Depth=1
	v_and_b32_e32 v5, 0x7fffff, v24
	v_or_b32_e32 v32, 0x800000, v5
	v_mad_u64_u32 v[25:26], s[0:1], v32, s27, 0
	v_mov_b32_e32 v5, v26
	v_mad_u64_u32 v[26:27], s[0:1], v32, s28, v[5:6]
	v_mov_b32_e32 v5, v27
	v_mad_u64_u32 v[27:28], s[0:1], v32, s29, v[5:6]
	v_mov_b32_e32 v5, v28
	v_mad_u64_u32 v[28:29], s[0:1], v32, s30, v[5:6]
	v_lshrrev_b32_e32 v5, 23, v24
	v_add_u32_e32 v31, 0xffffff88, v5
	v_mov_b32_e32 v5, v29
	v_mad_u64_u32 v[29:30], s[0:1], v32, s31, v[5:6]
	v_cmp_lt_u32_e32 vcc, 63, v31
	v_cndmask_b32_e32 v5, 0, v15, vcc
	v_add_u32_e32 v33, v5, v31
	v_mov_b32_e32 v5, v30
	v_mad_u64_u32 v[30:31], s[0:1], v32, s33, v[5:6]
	v_cmp_lt_u32_e64 s[0:1], 31, v33
	v_cndmask_b32_e64 v5, 0, v16, s[0:1]
	v_add_u32_e32 v33, v5, v33
	v_mov_b32_e32 v5, v31
	v_mad_u64_u32 v[31:32], s[2:3], v32, s34, v[5:6]
	v_cmp_lt_u32_e64 s[2:3], 31, v33
	v_cndmask_b32_e64 v5, 0, v16, s[2:3]
	v_add_u32_e32 v5, v5, v33
	v_cndmask_b32_e32 v33, v30, v28, vcc
	v_cndmask_b32_e32 v31, v31, v29, vcc
	;; [unrolled: 1-line block ×4, first 2 shown]
	v_cndmask_b32_e64 v32, v31, v33, s[0:1]
	v_cndmask_b32_e64 v30, v30, v31, s[0:1]
	;; [unrolled: 1-line block ×3, first 2 shown]
	v_cndmask_b32_e32 v26, v28, v26, vcc
	v_cndmask_b32_e64 v30, v30, v32, s[2:3]
	v_cndmask_b32_e64 v32, v32, v31, s[2:3]
	v_sub_u32_e32 v33, 32, v5
	v_cndmask_b32_e64 v28, v29, v26, s[0:1]
	v_alignbit_b32 v34, v30, v32, v33
	v_cmp_eq_u32_e64 s[6:7], 0, v5
	v_cndmask_b32_e64 v29, v31, v28, s[2:3]
	v_cndmask_b32_e64 v5, v34, v30, s[6:7]
	v_alignbit_b32 v30, v32, v29, v33
	v_cndmask_b32_e32 v25, v27, v25, vcc
	v_cndmask_b32_e64 v30, v30, v32, s[6:7]
	v_bfe_u32 v34, v5, 29, 1
	v_cndmask_b32_e64 v25, v26, v25, s[0:1]
	v_alignbit_b32 v31, v5, v30, 30
	v_sub_u32_e32 v35, 0, v34
	v_cndmask_b32_e64 v25, v28, v25, s[2:3]
	v_xor_b32_e32 v31, v31, v35
	v_alignbit_b32 v26, v29, v25, v33
	v_cndmask_b32_e64 v26, v26, v29, s[6:7]
	v_ffbh_u32_e32 v28, v31
	v_alignbit_b32 v27, v30, v26, 30
	v_min_u32_e32 v28, 32, v28
	v_alignbit_b32 v25, v26, v25, 30
	v_xor_b32_e32 v27, v27, v35
	v_sub_u32_e32 v29, 31, v28
	v_xor_b32_e32 v25, v25, v35
	v_alignbit_b32 v30, v31, v27, v29
	v_alignbit_b32 v25, v27, v25, v29
	;; [unrolled: 1-line block ×3, first 2 shown]
	v_ffbh_u32_e32 v27, v26
	v_min_u32_e32 v27, 32, v27
	v_lshrrev_b32_e32 v32, 29, v5
	v_not_b32_e32 v29, v27
	v_alignbit_b32 v25, v26, v25, v29
	v_lshlrev_b32_e32 v26, 31, v32
	v_or_b32_e32 v29, 0x33000000, v26
	v_add_lshl_u32 v27, v27, v28, 23
	v_lshrrev_b32_e32 v25, 9, v25
	v_sub_u32_e32 v27, v29, v27
	v_or_b32_e32 v26, 0.5, v26
	v_lshlrev_b32_e32 v28, 23, v28
	v_or_b32_e32 v25, v27, v25
	v_lshrrev_b32_e32 v27, 9, v30
	v_sub_u32_e32 v26, v26, v28
	v_or_b32_e32 v26, v27, v26
	v_mul_f32_e32 v27, 0x3fc90fda, v26
	v_fma_f32 v28, v26, s35, -v27
	v_fmac_f32_e32 v28, 0x33a22168, v26
	v_fmac_f32_e32 v28, 0x3fc90fda, v25
	v_lshrrev_b32_e32 v5, 30, v5
	v_add_f32_e32 v27, v27, v28
	v_add_u32_e32 v26, v34, v5
.LBB104_14:                             ;   in Loop: Header=BB104_4 Depth=1
	s_andn2_saveexec_b64 s[0:1], s[22:23]
; %bb.15:                               ;   in Loop: Header=BB104_4 Depth=1
	v_mul_f32_e64 v5, |v3|, s36
	v_rndne_f32_e32 v5, v5
	v_cvt_i32_f32_e32 v26, v5
	v_fma_f32 v27, v5, s37, |v3|
	v_fmac_f32_e32 v27, 0xb3a22168, v5
	v_fmac_f32_e32 v27, 0xa7c234c4, v5
; %bb.16:                               ;   in Loop: Header=BB104_4 Depth=1
	s_or_b64 exec, exec, s[0:1]
	v_and_b32_e32 v25, 0x7fffffff, v4
	v_cmp_nlt_f32_e64 s[0:1], |v4|, s26
                                        ; implicit-def: $vgpr5
                                        ; implicit-def: $vgpr28
	s_and_saveexec_b64 s[2:3], s[0:1]
	s_xor_b64 s[22:23], exec, s[2:3]
	s_cbranch_execz .LBB104_18
; %bb.17:                               ;   in Loop: Header=BB104_4 Depth=1
	v_and_b32_e32 v5, 0x7fffff, v25
	v_or_b32_e32 v35, 0x800000, v5
	v_mad_u64_u32 v[28:29], s[0:1], v35, s27, 0
	v_mov_b32_e32 v5, v29
	v_mad_u64_u32 v[29:30], s[0:1], v35, s28, v[5:6]
	v_mov_b32_e32 v5, v30
	v_mad_u64_u32 v[30:31], s[0:1], v35, s29, v[5:6]
	v_mov_b32_e32 v5, v31
	v_mad_u64_u32 v[31:32], s[0:1], v35, s30, v[5:6]
	v_lshrrev_b32_e32 v5, 23, v25
	v_add_u32_e32 v34, 0xffffff88, v5
	v_mov_b32_e32 v5, v32
	v_mad_u64_u32 v[32:33], s[0:1], v35, s31, v[5:6]
	v_cmp_lt_u32_e32 vcc, 63, v34
	v_cndmask_b32_e32 v5, 0, v15, vcc
	v_add_u32_e32 v36, v5, v34
	v_mov_b32_e32 v5, v33
	v_mad_u64_u32 v[33:34], s[0:1], v35, s33, v[5:6]
	v_cmp_lt_u32_e64 s[0:1], 31, v36
	v_cndmask_b32_e64 v5, 0, v16, s[0:1]
	v_add_u32_e32 v36, v5, v36
	v_mov_b32_e32 v5, v34
	v_mad_u64_u32 v[34:35], s[2:3], v35, s34, v[5:6]
	v_cmp_lt_u32_e64 s[2:3], 31, v36
	v_cndmask_b32_e64 v5, 0, v16, s[2:3]
	v_add_u32_e32 v5, v5, v36
	v_cndmask_b32_e32 v36, v33, v31, vcc
	v_cndmask_b32_e32 v34, v34, v32, vcc
	;; [unrolled: 1-line block ×4, first 2 shown]
	v_cndmask_b32_e64 v35, v34, v36, s[0:1]
	v_cndmask_b32_e64 v33, v33, v34, s[0:1]
	;; [unrolled: 1-line block ×3, first 2 shown]
	v_cndmask_b32_e32 v29, v31, v29, vcc
	v_cndmask_b32_e64 v33, v33, v35, s[2:3]
	v_cndmask_b32_e64 v35, v35, v34, s[2:3]
	v_sub_u32_e32 v36, 32, v5
	v_cndmask_b32_e64 v31, v32, v29, s[0:1]
	v_alignbit_b32 v37, v33, v35, v36
	v_cmp_eq_u32_e64 s[6:7], 0, v5
	v_cndmask_b32_e64 v32, v34, v31, s[2:3]
	v_cndmask_b32_e64 v5, v37, v33, s[6:7]
	v_alignbit_b32 v33, v35, v32, v36
	v_cndmask_b32_e32 v28, v30, v28, vcc
	v_cndmask_b32_e64 v33, v33, v35, s[6:7]
	v_bfe_u32 v37, v5, 29, 1
	v_cndmask_b32_e64 v28, v29, v28, s[0:1]
	v_alignbit_b32 v34, v5, v33, 30
	v_sub_u32_e32 v38, 0, v37
	v_cndmask_b32_e64 v28, v31, v28, s[2:3]
	v_xor_b32_e32 v34, v34, v38
	v_alignbit_b32 v29, v32, v28, v36
	v_cndmask_b32_e64 v29, v29, v32, s[6:7]
	v_ffbh_u32_e32 v31, v34
	v_alignbit_b32 v30, v33, v29, 30
	v_min_u32_e32 v31, 32, v31
	v_alignbit_b32 v28, v29, v28, 30
	v_xor_b32_e32 v30, v30, v38
	v_sub_u32_e32 v32, 31, v31
	v_xor_b32_e32 v28, v28, v38
	v_alignbit_b32 v33, v34, v30, v32
	v_alignbit_b32 v28, v30, v28, v32
	v_alignbit_b32 v29, v33, v28, 9
	v_ffbh_u32_e32 v30, v29
	v_min_u32_e32 v30, 32, v30
	v_lshrrev_b32_e32 v35, 29, v5
	v_not_b32_e32 v32, v30
	v_alignbit_b32 v28, v29, v28, v32
	v_lshlrev_b32_e32 v29, 31, v35
	v_or_b32_e32 v32, 0x33000000, v29
	v_add_lshl_u32 v30, v30, v31, 23
	v_lshrrev_b32_e32 v28, 9, v28
	v_sub_u32_e32 v30, v32, v30
	v_or_b32_e32 v29, 0.5, v29
	v_lshlrev_b32_e32 v31, 23, v31
	v_or_b32_e32 v28, v30, v28
	v_lshrrev_b32_e32 v30, 9, v33
	v_sub_u32_e32 v29, v29, v31
	v_or_b32_e32 v29, v30, v29
	v_mul_f32_e32 v30, 0x3fc90fda, v29
	v_fma_f32 v31, v29, s35, -v30
	v_fmac_f32_e32 v31, 0x33a22168, v29
	v_fmac_f32_e32 v31, 0x3fc90fda, v28
	v_lshrrev_b32_e32 v5, 30, v5
	v_add_f32_e32 v28, v30, v31
	v_add_u32_e32 v5, v37, v5
.LBB104_18:                             ;   in Loop: Header=BB104_4 Depth=1
	s_andn2_saveexec_b64 s[0:1], s[22:23]
	s_cbranch_execz .LBB104_3
; %bb.19:                               ;   in Loop: Header=BB104_4 Depth=1
	v_mul_f32_e64 v5, |v4|, s36
	v_rndne_f32_e32 v29, v5
	v_cvt_i32_f32_e32 v5, v29
	v_fma_f32 v28, v29, s37, |v4|
	v_fmac_f32_e32 v28, 0xb3a22168, v29
	v_fmac_f32_e32 v28, 0xa7c234c4, v29
	s_branch .LBB104_3
.LBB104_20:
	s_or_b64 exec, exec, s[18:19]
	s_mov_b64 s[0:1], 0
.LBB104_21:
	s_andn2_b64 vcc, exec, s[0:1]
	s_cbranch_vccnz .LBB104_57
; %bb.22:
	v_cmp_lt_i64_e64 s[0:1], s[12:13], 1
	s_and_b64 vcc, exec, s[0:1]
	s_cbranch_vccnz .LBB104_57
; %bb.23:
	v_mov_b32_e32 v3, 0x10000
	s_load_dword s2, s[4:5], 0xc5c
	v_mov_b32_e32 v4, 0
	v_cmp_lt_i64_e32 vcc, s[12:13], v[3:4]
	v_mov_b32_e32 v2, 0
	s_and_b64 s[0:1], vcc, exec
	v_cmp_lt_u64_e32 vcc, s[12:13], v[3:4]
	s_cselect_b32 s17, s13, 0
	s_cselect_b32 s16, s12, 0x10000
	s_waitcnt lgkmcnt(0)
	s_and_b32 s2, s2, 0xffff
	v_lshlrev_b32_e32 v1, 2, v0
	s_and_b64 s[0:1], vcc, exec
	v_mov_b32_e32 v4, s11
	v_add_co_u32_e32 v3, vcc, s10, v1
	v_mad_u64_u32 v[9:10], s[0:1], s2, 12, v[1:2]
	v_addc_co_u32_e32 v4, vcc, 0, v4, vcc
	v_mov_b32_e32 v6, s9
	v_add_co_u32_e32 v5, vcc, s8, v1
	v_addc_co_u32_e32 v6, vcc, 0, v6, vcc
	v_mov_b32_e32 v8, s11
	v_add_co_u32_e32 v7, vcc, s10, v9
	;; [unrolled: 3-line block ×3, first 2 shown]
	s_cselect_b32 s19, s13, 0
	s_cselect_b32 s18, s12, 0x10000
	v_addc_co_u32_e32 v10, vcc, v11, v10, vcc
	s_lshl_b32 s0, s2, 3
	v_add_co_u32_e32 v1, vcc, s0, v1
	v_addc_co_u32_e64 v14, s[0:1], 0, 0, vcc
	v_mov_b32_e32 v12, s11
	v_add_co_u32_e32 v11, vcc, s10, v1
	v_addc_co_u32_e32 v12, vcc, v12, v14, vcc
	v_mov_b32_e32 v15, s9
	v_add_co_u32_e32 v13, vcc, s8, v1
	v_addc_co_u32_e32 v14, vcc, v15, v14, vcc
	v_add_co_u32_e32 v15, vcc, s2, v0
	v_lshlrev_b32_e32 v1, 2, v15
	v_addc_co_u32_e64 v16, s[0:1], 0, 0, vcc
	v_mov_b32_e32 v18, s11
	v_add_co_u32_e32 v17, vcc, s10, v1
	v_addc_co_u32_e32 v18, vcc, 0, v18, vcc
	v_mov_b32_e32 v20, s9
	v_add_co_u32_e32 v19, vcc, s8, v1
	s_mul_i32 s4, s2, 3
	v_addc_co_u32_e32 v20, vcc, 0, v20, vcc
	s_lshl_b32 s3, s2, 1
	v_add_co_u32_e32 v21, vcc, s4, v0
	v_addc_co_u32_e64 v22, s[0:1], 0, 0, vcc
	v_add_co_u32_e32 v23, vcc, s3, v0
	s_lshl_b32 s24, s2, 2
	s_lshl_b32 s25, s2, 4
	s_mov_b64 s[20:21], 0
	s_brev_b32 s26, 18
	s_mov_b32 s27, 0xfe5163ab
	s_mov_b32 s28, 0x3c439041
	;; [unrolled: 1-line block ×10, first 2 shown]
	s_movk_i32 s38, 0x1f8
	v_addc_co_u32_e64 v24, s[0:1], 0, 0, vcc
	v_mov_b32_e32 v25, 0xbe2aaa9d
	v_mov_b32_e32 v26, 0x3d2aabf7
	;; [unrolled: 1-line block ×3, first 2 shown]
	v_not_b32_e32 v28, 63
	v_not_b32_e32 v29, 31
	v_mov_b32_e32 v30, 0x7fc00000
	s_branch .LBB104_25
.LBB104_24:                             ;   in Loop: Header=BB104_25 Depth=1
	s_or_b64 exec, exec, s[0:1]
	v_add_co_u32_e32 v3, vcc, s25, v3
	v_addc_co_u32_e32 v4, vcc, 0, v4, vcc
	v_add_co_u32_e32 v5, vcc, s25, v5
	v_addc_co_u32_e32 v6, vcc, 0, v6, vcc
	;; [unrolled: 2-line block ×6, first 2 shown]
	s_add_u32 s20, s20, s24
	v_add_co_u32_e32 v17, vcc, s25, v17
	v_mov_b32_e32 v32, s17
	s_addc_u32 s21, s21, 0
	v_addc_co_u32_e32 v18, vcc, 0, v18, vcc
	v_mov_b32_e32 v31, s16
	v_cmp_ge_i64_e32 vcc, s[20:21], v[31:32]
	v_add_co_u32_e64 v19, s[0:1], s25, v19
	v_addc_co_u32_e64 v20, s[0:1], 0, v20, s[0:1]
	s_cbranch_vccnz .LBB104_57
.LBB104_25:                             ; =>This Inner Loop Header: Depth=1
	v_mov_b32_e32 v1, s21
	v_add_co_u32_e32 v31, vcc, s20, v0
	v_addc_co_u32_e32 v32, vcc, 0, v1, vcc
	v_cmp_gt_u64_e64 s[4:5], s[18:19], v[31:32]
	v_mov_b32_e32 v34, 0
	s_and_saveexec_b64 s[0:1], s[4:5]
	s_cbranch_execz .LBB104_27
; %bb.26:                               ;   in Loop: Header=BB104_25 Depth=1
	v_mov_b32_e32 v1, s15
	v_add_co_u32_e32 v31, vcc, s14, v3
	v_addc_co_u32_e32 v32, vcc, v4, v1, vcc
	global_load_dword v34, v[31:32], off
.LBB104_27:                             ;   in Loop: Header=BB104_25 Depth=1
	s_or_b64 exec, exec, s[0:1]
	v_mov_b32_e32 v1, s21
	v_add_co_u32_e32 v31, vcc, s20, v15
	v_addc_co_u32_e32 v32, vcc, v16, v1, vcc
	v_cmp_gt_u64_e64 s[2:3], s[18:19], v[31:32]
	v_mov_b32_e32 v31, 0
	v_mov_b32_e32 v33, 0
	s_and_saveexec_b64 s[0:1], s[2:3]
	s_cbranch_execz .LBB104_29
; %bb.28:                               ;   in Loop: Header=BB104_25 Depth=1
	v_mov_b32_e32 v1, s15
	v_add_co_u32_e32 v32, vcc, s14, v17
	v_addc_co_u32_e32 v33, vcc, v18, v1, vcc
	global_load_dword v33, v[32:33], off
.LBB104_29:                             ;   in Loop: Header=BB104_25 Depth=1
	s_or_b64 exec, exec, s[0:1]
	v_mov_b32_e32 v1, s21
	v_add_co_u32_e32 v35, vcc, s20, v23
	v_addc_co_u32_e32 v36, vcc, v24, v1, vcc
	v_cmp_gt_u64_e64 s[0:1], s[18:19], v[35:36]
	s_and_saveexec_b64 s[6:7], s[0:1]
	s_cbranch_execz .LBB104_31
; %bb.30:                               ;   in Loop: Header=BB104_25 Depth=1
	v_mov_b32_e32 v1, s15
	v_add_co_u32_e32 v31, vcc, s14, v11
	v_addc_co_u32_e32 v32, vcc, v12, v1, vcc
	global_load_dword v31, v[31:32], off
.LBB104_31:                             ;   in Loop: Header=BB104_25 Depth=1
	s_or_b64 exec, exec, s[6:7]
	v_mov_b32_e32 v1, s21
	v_add_co_u32_e32 v35, vcc, s20, v21
	v_addc_co_u32_e32 v36, vcc, v22, v1, vcc
	v_cmp_gt_u64_e32 vcc, s[18:19], v[35:36]
	v_mov_b32_e32 v32, 0
	s_and_saveexec_b64 s[8:9], vcc
	s_cbranch_execz .LBB104_33
; %bb.32:                               ;   in Loop: Header=BB104_25 Depth=1
	v_mov_b32_e32 v1, s15
	v_add_co_u32_e64 v35, s[6:7], s14, v7
	v_addc_co_u32_e64 v36, s[6:7], v8, v1, s[6:7]
	global_load_dword v32, v[35:36], off
.LBB104_33:                             ;   in Loop: Header=BB104_25 Depth=1
	s_or_b64 exec, exec, s[8:9]
	s_waitcnt vmcnt(0)
	v_and_b32_e32 v35, 0x7fffffff, v34
	v_cmp_nlt_f32_e64 s[6:7], |v34|, s26
                                        ; implicit-def: $vgpr36
                                        ; implicit-def: $vgpr37
	s_and_saveexec_b64 s[8:9], s[6:7]
	s_xor_b64 s[22:23], exec, s[8:9]
	s_cbranch_execz .LBB104_35
; %bb.34:                               ;   in Loop: Header=BB104_25 Depth=1
	v_and_b32_e32 v1, 0x7fffff, v35
	v_or_b32_e32 v43, 0x800000, v1
	v_mad_u64_u32 v[36:37], s[6:7], v43, s27, 0
	v_mov_b32_e32 v1, v37
	v_mad_u64_u32 v[37:38], s[6:7], v43, s28, v[1:2]
	v_mov_b32_e32 v1, v38
	;; [unrolled: 2-line block ×3, first 2 shown]
	v_mad_u64_u32 v[39:40], s[6:7], v43, s30, v[1:2]
	v_lshrrev_b32_e32 v1, 23, v35
	v_add_u32_e32 v42, 0xffffff88, v1
	v_mov_b32_e32 v1, v40
	v_mad_u64_u32 v[40:41], s[6:7], v43, s31, v[1:2]
	v_cmp_lt_u32_e64 s[6:7], 63, v42
	v_cndmask_b32_e64 v1, 0, v28, s[6:7]
	v_add_u32_e32 v44, v1, v42
	v_mov_b32_e32 v1, v41
	v_mad_u64_u32 v[41:42], s[8:9], v43, s33, v[1:2]
	v_cmp_lt_u32_e64 s[8:9], 31, v44
	v_cndmask_b32_e64 v1, 0, v29, s[8:9]
	;; [unrolled: 5-line block ×3, first 2 shown]
	v_add_u32_e32 v1, v1, v44
	v_cndmask_b32_e64 v44, v41, v39, s[6:7]
	v_cndmask_b32_e64 v42, v42, v40, s[6:7]
	;; [unrolled: 1-line block ×10, first 2 shown]
	v_sub_u32_e32 v44, 32, v1
	v_cndmask_b32_e64 v39, v40, v37, s[8:9]
	v_alignbit_b32 v45, v41, v43, v44
	v_cmp_eq_u32_e64 s[12:13], 0, v1
	v_cndmask_b32_e64 v40, v42, v39, s[10:11]
	v_cndmask_b32_e64 v1, v45, v41, s[12:13]
	v_alignbit_b32 v41, v43, v40, v44
	v_cndmask_b32_e64 v36, v38, v36, s[6:7]
	v_cndmask_b32_e64 v41, v41, v43, s[12:13]
	v_bfe_u32 v45, v1, 29, 1
	v_cndmask_b32_e64 v36, v37, v36, s[8:9]
	v_alignbit_b32 v42, v1, v41, 30
	v_sub_u32_e32 v46, 0, v45
	v_cndmask_b32_e64 v36, v39, v36, s[10:11]
	v_xor_b32_e32 v42, v42, v46
	v_alignbit_b32 v37, v40, v36, v44
	v_cndmask_b32_e64 v37, v37, v40, s[12:13]
	v_ffbh_u32_e32 v39, v42
	v_alignbit_b32 v38, v41, v37, 30
	v_min_u32_e32 v39, 32, v39
	v_alignbit_b32 v36, v37, v36, 30
	v_xor_b32_e32 v38, v38, v46
	v_sub_u32_e32 v40, 31, v39
	v_xor_b32_e32 v36, v36, v46
	v_alignbit_b32 v41, v42, v38, v40
	v_alignbit_b32 v36, v38, v36, v40
	;; [unrolled: 1-line block ×3, first 2 shown]
	v_ffbh_u32_e32 v38, v37
	v_min_u32_e32 v38, 32, v38
	v_lshrrev_b32_e32 v43, 29, v1
	v_not_b32_e32 v40, v38
	v_alignbit_b32 v36, v37, v36, v40
	v_lshlrev_b32_e32 v37, 31, v43
	v_or_b32_e32 v40, 0x33000000, v37
	v_add_lshl_u32 v38, v38, v39, 23
	v_lshrrev_b32_e32 v36, 9, v36
	v_sub_u32_e32 v38, v40, v38
	v_or_b32_e32 v37, 0.5, v37
	v_lshlrev_b32_e32 v39, 23, v39
	v_or_b32_e32 v36, v38, v36
	v_lshrrev_b32_e32 v38, 9, v41
	v_sub_u32_e32 v37, v37, v39
	v_or_b32_e32 v37, v38, v37
	v_mul_f32_e32 v38, 0x3fc90fda, v37
	v_fma_f32 v39, v37, s35, -v38
	v_fmac_f32_e32 v39, 0x33a22168, v37
	v_fmac_f32_e32 v39, 0x3fc90fda, v36
	v_lshrrev_b32_e32 v1, 30, v1
	v_add_f32_e32 v37, v38, v39
	v_add_u32_e32 v36, v45, v1
.LBB104_35:                             ;   in Loop: Header=BB104_25 Depth=1
	s_andn2_saveexec_b64 s[6:7], s[22:23]
; %bb.36:                               ;   in Loop: Header=BB104_25 Depth=1
	v_mul_f32_e64 v1, |v34|, s36
	v_rndne_f32_e32 v1, v1
	v_cvt_i32_f32_e32 v36, v1
	v_fma_f32 v37, v1, s37, |v34|
	v_fmac_f32_e32 v37, 0xb3a22168, v1
	v_fmac_f32_e32 v37, 0xa7c234c4, v1
; %bb.37:                               ;   in Loop: Header=BB104_25 Depth=1
	s_or_b64 exec, exec, s[6:7]
	v_and_b32_e32 v38, 0x7fffffff, v33
	v_cmp_nlt_f32_e64 s[6:7], |v33|, s26
                                        ; implicit-def: $vgpr39
                                        ; implicit-def: $vgpr40
	s_and_saveexec_b64 s[8:9], s[6:7]
	s_xor_b64 s[22:23], exec, s[8:9]
	s_cbranch_execz .LBB104_39
; %bb.38:                               ;   in Loop: Header=BB104_25 Depth=1
	v_and_b32_e32 v1, 0x7fffff, v38
	v_or_b32_e32 v46, 0x800000, v1
	v_mad_u64_u32 v[39:40], s[6:7], v46, s27, 0
	v_mov_b32_e32 v1, v40
	v_mad_u64_u32 v[40:41], s[6:7], v46, s28, v[1:2]
	v_mov_b32_e32 v1, v41
	v_mad_u64_u32 v[41:42], s[6:7], v46, s29, v[1:2]
	v_mov_b32_e32 v1, v42
	v_mad_u64_u32 v[42:43], s[6:7], v46, s30, v[1:2]
	v_lshrrev_b32_e32 v1, 23, v38
	v_add_u32_e32 v45, 0xffffff88, v1
	v_mov_b32_e32 v1, v43
	v_mad_u64_u32 v[43:44], s[6:7], v46, s31, v[1:2]
	v_cmp_lt_u32_e64 s[6:7], 63, v45
	v_cndmask_b32_e64 v1, 0, v28, s[6:7]
	v_add_u32_e32 v47, v1, v45
	v_mov_b32_e32 v1, v44
	v_mad_u64_u32 v[44:45], s[8:9], v46, s33, v[1:2]
	v_cmp_lt_u32_e64 s[8:9], 31, v47
	v_cndmask_b32_e64 v1, 0, v29, s[8:9]
	;; [unrolled: 5-line block ×3, first 2 shown]
	v_add_u32_e32 v1, v1, v47
	v_cndmask_b32_e64 v47, v44, v42, s[6:7]
	v_cndmask_b32_e64 v45, v45, v43, s[6:7]
	;; [unrolled: 1-line block ×10, first 2 shown]
	v_sub_u32_e32 v47, 32, v1
	v_cndmask_b32_e64 v42, v43, v40, s[8:9]
	v_alignbit_b32 v48, v44, v46, v47
	v_cmp_eq_u32_e64 s[12:13], 0, v1
	v_cndmask_b32_e64 v43, v45, v42, s[10:11]
	v_cndmask_b32_e64 v1, v48, v44, s[12:13]
	v_alignbit_b32 v44, v46, v43, v47
	v_cndmask_b32_e64 v39, v41, v39, s[6:7]
	v_cndmask_b32_e64 v44, v44, v46, s[12:13]
	v_bfe_u32 v48, v1, 29, 1
	v_cndmask_b32_e64 v39, v40, v39, s[8:9]
	v_alignbit_b32 v45, v1, v44, 30
	v_sub_u32_e32 v49, 0, v48
	v_cndmask_b32_e64 v39, v42, v39, s[10:11]
	v_xor_b32_e32 v45, v45, v49
	v_alignbit_b32 v40, v43, v39, v47
	v_cndmask_b32_e64 v40, v40, v43, s[12:13]
	v_ffbh_u32_e32 v42, v45
	v_alignbit_b32 v41, v44, v40, 30
	v_min_u32_e32 v42, 32, v42
	v_alignbit_b32 v39, v40, v39, 30
	v_xor_b32_e32 v41, v41, v49
	v_sub_u32_e32 v43, 31, v42
	v_xor_b32_e32 v39, v39, v49
	v_alignbit_b32 v44, v45, v41, v43
	v_alignbit_b32 v39, v41, v39, v43
	;; [unrolled: 1-line block ×3, first 2 shown]
	v_ffbh_u32_e32 v41, v40
	v_min_u32_e32 v41, 32, v41
	v_lshrrev_b32_e32 v46, 29, v1
	v_not_b32_e32 v43, v41
	v_alignbit_b32 v39, v40, v39, v43
	v_lshlrev_b32_e32 v40, 31, v46
	v_or_b32_e32 v43, 0x33000000, v40
	v_add_lshl_u32 v41, v41, v42, 23
	v_lshrrev_b32_e32 v39, 9, v39
	v_sub_u32_e32 v41, v43, v41
	v_or_b32_e32 v40, 0.5, v40
	v_lshlrev_b32_e32 v42, 23, v42
	v_or_b32_e32 v39, v41, v39
	v_lshrrev_b32_e32 v41, 9, v44
	v_sub_u32_e32 v40, v40, v42
	v_or_b32_e32 v40, v41, v40
	v_mul_f32_e32 v41, 0x3fc90fda, v40
	v_fma_f32 v42, v40, s35, -v41
	v_fmac_f32_e32 v42, 0x33a22168, v40
	v_fmac_f32_e32 v42, 0x3fc90fda, v39
	v_lshrrev_b32_e32 v1, 30, v1
	v_add_f32_e32 v40, v41, v42
	v_add_u32_e32 v39, v48, v1
.LBB104_39:                             ;   in Loop: Header=BB104_25 Depth=1
	s_andn2_saveexec_b64 s[6:7], s[22:23]
; %bb.40:                               ;   in Loop: Header=BB104_25 Depth=1
	v_mul_f32_e64 v1, |v33|, s36
	v_rndne_f32_e32 v1, v1
	v_cvt_i32_f32_e32 v39, v1
	v_fma_f32 v40, v1, s37, |v33|
	v_fmac_f32_e32 v40, 0xb3a22168, v1
	v_fmac_f32_e32 v40, 0xa7c234c4, v1
; %bb.41:                               ;   in Loop: Header=BB104_25 Depth=1
	s_or_b64 exec, exec, s[6:7]
	v_and_b32_e32 v41, 0x7fffffff, v31
	v_cmp_nlt_f32_e64 s[6:7], |v31|, s26
                                        ; implicit-def: $vgpr42
                                        ; implicit-def: $vgpr43
	s_and_saveexec_b64 s[8:9], s[6:7]
	s_xor_b64 s[22:23], exec, s[8:9]
	s_cbranch_execz .LBB104_43
; %bb.42:                               ;   in Loop: Header=BB104_25 Depth=1
	v_and_b32_e32 v1, 0x7fffff, v41
	v_or_b32_e32 v49, 0x800000, v1
	v_mad_u64_u32 v[42:43], s[6:7], v49, s27, 0
	v_mov_b32_e32 v1, v43
	v_mad_u64_u32 v[43:44], s[6:7], v49, s28, v[1:2]
	v_mov_b32_e32 v1, v44
	;; [unrolled: 2-line block ×3, first 2 shown]
	v_mad_u64_u32 v[45:46], s[6:7], v49, s30, v[1:2]
	v_lshrrev_b32_e32 v1, 23, v41
	v_add_u32_e32 v48, 0xffffff88, v1
	v_mov_b32_e32 v1, v46
	v_mad_u64_u32 v[46:47], s[6:7], v49, s31, v[1:2]
	v_cmp_lt_u32_e64 s[6:7], 63, v48
	v_cndmask_b32_e64 v1, 0, v28, s[6:7]
	v_add_u32_e32 v50, v1, v48
	v_mov_b32_e32 v1, v47
	v_mad_u64_u32 v[47:48], s[8:9], v49, s33, v[1:2]
	v_cmp_lt_u32_e64 s[8:9], 31, v50
	v_cndmask_b32_e64 v1, 0, v29, s[8:9]
	v_add_u32_e32 v50, v1, v50
	v_mov_b32_e32 v1, v48
	v_mad_u64_u32 v[48:49], s[10:11], v49, s34, v[1:2]
	v_cmp_lt_u32_e64 s[10:11], 31, v50
	v_cndmask_b32_e64 v1, 0, v29, s[10:11]
	v_add_u32_e32 v1, v1, v50
	v_cndmask_b32_e64 v50, v47, v45, s[6:7]
	v_cndmask_b32_e64 v48, v48, v46, s[6:7]
	;; [unrolled: 1-line block ×10, first 2 shown]
	v_sub_u32_e32 v50, 32, v1
	v_cndmask_b32_e64 v45, v46, v43, s[8:9]
	v_alignbit_b32 v51, v47, v49, v50
	v_cmp_eq_u32_e64 s[12:13], 0, v1
	v_cndmask_b32_e64 v46, v48, v45, s[10:11]
	v_cndmask_b32_e64 v1, v51, v47, s[12:13]
	v_alignbit_b32 v47, v49, v46, v50
	v_cndmask_b32_e64 v42, v44, v42, s[6:7]
	v_cndmask_b32_e64 v47, v47, v49, s[12:13]
	v_bfe_u32 v51, v1, 29, 1
	v_cndmask_b32_e64 v42, v43, v42, s[8:9]
	v_alignbit_b32 v48, v1, v47, 30
	v_sub_u32_e32 v52, 0, v51
	v_cndmask_b32_e64 v42, v45, v42, s[10:11]
	v_xor_b32_e32 v48, v48, v52
	v_alignbit_b32 v43, v46, v42, v50
	v_cndmask_b32_e64 v43, v43, v46, s[12:13]
	v_ffbh_u32_e32 v45, v48
	v_alignbit_b32 v44, v47, v43, 30
	v_min_u32_e32 v45, 32, v45
	v_alignbit_b32 v42, v43, v42, 30
	v_xor_b32_e32 v44, v44, v52
	v_sub_u32_e32 v46, 31, v45
	v_xor_b32_e32 v42, v42, v52
	v_alignbit_b32 v47, v48, v44, v46
	v_alignbit_b32 v42, v44, v42, v46
	;; [unrolled: 1-line block ×3, first 2 shown]
	v_ffbh_u32_e32 v44, v43
	v_min_u32_e32 v44, 32, v44
	v_lshrrev_b32_e32 v49, 29, v1
	v_not_b32_e32 v46, v44
	v_alignbit_b32 v42, v43, v42, v46
	v_lshlrev_b32_e32 v43, 31, v49
	v_or_b32_e32 v46, 0x33000000, v43
	v_add_lshl_u32 v44, v44, v45, 23
	v_lshrrev_b32_e32 v42, 9, v42
	v_sub_u32_e32 v44, v46, v44
	v_or_b32_e32 v43, 0.5, v43
	v_lshlrev_b32_e32 v45, 23, v45
	v_or_b32_e32 v42, v44, v42
	v_lshrrev_b32_e32 v44, 9, v47
	v_sub_u32_e32 v43, v43, v45
	v_or_b32_e32 v43, v44, v43
	v_mul_f32_e32 v44, 0x3fc90fda, v43
	v_fma_f32 v45, v43, s35, -v44
	v_fmac_f32_e32 v45, 0x33a22168, v43
	v_fmac_f32_e32 v45, 0x3fc90fda, v42
	v_lshrrev_b32_e32 v1, 30, v1
	v_add_f32_e32 v43, v44, v45
	v_add_u32_e32 v42, v51, v1
.LBB104_43:                             ;   in Loop: Header=BB104_25 Depth=1
	s_andn2_saveexec_b64 s[6:7], s[22:23]
; %bb.44:                               ;   in Loop: Header=BB104_25 Depth=1
	v_mul_f32_e64 v1, |v31|, s36
	v_rndne_f32_e32 v1, v1
	v_cvt_i32_f32_e32 v42, v1
	v_fma_f32 v43, v1, s37, |v31|
	v_fmac_f32_e32 v43, 0xb3a22168, v1
	v_fmac_f32_e32 v43, 0xa7c234c4, v1
; %bb.45:                               ;   in Loop: Header=BB104_25 Depth=1
	s_or_b64 exec, exec, s[6:7]
	v_and_b32_e32 v44, 0x7fffffff, v32
	v_cmp_nlt_f32_e64 s[6:7], |v32|, s26
                                        ; implicit-def: $vgpr1
                                        ; implicit-def: $vgpr45
	s_and_saveexec_b64 s[8:9], s[6:7]
	s_xor_b64 s[22:23], exec, s[8:9]
	s_cbranch_execnz .LBB104_51
; %bb.46:                               ;   in Loop: Header=BB104_25 Depth=1
	s_andn2_saveexec_b64 s[6:7], s[22:23]
	s_cbranch_execnz .LBB104_52
.LBB104_47:                             ;   in Loop: Header=BB104_25 Depth=1
	s_or_b64 exec, exec, s[6:7]
	s_and_saveexec_b64 s[6:7], s[4:5]
	s_xor_b64 s[6:7], exec, s[6:7]
	s_cbranch_execnz .LBB104_53
.LBB104_48:                             ;   in Loop: Header=BB104_25 Depth=1
	s_or_b64 exec, exec, s[6:7]
	s_and_saveexec_b64 s[4:5], s[2:3]
	s_cbranch_execnz .LBB104_54
.LBB104_49:                             ;   in Loop: Header=BB104_25 Depth=1
	s_or_b64 exec, exec, s[4:5]
	s_and_saveexec_b64 s[2:3], s[0:1]
	s_cbranch_execnz .LBB104_55
.LBB104_50:                             ;   in Loop: Header=BB104_25 Depth=1
	s_or_b64 exec, exec, s[2:3]
	s_and_saveexec_b64 s[0:1], vcc
	s_cbranch_execz .LBB104_24
	s_branch .LBB104_56
.LBB104_51:                             ;   in Loop: Header=BB104_25 Depth=1
	v_and_b32_e32 v1, 0x7fffff, v44
	v_or_b32_e32 v52, 0x800000, v1
	v_mad_u64_u32 v[45:46], s[6:7], v52, s27, 0
	v_mov_b32_e32 v1, v46
	v_mad_u64_u32 v[46:47], s[6:7], v52, s28, v[1:2]
	v_mov_b32_e32 v1, v47
	;; [unrolled: 2-line block ×3, first 2 shown]
	v_mad_u64_u32 v[48:49], s[6:7], v52, s30, v[1:2]
	v_lshrrev_b32_e32 v1, 23, v44
	v_add_u32_e32 v51, 0xffffff88, v1
	v_mov_b32_e32 v1, v49
	v_mad_u64_u32 v[49:50], s[6:7], v52, s31, v[1:2]
	v_cmp_lt_u32_e64 s[6:7], 63, v51
	v_cndmask_b32_e64 v1, 0, v28, s[6:7]
	v_add_u32_e32 v53, v1, v51
	v_mov_b32_e32 v1, v50
	v_mad_u64_u32 v[50:51], s[8:9], v52, s33, v[1:2]
	v_cmp_lt_u32_e64 s[8:9], 31, v53
	v_cndmask_b32_e64 v1, 0, v29, s[8:9]
	;; [unrolled: 5-line block ×3, first 2 shown]
	v_add_u32_e32 v1, v1, v53
	v_cndmask_b32_e64 v53, v50, v48, s[6:7]
	v_cndmask_b32_e64 v51, v51, v49, s[6:7]
	;; [unrolled: 1-line block ×10, first 2 shown]
	v_sub_u32_e32 v53, 32, v1
	v_cndmask_b32_e64 v48, v49, v46, s[8:9]
	v_alignbit_b32 v54, v50, v52, v53
	v_cmp_eq_u32_e64 s[12:13], 0, v1
	v_cndmask_b32_e64 v49, v51, v48, s[10:11]
	v_cndmask_b32_e64 v1, v54, v50, s[12:13]
	v_alignbit_b32 v50, v52, v49, v53
	v_cndmask_b32_e64 v45, v47, v45, s[6:7]
	v_cndmask_b32_e64 v50, v50, v52, s[12:13]
	v_bfe_u32 v54, v1, 29, 1
	v_cndmask_b32_e64 v45, v46, v45, s[8:9]
	v_alignbit_b32 v51, v1, v50, 30
	v_sub_u32_e32 v55, 0, v54
	v_cndmask_b32_e64 v45, v48, v45, s[10:11]
	v_xor_b32_e32 v51, v51, v55
	v_alignbit_b32 v46, v49, v45, v53
	v_cndmask_b32_e64 v46, v46, v49, s[12:13]
	v_ffbh_u32_e32 v48, v51
	v_alignbit_b32 v47, v50, v46, 30
	v_min_u32_e32 v48, 32, v48
	v_alignbit_b32 v45, v46, v45, 30
	v_xor_b32_e32 v47, v47, v55
	v_sub_u32_e32 v49, 31, v48
	v_xor_b32_e32 v45, v45, v55
	v_alignbit_b32 v50, v51, v47, v49
	v_alignbit_b32 v45, v47, v45, v49
	;; [unrolled: 1-line block ×3, first 2 shown]
	v_ffbh_u32_e32 v47, v46
	v_min_u32_e32 v47, 32, v47
	v_lshrrev_b32_e32 v52, 29, v1
	v_not_b32_e32 v49, v47
	v_alignbit_b32 v45, v46, v45, v49
	v_lshlrev_b32_e32 v46, 31, v52
	v_or_b32_e32 v49, 0x33000000, v46
	v_add_lshl_u32 v47, v47, v48, 23
	v_lshrrev_b32_e32 v45, 9, v45
	v_sub_u32_e32 v47, v49, v47
	v_or_b32_e32 v46, 0.5, v46
	v_lshlrev_b32_e32 v48, 23, v48
	v_or_b32_e32 v45, v47, v45
	v_lshrrev_b32_e32 v47, 9, v50
	v_sub_u32_e32 v46, v46, v48
	v_or_b32_e32 v46, v47, v46
	v_mul_f32_e32 v47, 0x3fc90fda, v46
	v_fma_f32 v48, v46, s35, -v47
	v_fmac_f32_e32 v48, 0x33a22168, v46
	v_fmac_f32_e32 v48, 0x3fc90fda, v45
	v_lshrrev_b32_e32 v1, 30, v1
	v_add_f32_e32 v45, v47, v48
	v_add_u32_e32 v1, v54, v1
	s_andn2_saveexec_b64 s[6:7], s[22:23]
	s_cbranch_execz .LBB104_47
.LBB104_52:                             ;   in Loop: Header=BB104_25 Depth=1
	v_mul_f32_e64 v1, |v32|, s36
	v_rndne_f32_e32 v46, v1
	v_cvt_i32_f32_e32 v1, v46
	v_fma_f32 v45, v46, s37, |v32|
	v_fmac_f32_e32 v45, 0xb3a22168, v46
	v_fmac_f32_e32 v45, 0xa7c234c4, v46
	s_or_b64 exec, exec, s[6:7]
	s_and_saveexec_b64 s[6:7], s[4:5]
	s_xor_b64 s[6:7], exec, s[6:7]
	s_cbranch_execz .LBB104_48
.LBB104_53:                             ;   in Loop: Header=BB104_25 Depth=1
	v_mul_f32_e32 v46, v37, v37
	v_mov_b32_e32 v47, 0x3c0881c4
	v_fmac_f32_e32 v47, 0xb94c1982, v46
	v_fma_f32 v47, v46, v47, v25
	v_mul_f32_e32 v47, v46, v47
	v_fmac_f32_e32 v37, v37, v47
	v_mov_b32_e32 v47, 0xbab64f3b
	v_fmac_f32_e32 v47, 0x37d75334, v46
	v_fma_f32 v47, v46, v47, v26
	v_fma_f32 v47, v46, v47, v27
	v_fma_f32 v46, v46, v47, 1.0
	v_and_b32_e32 v47, 1, v36
	v_lshlrev_b32_e32 v36, 30, v36
	v_cmp_eq_u32_e64 s[4:5], 0, v47
	v_and_b32_e32 v36, 0x80000000, v36
	v_xor_b32_e32 v35, v35, v34
	v_cndmask_b32_e64 v37, v46, v37, s[4:5]
	v_xor_b32_e32 v35, v35, v36
	v_xor_b32_e32 v35, v35, v37
	v_cmp_class_f32_e64 s[4:5], v34, s38
	v_cndmask_b32_e64 v36, v30, v35, s[4:5]
	v_mov_b32_e32 v35, s15
	v_add_co_u32_e64 v34, s[4:5], s14, v5
	v_addc_co_u32_e64 v35, s[4:5], v6, v35, s[4:5]
	global_store_dword v[34:35], v36, off
	s_or_b64 exec, exec, s[6:7]
	s_and_saveexec_b64 s[4:5], s[2:3]
	s_cbranch_execz .LBB104_49
.LBB104_54:                             ;   in Loop: Header=BB104_25 Depth=1
	v_mul_f32_e32 v34, v40, v40
	v_mov_b32_e32 v35, 0x3c0881c4
	v_fmac_f32_e32 v35, 0xb94c1982, v34
	v_fma_f32 v35, v34, v35, v25
	v_mul_f32_e32 v35, v34, v35
	v_fmac_f32_e32 v40, v40, v35
	v_mov_b32_e32 v35, 0xbab64f3b
	v_fmac_f32_e32 v35, 0x37d75334, v34
	v_fma_f32 v35, v34, v35, v26
	v_fma_f32 v35, v34, v35, v27
	v_fma_f32 v34, v34, v35, 1.0
	v_and_b32_e32 v35, 1, v39
	v_cmp_eq_u32_e64 s[2:3], 0, v35
	v_lshlrev_b32_e32 v35, 30, v39
	v_and_b32_e32 v35, 0x80000000, v35
	v_xor_b32_e32 v36, v38, v33
	v_cndmask_b32_e64 v34, v34, v40, s[2:3]
	v_xor_b32_e32 v35, v36, v35
	v_xor_b32_e32 v34, v35, v34
	v_cmp_class_f32_e64 s[2:3], v33, s38
	v_cndmask_b32_e64 v35, v30, v34, s[2:3]
	v_mov_b32_e32 v34, s15
	v_add_co_u32_e64 v33, s[2:3], s14, v19
	v_addc_co_u32_e64 v34, s[2:3], v20, v34, s[2:3]
	global_store_dword v[33:34], v35, off
	s_or_b64 exec, exec, s[4:5]
	s_and_saveexec_b64 s[2:3], s[0:1]
	s_cbranch_execz .LBB104_50
.LBB104_55:                             ;   in Loop: Header=BB104_25 Depth=1
	v_mul_f32_e32 v33, v43, v43
	v_mov_b32_e32 v34, 0x3c0881c4
	v_fmac_f32_e32 v34, 0xb94c1982, v33
	v_fma_f32 v34, v33, v34, v25
	v_mul_f32_e32 v34, v33, v34
	v_fmac_f32_e32 v43, v43, v34
	v_mov_b32_e32 v34, 0xbab64f3b
	v_fmac_f32_e32 v34, 0x37d75334, v33
	v_fma_f32 v34, v33, v34, v26
	v_fma_f32 v34, v33, v34, v27
	v_fma_f32 v33, v33, v34, 1.0
	v_and_b32_e32 v34, 1, v42
	v_cmp_eq_u32_e64 s[0:1], 0, v34
	v_lshlrev_b32_e32 v34, 30, v42
	v_and_b32_e32 v34, 0x80000000, v34
	v_xor_b32_e32 v35, v41, v31
	v_cndmask_b32_e64 v33, v33, v43, s[0:1]
	v_xor_b32_e32 v34, v35, v34
	v_xor_b32_e32 v33, v34, v33
	v_cmp_class_f32_e64 s[0:1], v31, s38
	v_cndmask_b32_e64 v31, v30, v33, s[0:1]
	v_mov_b32_e32 v34, s15
	v_add_co_u32_e64 v33, s[0:1], s14, v13
	v_addc_co_u32_e64 v34, s[0:1], v14, v34, s[0:1]
	global_store_dword v[33:34], v31, off
	s_or_b64 exec, exec, s[2:3]
	s_and_saveexec_b64 s[0:1], vcc
	s_cbranch_execz .LBB104_24
.LBB104_56:                             ;   in Loop: Header=BB104_25 Depth=1
	v_mul_f32_e32 v31, v45, v45
	v_mov_b32_e32 v33, 0x3c0881c4
	v_fmac_f32_e32 v33, 0xb94c1982, v31
	v_fma_f32 v33, v31, v33, v25
	v_mul_f32_e32 v33, v31, v33
	v_fmac_f32_e32 v45, v45, v33
	v_mov_b32_e32 v33, 0xbab64f3b
	v_fmac_f32_e32 v33, 0x37d75334, v31
	v_fma_f32 v33, v31, v33, v26
	v_fma_f32 v33, v31, v33, v27
	v_fma_f32 v31, v31, v33, 1.0
	v_and_b32_e32 v33, 1, v1
	v_lshlrev_b32_e32 v1, 30, v1
	v_cmp_eq_u32_e32 vcc, 0, v33
	v_and_b32_e32 v1, 0x80000000, v1
	v_xor_b32_e32 v33, v44, v32
	v_cndmask_b32_e32 v31, v31, v45, vcc
	v_xor_b32_e32 v1, v33, v1
	v_xor_b32_e32 v1, v1, v31
	v_cmp_class_f32_e64 vcc, v32, s38
	v_cndmask_b32_e32 v1, v30, v1, vcc
	v_mov_b32_e32 v32, s15
	v_add_co_u32_e32 v31, vcc, s14, v9
	v_addc_co_u32_e32 v32, vcc, v10, v32, vcc
	global_store_dword v[31:32], v1, off
	s_branch .LBB104_24
.LBB104_57:
	s_endpgm
	.section	.rodata,"a",@progbits
	.p2align	6, 0x0
	.amdhsa_kernel _ZN2at6native12_GLOBAL__N_125multi_tensor_apply_kernelINS1_18TensorListMetadataILi2EEENS1_14UnaryOpFunctorIfLi2ELi1ELi1EEEJNS0_3SinIfEEEEEvT_T0_DpT1_
		.amdhsa_group_segment_fixed_size 0
		.amdhsa_private_segment_fixed_size 0
		.amdhsa_kernarg_size 3408
		.amdhsa_user_sgpr_count 6
		.amdhsa_user_sgpr_private_segment_buffer 1
		.amdhsa_user_sgpr_dispatch_ptr 0
		.amdhsa_user_sgpr_queue_ptr 0
		.amdhsa_user_sgpr_kernarg_segment_ptr 1
		.amdhsa_user_sgpr_dispatch_id 0
		.amdhsa_user_sgpr_flat_scratch_init 0
		.amdhsa_user_sgpr_private_segment_size 0
		.amdhsa_uses_dynamic_stack 0
		.amdhsa_system_sgpr_private_segment_wavefront_offset 0
		.amdhsa_system_sgpr_workgroup_id_x 1
		.amdhsa_system_sgpr_workgroup_id_y 0
		.amdhsa_system_sgpr_workgroup_id_z 0
		.amdhsa_system_sgpr_workgroup_info 0
		.amdhsa_system_vgpr_workitem_id 0
		.amdhsa_next_free_vgpr 56
		.amdhsa_next_free_sgpr 39
		.amdhsa_reserve_vcc 1
		.amdhsa_reserve_flat_scratch 0
		.amdhsa_float_round_mode_32 0
		.amdhsa_float_round_mode_16_64 0
		.amdhsa_float_denorm_mode_32 3
		.amdhsa_float_denorm_mode_16_64 3
		.amdhsa_dx10_clamp 1
		.amdhsa_ieee_mode 1
		.amdhsa_fp16_overflow 0
		.amdhsa_exception_fp_ieee_invalid_op 0
		.amdhsa_exception_fp_denorm_src 0
		.amdhsa_exception_fp_ieee_div_zero 0
		.amdhsa_exception_fp_ieee_overflow 0
		.amdhsa_exception_fp_ieee_underflow 0
		.amdhsa_exception_fp_ieee_inexact 0
		.amdhsa_exception_int_div_zero 0
	.end_amdhsa_kernel
	.section	.text._ZN2at6native12_GLOBAL__N_125multi_tensor_apply_kernelINS1_18TensorListMetadataILi2EEENS1_14UnaryOpFunctorIfLi2ELi1ELi1EEEJNS0_3SinIfEEEEEvT_T0_DpT1_,"axG",@progbits,_ZN2at6native12_GLOBAL__N_125multi_tensor_apply_kernelINS1_18TensorListMetadataILi2EEENS1_14UnaryOpFunctorIfLi2ELi1ELi1EEEJNS0_3SinIfEEEEEvT_T0_DpT1_,comdat
.Lfunc_end104:
	.size	_ZN2at6native12_GLOBAL__N_125multi_tensor_apply_kernelINS1_18TensorListMetadataILi2EEENS1_14UnaryOpFunctorIfLi2ELi1ELi1EEEJNS0_3SinIfEEEEEvT_T0_DpT1_, .Lfunc_end104-_ZN2at6native12_GLOBAL__N_125multi_tensor_apply_kernelINS1_18TensorListMetadataILi2EEENS1_14UnaryOpFunctorIfLi2ELi1ELi1EEEJNS0_3SinIfEEEEEvT_T0_DpT1_
                                        ; -- End function
	.set _ZN2at6native12_GLOBAL__N_125multi_tensor_apply_kernelINS1_18TensorListMetadataILi2EEENS1_14UnaryOpFunctorIfLi2ELi1ELi1EEEJNS0_3SinIfEEEEEvT_T0_DpT1_.num_vgpr, 56
	.set _ZN2at6native12_GLOBAL__N_125multi_tensor_apply_kernelINS1_18TensorListMetadataILi2EEENS1_14UnaryOpFunctorIfLi2ELi1ELi1EEEJNS0_3SinIfEEEEEvT_T0_DpT1_.num_agpr, 0
	.set _ZN2at6native12_GLOBAL__N_125multi_tensor_apply_kernelINS1_18TensorListMetadataILi2EEENS1_14UnaryOpFunctorIfLi2ELi1ELi1EEEJNS0_3SinIfEEEEEvT_T0_DpT1_.numbered_sgpr, 39
	.set _ZN2at6native12_GLOBAL__N_125multi_tensor_apply_kernelINS1_18TensorListMetadataILi2EEENS1_14UnaryOpFunctorIfLi2ELi1ELi1EEEJNS0_3SinIfEEEEEvT_T0_DpT1_.num_named_barrier, 0
	.set _ZN2at6native12_GLOBAL__N_125multi_tensor_apply_kernelINS1_18TensorListMetadataILi2EEENS1_14UnaryOpFunctorIfLi2ELi1ELi1EEEJNS0_3SinIfEEEEEvT_T0_DpT1_.private_seg_size, 0
	.set _ZN2at6native12_GLOBAL__N_125multi_tensor_apply_kernelINS1_18TensorListMetadataILi2EEENS1_14UnaryOpFunctorIfLi2ELi1ELi1EEEJNS0_3SinIfEEEEEvT_T0_DpT1_.uses_vcc, 1
	.set _ZN2at6native12_GLOBAL__N_125multi_tensor_apply_kernelINS1_18TensorListMetadataILi2EEENS1_14UnaryOpFunctorIfLi2ELi1ELi1EEEJNS0_3SinIfEEEEEvT_T0_DpT1_.uses_flat_scratch, 0
	.set _ZN2at6native12_GLOBAL__N_125multi_tensor_apply_kernelINS1_18TensorListMetadataILi2EEENS1_14UnaryOpFunctorIfLi2ELi1ELi1EEEJNS0_3SinIfEEEEEvT_T0_DpT1_.has_dyn_sized_stack, 0
	.set _ZN2at6native12_GLOBAL__N_125multi_tensor_apply_kernelINS1_18TensorListMetadataILi2EEENS1_14UnaryOpFunctorIfLi2ELi1ELi1EEEJNS0_3SinIfEEEEEvT_T0_DpT1_.has_recursion, 0
	.set _ZN2at6native12_GLOBAL__N_125multi_tensor_apply_kernelINS1_18TensorListMetadataILi2EEENS1_14UnaryOpFunctorIfLi2ELi1ELi1EEEJNS0_3SinIfEEEEEvT_T0_DpT1_.has_indirect_call, 0
	.section	.AMDGPU.csdata,"",@progbits
; Kernel info:
; codeLenInByte = 7396
; TotalNumSgprs: 43
; NumVgprs: 56
; ScratchSize: 0
; MemoryBound: 0
; FloatMode: 240
; IeeeMode: 1
; LDSByteSize: 0 bytes/workgroup (compile time only)
; SGPRBlocks: 5
; VGPRBlocks: 13
; NumSGPRsForWavesPerEU: 43
; NumVGPRsForWavesPerEU: 56
; Occupancy: 4
; WaveLimiterHint : 0
; COMPUTE_PGM_RSRC2:SCRATCH_EN: 0
; COMPUTE_PGM_RSRC2:USER_SGPR: 6
; COMPUTE_PGM_RSRC2:TRAP_HANDLER: 0
; COMPUTE_PGM_RSRC2:TGID_X_EN: 1
; COMPUTE_PGM_RSRC2:TGID_Y_EN: 0
; COMPUTE_PGM_RSRC2:TGID_Z_EN: 0
; COMPUTE_PGM_RSRC2:TIDIG_COMP_CNT: 0
	.text
	.p2align	2                               ; -- Begin function _ZN6thrust23THRUST_200600_302600_NS6detail7complex5csinhERKNS0_7complexIdEE
	.type	_ZN6thrust23THRUST_200600_302600_NS6detail7complex5csinhERKNS0_7complexIdEE,@function
_ZN6thrust23THRUST_200600_302600_NS6detail7complex5csinhERKNS0_7complexIdEE: ; @_ZN6thrust23THRUST_200600_302600_NS6detail7complex5csinhERKNS0_7complexIdEE
; %bb.0:
	s_waitcnt vmcnt(0) expcnt(0) lgkmcnt(0)
	v_and_b32_e32 v8, 0x7fffffff, v1
	v_and_b32_e32 v9, 0x7fffffff, v3
	s_mov_b32 s10, 0x7ff00000
	v_max_u32_e32 v4, v8, v9
	s_mov_b32 s6, 0x7fefffff
	v_cmp_gt_u32_e64 s[4:5], s10, v8
	v_cmp_lt_u32_e32 vcc, s6, v4
                                        ; implicit-def: $vgpr6_vgpr7
                                        ; implicit-def: $vgpr4_vgpr5
	s_and_saveexec_b64 s[8:9], vcc
	s_xor_b64 s[12:13], exec, s[8:9]
	s_cbranch_execz .LBB105_32
; %bb.1:
	v_or_b32_e32 v4, v8, v0
	v_cmp_ne_u32_e64 s[8:9], 0, v4
	v_cmp_gt_u32_e32 vcc, s10, v9
	v_cmp_lt_u32_e64 s[6:7], s6, v9
	s_or_b64 s[8:9], s[8:9], vcc
                                        ; implicit-def: $vgpr6_vgpr7
                                        ; implicit-def: $vgpr4_vgpr5
	s_and_saveexec_b64 s[10:11], s[8:9]
	s_xor_b64 s[14:15], exec, s[10:11]
	s_cbranch_execz .LBB105_29
; %bb.2:
	v_or_b32_e32 v4, v9, v2
	s_mov_b32 s16, 0x7ff00000
	v_cmp_ne_u32_e64 s[10:11], 0, v4
	s_mov_b32 s8, 0x7fefffff
	v_cmp_gt_u32_e64 s[16:17], s16, v8
	v_cmp_lt_u32_e64 s[8:9], s8, v8
	s_or_b64 s[10:11], s[10:11], s[16:17]
                                        ; implicit-def: $vgpr6_vgpr7
                                        ; implicit-def: $vgpr4_vgpr5
	s_and_saveexec_b64 s[18:19], s[10:11]
	s_xor_b64 s[10:11], exec, s[18:19]
	s_cbranch_execz .LBB105_26
; %bb.3:
	s_and_b64 s[4:5], s[4:5], s[6:7]
	s_xor_b64 s[4:5], s[4:5], -1
                                        ; implicit-def: $vgpr6_vgpr7
                                        ; implicit-def: $vgpr4_vgpr5
	s_and_saveexec_b64 s[6:7], s[4:5]
	s_xor_b64 s[6:7], exec, s[6:7]
	s_cbranch_execz .LBB105_23
; %bb.4:
	s_mov_b64 s[18:19], 0
	s_and_saveexec_b64 s[20:21], s[8:9]
; %bb.5:
	s_mov_b32 s4, 0xfffff
	v_and_or_b32 v4, v1, s4, v0
	v_cmp_ne_u32_e64 s[4:5], 0, v4
	s_andn2_b64 s[8:9], s[16:17], exec
	s_and_b64 s[4:5], s[4:5], exec
	s_mov_b64 s[18:19], exec
	s_or_b64 s[16:17], s[8:9], s[4:5]
; %bb.6:
	s_or_b64 exec, exec, s[20:21]
                                        ; implicit-def: $vgpr6_vgpr7
                                        ; implicit-def: $vgpr4_vgpr5
	s_and_saveexec_b64 s[4:5], s[16:17]
	s_xor_b64 s[4:5], exec, s[4:5]
	s_cbranch_execz .LBB105_8
; %bb.7:
	v_mul_f64 v[4:5], v[0:1], v[0:1]
	v_add_f64 v[6:7], v[2:3], -v[2:3]
	v_add_f64 v[8:9], v[0:1], v[0:1]
	s_andn2_b64 s[18:19], s[18:19], exec
	v_mul_f64 v[4:5], v[4:5], v[6:7]
	v_mul_f64 v[6:7], v[8:9], v[6:7]
	s_or_b64 exec, exec, s[4:5]
	s_and_saveexec_b64 s[8:9], s[18:19]
	s_cbranch_execz .LBB105_22
	s_branch .LBB105_9
.LBB105_8:
	s_or_b64 exec, exec, s[4:5]
	s_and_saveexec_b64 s[8:9], s[18:19]
	s_cbranch_execz .LBB105_22
.LBB105_9:
                                        ; implicit-def: $vgpr6_vgpr7
                                        ; implicit-def: $vgpr4_vgpr5
	s_and_saveexec_b64 s[4:5], vcc
	s_xor_b64 s[16:17], exec, s[4:5]
	s_cbranch_execz .LBB105_19
; %bb.10:
	s_mov_b32 s4, 0
	s_mov_b32 s5, 0x41d00000
	v_cmp_nlt_f64_e64 s[18:19], |v[2:3]|, s[4:5]
                                        ; implicit-def: $vgpr12
                                        ; implicit-def: $vgpr4_vgpr5
                                        ; implicit-def: $vgpr6_vgpr7
	s_and_saveexec_b64 s[4:5], s[18:19]
	s_xor_b64 s[20:21], exec, s[4:5]
	s_cbranch_execz .LBB105_12
; %bb.11:
	v_trig_preop_f64 v[4:5], |v[2:3]|, 0
	s_mov_b32 s4, 0
	s_mov_b32 s5, 0x7b000000
	s_movk_i32 s22, 0xff80
	v_ldexp_f64 v[8:9], |v[2:3]|, s22
	v_cmp_ge_f64_e64 vcc, |v[2:3]|, s[4:5]
	v_trig_preop_f64 v[6:7], |v[2:3]|, 1
	v_and_b32_e32 v10, 0x7fffffff, v3
	v_trig_preop_f64 v[16:17], |v[2:3]|, 2
	s_mov_b32 s4, 0
	s_mov_b32 s5, 0x7ff00000
	v_mov_b32_e32 v27, 0x40100000
	v_mov_b32_e32 v26, 0
	v_cndmask_b32_e32 v9, v10, v9, vcc
	v_cndmask_b32_e32 v8, v2, v8, vcc
	s_mov_b32 s22, 0x33145c07
	v_mul_f64 v[10:11], v[4:5], v[8:9]
	s_mov_b32 s23, 0x3c91a626
	v_mul_f64 v[12:13], v[6:7], v[8:9]
	v_mul_f64 v[22:23], v[16:17], v[8:9]
	v_fma_f64 v[4:5], v[4:5], v[8:9], -v[10:11]
	v_fma_f64 v[6:7], v[6:7], v[8:9], -v[12:13]
	;; [unrolled: 1-line block ×3, first 2 shown]
	v_add_f64 v[14:15], v[12:13], v[4:5]
	v_add_f64 v[18:19], v[14:15], -v[12:13]
	v_add_f64 v[24:25], v[10:11], v[14:15]
	v_add_f64 v[20:21], v[14:15], -v[18:19]
	v_add_f64 v[4:5], v[4:5], -v[18:19]
	v_add_f64 v[18:19], v[22:23], v[6:7]
	v_add_f64 v[10:11], v[24:25], -v[10:11]
	v_add_f64 v[12:13], v[12:13], -v[20:21]
	v_ldexp_f64 v[20:21], v[24:25], -2
	v_add_f64 v[28:29], v[18:19], -v[22:23]
	v_add_f64 v[10:11], v[14:15], -v[10:11]
	v_add_f64 v[4:5], v[4:5], v[12:13]
	v_fract_f64_e32 v[12:13], v[20:21]
	v_cmp_neq_f64_e64 vcc, |v[20:21]|, s[4:5]
	v_add_f64 v[6:7], v[6:7], -v[28:29]
	v_add_f64 v[14:15], v[18:19], v[4:5]
	v_ldexp_f64 v[12:13], v[12:13], 2
	v_add_f64 v[20:21], v[10:11], v[14:15]
	v_cndmask_b32_e32 v13, 0, v13, vcc
	v_cndmask_b32_e32 v12, 0, v12, vcc
	v_add_f64 v[30:31], v[14:15], -v[18:19]
	v_add_f64 v[24:25], v[20:21], v[12:13]
	v_add_f64 v[10:11], v[20:21], -v[10:11]
	v_add_f64 v[32:33], v[14:15], -v[30:31]
	;; [unrolled: 1-line block ×3, first 2 shown]
	v_cmp_gt_f64_e32 vcc, 0, v[24:25]
	v_add_f64 v[24:25], v[18:19], -v[28:29]
	v_add_f64 v[10:11], v[14:15], -v[10:11]
	;; [unrolled: 1-line block ×3, first 2 shown]
	v_cndmask_b32_e32 v27, 0, v27, vcc
	v_add_f64 v[12:13], v[12:13], v[26:27]
	v_add_f64 v[24:25], v[22:23], -v[24:25]
	v_add_f64 v[4:5], v[4:5], v[18:19]
	v_add_f64 v[34:35], v[20:21], v[12:13]
	;; [unrolled: 1-line block ×3, first 2 shown]
	v_cvt_i32_f64_e32 v29, v[34:35]
	v_add_f64 v[4:5], v[6:7], v[4:5]
	v_cvt_f64_i32_e32 v[27:28], v29
	v_add_f64 v[12:13], v[12:13], -v[27:28]
	v_add_f64 v[4:5], v[8:9], v[4:5]
	v_add_f64 v[6:7], v[20:21], v[12:13]
	v_add_f64 v[4:5], v[10:11], v[4:5]
	v_mov_b32_e32 v10, 0x3ff00000
	v_add_f64 v[8:9], v[6:7], -v[12:13]
	v_cmp_le_f64_e32 vcc, 0.5, v[6:7]
	v_add_f64 v[8:9], v[20:21], -v[8:9]
	v_cndmask_b32_e32 v27, 0, v10, vcc
	v_add_f64 v[6:7], v[6:7], -v[26:27]
	v_addc_co_u32_e64 v12, s[4:5], 0, v29, vcc
	s_mov_b32 s4, 0x54442d18
	s_mov_b32 s5, 0x3ff921fb
	v_add_f64 v[4:5], v[4:5], v[8:9]
	v_add_f64 v[8:9], v[6:7], v[4:5]
	v_mul_f64 v[10:11], v[8:9], s[4:5]
	v_add_f64 v[6:7], v[8:9], -v[6:7]
	v_fma_f64 v[13:14], v[8:9], s[4:5], -v[10:11]
	v_add_f64 v[4:5], v[4:5], -v[6:7]
	v_fma_f64 v[6:7], v[8:9], s[22:23], v[13:14]
	v_fma_f64 v[6:7], v[4:5], s[4:5], v[6:7]
	v_add_f64 v[4:5], v[10:11], v[6:7]
	v_add_f64 v[8:9], v[4:5], -v[10:11]
	v_add_f64 v[6:7], v[6:7], -v[8:9]
	s_andn2_saveexec_b64 s[4:5], s[20:21]
	s_cbranch_execz .LBB105_14
	s_branch .LBB105_13
.LBB105_12:
	s_andn2_saveexec_b64 s[4:5], s[20:21]
	s_cbranch_execz .LBB105_14
.LBB105_13:
	s_mov_b32 s20, 0x6dc9c883
	s_mov_b32 s21, 0x3fe45f30
	v_mul_f64 v[4:5], |v[2:3]|, s[20:21]
	s_mov_b32 s20, 0x54442d18
	s_mov_b32 s21, 0xbff921fb
	;; [unrolled: 1-line block ×4, first 2 shown]
	v_rndne_f64_e32 v[8:9], v[4:5]
	v_fma_f64 v[4:5], v[8:9], s[20:21], |v[2:3]|
	v_mul_f64 v[6:7], v[8:9], s[22:23]
	s_mov_b32 s20, 0x252049c0
	s_mov_b32 s21, 0xb97b839a
	v_fma_f64 v[14:15], v[8:9], s[22:23], v[4:5]
	v_add_f64 v[10:11], v[4:5], v[6:7]
	s_mov_b32 s23, 0x3c91a626
	v_add_f64 v[12:13], v[4:5], -v[10:11]
	v_add_f64 v[10:11], v[10:11], -v[14:15]
	v_add_f64 v[4:5], v[12:13], v[6:7]
	v_fma_f64 v[6:7], v[8:9], s[22:23], v[6:7]
	v_cvt_i32_f64_e32 v12, v[8:9]
	v_add_f64 v[4:5], v[10:11], v[4:5]
	v_add_f64 v[4:5], v[4:5], -v[6:7]
	v_fma_f64 v[6:7], v[8:9], s[20:21], v[4:5]
	v_add_f64 v[4:5], v[14:15], v[6:7]
	v_add_f64 v[10:11], v[4:5], -v[14:15]
	v_add_f64 v[6:7], v[6:7], -v[10:11]
.LBB105_14:
	s_or_b64 exec, exec, s[4:5]
                                        ; implicit-def: $vgpr13
                                        ; implicit-def: $vgpr8_vgpr9
                                        ; implicit-def: $vgpr10_vgpr11
	s_and_saveexec_b64 s[4:5], s[18:19]
	s_xor_b64 s[18:19], exec, s[4:5]
	s_cbranch_execz .LBB105_16
; %bb.15:
	v_trig_preop_f64 v[8:9], |v[2:3]|, 0
	s_mov_b32 s4, 0
	s_mov_b32 s5, 0x7b000000
	v_cmp_ge_f64_e64 vcc, |v[2:3]|, s[4:5]
	s_movk_i32 s4, 0xff80
	v_ldexp_f64 v[13:14], |v[2:3]|, s4
	v_trig_preop_f64 v[10:11], |v[2:3]|, 1
	v_and_b32_e32 v15, 0x7fffffff, v3
	s_mov_b32 s4, 0
	s_mov_b32 s5, 0x7ff00000
	;; [unrolled: 1-line block ×4, first 2 shown]
	v_cndmask_b32_e32 v14, v15, v14, vcc
	v_cndmask_b32_e32 v13, v2, v13, vcc
	v_mul_f64 v[17:18], v[8:9], v[13:14]
	v_mul_f64 v[15:16], v[10:11], v[13:14]
	v_fma_f64 v[8:9], v[8:9], v[13:14], -v[17:18]
	v_fma_f64 v[10:11], v[10:11], v[13:14], -v[15:16]
	v_add_f64 v[19:20], v[15:16], v[8:9]
	v_add_f64 v[27:28], v[19:20], -v[15:16]
	v_add_f64 v[21:22], v[17:18], v[19:20]
	v_add_f64 v[8:9], v[8:9], -v[27:28]
	v_add_f64 v[27:28], v[19:20], -v[27:28]
	v_ldexp_f64 v[23:24], v[21:22], -2
	v_add_f64 v[17:18], v[21:22], -v[17:18]
	v_add_f64 v[27:28], v[15:16], -v[27:28]
	v_trig_preop_f64 v[15:16], |v[2:3]|, 2
	v_fract_f64_e32 v[25:26], v[23:24]
	v_add_f64 v[17:18], v[19:20], -v[17:18]
	v_cmp_neq_f64_e64 vcc, |v[23:24]|, s[4:5]
	v_add_f64 v[8:9], v[8:9], v[27:28]
	v_mul_f64 v[27:28], v[15:16], v[13:14]
	v_add_f64 v[29:30], v[27:28], v[10:11]
	v_add_f64 v[31:32], v[29:30], v[8:9]
	v_add_f64 v[21:22], v[31:32], -v[29:30]
	v_add_f64 v[19:20], v[17:18], v[31:32]
	v_add_f64 v[8:9], v[8:9], -v[21:22]
	v_add_f64 v[21:22], v[31:32], -v[21:22]
	;; [unrolled: 1-line block ×5, first 2 shown]
	v_add_f64 v[8:9], v[8:9], v[21:22]
	v_add_f64 v[21:22], v[29:30], -v[27:28]
	v_add_f64 v[10:11], v[10:11], -v[21:22]
	;; [unrolled: 1-line block ×4, first 2 shown]
	v_add_f64 v[10:11], v[10:11], v[21:22]
	v_add_f64 v[8:9], v[10:11], v[8:9]
	v_fma_f64 v[10:11], v[15:16], v[13:14], -v[27:28]
	v_add_f64 v[8:9], v[10:11], v[8:9]
	v_ldexp_f64 v[10:11], v[25:26], 2
	v_add_f64 v[8:9], v[17:18], v[8:9]
	v_cndmask_b32_e32 v11, 0, v11, vcc
	v_cndmask_b32_e32 v10, 0, v10, vcc
	v_add_f64 v[13:14], v[19:20], v[10:11]
	v_cmp_gt_f64_e32 vcc, 0, v[13:14]
	v_mov_b32_e32 v13, 0x40100000
	v_mov_b32_e32 v14, 0
	v_cndmask_b32_e32 v15, 0, v13, vcc
	v_add_f64 v[10:11], v[10:11], v[14:15]
	v_add_f64 v[15:16], v[19:20], v[10:11]
	v_cvt_i32_f64_e32 v13, v[15:16]
	v_cvt_f64_i32_e32 v[15:16], v13
	v_add_f64 v[10:11], v[10:11], -v[15:16]
	v_add_f64 v[16:17], v[19:20], v[10:11]
	v_add_f64 v[10:11], v[16:17], -v[10:11]
	v_cmp_le_f64_e32 vcc, 0.5, v[16:17]
	v_add_f64 v[10:11], v[19:20], -v[10:11]
	v_addc_co_u32_e64 v13, s[4:5], 0, v13, vcc
	s_mov_b32 s4, 0x54442d18
	s_mov_b32 s5, 0x3ff921fb
	v_add_f64 v[8:9], v[8:9], v[10:11]
	v_mov_b32_e32 v10, 0x3ff00000
	v_cndmask_b32_e32 v15, 0, v10, vcc
	v_add_f64 v[10:11], v[16:17], -v[14:15]
	v_add_f64 v[14:15], v[10:11], v[8:9]
	v_add_f64 v[10:11], v[14:15], -v[10:11]
	v_add_f64 v[8:9], v[8:9], -v[10:11]
	v_mul_f64 v[10:11], v[14:15], s[4:5]
	v_fma_f64 v[16:17], v[14:15], s[4:5], -v[10:11]
	v_fma_f64 v[14:15], v[14:15], s[20:21], v[16:17]
	v_fma_f64 v[14:15], v[8:9], s[4:5], v[14:15]
	v_add_f64 v[8:9], v[10:11], v[14:15]
	v_add_f64 v[10:11], v[8:9], -v[10:11]
	v_add_f64 v[10:11], v[14:15], -v[10:11]
	s_andn2_saveexec_b64 s[4:5], s[18:19]
	s_cbranch_execnz .LBB105_17
	s_branch .LBB105_18
.LBB105_16:
	s_andn2_saveexec_b64 s[4:5], s[18:19]
	s_cbranch_execz .LBB105_18
.LBB105_17:
	s_mov_b32 s18, 0x6dc9c883
	s_mov_b32 s19, 0x3fe45f30
	v_mul_f64 v[8:9], |v[2:3]|, s[18:19]
	s_mov_b32 s18, 0x54442d18
	s_mov_b32 s19, 0xbff921fb
	;; [unrolled: 1-line block ×4, first 2 shown]
	v_rndne_f64_e32 v[13:14], v[8:9]
	v_fma_f64 v[8:9], v[13:14], s[18:19], |v[2:3]|
	v_mul_f64 v[10:11], v[13:14], s[20:21]
	s_mov_b32 s18, 0x252049c0
	s_mov_b32 s19, 0xb97b839a
	v_fma_f64 v[19:20], v[13:14], s[20:21], v[8:9]
	v_add_f64 v[15:16], v[8:9], v[10:11]
	s_mov_b32 s21, 0x3c91a626
	v_add_f64 v[17:18], v[8:9], -v[15:16]
	v_add_f64 v[15:16], v[15:16], -v[19:20]
	v_add_f64 v[8:9], v[17:18], v[10:11]
	v_fma_f64 v[10:11], v[13:14], s[20:21], v[10:11]
	v_add_f64 v[8:9], v[15:16], v[8:9]
	v_add_f64 v[8:9], v[8:9], -v[10:11]
	v_fma_f64 v[10:11], v[13:14], s[18:19], v[8:9]
	v_cvt_i32_f64_e32 v13, v[13:14]
	v_add_f64 v[8:9], v[19:20], v[10:11]
	v_add_f64 v[15:16], v[8:9], -v[19:20]
	v_add_f64 v[10:11], v[10:11], -v[15:16]
.LBB105_18:
	s_or_b64 exec, exec, s[4:5]
	v_mul_f64 v[14:15], v[4:5], v[4:5]
	s_mov_b32 s18, 0xb42fdfa7
	s_mov_b32 s19, 0xbe5ae600
	;; [unrolled: 1-line block ×3, first 2 shown]
	v_mul_f64 v[16:17], v[8:9], v[8:9]
	v_mov_b32_e32 v21, s19
	s_mov_b32 s5, 0x3de5e0b2
	v_mov_b32_e32 v20, s18
	v_mul_f64 v[18:19], v[14:15], 0.5
	v_fma_f64 v[22:23], v[14:15], s[4:5], v[20:21]
	s_mov_b32 s18, 0x796cde01
	s_mov_b32 s19, 0x3ec71de3
	v_mul_f64 v[24:25], v[16:17], 0.5
	s_mov_b32 s20, 0x19e83e5c
	s_mov_b32 s21, 0xbf2a01a0
	;; [unrolled: 1-line block ×3, first 2 shown]
	v_add_f64 v[26:27], -v[18:19], 1.0
	v_fma_f64 v[22:23], v[14:15], v[22:23], s[18:19]
	s_mov_b32 s23, 0x3f811111
	v_mul_f64 v[32:33], v[6:7], 0.5
	v_add_f64 v[28:29], -v[24:25], 1.0
	s_mov_b32 s24, 0x9037ab78
	s_mov_b32 s25, 0x3e21eeb6
	;; [unrolled: 1-line block ×3, first 2 shown]
	v_add_f64 v[30:31], -v[26:27], 1.0
	v_fma_f64 v[22:23], v[14:15], v[22:23], s[20:21]
	s_mov_b32 s27, 0xbda907db
	v_fma_f64 v[20:21], v[16:17], s[4:5], v[20:21]
	v_add_f64 v[34:35], -v[28:29], 1.0
	s_mov_b32 s4, 0xa17f65f6
	s_mov_b32 s5, 0xbe927e4f
	v_add_f64 v[18:19], v[30:31], -v[18:19]
	v_mul_f64 v[30:31], v[4:5], -v[14:15]
	v_fma_f64 v[22:23], v[14:15], v[22:23], s[22:23]
	v_fma_f64 v[20:21], v[16:17], v[20:21], s[18:19]
	v_add_f64 v[24:25], v[34:35], -v[24:25]
	v_mov_b32_e32 v35, s25
	v_mov_b32_e32 v34, s24
	s_mov_b32 s18, 0x19f4ec90
	s_mov_b32 s19, 0x3efa01a0
	;; [unrolled: 1-line block ×3, first 2 shown]
	v_fma_f64 v[22:23], v[30:31], v[22:23], v[32:33]
	v_fma_f64 v[32:33], v[14:15], s[26:27], v[34:35]
	;; [unrolled: 1-line block ×4, first 2 shown]
	s_mov_b32 s25, 0xbf56c16c
	s_mov_b32 s21, 0xbfc55555
	v_fma_f64 v[24:25], v[8:9], -v[10:11], v[24:25]
	v_fma_f64 v[22:23], v[14:15], v[22:23], -v[6:7]
	v_fma_f64 v[32:33], v[14:15], v[32:33], s[4:5]
	v_fma_f64 v[34:35], v[16:17], v[34:35], s[4:5]
	s_mov_b32 s4, 0x55555555
	s_mov_b32 s5, 0x3fa55555
	;; [unrolled: 1-line block ×3, first 2 shown]
	v_fma_f64 v[20:21], v[16:17], v[20:21], s[22:23]
	v_fma_f64 v[6:7], v[4:5], -v[6:7], v[18:19]
	v_fma_f64 v[18:19], v[30:31], s[20:21], v[22:23]
	v_fma_f64 v[32:33], v[14:15], v[32:33], s[18:19]
	;; [unrolled: 1-line block ×3, first 2 shown]
	v_mul_f64 v[22:23], v[8:9], -v[16:17]
	v_mul_f64 v[30:31], v[10:11], 0.5
	v_add_f64 v[4:5], v[4:5], -v[18:19]
	v_fma_f64 v[32:33], v[14:15], v[32:33], s[24:25]
	v_fma_f64 v[34:35], v[16:17], v[34:35], s[24:25]
	;; [unrolled: 1-line block ×3, first 2 shown]
	v_xor_b32_e32 v5, 0x80000000, v5
	v_fma_f64 v[32:33], v[14:15], v[32:33], s[4:5]
	v_mul_f64 v[14:15], v[14:15], v[14:15]
	v_fma_f64 v[30:31], v[16:17], v[34:35], s[4:5]
	v_fma_f64 v[10:11], v[16:17], v[20:21], -v[10:11]
	s_movk_i32 s4, 0x1f8
	v_fma_f64 v[6:7], v[14:15], v[32:33], v[6:7]
	v_mul_f64 v[14:15], v[16:17], v[16:17]
	v_fma_f64 v[10:11], v[22:23], s[20:21], v[10:11]
	v_and_b32_e32 v16, 1, v12
	v_cmp_eq_u32_e32 vcc, 0, v16
	v_add_f64 v[6:7], v[26:27], v[6:7]
	v_fma_f64 v[14:15], v[14:15], v[30:31], v[24:25]
	v_add_f64 v[8:9], v[8:9], -v[10:11]
	v_mov_b32_e32 v10, 0x7ff80000
	v_cndmask_b32_e32 v4, v4, v6, vcc
	v_cndmask_b32_e32 v5, v5, v7, vcc
	v_cmp_class_f64_e64 vcc, v[2:3], s4
	v_add_f64 v[6:7], v[28:29], v[14:15]
	v_lshlrev_b32_e32 v2, 30, v12
	v_and_b32_e32 v2, 0x80000000, v2
	v_xor_b32_e32 v2, v5, v2
	v_cndmask_b32_e32 v4, 0, v4, vcc
	v_cndmask_b32_e32 v5, v10, v2, vcc
	v_mul_f64 v[4:5], v[0:1], v[4:5]
	v_and_b32_e32 v0, 1, v13
	v_lshlrev_b32_e32 v2, 30, v13
	v_cmp_eq_u32_e64 s[4:5], 0, v0
	v_xor_b32_e32 v2, v2, v3
	v_cndmask_b32_e64 v1, v7, v9, s[4:5]
	v_and_b32_e32 v2, 0x80000000, v2
	v_cndmask_b32_e64 v0, v6, v8, s[4:5]
	v_xor_b32_e32 v1, v1, v2
	s_mov_b32 s4, 0
	v_cndmask_b32_e32 v0, 0, v0, vcc
	v_cndmask_b32_e32 v1, v10, v1, vcc
	s_mov_b32 s5, 0x7ff00000
	v_mul_f64 v[6:7], v[0:1], s[4:5]
                                        ; implicit-def: $vgpr0_vgpr1
                                        ; implicit-def: $vgpr2_vgpr3
.LBB105_19:
	s_andn2_saveexec_b64 s[4:5], s[16:17]
	s_cbranch_execz .LBB105_21
; %bb.20:
	v_add_f64 v[2:3], v[2:3], -v[2:3]
	v_mul_f64 v[4:5], v[0:1], v[0:1]
	v_mul_f64 v[6:7], v[0:1], v[2:3]
.LBB105_21:
	s_or_b64 exec, exec, s[4:5]
.LBB105_22:
	s_or_b64 exec, exec, s[8:9]
                                        ; implicit-def: $vgpr2_vgpr3
                                        ; implicit-def: $vgpr0_vgpr1
.LBB105_23:
	s_andn2_saveexec_b64 s[4:5], s[6:7]
	s_cbranch_execz .LBB105_25
; %bb.24:
	v_add_f64 v[4:5], v[2:3], -v[2:3]
	v_mul_f64 v[6:7], v[0:1], v[4:5]
.LBB105_25:
	s_or_b64 exec, exec, s[4:5]
                                        ; implicit-def: $vgpr1
                                        ; implicit-def: $vgpr2_vgpr3
.LBB105_26:
	s_andn2_saveexec_b64 s[4:5], s[10:11]
; %bb.27:
	s_mov_b32 s6, 0xfffff
	v_and_or_b32 v4, v1, s6, v0
	v_and_b32_e32 v5, 0x80000000, v3
	v_cmp_eq_u32_e32 vcc, 0, v4
	v_cndmask_b32_e32 v7, v5, v3, vcc
	v_mov_b32_e32 v5, v1
	v_cndmask_b32_e32 v6, 0, v2, vcc
	v_mov_b32_e32 v4, v0
; %bb.28:
	s_or_b64 exec, exec, s[4:5]
                                        ; implicit-def: $vgpr2_vgpr3
                                        ; implicit-def: $vgpr0_vgpr1
.LBB105_29:
	s_andn2_saveexec_b64 s[4:5], s[14:15]
	s_cbranch_execz .LBB105_31
; %bb.30:
	v_add_f64 v[6:7], v[2:3], -v[2:3]
	s_brev_b32 s6, -2
	v_mov_b32_e32 v4, 0
	v_mul_f64 v[0:1], v[0:1], v[6:7]
	v_bfi_b32 v5, s6, 0, v1
.LBB105_31:
	s_or_b64 exec, exec, s[4:5]
                                        ; implicit-def: $vgpr2_vgpr3
                                        ; implicit-def: $vgpr0_vgpr1
                                        ; implicit-def: $vgpr9
                                        ; implicit-def: $vgpr8
.LBB105_32:
	s_andn2_saveexec_b64 s[8:9], s[12:13]
	s_cbranch_execz .LBB105_82
; %bb.33:
	v_or_b32_e32 v4, v9, v2
	v_cmp_ne_u32_e32 vcc, 0, v4
                                        ; implicit-def: $vgpr6_vgpr7
                                        ; implicit-def: $vgpr4_vgpr5
	s_and_saveexec_b64 s[4:5], vcc
	s_xor_b64 s[10:11], exec, s[4:5]
	s_cbranch_execz .LBB105_79
; %bb.34:
	s_mov_b32 s4, 0x4035ffff
	v_cmp_lt_u32_e32 vcc, s4, v8
                                        ; implicit-def: $vgpr6_vgpr7
                                        ; implicit-def: $vgpr4_vgpr5
	s_and_saveexec_b64 s[4:5], vcc
	s_xor_b64 s[12:13], exec, s[4:5]
	s_cbranch_execz .LBB105_68
; %bb.35:
	s_mov_b32 s4, 0x40862e41
	v_cmp_lt_u32_e32 vcc, s4, v8
                                        ; implicit-def: $vgpr6_vgpr7
                                        ; implicit-def: $vgpr4_vgpr5
	s_and_saveexec_b64 s[4:5], vcc
	s_xor_b64 s[14:15], exec, s[4:5]
	s_cbranch_execz .LBB105_57
; %bb.36:
	s_mov_b32 s4, 0
	s_mov_b32 s5, 0x41d00000
	v_cmp_nlt_f64_e64 s[6:7], |v[2:3]|, s[4:5]
	s_mov_b32 s4, 0x4096bba9
	v_cmp_lt_u32_e32 vcc, s4, v8
                                        ; implicit-def: $vgpr6_vgpr7
                                        ; implicit-def: $vgpr4_vgpr5
	s_and_saveexec_b64 s[4:5], vcc
	s_xor_b64 s[16:17], exec, s[4:5]
	s_cbranch_execz .LBB105_46
; %bb.37:
                                        ; implicit-def: $vgpr12
                                        ; implicit-def: $vgpr4_vgpr5
                                        ; implicit-def: $vgpr6_vgpr7
	s_and_saveexec_b64 s[4:5], s[6:7]
	s_xor_b64 s[18:19], exec, s[4:5]
	s_cbranch_execz .LBB105_39
; %bb.38:
	v_trig_preop_f64 v[4:5], |v[2:3]|, 0
	s_mov_b32 s4, 0
	s_mov_b32 s5, 0x7b000000
	s_movk_i32 s20, 0xff80
	v_ldexp_f64 v[8:9], |v[2:3]|, s20
	v_cmp_ge_f64_e64 vcc, |v[2:3]|, s[4:5]
	v_trig_preop_f64 v[6:7], |v[2:3]|, 1
	v_and_b32_e32 v10, 0x7fffffff, v3
	v_trig_preop_f64 v[16:17], |v[2:3]|, 2
	s_mov_b32 s4, 0
	s_mov_b32 s5, 0x7ff00000
	v_mov_b32_e32 v27, 0x40100000
	v_mov_b32_e32 v26, 0
	v_cndmask_b32_e32 v9, v10, v9, vcc
	v_cndmask_b32_e32 v8, v2, v8, vcc
	s_mov_b32 s20, 0x33145c07
	v_mul_f64 v[10:11], v[4:5], v[8:9]
	s_mov_b32 s21, 0x3c91a626
	v_mul_f64 v[12:13], v[6:7], v[8:9]
	v_mul_f64 v[22:23], v[16:17], v[8:9]
	v_fma_f64 v[4:5], v[4:5], v[8:9], -v[10:11]
	v_fma_f64 v[6:7], v[6:7], v[8:9], -v[12:13]
	;; [unrolled: 1-line block ×3, first 2 shown]
	v_add_f64 v[14:15], v[12:13], v[4:5]
	v_add_f64 v[18:19], v[14:15], -v[12:13]
	v_add_f64 v[24:25], v[10:11], v[14:15]
	v_add_f64 v[20:21], v[14:15], -v[18:19]
	v_add_f64 v[4:5], v[4:5], -v[18:19]
	v_add_f64 v[18:19], v[22:23], v[6:7]
	v_add_f64 v[10:11], v[24:25], -v[10:11]
	v_add_f64 v[12:13], v[12:13], -v[20:21]
	v_ldexp_f64 v[20:21], v[24:25], -2
	v_add_f64 v[28:29], v[18:19], -v[22:23]
	v_add_f64 v[10:11], v[14:15], -v[10:11]
	v_add_f64 v[4:5], v[4:5], v[12:13]
	v_fract_f64_e32 v[12:13], v[20:21]
	v_cmp_neq_f64_e64 vcc, |v[20:21]|, s[4:5]
	v_add_f64 v[6:7], v[6:7], -v[28:29]
	v_add_f64 v[14:15], v[18:19], v[4:5]
	v_ldexp_f64 v[12:13], v[12:13], 2
	v_add_f64 v[20:21], v[10:11], v[14:15]
	v_cndmask_b32_e32 v13, 0, v13, vcc
	v_cndmask_b32_e32 v12, 0, v12, vcc
	v_add_f64 v[30:31], v[14:15], -v[18:19]
	v_add_f64 v[24:25], v[20:21], v[12:13]
	v_add_f64 v[10:11], v[20:21], -v[10:11]
	v_add_f64 v[32:33], v[14:15], -v[30:31]
	;; [unrolled: 1-line block ×3, first 2 shown]
	v_cmp_gt_f64_e32 vcc, 0, v[24:25]
	v_add_f64 v[24:25], v[18:19], -v[28:29]
	v_add_f64 v[10:11], v[14:15], -v[10:11]
	;; [unrolled: 1-line block ×3, first 2 shown]
	v_cndmask_b32_e32 v27, 0, v27, vcc
	v_add_f64 v[12:13], v[12:13], v[26:27]
	v_add_f64 v[24:25], v[22:23], -v[24:25]
	v_add_f64 v[4:5], v[4:5], v[18:19]
	v_add_f64 v[34:35], v[20:21], v[12:13]
	;; [unrolled: 1-line block ×3, first 2 shown]
	v_cvt_i32_f64_e32 v29, v[34:35]
	v_add_f64 v[4:5], v[6:7], v[4:5]
	v_cvt_f64_i32_e32 v[27:28], v29
	v_add_f64 v[12:13], v[12:13], -v[27:28]
	v_add_f64 v[4:5], v[8:9], v[4:5]
	v_add_f64 v[6:7], v[20:21], v[12:13]
	;; [unrolled: 1-line block ×3, first 2 shown]
	v_mov_b32_e32 v10, 0x3ff00000
	v_add_f64 v[8:9], v[6:7], -v[12:13]
	v_cmp_le_f64_e32 vcc, 0.5, v[6:7]
	v_add_f64 v[8:9], v[20:21], -v[8:9]
	v_cndmask_b32_e32 v27, 0, v10, vcc
	v_add_f64 v[6:7], v[6:7], -v[26:27]
	v_addc_co_u32_e64 v12, s[4:5], 0, v29, vcc
	s_mov_b32 s4, 0x54442d18
	s_mov_b32 s5, 0x3ff921fb
	v_add_f64 v[4:5], v[4:5], v[8:9]
	v_add_f64 v[8:9], v[6:7], v[4:5]
	v_mul_f64 v[10:11], v[8:9], s[4:5]
	v_add_f64 v[6:7], v[8:9], -v[6:7]
	v_fma_f64 v[13:14], v[8:9], s[4:5], -v[10:11]
	v_add_f64 v[4:5], v[4:5], -v[6:7]
	v_fma_f64 v[6:7], v[8:9], s[20:21], v[13:14]
	v_fma_f64 v[6:7], v[4:5], s[4:5], v[6:7]
	v_add_f64 v[4:5], v[10:11], v[6:7]
	v_add_f64 v[8:9], v[4:5], -v[10:11]
	v_add_f64 v[6:7], v[6:7], -v[8:9]
	s_andn2_saveexec_b64 s[4:5], s[18:19]
	s_cbranch_execz .LBB105_41
	s_branch .LBB105_40
.LBB105_39:
	s_andn2_saveexec_b64 s[4:5], s[18:19]
	s_cbranch_execz .LBB105_41
.LBB105_40:
	s_mov_b32 s18, 0x6dc9c883
	s_mov_b32 s19, 0x3fe45f30
	v_mul_f64 v[4:5], |v[2:3]|, s[18:19]
	s_mov_b32 s18, 0x54442d18
	s_mov_b32 s19, 0xbff921fb
	;; [unrolled: 1-line block ×4, first 2 shown]
	v_rndne_f64_e32 v[8:9], v[4:5]
	v_fma_f64 v[4:5], v[8:9], s[18:19], |v[2:3]|
	v_mul_f64 v[6:7], v[8:9], s[20:21]
	s_mov_b32 s18, 0x252049c0
	s_mov_b32 s19, 0xb97b839a
	v_fma_f64 v[14:15], v[8:9], s[20:21], v[4:5]
	v_add_f64 v[10:11], v[4:5], v[6:7]
	s_mov_b32 s21, 0x3c91a626
	v_add_f64 v[12:13], v[4:5], -v[10:11]
	v_add_f64 v[10:11], v[10:11], -v[14:15]
	v_add_f64 v[4:5], v[12:13], v[6:7]
	v_fma_f64 v[6:7], v[8:9], s[20:21], v[6:7]
	v_cvt_i32_f64_e32 v12, v[8:9]
	v_add_f64 v[4:5], v[10:11], v[4:5]
	v_add_f64 v[4:5], v[4:5], -v[6:7]
	v_fma_f64 v[6:7], v[8:9], s[18:19], v[4:5]
	v_add_f64 v[4:5], v[14:15], v[6:7]
	v_add_f64 v[10:11], v[4:5], -v[14:15]
	v_add_f64 v[6:7], v[6:7], -v[10:11]
.LBB105_41:
	s_or_b64 exec, exec, s[4:5]
                                        ; implicit-def: $vgpr13
                                        ; implicit-def: $vgpr8_vgpr9
                                        ; implicit-def: $vgpr10_vgpr11
	s_and_saveexec_b64 s[4:5], s[6:7]
	s_xor_b64 s[18:19], exec, s[4:5]
	s_cbranch_execz .LBB105_43
; %bb.42:
	v_trig_preop_f64 v[8:9], |v[2:3]|, 0
	s_mov_b32 s4, 0
	s_mov_b32 s5, 0x7b000000
	v_cmp_ge_f64_e64 vcc, |v[2:3]|, s[4:5]
	s_movk_i32 s4, 0xff80
	v_ldexp_f64 v[13:14], |v[2:3]|, s4
	v_trig_preop_f64 v[10:11], |v[2:3]|, 1
	v_and_b32_e32 v15, 0x7fffffff, v3
	s_mov_b32 s4, 0
	s_mov_b32 s5, 0x7ff00000
	;; [unrolled: 1-line block ×4, first 2 shown]
	v_cndmask_b32_e32 v14, v15, v14, vcc
	v_cndmask_b32_e32 v13, v2, v13, vcc
	v_mul_f64 v[17:18], v[8:9], v[13:14]
	v_mul_f64 v[15:16], v[10:11], v[13:14]
	v_fma_f64 v[8:9], v[8:9], v[13:14], -v[17:18]
	v_fma_f64 v[10:11], v[10:11], v[13:14], -v[15:16]
	v_add_f64 v[19:20], v[15:16], v[8:9]
	v_add_f64 v[27:28], v[19:20], -v[15:16]
	v_add_f64 v[21:22], v[17:18], v[19:20]
	v_add_f64 v[8:9], v[8:9], -v[27:28]
	v_add_f64 v[27:28], v[19:20], -v[27:28]
	v_ldexp_f64 v[23:24], v[21:22], -2
	v_add_f64 v[17:18], v[21:22], -v[17:18]
	v_add_f64 v[27:28], v[15:16], -v[27:28]
	v_trig_preop_f64 v[15:16], |v[2:3]|, 2
	v_fract_f64_e32 v[25:26], v[23:24]
	v_add_f64 v[17:18], v[19:20], -v[17:18]
	v_cmp_neq_f64_e64 vcc, |v[23:24]|, s[4:5]
	v_add_f64 v[8:9], v[8:9], v[27:28]
	v_mul_f64 v[27:28], v[15:16], v[13:14]
	v_add_f64 v[29:30], v[27:28], v[10:11]
	v_add_f64 v[31:32], v[29:30], v[8:9]
	v_add_f64 v[21:22], v[31:32], -v[29:30]
	v_add_f64 v[19:20], v[17:18], v[31:32]
	v_add_f64 v[8:9], v[8:9], -v[21:22]
	v_add_f64 v[21:22], v[31:32], -v[21:22]
	;; [unrolled: 1-line block ×5, first 2 shown]
	v_add_f64 v[8:9], v[8:9], v[21:22]
	v_add_f64 v[21:22], v[29:30], -v[27:28]
	v_add_f64 v[10:11], v[10:11], -v[21:22]
	;; [unrolled: 1-line block ×4, first 2 shown]
	v_add_f64 v[10:11], v[10:11], v[21:22]
	v_add_f64 v[8:9], v[10:11], v[8:9]
	v_fma_f64 v[10:11], v[15:16], v[13:14], -v[27:28]
	v_add_f64 v[8:9], v[10:11], v[8:9]
	v_ldexp_f64 v[10:11], v[25:26], 2
	v_add_f64 v[8:9], v[17:18], v[8:9]
	v_cndmask_b32_e32 v11, 0, v11, vcc
	v_cndmask_b32_e32 v10, 0, v10, vcc
	v_add_f64 v[13:14], v[19:20], v[10:11]
	v_cmp_gt_f64_e32 vcc, 0, v[13:14]
	v_mov_b32_e32 v13, 0x40100000
	v_mov_b32_e32 v14, 0
	v_cndmask_b32_e32 v15, 0, v13, vcc
	v_add_f64 v[10:11], v[10:11], v[14:15]
	v_add_f64 v[15:16], v[19:20], v[10:11]
	v_cvt_i32_f64_e32 v13, v[15:16]
	v_cvt_f64_i32_e32 v[15:16], v13
	v_add_f64 v[10:11], v[10:11], -v[15:16]
	v_add_f64 v[16:17], v[19:20], v[10:11]
	v_add_f64 v[10:11], v[16:17], -v[10:11]
	v_cmp_le_f64_e32 vcc, 0.5, v[16:17]
	v_add_f64 v[10:11], v[19:20], -v[10:11]
	v_addc_co_u32_e64 v13, s[4:5], 0, v13, vcc
	s_mov_b32 s4, 0x54442d18
	s_mov_b32 s5, 0x3ff921fb
	v_add_f64 v[8:9], v[8:9], v[10:11]
	v_mov_b32_e32 v10, 0x3ff00000
	v_cndmask_b32_e32 v15, 0, v10, vcc
	v_add_f64 v[10:11], v[16:17], -v[14:15]
	v_add_f64 v[14:15], v[10:11], v[8:9]
	v_add_f64 v[10:11], v[14:15], -v[10:11]
	v_add_f64 v[8:9], v[8:9], -v[10:11]
	v_mul_f64 v[10:11], v[14:15], s[4:5]
	v_fma_f64 v[16:17], v[14:15], s[4:5], -v[10:11]
	v_fma_f64 v[14:15], v[14:15], s[20:21], v[16:17]
	v_fma_f64 v[14:15], v[8:9], s[4:5], v[14:15]
	v_add_f64 v[8:9], v[10:11], v[14:15]
	v_add_f64 v[10:11], v[8:9], -v[10:11]
	v_add_f64 v[10:11], v[14:15], -v[10:11]
	s_andn2_saveexec_b64 s[4:5], s[18:19]
	s_cbranch_execnz .LBB105_44
	s_branch .LBB105_45
.LBB105_43:
	s_andn2_saveexec_b64 s[4:5], s[18:19]
	s_cbranch_execz .LBB105_45
.LBB105_44:
	s_mov_b32 s18, 0x6dc9c883
	s_mov_b32 s19, 0x3fe45f30
	v_mul_f64 v[8:9], |v[2:3]|, s[18:19]
	s_mov_b32 s18, 0x54442d18
	s_mov_b32 s19, 0xbff921fb
	;; [unrolled: 1-line block ×4, first 2 shown]
	v_rndne_f64_e32 v[13:14], v[8:9]
	v_fma_f64 v[8:9], v[13:14], s[18:19], |v[2:3]|
	v_mul_f64 v[10:11], v[13:14], s[20:21]
	s_mov_b32 s18, 0x252049c0
	s_mov_b32 s19, 0xb97b839a
	v_fma_f64 v[19:20], v[13:14], s[20:21], v[8:9]
	v_add_f64 v[15:16], v[8:9], v[10:11]
	s_mov_b32 s21, 0x3c91a626
	v_add_f64 v[17:18], v[8:9], -v[15:16]
	v_add_f64 v[15:16], v[15:16], -v[19:20]
	v_add_f64 v[8:9], v[17:18], v[10:11]
	v_fma_f64 v[10:11], v[13:14], s[20:21], v[10:11]
	v_add_f64 v[8:9], v[15:16], v[8:9]
	v_add_f64 v[8:9], v[8:9], -v[10:11]
	v_fma_f64 v[10:11], v[13:14], s[18:19], v[8:9]
	v_cvt_i32_f64_e32 v13, v[13:14]
	v_add_f64 v[8:9], v[19:20], v[10:11]
	v_add_f64 v[15:16], v[8:9], -v[19:20]
	v_add_f64 v[10:11], v[10:11], -v[15:16]
.LBB105_45:
	s_or_b64 exec, exec, s[4:5]
	v_mul_f64 v[14:15], v[4:5], v[4:5]
	s_mov_b32 s18, 0x9037ab78
	s_mov_b32 s20, 0xb42fdfa7
	;; [unrolled: 1-line block ×4, first 2 shown]
	v_mov_b32_e32 v16, s18
	s_mov_b32 s4, 0x46cc5e42
	v_mov_b32_e32 v17, s19
	s_mov_b32 s18, 0xf9a43bb8
	;; [unrolled: 2-line block ×3, first 2 shown]
	s_mov_b32 s19, 0x3de5e0b2
	v_mov_b32_e32 v22, s20
	v_mul_f64 v[18:19], v[14:15], 0.5
	v_fma_f64 v[20:21], v[14:15], s[4:5], v[16:17]
	v_fma_f64 v[24:25], v[14:15], s[18:19], v[22:23]
	s_mov_b32 s20, 0xa17f65f6
	s_mov_b32 s22, 0x796cde01
	;; [unrolled: 1-line block ×5, first 2 shown]
	v_add_f64 v[26:27], -v[18:19], 1.0
	v_fma_f64 v[20:21], v[14:15], v[20:21], s[20:21]
	v_fma_f64 v[24:25], v[14:15], v[24:25], s[22:23]
	s_mov_b32 s26, 0x19e83e5c
	s_mov_b32 s25, 0x3efa01a0
	;; [unrolled: 1-line block ×3, first 2 shown]
	v_mul_f64 v[30:31], v[8:9], v[8:9]
	s_mov_b32 s28, 0x16c16967
	v_add_f64 v[28:29], -v[26:27], 1.0
	v_fma_f64 v[20:21], v[14:15], v[20:21], s[24:25]
	v_fma_f64 v[24:25], v[14:15], v[24:25], s[26:27]
	s_mov_b32 s40, 0x11110bb3
	s_mov_b32 s29, 0xbf56c16c
	;; [unrolled: 1-line block ×3, first 2 shown]
	v_mul_f64 v[32:33], v[6:7], 0.5
	v_fma_f64 v[22:23], v[30:31], s[18:19], v[22:23]
	v_add_f64 v[18:19], v[28:29], -v[18:19]
	v_fma_f64 v[20:21], v[14:15], v[20:21], s[28:29]
	v_fma_f64 v[24:25], v[14:15], v[24:25], s[40:41]
	v_mul_f64 v[28:29], v[4:5], -v[14:15]
	s_mov_b32 s18, 0x55555555
	s_mov_b32 s19, 0x3fa55555
	v_mul_f64 v[34:35], v[14:15], v[14:15]
	v_fma_f64 v[16:17], v[30:31], s[4:5], v[16:17]
	v_fma_f64 v[18:19], v[4:5], -v[6:7], v[18:19]
	v_fma_f64 v[20:21], v[14:15], v[20:21], s[18:19]
	v_fma_f64 v[22:23], v[30:31], v[22:23], s[22:23]
	;; [unrolled: 1-line block ×3, first 2 shown]
	v_mul_f64 v[32:33], v[30:31], 0.5
	s_mov_b32 s5, 0xbfc55555
	s_mov_b32 s4, s18
	v_fma_f64 v[16:17], v[30:31], v[16:17], s[20:21]
	v_fma_f64 v[18:19], v[34:35], v[20:21], v[18:19]
	;; [unrolled: 1-line block ×3, first 2 shown]
	v_fma_f64 v[6:7], v[14:15], v[24:25], -v[6:7]
	v_add_f64 v[20:21], -v[32:33], 1.0
	v_mul_f64 v[24:25], v[8:9], -v[30:31]
	v_mul_f64 v[34:35], v[10:11], 0.5
	v_fma_f64 v[16:17], v[30:31], v[16:17], s[24:25]
	v_add_f64 v[18:19], v[26:27], v[18:19]
	v_fma_f64 v[22:23], v[30:31], v[22:23], s[40:41]
	v_fma_f64 v[6:7], v[28:29], s[4:5], v[6:7]
	v_add_f64 v[14:15], -v[20:21], 1.0
	v_fma_f64 v[16:17], v[30:31], v[16:17], s[28:29]
	v_fma_f64 v[22:23], v[24:25], v[22:23], v[34:35]
	v_add_f64 v[4:5], v[4:5], -v[6:7]
	v_add_f64 v[14:15], v[14:15], -v[32:33]
	v_mul_f64 v[6:7], v[30:31], v[30:31]
	v_fma_f64 v[16:17], v[30:31], v[16:17], s[18:19]
	s_movk_i32 s18, 0x3ff
	v_ldexp_f64 v[0:1], v[0:1], s18
	v_fma_f64 v[14:15], v[8:9], -v[10:11], v[14:15]
	v_fma_f64 v[10:11], v[30:31], v[22:23], -v[10:11]
	v_xor_b32_e32 v22, 0x80000000, v5
	v_and_b32_e32 v5, 1, v12
	v_cmp_eq_u32_e32 vcc, 0, v5
	v_cndmask_b32_e32 v18, v4, v18, vcc
	v_fma_f64 v[4:5], v[6:7], v[16:17], v[14:15]
	v_fma_f64 v[6:7], v[24:25], s[4:5], v[10:11]
	s_movk_i32 s4, 0x1f8
	v_cndmask_b32_e32 v10, v22, v19, vcc
	v_cmp_class_f64_e64 vcc, v[2:3], s4
	v_lshlrev_b32_e32 v2, 30, v12
	v_and_b32_e32 v2, 0x80000000, v2
	v_xor_b32_e32 v2, v10, v2
	v_add_f64 v[10:11], v[20:21], v[4:5]
	v_add_f64 v[6:7], v[8:9], -v[6:7]
	v_mov_b32_e32 v8, 0x7ff80000
	v_cndmask_b32_e32 v4, 0, v18, vcc
	v_cndmask_b32_e32 v5, v8, v2, vcc
	v_mul_f64 v[4:5], v[0:1], v[4:5]
	v_mul_f64 v[0:1], v[0:1], v[0:1]
	v_and_b32_e32 v2, 1, v13
	v_cmp_eq_u32_e64 s[4:5], 0, v2
	v_cndmask_b32_e64 v2, v10, v6, s[4:5]
	v_cndmask_b32_e64 v6, v11, v7, s[4:5]
	v_lshlrev_b32_e32 v7, 30, v13
	v_xor_b32_e32 v3, v7, v3
	v_and_b32_e32 v3, 0x80000000, v3
	v_xor_b32_e32 v3, v6, v3
	v_cndmask_b32_e32 v2, 0, v2, vcc
	v_cndmask_b32_e32 v3, v8, v3, vcc
	v_mul_f64 v[6:7], v[0:1], v[2:3]
                                        ; implicit-def: $vgpr2_vgpr3
                                        ; implicit-def: $vgpr0_vgpr1
.LBB105_46:
	s_andn2_saveexec_b64 s[16:17], s[16:17]
	s_cbranch_execz .LBB105_56
; %bb.47:
                                        ; implicit-def: $vgpr12
                                        ; implicit-def: $vgpr4_vgpr5
                                        ; implicit-def: $vgpr6_vgpr7
	s_and_saveexec_b64 s[4:5], s[6:7]
	s_xor_b64 s[18:19], exec, s[4:5]
	s_cbranch_execz .LBB105_49
; %bb.48:
	v_trig_preop_f64 v[4:5], |v[2:3]|, 0
	s_mov_b32 s4, 0
	s_mov_b32 s5, 0x7b000000
	s_movk_i32 s20, 0xff80
	v_ldexp_f64 v[8:9], |v[2:3]|, s20
	v_cmp_ge_f64_e64 vcc, |v[2:3]|, s[4:5]
	v_trig_preop_f64 v[6:7], |v[2:3]|, 1
	v_and_b32_e32 v10, 0x7fffffff, v3
	v_trig_preop_f64 v[16:17], |v[2:3]|, 2
	s_mov_b32 s4, 0
	s_mov_b32 s5, 0x7ff00000
	v_mov_b32_e32 v27, 0x40100000
	v_mov_b32_e32 v26, 0
	v_cndmask_b32_e32 v9, v10, v9, vcc
	v_cndmask_b32_e32 v8, v2, v8, vcc
	s_mov_b32 s20, 0x33145c07
	v_mul_f64 v[10:11], v[4:5], v[8:9]
	s_mov_b32 s21, 0x3c91a626
	v_mul_f64 v[12:13], v[6:7], v[8:9]
	v_mul_f64 v[22:23], v[16:17], v[8:9]
	v_fma_f64 v[4:5], v[4:5], v[8:9], -v[10:11]
	v_fma_f64 v[6:7], v[6:7], v[8:9], -v[12:13]
	;; [unrolled: 1-line block ×3, first 2 shown]
	v_add_f64 v[14:15], v[12:13], v[4:5]
	v_add_f64 v[18:19], v[14:15], -v[12:13]
	v_add_f64 v[24:25], v[10:11], v[14:15]
	v_add_f64 v[20:21], v[14:15], -v[18:19]
	v_add_f64 v[4:5], v[4:5], -v[18:19]
	v_add_f64 v[18:19], v[22:23], v[6:7]
	v_add_f64 v[10:11], v[24:25], -v[10:11]
	v_add_f64 v[12:13], v[12:13], -v[20:21]
	v_ldexp_f64 v[20:21], v[24:25], -2
	v_add_f64 v[28:29], v[18:19], -v[22:23]
	v_add_f64 v[10:11], v[14:15], -v[10:11]
	v_add_f64 v[4:5], v[4:5], v[12:13]
	v_fract_f64_e32 v[12:13], v[20:21]
	v_cmp_neq_f64_e64 vcc, |v[20:21]|, s[4:5]
	v_add_f64 v[6:7], v[6:7], -v[28:29]
	v_add_f64 v[14:15], v[18:19], v[4:5]
	v_ldexp_f64 v[12:13], v[12:13], 2
	v_add_f64 v[20:21], v[10:11], v[14:15]
	v_cndmask_b32_e32 v13, 0, v13, vcc
	v_cndmask_b32_e32 v12, 0, v12, vcc
	v_add_f64 v[30:31], v[14:15], -v[18:19]
	v_add_f64 v[24:25], v[20:21], v[12:13]
	v_add_f64 v[10:11], v[20:21], -v[10:11]
	v_add_f64 v[32:33], v[14:15], -v[30:31]
	;; [unrolled: 1-line block ×3, first 2 shown]
	v_cmp_gt_f64_e32 vcc, 0, v[24:25]
	v_add_f64 v[24:25], v[18:19], -v[28:29]
	v_add_f64 v[10:11], v[14:15], -v[10:11]
	v_add_f64 v[18:19], v[18:19], -v[32:33]
	v_cndmask_b32_e32 v27, 0, v27, vcc
	v_add_f64 v[12:13], v[12:13], v[26:27]
	v_add_f64 v[24:25], v[22:23], -v[24:25]
	v_add_f64 v[4:5], v[4:5], v[18:19]
	v_add_f64 v[34:35], v[20:21], v[12:13]
	;; [unrolled: 1-line block ×3, first 2 shown]
	v_cvt_i32_f64_e32 v29, v[34:35]
	v_add_f64 v[4:5], v[6:7], v[4:5]
	v_cvt_f64_i32_e32 v[27:28], v29
	v_add_f64 v[12:13], v[12:13], -v[27:28]
	v_add_f64 v[4:5], v[8:9], v[4:5]
	v_add_f64 v[6:7], v[20:21], v[12:13]
	;; [unrolled: 1-line block ×3, first 2 shown]
	v_mov_b32_e32 v10, 0x3ff00000
	v_add_f64 v[8:9], v[6:7], -v[12:13]
	v_cmp_le_f64_e32 vcc, 0.5, v[6:7]
	v_add_f64 v[8:9], v[20:21], -v[8:9]
	v_cndmask_b32_e32 v27, 0, v10, vcc
	v_add_f64 v[6:7], v[6:7], -v[26:27]
	v_addc_co_u32_e64 v12, s[4:5], 0, v29, vcc
	s_mov_b32 s4, 0x54442d18
	s_mov_b32 s5, 0x3ff921fb
	v_add_f64 v[4:5], v[4:5], v[8:9]
	v_add_f64 v[8:9], v[6:7], v[4:5]
	v_mul_f64 v[10:11], v[8:9], s[4:5]
	v_add_f64 v[6:7], v[8:9], -v[6:7]
	v_fma_f64 v[13:14], v[8:9], s[4:5], -v[10:11]
	v_add_f64 v[4:5], v[4:5], -v[6:7]
	v_fma_f64 v[6:7], v[8:9], s[20:21], v[13:14]
	v_fma_f64 v[6:7], v[4:5], s[4:5], v[6:7]
	v_add_f64 v[4:5], v[10:11], v[6:7]
	v_add_f64 v[8:9], v[4:5], -v[10:11]
	v_add_f64 v[6:7], v[6:7], -v[8:9]
	s_andn2_saveexec_b64 s[4:5], s[18:19]
	s_cbranch_execz .LBB105_51
	s_branch .LBB105_50
.LBB105_49:
	s_andn2_saveexec_b64 s[4:5], s[18:19]
	s_cbranch_execz .LBB105_51
.LBB105_50:
	s_mov_b32 s18, 0x6dc9c883
	s_mov_b32 s19, 0x3fe45f30
	v_mul_f64 v[4:5], |v[2:3]|, s[18:19]
	s_mov_b32 s18, 0x54442d18
	s_mov_b32 s19, 0xbff921fb
	;; [unrolled: 1-line block ×4, first 2 shown]
	v_rndne_f64_e32 v[8:9], v[4:5]
	v_fma_f64 v[4:5], v[8:9], s[18:19], |v[2:3]|
	v_mul_f64 v[6:7], v[8:9], s[20:21]
	s_mov_b32 s18, 0x252049c0
	s_mov_b32 s19, 0xb97b839a
	v_fma_f64 v[14:15], v[8:9], s[20:21], v[4:5]
	v_add_f64 v[10:11], v[4:5], v[6:7]
	s_mov_b32 s21, 0x3c91a626
	v_add_f64 v[12:13], v[4:5], -v[10:11]
	v_add_f64 v[10:11], v[10:11], -v[14:15]
	v_add_f64 v[4:5], v[12:13], v[6:7]
	v_fma_f64 v[6:7], v[8:9], s[20:21], v[6:7]
	v_cvt_i32_f64_e32 v12, v[8:9]
	v_add_f64 v[4:5], v[10:11], v[4:5]
	v_add_f64 v[4:5], v[4:5], -v[6:7]
	v_fma_f64 v[6:7], v[8:9], s[18:19], v[4:5]
	v_add_f64 v[4:5], v[14:15], v[6:7]
	v_add_f64 v[10:11], v[4:5], -v[14:15]
	v_add_f64 v[6:7], v[6:7], -v[10:11]
.LBB105_51:
	s_or_b64 exec, exec, s[4:5]
                                        ; implicit-def: $vgpr13
                                        ; implicit-def: $vgpr8_vgpr9
                                        ; implicit-def: $vgpr10_vgpr11
	s_and_saveexec_b64 s[4:5], s[6:7]
	s_xor_b64 s[6:7], exec, s[4:5]
	s_cbranch_execz .LBB105_53
; %bb.52:
	v_trig_preop_f64 v[8:9], |v[2:3]|, 0
	s_mov_b32 s4, 0
	s_mov_b32 s5, 0x7b000000
	v_cmp_ge_f64_e64 vcc, |v[2:3]|, s[4:5]
	s_movk_i32 s4, 0xff80
	v_ldexp_f64 v[13:14], |v[2:3]|, s4
	v_trig_preop_f64 v[10:11], |v[2:3]|, 1
	v_and_b32_e32 v15, 0x7fffffff, v3
	s_mov_b32 s4, 0
	s_mov_b32 s5, 0x7ff00000
	;; [unrolled: 1-line block ×4, first 2 shown]
	v_cndmask_b32_e32 v14, v15, v14, vcc
	v_cndmask_b32_e32 v13, v2, v13, vcc
	v_mul_f64 v[17:18], v[8:9], v[13:14]
	v_mul_f64 v[15:16], v[10:11], v[13:14]
	v_fma_f64 v[8:9], v[8:9], v[13:14], -v[17:18]
	v_fma_f64 v[10:11], v[10:11], v[13:14], -v[15:16]
	v_add_f64 v[19:20], v[15:16], v[8:9]
	v_add_f64 v[27:28], v[19:20], -v[15:16]
	v_add_f64 v[21:22], v[17:18], v[19:20]
	v_add_f64 v[8:9], v[8:9], -v[27:28]
	v_add_f64 v[27:28], v[19:20], -v[27:28]
	v_ldexp_f64 v[23:24], v[21:22], -2
	v_add_f64 v[17:18], v[21:22], -v[17:18]
	v_add_f64 v[27:28], v[15:16], -v[27:28]
	v_trig_preop_f64 v[15:16], |v[2:3]|, 2
	v_fract_f64_e32 v[25:26], v[23:24]
	v_add_f64 v[17:18], v[19:20], -v[17:18]
	v_cmp_neq_f64_e64 vcc, |v[23:24]|, s[4:5]
	v_add_f64 v[8:9], v[8:9], v[27:28]
	v_mul_f64 v[27:28], v[15:16], v[13:14]
	v_add_f64 v[29:30], v[27:28], v[10:11]
	v_add_f64 v[31:32], v[29:30], v[8:9]
	v_add_f64 v[21:22], v[31:32], -v[29:30]
	v_add_f64 v[19:20], v[17:18], v[31:32]
	v_add_f64 v[8:9], v[8:9], -v[21:22]
	v_add_f64 v[21:22], v[31:32], -v[21:22]
	;; [unrolled: 1-line block ×5, first 2 shown]
	v_add_f64 v[8:9], v[8:9], v[21:22]
	v_add_f64 v[21:22], v[29:30], -v[27:28]
	v_add_f64 v[10:11], v[10:11], -v[21:22]
	;; [unrolled: 1-line block ×4, first 2 shown]
	v_add_f64 v[10:11], v[10:11], v[21:22]
	v_add_f64 v[8:9], v[10:11], v[8:9]
	v_fma_f64 v[10:11], v[15:16], v[13:14], -v[27:28]
	v_add_f64 v[8:9], v[10:11], v[8:9]
	v_ldexp_f64 v[10:11], v[25:26], 2
	v_add_f64 v[8:9], v[17:18], v[8:9]
	v_cndmask_b32_e32 v11, 0, v11, vcc
	v_cndmask_b32_e32 v10, 0, v10, vcc
	v_add_f64 v[13:14], v[19:20], v[10:11]
	v_cmp_gt_f64_e32 vcc, 0, v[13:14]
	v_mov_b32_e32 v13, 0x40100000
	v_mov_b32_e32 v14, 0
	v_cndmask_b32_e32 v15, 0, v13, vcc
	v_add_f64 v[10:11], v[10:11], v[14:15]
	v_add_f64 v[15:16], v[19:20], v[10:11]
	v_cvt_i32_f64_e32 v13, v[15:16]
	v_cvt_f64_i32_e32 v[15:16], v13
	v_add_f64 v[10:11], v[10:11], -v[15:16]
	v_add_f64 v[16:17], v[19:20], v[10:11]
	v_add_f64 v[10:11], v[16:17], -v[10:11]
	v_cmp_le_f64_e32 vcc, 0.5, v[16:17]
	v_add_f64 v[10:11], v[19:20], -v[10:11]
	v_addc_co_u32_e64 v13, s[4:5], 0, v13, vcc
	s_mov_b32 s4, 0x54442d18
	s_mov_b32 s5, 0x3ff921fb
	v_add_f64 v[8:9], v[8:9], v[10:11]
	v_mov_b32_e32 v10, 0x3ff00000
	v_cndmask_b32_e32 v15, 0, v10, vcc
	v_add_f64 v[10:11], v[16:17], -v[14:15]
	v_add_f64 v[14:15], v[10:11], v[8:9]
	v_add_f64 v[10:11], v[14:15], -v[10:11]
	v_add_f64 v[8:9], v[8:9], -v[10:11]
	v_mul_f64 v[10:11], v[14:15], s[4:5]
	v_fma_f64 v[16:17], v[14:15], s[4:5], -v[10:11]
	v_fma_f64 v[14:15], v[14:15], s[18:19], v[16:17]
	v_fma_f64 v[14:15], v[8:9], s[4:5], v[14:15]
	v_add_f64 v[8:9], v[10:11], v[14:15]
	v_add_f64 v[10:11], v[8:9], -v[10:11]
	v_add_f64 v[10:11], v[14:15], -v[10:11]
	s_andn2_saveexec_b64 s[4:5], s[6:7]
	s_cbranch_execnz .LBB105_54
	s_branch .LBB105_55
.LBB105_53:
	s_andn2_saveexec_b64 s[4:5], s[6:7]
	s_cbranch_execz .LBB105_55
.LBB105_54:
	s_mov_b32 s6, 0x6dc9c883
	s_mov_b32 s7, 0x3fe45f30
	v_mul_f64 v[8:9], |v[2:3]|, s[6:7]
	s_mov_b32 s6, 0x54442d18
	s_mov_b32 s7, 0xbff921fb
	;; [unrolled: 1-line block ×4, first 2 shown]
	v_rndne_f64_e32 v[13:14], v[8:9]
	v_fma_f64 v[8:9], v[13:14], s[6:7], |v[2:3]|
	v_mul_f64 v[10:11], v[13:14], s[18:19]
	s_mov_b32 s6, 0x252049c0
	s_mov_b32 s7, 0xb97b839a
	v_fma_f64 v[19:20], v[13:14], s[18:19], v[8:9]
	v_add_f64 v[15:16], v[8:9], v[10:11]
	s_mov_b32 s19, 0x3c91a626
	v_add_f64 v[17:18], v[8:9], -v[15:16]
	v_add_f64 v[15:16], v[15:16], -v[19:20]
	v_add_f64 v[8:9], v[17:18], v[10:11]
	v_fma_f64 v[10:11], v[13:14], s[18:19], v[10:11]
	v_add_f64 v[8:9], v[15:16], v[8:9]
	v_add_f64 v[8:9], v[8:9], -v[10:11]
	v_fma_f64 v[10:11], v[13:14], s[6:7], v[8:9]
	v_cvt_i32_f64_e32 v13, v[13:14]
	v_add_f64 v[8:9], v[19:20], v[10:11]
	v_add_f64 v[15:16], v[8:9], -v[19:20]
	v_add_f64 v[10:11], v[10:11], -v[15:16]
.LBB105_55:
	s_or_b64 exec, exec, s[4:5]
	v_mul_f64 v[14:15], v[4:5], v[4:5]
	s_mov_b32 s6, 0x9037ab78
	s_mov_b32 s18, 0xb42fdfa7
	;; [unrolled: 1-line block ×5, first 2 shown]
	v_mov_b32_e32 v17, s7
	s_mov_b32 s24, 0xf9a43bb8
	v_mov_b32_e32 v23, s19
	s_mov_b32 s5, 0xbda907db
	;; [unrolled: 2-line block ×3, first 2 shown]
	v_mov_b32_e32 v22, s18
	v_mul_f64 v[18:19], v[14:15], 0.5
	v_fma_f64 v[20:21], v[14:15], s[4:5], v[16:17]
	v_fma_f64 v[24:25], v[14:15], s[24:25], v[22:23]
	s_mov_b32 s6, 0xa17f65f6
	s_mov_b32 s26, 0x796cde01
	;; [unrolled: 1-line block ×5, first 2 shown]
	v_add_f64 v[26:27], -v[18:19], 1.0
	v_fma_f64 v[20:21], v[14:15], v[20:21], s[6:7]
	v_fma_f64 v[24:25], v[14:15], v[24:25], s[26:27]
	s_mov_b32 s28, 0x19e83e5c
	s_mov_b32 s19, 0x3efa01a0
	s_mov_b32 s29, 0xbf2a01a0
	s_mov_b32 s20, 0x16c16967
	s_mov_b32 s22, 0x11110bb3
	v_add_f64 v[28:29], -v[26:27], 1.0
	v_fma_f64 v[20:21], v[14:15], v[20:21], s[18:19]
	v_fma_f64 v[24:25], v[14:15], v[24:25], s[28:29]
	s_mov_b32 s21, 0xbf56c16c
	s_mov_b32 s23, 0x3f811111
	v_mul_f64 v[30:31], v[4:5], -v[14:15]
	v_mul_f64 v[32:33], v[8:9], v[8:9]
	s_mov_b32 s40, 0x55555555
	v_add_f64 v[18:19], v[28:29], -v[18:19]
	v_fma_f64 v[20:21], v[14:15], v[20:21], s[20:21]
	v_fma_f64 v[24:25], v[14:15], v[24:25], s[22:23]
	v_mul_f64 v[28:29], v[6:7], 0.5
	s_mov_b32 s41, 0x3fa55555
	v_mul_f64 v[34:35], v[14:15], v[14:15]
	v_fma_f64 v[22:23], v[32:33], s[24:25], v[22:23]
	s_mov_b32 s24, 0x19ba0da4
	v_fma_f64 v[18:19], v[4:5], -v[6:7], v[18:19]
	v_fma_f64 v[20:21], v[14:15], v[20:21], s[40:41]
	s_mov_b32 s25, 0xc0937be3
	v_fma_f64 v[24:25], v[30:31], v[24:25], v[28:29]
	v_mul_f64 v[28:29], v[32:33], 0.5
	v_fma_f64 v[16:17], v[32:33], s[4:5], v[16:17]
	v_fma_f64 v[22:23], v[32:33], v[22:23], s[26:27]
	s_mov_b32 s4, 0x55555511
	s_mov_b32 s5, 0x3fc55555
	v_fma_f64 v[18:19], v[34:35], v[20:21], v[18:19]
	v_add_f64 v[34:35], |v[0:1]|, s[24:25]
	s_mov_b32 s24, 0x652b82fe
	v_add_f64 v[20:21], -v[28:29], 1.0
	s_mov_b32 s25, 0x3ff71547
	v_fma_f64 v[6:7], v[14:15], v[24:25], -v[6:7]
	v_fma_f64 v[22:23], v[32:33], v[22:23], s[28:29]
	v_fma_f64 v[16:17], v[32:33], v[16:17], s[6:7]
	v_add_f64 v[18:19], v[26:27], v[18:19]
	v_mul_f64 v[24:25], v[34:35], s[24:25]
	v_mul_f64 v[26:27], v[8:9], -v[32:33]
	v_add_f64 v[14:15], -v[20:21], 1.0
	s_mov_b32 s24, 0xfefa39ef
	s_mov_b32 s25, 0xbfe62e42
	v_fma_f64 v[22:23], v[32:33], v[22:23], s[22:23]
	s_mov_b32 s22, 0x11122322
	v_fma_f64 v[16:17], v[32:33], v[16:17], s[18:19]
	v_rndne_f64_e32 v[24:25], v[24:25]
	v_and_b32_e32 v0, 1, v12
	v_add_f64 v[14:15], v[14:15], -v[28:29]
	v_mul_f64 v[28:29], v[10:11], 0.5
	s_mov_b32 s6, 0
	s_mov_b32 s7, 0x40900000
	s_mov_b32 s18, 0
	v_fma_f64 v[16:17], v[32:33], v[16:17], s[20:21]
	v_cmp_eq_u32_e32 vcc, 0, v0
	s_mov_b32 s19, 0xc090cc00
	v_fma_f64 v[14:15], v[8:9], -v[10:11], v[14:15]
	v_fma_f64 v[22:23], v[26:27], v[22:23], v[28:29]
	v_fma_f64 v[28:29], v[24:25], s[24:25], v[34:35]
	s_mov_b32 s24, 0x3b39803f
	s_mov_b32 s25, 0xbc7abc9e
	v_fma_f64 v[16:17], v[32:33], v[16:17], s[40:41]
	v_lshlrev_b32_e32 v12, 30, v12
	v_and_b32_e32 v12, 0x80000000, v12
	v_mov_b32_e32 v36, 0x7ff80000
	v_fma_f64 v[10:11], v[32:33], v[22:23], -v[10:11]
	v_fma_f64 v[28:29], v[24:25], s[24:25], v[28:29]
	s_mov_b32 s24, 0x6a5dcb37
	v_mov_b32_e32 v22, 0xfca7ab0c
	v_mov_b32_e32 v23, 0x3e928af3
	s_mov_b32 s25, 0x3e5ade15
	v_cvt_i32_f64_e32 v24, v[24:25]
	v_fma_f64 v[22:23], v[28:29], s[24:25], v[22:23]
	s_mov_b32 s24, 0x623fde64
	s_mov_b32 s25, 0x3ec71dee
	v_fma_f64 v[22:23], v[28:29], v[22:23], s[24:25]
	s_mov_b32 s24, 0x7c89e6b0
	s_mov_b32 s25, 0x3efa0199
	;; [unrolled: 3-line block ×4, first 2 shown]
	v_fma_f64 v[22:23], v[28:29], v[22:23], s[24:25]
	v_fma_f64 v[22:23], v[28:29], v[22:23], s[22:23]
	s_mov_b32 s22, 0x555502a1
	s_mov_b32 s23, s41
	v_fma_f64 v[22:23], v[28:29], v[22:23], s[22:23]
	s_movk_i32 s22, 0x1f8
	v_fma_f64 v[22:23], v[28:29], v[22:23], s[4:5]
	s_mov_b32 s4, 11
	s_mov_b32 s5, 0x3fe00000
	v_fma_f64 v[22:23], v[28:29], v[22:23], s[4:5]
	s_mov_b32 s5, 0xbfc55555
	s_mov_b32 s4, s40
	v_fma_f64 v[6:7], v[30:31], s[4:5], v[6:7]
	v_mul_f64 v[30:31], v[32:33], v[32:33]
	v_fma_f64 v[10:11], v[26:27], s[4:5], v[10:11]
	v_cmp_class_f64_e64 s[4:5], v[2:3], s22
	v_fma_f64 v[22:23], v[28:29], v[22:23], 1.0
	v_add_f64 v[4:5], v[4:5], -v[6:7]
	v_fma_f64 v[6:7], v[30:31], v[16:17], v[14:15]
	v_add_f64 v[8:9], v[8:9], -v[10:11]
	v_mov_b32_e32 v11, 0x3ff00000
	v_fma_f64 v[22:23], v[28:29], v[22:23], 1.0
	v_mov_b32_e32 v28, 0x7ff00000
	v_xor_b32_e32 v2, 0x80000000, v5
	v_cndmask_b32_e32 v0, v4, v18, vcc
	v_cndmask_b32_e32 v2, v2, v19, vcc
	v_cmp_nlt_f64_e32 vcc, s[6:7], v[34:35]
	v_cmp_ngt_f64_e64 s[6:7], s[18:19], v[34:35]
	v_ldexp_f64 v[14:15], v[22:23], v24
	v_cndmask_b32_e64 v4, 0, v0, s[4:5]
	v_xor_b32_e32 v2, v2, v12
	v_add_f64 v[6:7], v[20:21], v[6:7]
	v_cndmask_b32_e64 v5, v36, v2, s[4:5]
	v_cndmask_b32_e32 v0, v28, v15, vcc
	v_cndmask_b32_e64 v0, 0, v0, s[6:7]
	v_and_b32_e32 v2, 0xfffff, v0
	v_lshrrev_b32_e32 v0, 20, v0
	v_add_u32_e32 v0, 0xffffff08, v0
	v_or_b32_e32 v15, 0x7fe00000, v2
	s_and_b64 vcc, s[6:7], vcc
	v_lshrrev_b16_e32 v2, 15, v0
	v_cndmask_b32_e32 v14, 0, v14, vcc
	v_add_u16_e32 v2, v0, v2
	v_mul_f64 v[4:5], v[14:15], v[4:5]
	v_ashrrev_i16_e32 v2, 1, v2
	v_bfe_i32 v10, v2, 0, 16
	v_and_b32_e32 v2, 1, v13
	v_cmp_eq_u32_e32 vcc, 0, v2
	v_cndmask_b32_e32 v2, v6, v8, vcc
	v_cndmask_b32_e32 v6, v7, v9, vcc
	v_lshlrev_b32_e32 v7, 30, v13
	v_xor_b32_e32 v3, v7, v3
	v_and_b32_e32 v3, 0x80000000, v3
	v_xor_b32_e32 v3, v6, v3
	v_cndmask_b32_e64 v2, 0, v2, s[4:5]
	v_cndmask_b32_e64 v3, v36, v3, s[4:5]
	v_lshl_add_u32 v9, v10, 20, v11
	v_mov_b32_e32 v8, 0
	v_mul_f64 v[2:3], v[14:15], v[2:3]
	v_mul_f64 v[4:5], v[4:5], v[8:9]
	v_sub_u32_e32 v0, v0, v10
	v_lshl_add_u32 v7, v0, 20, v11
	v_mov_b32_e32 v6, v8
	s_brev_b32 s4, -2
	v_mul_f64 v[2:3], v[2:3], v[8:9]
	v_mul_f64 v[4:5], v[4:5], v[6:7]
	v_bfi_b32 v9, s4, v11, v1
	v_mul_f64 v[6:7], v[2:3], v[6:7]
	v_mul_f64 v[4:5], v[8:9], v[4:5]
.LBB105_56:
	s_or_b64 exec, exec, s[16:17]
                                        ; implicit-def: $vgpr0_vgpr1
                                        ; implicit-def: $vgpr2_vgpr3
.LBB105_57:
	s_andn2_saveexec_b64 s[6:7], s[14:15]
	s_cbranch_execz .LBB105_67
; %bb.58:
	s_mov_b32 s4, 0
	s_mov_b32 s5, 0x41d00000
	v_cmp_nlt_f64_e64 s[14:15], |v[2:3]|, s[4:5]
                                        ; implicit-def: $vgpr14
                                        ; implicit-def: $vgpr4_vgpr5
                                        ; implicit-def: $vgpr6_vgpr7
	s_and_saveexec_b64 s[4:5], s[14:15]
	s_xor_b64 s[16:17], exec, s[4:5]
	s_cbranch_execz .LBB105_60
; %bb.59:
	v_trig_preop_f64 v[4:5], |v[2:3]|, 0
	s_mov_b32 s4, 0
	s_mov_b32 s5, 0x7b000000
	s_movk_i32 s18, 0xff80
	v_ldexp_f64 v[8:9], |v[2:3]|, s18
	v_cmp_ge_f64_e64 vcc, |v[2:3]|, s[4:5]
	v_trig_preop_f64 v[6:7], |v[2:3]|, 1
	v_and_b32_e32 v10, 0x7fffffff, v3
	v_trig_preop_f64 v[16:17], |v[2:3]|, 2
	s_mov_b32 s4, 0
	s_mov_b32 s5, 0x7ff00000
	v_mov_b32_e32 v27, 0x40100000
	v_mov_b32_e32 v26, 0
	v_cndmask_b32_e32 v9, v10, v9, vcc
	v_cndmask_b32_e32 v8, v2, v8, vcc
	s_mov_b32 s18, 0x33145c07
	v_mul_f64 v[10:11], v[4:5], v[8:9]
	s_mov_b32 s19, 0x3c91a626
	v_mul_f64 v[12:13], v[6:7], v[8:9]
	v_mul_f64 v[22:23], v[16:17], v[8:9]
	v_fma_f64 v[4:5], v[4:5], v[8:9], -v[10:11]
	v_fma_f64 v[6:7], v[6:7], v[8:9], -v[12:13]
	;; [unrolled: 1-line block ×3, first 2 shown]
	v_add_f64 v[14:15], v[12:13], v[4:5]
	v_add_f64 v[18:19], v[14:15], -v[12:13]
	v_add_f64 v[24:25], v[10:11], v[14:15]
	v_add_f64 v[20:21], v[14:15], -v[18:19]
	v_add_f64 v[4:5], v[4:5], -v[18:19]
	v_add_f64 v[18:19], v[22:23], v[6:7]
	v_add_f64 v[10:11], v[24:25], -v[10:11]
	v_add_f64 v[12:13], v[12:13], -v[20:21]
	v_ldexp_f64 v[20:21], v[24:25], -2
	v_add_f64 v[28:29], v[18:19], -v[22:23]
	v_add_f64 v[10:11], v[14:15], -v[10:11]
	v_add_f64 v[4:5], v[4:5], v[12:13]
	v_fract_f64_e32 v[12:13], v[20:21]
	v_cmp_neq_f64_e64 vcc, |v[20:21]|, s[4:5]
	v_add_f64 v[6:7], v[6:7], -v[28:29]
	v_add_f64 v[14:15], v[18:19], v[4:5]
	v_ldexp_f64 v[12:13], v[12:13], 2
	v_add_f64 v[20:21], v[10:11], v[14:15]
	v_cndmask_b32_e32 v13, 0, v13, vcc
	v_cndmask_b32_e32 v12, 0, v12, vcc
	v_add_f64 v[30:31], v[14:15], -v[18:19]
	v_add_f64 v[24:25], v[20:21], v[12:13]
	v_add_f64 v[10:11], v[20:21], -v[10:11]
	v_add_f64 v[32:33], v[14:15], -v[30:31]
	;; [unrolled: 1-line block ×3, first 2 shown]
	v_cmp_gt_f64_e32 vcc, 0, v[24:25]
	v_add_f64 v[24:25], v[18:19], -v[28:29]
	v_add_f64 v[10:11], v[14:15], -v[10:11]
	;; [unrolled: 1-line block ×3, first 2 shown]
	v_cndmask_b32_e32 v27, 0, v27, vcc
	v_add_f64 v[12:13], v[12:13], v[26:27]
	v_add_f64 v[24:25], v[22:23], -v[24:25]
	v_add_f64 v[4:5], v[4:5], v[18:19]
	v_add_f64 v[34:35], v[20:21], v[12:13]
	;; [unrolled: 1-line block ×3, first 2 shown]
	v_cvt_i32_f64_e32 v29, v[34:35]
	v_add_f64 v[4:5], v[6:7], v[4:5]
	v_cvt_f64_i32_e32 v[27:28], v29
	v_add_f64 v[12:13], v[12:13], -v[27:28]
	v_add_f64 v[4:5], v[8:9], v[4:5]
	v_add_f64 v[6:7], v[20:21], v[12:13]
	;; [unrolled: 1-line block ×3, first 2 shown]
	v_mov_b32_e32 v10, 0x3ff00000
	v_add_f64 v[8:9], v[6:7], -v[12:13]
	v_cmp_le_f64_e32 vcc, 0.5, v[6:7]
	v_add_f64 v[8:9], v[20:21], -v[8:9]
	v_cndmask_b32_e32 v27, 0, v10, vcc
	v_add_f64 v[6:7], v[6:7], -v[26:27]
	v_addc_co_u32_e64 v14, s[4:5], 0, v29, vcc
	s_mov_b32 s4, 0x54442d18
	s_mov_b32 s5, 0x3ff921fb
	v_add_f64 v[4:5], v[4:5], v[8:9]
	v_add_f64 v[8:9], v[6:7], v[4:5]
	v_mul_f64 v[10:11], v[8:9], s[4:5]
	v_add_f64 v[6:7], v[8:9], -v[6:7]
	v_fma_f64 v[12:13], v[8:9], s[4:5], -v[10:11]
	v_add_f64 v[4:5], v[4:5], -v[6:7]
	v_fma_f64 v[6:7], v[8:9], s[18:19], v[12:13]
	v_fma_f64 v[6:7], v[4:5], s[4:5], v[6:7]
	v_add_f64 v[4:5], v[10:11], v[6:7]
	v_add_f64 v[8:9], v[4:5], -v[10:11]
	v_add_f64 v[6:7], v[6:7], -v[8:9]
	s_andn2_saveexec_b64 s[4:5], s[16:17]
	s_cbranch_execz .LBB105_62
	s_branch .LBB105_61
.LBB105_60:
	s_andn2_saveexec_b64 s[4:5], s[16:17]
	s_cbranch_execz .LBB105_62
.LBB105_61:
	s_mov_b32 s16, 0x6dc9c883
	s_mov_b32 s17, 0x3fe45f30
	v_mul_f64 v[4:5], |v[2:3]|, s[16:17]
	s_mov_b32 s16, 0x54442d18
	s_mov_b32 s17, 0xbff921fb
	;; [unrolled: 1-line block ×4, first 2 shown]
	v_rndne_f64_e32 v[8:9], v[4:5]
	v_fma_f64 v[4:5], v[8:9], s[16:17], |v[2:3]|
	v_mul_f64 v[6:7], v[8:9], s[18:19]
	s_mov_b32 s16, 0x252049c0
	s_mov_b32 s17, 0xb97b839a
	v_fma_f64 v[14:15], v[8:9], s[18:19], v[4:5]
	v_add_f64 v[10:11], v[4:5], v[6:7]
	s_mov_b32 s19, 0x3c91a626
	v_add_f64 v[12:13], v[4:5], -v[10:11]
	v_add_f64 v[10:11], v[10:11], -v[14:15]
	v_add_f64 v[4:5], v[12:13], v[6:7]
	v_fma_f64 v[6:7], v[8:9], s[18:19], v[6:7]
	v_add_f64 v[4:5], v[10:11], v[4:5]
	v_add_f64 v[4:5], v[4:5], -v[6:7]
	v_fma_f64 v[6:7], v[8:9], s[16:17], v[4:5]
	v_add_f64 v[4:5], v[14:15], v[6:7]
	v_add_f64 v[10:11], v[4:5], -v[14:15]
	v_cvt_i32_f64_e32 v14, v[8:9]
	v_add_f64 v[6:7], v[6:7], -v[10:11]
.LBB105_62:
	s_or_b64 exec, exec, s[4:5]
                                        ; implicit-def: $vgpr15
                                        ; implicit-def: $vgpr8_vgpr9
                                        ; implicit-def: $vgpr10_vgpr11
	s_and_saveexec_b64 s[4:5], s[14:15]
	s_xor_b64 s[14:15], exec, s[4:5]
	s_cbranch_execz .LBB105_64
; %bb.63:
	v_trig_preop_f64 v[8:9], |v[2:3]|, 0
	s_mov_b32 s4, 0
	s_mov_b32 s5, 0x7b000000
	v_cmp_ge_f64_e64 vcc, |v[2:3]|, s[4:5]
	s_movk_i32 s4, 0xff80
	v_ldexp_f64 v[12:13], |v[2:3]|, s4
	v_trig_preop_f64 v[10:11], |v[2:3]|, 1
	v_and_b32_e32 v15, 0x7fffffff, v3
	s_mov_b32 s4, 0
	s_mov_b32 s5, 0x7ff00000
	s_mov_b32 s16, 0x33145c07
	s_mov_b32 s17, 0x3c91a626
	v_cndmask_b32_e32 v13, v15, v13, vcc
	v_cndmask_b32_e32 v12, v2, v12, vcc
	v_mul_f64 v[17:18], v[8:9], v[12:13]
	v_mul_f64 v[15:16], v[10:11], v[12:13]
	v_fma_f64 v[8:9], v[8:9], v[12:13], -v[17:18]
	v_fma_f64 v[10:11], v[10:11], v[12:13], -v[15:16]
	v_add_f64 v[19:20], v[15:16], v[8:9]
	v_add_f64 v[27:28], v[19:20], -v[15:16]
	v_add_f64 v[21:22], v[17:18], v[19:20]
	v_add_f64 v[8:9], v[8:9], -v[27:28]
	v_add_f64 v[27:28], v[19:20], -v[27:28]
	v_ldexp_f64 v[23:24], v[21:22], -2
	v_add_f64 v[17:18], v[21:22], -v[17:18]
	v_add_f64 v[27:28], v[15:16], -v[27:28]
	v_trig_preop_f64 v[15:16], |v[2:3]|, 2
	v_fract_f64_e32 v[25:26], v[23:24]
	v_add_f64 v[17:18], v[19:20], -v[17:18]
	v_cmp_neq_f64_e64 vcc, |v[23:24]|, s[4:5]
	v_add_f64 v[8:9], v[8:9], v[27:28]
	v_mul_f64 v[27:28], v[15:16], v[12:13]
	v_add_f64 v[29:30], v[27:28], v[10:11]
	v_add_f64 v[31:32], v[29:30], v[8:9]
	v_add_f64 v[21:22], v[31:32], -v[29:30]
	v_add_f64 v[19:20], v[17:18], v[31:32]
	v_add_f64 v[8:9], v[8:9], -v[21:22]
	v_add_f64 v[21:22], v[31:32], -v[21:22]
	;; [unrolled: 1-line block ×5, first 2 shown]
	v_add_f64 v[8:9], v[8:9], v[21:22]
	v_add_f64 v[21:22], v[29:30], -v[27:28]
	v_add_f64 v[10:11], v[10:11], -v[21:22]
	;; [unrolled: 1-line block ×4, first 2 shown]
	v_add_f64 v[10:11], v[10:11], v[21:22]
	v_add_f64 v[8:9], v[10:11], v[8:9]
	v_fma_f64 v[10:11], v[15:16], v[12:13], -v[27:28]
	v_add_f64 v[8:9], v[10:11], v[8:9]
	v_ldexp_f64 v[10:11], v[25:26], 2
	v_add_f64 v[8:9], v[17:18], v[8:9]
	v_cndmask_b32_e32 v11, 0, v11, vcc
	v_cndmask_b32_e32 v10, 0, v10, vcc
	v_add_f64 v[12:13], v[19:20], v[10:11]
	v_cmp_gt_f64_e32 vcc, 0, v[12:13]
	v_mov_b32_e32 v12, 0x40100000
	v_cndmask_b32_e32 v13, 0, v12, vcc
	v_mov_b32_e32 v12, 0
	v_add_f64 v[10:11], v[10:11], v[12:13]
	v_add_f64 v[15:16], v[19:20], v[10:11]
	v_cvt_i32_f64_e32 v13, v[15:16]
	v_cvt_f64_i32_e32 v[15:16], v13
	v_add_f64 v[10:11], v[10:11], -v[15:16]
	v_add_f64 v[16:17], v[19:20], v[10:11]
	v_add_f64 v[10:11], v[16:17], -v[10:11]
	v_cmp_le_f64_e32 vcc, 0.5, v[16:17]
	v_add_f64 v[10:11], v[19:20], -v[10:11]
	v_addc_co_u32_e64 v15, s[4:5], 0, v13, vcc
	s_mov_b32 s4, 0x54442d18
	s_mov_b32 s5, 0x3ff921fb
	v_add_f64 v[8:9], v[8:9], v[10:11]
	v_mov_b32_e32 v10, 0x3ff00000
	v_cndmask_b32_e32 v13, 0, v10, vcc
	v_add_f64 v[10:11], v[16:17], -v[12:13]
	v_add_f64 v[12:13], v[10:11], v[8:9]
	v_add_f64 v[10:11], v[12:13], -v[10:11]
	v_add_f64 v[8:9], v[8:9], -v[10:11]
	v_mul_f64 v[10:11], v[12:13], s[4:5]
	v_fma_f64 v[16:17], v[12:13], s[4:5], -v[10:11]
	v_fma_f64 v[12:13], v[12:13], s[16:17], v[16:17]
	v_fma_f64 v[12:13], v[8:9], s[4:5], v[12:13]
	v_add_f64 v[8:9], v[10:11], v[12:13]
	v_add_f64 v[10:11], v[8:9], -v[10:11]
	v_add_f64 v[10:11], v[12:13], -v[10:11]
	s_andn2_saveexec_b64 s[4:5], s[14:15]
	s_cbranch_execnz .LBB105_65
	s_branch .LBB105_66
.LBB105_64:
	s_andn2_saveexec_b64 s[4:5], s[14:15]
	s_cbranch_execz .LBB105_66
.LBB105_65:
	s_mov_b32 s14, 0x6dc9c883
	s_mov_b32 s15, 0x3fe45f30
	v_mul_f64 v[8:9], |v[2:3]|, s[14:15]
	s_mov_b32 s14, 0x54442d18
	s_mov_b32 s15, 0xbff921fb
	;; [unrolled: 1-line block ×4, first 2 shown]
	v_rndne_f64_e32 v[12:13], v[8:9]
	v_fma_f64 v[8:9], v[12:13], s[14:15], |v[2:3]|
	v_mul_f64 v[10:11], v[12:13], s[16:17]
	s_mov_b32 s14, 0x252049c0
	s_mov_b32 s15, 0xb97b839a
	v_fma_f64 v[19:20], v[12:13], s[16:17], v[8:9]
	v_add_f64 v[15:16], v[8:9], v[10:11]
	s_mov_b32 s17, 0x3c91a626
	v_add_f64 v[17:18], v[8:9], -v[15:16]
	v_add_f64 v[15:16], v[15:16], -v[19:20]
	v_add_f64 v[8:9], v[17:18], v[10:11]
	v_fma_f64 v[10:11], v[12:13], s[16:17], v[10:11]
	v_add_f64 v[8:9], v[15:16], v[8:9]
	v_add_f64 v[8:9], v[8:9], -v[10:11]
	v_fma_f64 v[10:11], v[12:13], s[14:15], v[8:9]
	v_add_f64 v[8:9], v[19:20], v[10:11]
	v_add_f64 v[15:16], v[8:9], -v[19:20]
	v_add_f64 v[10:11], v[10:11], -v[15:16]
	v_cvt_i32_f64_e32 v15, v[12:13]
.LBB105_66:
	s_or_b64 exec, exec, s[4:5]
	s_mov_b32 s4, 0x652b82fe
	s_mov_b32 s5, 0x3ff71547
	v_mul_f64 v[12:13], |v[0:1]|, s[4:5]
	s_mov_b32 s4, 0xfefa39ef
	s_mov_b32 s5, 0xbfe62e42
	v_mov_b32_e32 v18, 0xfca7ab0c
	v_mov_b32_e32 v19, 0x3e928af3
	s_mov_b32 s15, 0x3fa55555
	s_mov_b32 s14, 0x555502a1
	;; [unrolled: 1-line block ×3, first 2 shown]
	v_rndne_f64_e32 v[12:13], v[12:13]
	s_mov_b32 s17, 0x3fc55555
	s_mov_b32 s18, 0x9037ab78
	;; [unrolled: 1-line block ×3, first 2 shown]
	v_mov_b32_e32 v25, s19
	v_mov_b32_e32 v24, s18
	s_mov_b32 s18, 0xa17f65f6
	s_mov_b32 s19, 0xbe927e4f
	v_fma_f64 v[16:17], v[12:13], s[4:5], |v[0:1]|
	s_mov_b32 s4, 0x3b39803f
	s_mov_b32 s5, 0xbc7abc9e
	;; [unrolled: 1-line block ×7, first 2 shown]
	v_fma_f64 v[16:17], v[12:13], s[4:5], v[16:17]
	s_mov_b32 s4, 0x6a5dcb37
	s_mov_b32 s5, 0x3e5ade15
	v_cvt_i32_f64_e32 v12, v[12:13]
	s_mov_b32 s27, 0xbe5ae600
	s_mov_b32 s20, 0xf9a43bb8
	;; [unrolled: 1-line block ×4, first 2 shown]
	v_fma_f64 v[18:19], v[16:17], s[4:5], v[18:19]
	s_mov_b32 s4, 0x623fde64
	s_mov_b32 s5, 0x3ec71dee
	;; [unrolled: 1-line block ×3, first 2 shown]
	v_mul_f64 v[28:29], v[6:7], 0.5
	s_mov_b32 s41, 0xbfc55555
	s_movk_i32 s42, 0x1f8
	v_fma_f64 v[18:19], v[16:17], v[18:19], s[4:5]
	s_mov_b32 s4, 0x7c89e6b0
	s_mov_b32 s5, 0x3efa0199
	v_fma_f64 v[18:19], v[16:17], v[18:19], s[4:5]
	s_mov_b32 s4, 0x14761f6e
	s_mov_b32 s5, 0x3f2a01a0
	;; [unrolled: 3-line block ×4, first 2 shown]
	v_fma_f64 v[18:19], v[16:17], v[18:19], s[4:5]
	s_brev_b32 s4, -2
	v_fma_f64 v[18:19], v[16:17], v[18:19], s[14:15]
	s_mov_b32 s14, 0x55555555
	s_mov_b32 s40, s14
	v_fma_f64 v[18:19], v[16:17], v[18:19], s[16:17]
	s_mov_b32 s16, 11
	s_mov_b32 s17, 0x3fe00000
	;; [unrolled: 3-line block ×3, first 2 shown]
	v_cmp_ngt_f64_e64 vcc, |v[0:1]|, s[16:17]
	s_mov_b32 s16, 0x46cc5e42
	s_mov_b32 s17, 0xbda907db
	v_mov_b32_e32 v0, 0x7ff00000
	v_fma_f64 v[18:19], v[16:17], v[18:19], 1.0
	v_fma_f64 v[16:17], v[16:17], v[18:19], 1.0
	v_ldexp_f64 v[12:13], v[16:17], v12
	v_mul_f64 v[16:17], v[4:5], v[4:5]
	v_mul_f64 v[12:13], v[12:13], 0.5
	v_mul_f64 v[18:19], v[16:17], 0.5
	v_fma_f64 v[26:27], v[16:17], s[16:17], v[24:25]
	v_cndmask_b32_e32 v13, v0, v13, vcc
	v_add_f64 v[20:21], -v[18:19], 1.0
	v_fma_f64 v[26:27], v[16:17], v[26:27], s[18:19]
	v_bfi_b32 v1, s4, v13, v1
	s_mov_b32 s4, 0x11110bb3
	v_cndmask_b32_e32 v12, 0, v12, vcc
	v_mov_b32_e32 v0, v12
	v_add_f64 v[22:23], -v[20:21], 1.0
	v_fma_f64 v[26:27], v[16:17], v[26:27], s[22:23]
	v_add_f64 v[18:19], v[22:23], -v[18:19]
	v_fma_f64 v[26:27], v[16:17], v[26:27], s[24:25]
	v_mul_f64 v[22:23], v[16:17], v[16:17]
	v_fma_f64 v[18:19], v[4:5], -v[6:7], v[18:19]
	v_fma_f64 v[26:27], v[16:17], v[26:27], s[14:15]
	v_fma_f64 v[18:19], v[22:23], v[26:27], v[18:19]
	v_mul_f64 v[26:27], v[4:5], -v[16:17]
	v_add_f64 v[18:19], v[20:21], v[18:19]
	v_mov_b32_e32 v20, s26
	v_mov_b32_e32 v21, s27
	v_fma_f64 v[22:23], v[16:17], s[20:21], v[20:21]
	s_mov_b32 s26, 0x796cde01
	s_mov_b32 s27, 0x3ec71de3
	v_fma_f64 v[22:23], v[16:17], v[22:23], s[26:27]
	v_fma_f64 v[22:23], v[16:17], v[22:23], s[28:29]
	;; [unrolled: 1-line block ×4, first 2 shown]
	v_fma_f64 v[6:7], v[16:17], v[22:23], -v[6:7]
	v_fma_f64 v[6:7], v[26:27], s[40:41], v[6:7]
	v_add_f64 v[4:5], v[4:5], -v[6:7]
	v_and_b32_e32 v6, 1, v14
	v_cmp_eq_u32_e32 vcc, 0, v6
	v_lshlrev_b32_e32 v6, 30, v14
	v_and_b32_e32 v6, 0x80000000, v6
	v_xor_b32_e32 v5, 0x80000000, v5
	v_cndmask_b32_e32 v4, v4, v18, vcc
	v_cndmask_b32_e32 v5, v5, v19, vcc
	v_cmp_class_f64_e64 vcc, v[2:3], s42
	v_xor_b32_e32 v5, v5, v6
	v_mov_b32_e32 v2, 0x7ff80000
	v_cndmask_b32_e32 v4, 0, v4, vcc
	v_cndmask_b32_e32 v5, v2, v5, vcc
	v_mul_f64 v[4:5], v[0:1], v[4:5]
	v_mul_f64 v[0:1], v[8:9], v[8:9]
	v_mul_f64 v[6:7], v[0:1], 0.5
	v_fma_f64 v[22:23], v[0:1], s[16:17], v[24:25]
	v_add_f64 v[16:17], -v[6:7], 1.0
	v_fma_f64 v[22:23], v[0:1], v[22:23], s[18:19]
	v_add_f64 v[18:19], -v[16:17], 1.0
	v_fma_f64 v[22:23], v[0:1], v[22:23], s[22:23]
	v_add_f64 v[6:7], v[18:19], -v[6:7]
	v_fma_f64 v[22:23], v[0:1], v[22:23], s[24:25]
	v_mul_f64 v[18:19], v[0:1], v[0:1]
	v_fma_f64 v[6:7], v[8:9], -v[10:11], v[6:7]
	v_fma_f64 v[22:23], v[0:1], v[22:23], s[14:15]
	v_fma_f64 v[6:7], v[18:19], v[22:23], v[6:7]
	v_mul_f64 v[18:19], v[8:9], -v[0:1]
	v_add_f64 v[6:7], v[16:17], v[6:7]
	v_fma_f64 v[16:17], v[0:1], s[20:21], v[20:21]
	v_mul_f64 v[20:21], v[10:11], 0.5
	v_fma_f64 v[16:17], v[0:1], v[16:17], s[26:27]
	v_fma_f64 v[16:17], v[0:1], v[16:17], s[28:29]
	;; [unrolled: 1-line block ×4, first 2 shown]
	v_fma_f64 v[0:1], v[0:1], v[16:17], -v[10:11]
	v_fma_f64 v[0:1], v[18:19], s[40:41], v[0:1]
	v_add_f64 v[0:1], v[8:9], -v[0:1]
	v_and_b32_e32 v8, 1, v15
	v_cmp_eq_u32_e64 s[4:5], 0, v8
	v_cndmask_b32_e64 v0, v6, v0, s[4:5]
	v_lshlrev_b32_e32 v6, 30, v15
	v_xor_b32_e32 v3, v6, v3
	v_cndmask_b32_e64 v1, v7, v1, s[4:5]
	v_and_b32_e32 v3, 0x80000000, v3
	v_xor_b32_e32 v1, v1, v3
	v_cndmask_b32_e32 v0, 0, v0, vcc
	v_cndmask_b32_e32 v1, v2, v1, vcc
	v_mul_f64 v[6:7], v[12:13], v[0:1]
.LBB105_67:
	s_or_b64 exec, exec, s[6:7]
                                        ; implicit-def: $vgpr0_vgpr1
                                        ; implicit-def: $vgpr2_vgpr3
.LBB105_68:
	s_andn2_saveexec_b64 s[6:7], s[12:13]
	s_cbranch_execz .LBB105_78
; %bb.69:
	v_trig_preop_f64 v[16:17], |v[2:3]|, 0
	v_trig_preop_f64 v[14:15], |v[2:3]|, 1
	;; [unrolled: 1-line block ×3, first 2 shown]
	s_mov_b32 s4, 0
	s_mov_b32 s5, 0x41d00000
	v_cmp_nlt_f64_e64 s[12:13], |v[2:3]|, s[4:5]
                                        ; implicit-def: $vgpr23
                                        ; implicit-def: $vgpr4_vgpr5
                                        ; implicit-def: $vgpr6_vgpr7
	s_and_saveexec_b64 s[4:5], s[12:13]
	s_xor_b64 s[14:15], exec, s[4:5]
	s_cbranch_execz .LBB105_71
; %bb.70:
	s_mov_b32 s4, 0
	s_mov_b32 s5, 0x7b000000
	s_movk_i32 s16, 0xff80
	v_ldexp_f64 v[4:5], |v[2:3]|, s16
	v_cmp_ge_f64_e64 vcc, |v[2:3]|, s[4:5]
	v_and_b32_e32 v6, 0x7fffffff, v3
	s_mov_b32 s4, 0
	s_mov_b32 s5, 0x7ff00000
	v_mov_b32_e32 v31, 0x40100000
	v_mov_b32_e32 v30, 0
	s_mov_b32 s16, 0x33145c07
	s_mov_b32 s17, 0x3c91a626
	v_cndmask_b32_e32 v5, v6, v5, vcc
	v_cndmask_b32_e32 v4, v2, v4, vcc
	v_mul_f64 v[6:7], v[16:17], v[4:5]
	v_mul_f64 v[8:9], v[14:15], v[4:5]
	;; [unrolled: 1-line block ×3, first 2 shown]
	v_fma_f64 v[10:11], v[16:17], v[4:5], -v[6:7]
	v_fma_f64 v[26:27], v[14:15], v[4:5], -v[8:9]
	;; [unrolled: 1-line block ×3, first 2 shown]
	v_add_f64 v[18:19], v[8:9], v[10:11]
	v_add_f64 v[20:21], v[18:19], -v[8:9]
	v_add_f64 v[28:29], v[6:7], v[18:19]
	v_add_f64 v[22:23], v[18:19], -v[20:21]
	v_add_f64 v[10:11], v[10:11], -v[20:21]
	v_add_f64 v[20:21], v[24:25], v[26:27]
	v_add_f64 v[6:7], v[28:29], -v[6:7]
	v_add_f64 v[8:9], v[8:9], -v[22:23]
	v_ldexp_f64 v[22:23], v[28:29], -2
	v_add_f64 v[32:33], v[20:21], -v[24:25]
	v_add_f64 v[6:7], v[18:19], -v[6:7]
	v_add_f64 v[8:9], v[10:11], v[8:9]
	v_fract_f64_e32 v[10:11], v[22:23]
	v_cmp_neq_f64_e64 vcc, |v[22:23]|, s[4:5]
	v_add_f64 v[26:27], v[26:27], -v[32:33]
	v_add_f64 v[18:19], v[20:21], v[8:9]
	v_ldexp_f64 v[10:11], v[10:11], 2
	v_add_f64 v[22:23], v[6:7], v[18:19]
	v_cndmask_b32_e32 v11, 0, v11, vcc
	v_cndmask_b32_e32 v10, 0, v10, vcc
	v_add_f64 v[34:35], v[18:19], -v[20:21]
	v_add_f64 v[28:29], v[22:23], v[10:11]
	v_add_f64 v[6:7], v[22:23], -v[6:7]
	v_add_f64 v[36:37], v[18:19], -v[34:35]
	;; [unrolled: 1-line block ×3, first 2 shown]
	v_cmp_gt_f64_e32 vcc, 0, v[28:29]
	v_add_f64 v[28:29], v[20:21], -v[32:33]
	v_add_f64 v[6:7], v[18:19], -v[6:7]
	;; [unrolled: 1-line block ×3, first 2 shown]
	v_cndmask_b32_e32 v31, 0, v31, vcc
	v_add_f64 v[10:11], v[10:11], v[30:31]
	v_add_f64 v[28:29], v[24:25], -v[28:29]
	v_add_f64 v[8:9], v[8:9], v[20:21]
	v_add_f64 v[31:32], v[22:23], v[10:11]
	;; [unrolled: 1-line block ×3, first 2 shown]
	v_cvt_i32_f64_e32 v33, v[31:32]
	v_add_f64 v[8:9], v[26:27], v[8:9]
	v_cvt_f64_i32_e32 v[31:32], v33
	v_add_f64 v[10:11], v[10:11], -v[31:32]
	v_add_f64 v[4:5], v[4:5], v[8:9]
	v_add_f64 v[20:21], v[22:23], v[10:11]
	;; [unrolled: 1-line block ×3, first 2 shown]
	v_add_f64 v[8:9], v[20:21], -v[10:11]
	v_cmp_le_f64_e32 vcc, 0.5, v[20:21]
	v_add_f64 v[6:7], v[22:23], -v[8:9]
	v_mov_b32_e32 v8, 0x3ff00000
	v_cndmask_b32_e32 v31, 0, v8, vcc
	v_addc_co_u32_e64 v23, s[4:5], 0, v33, vcc
	s_mov_b32 s4, 0x54442d18
	s_mov_b32 s5, 0x3ff921fb
	v_add_f64 v[4:5], v[4:5], v[6:7]
	v_add_f64 v[6:7], v[20:21], -v[30:31]
	v_add_f64 v[8:9], v[6:7], v[4:5]
	v_mul_f64 v[10:11], v[8:9], s[4:5]
	v_add_f64 v[6:7], v[8:9], -v[6:7]
	v_fma_f64 v[18:19], v[8:9], s[4:5], -v[10:11]
	v_add_f64 v[4:5], v[4:5], -v[6:7]
	v_fma_f64 v[6:7], v[8:9], s[16:17], v[18:19]
	v_fma_f64 v[6:7], v[4:5], s[4:5], v[6:7]
	v_add_f64 v[4:5], v[10:11], v[6:7]
	v_add_f64 v[8:9], v[4:5], -v[10:11]
	v_add_f64 v[6:7], v[6:7], -v[8:9]
	s_andn2_saveexec_b64 s[4:5], s[14:15]
	s_cbranch_execz .LBB105_73
	s_branch .LBB105_72
.LBB105_71:
	s_andn2_saveexec_b64 s[4:5], s[14:15]
	s_cbranch_execz .LBB105_73
.LBB105_72:
	s_mov_b32 s14, 0x6dc9c883
	s_mov_b32 s15, 0x3fe45f30
	v_mul_f64 v[4:5], |v[2:3]|, s[14:15]
	s_mov_b32 s14, 0x54442d18
	s_mov_b32 s15, 0xbff921fb
	;; [unrolled: 1-line block ×4, first 2 shown]
	v_rndne_f64_e32 v[8:9], v[4:5]
	v_fma_f64 v[4:5], v[8:9], s[14:15], |v[2:3]|
	v_mul_f64 v[6:7], v[8:9], s[16:17]
	s_mov_b32 s14, 0x252049c0
	s_mov_b32 s15, 0xb97b839a
	v_cvt_i32_f64_e32 v23, v[8:9]
	v_fma_f64 v[20:21], v[8:9], s[16:17], v[4:5]
	v_add_f64 v[10:11], v[4:5], v[6:7]
	s_mov_b32 s17, 0x3c91a626
	v_add_f64 v[18:19], v[4:5], -v[10:11]
	v_add_f64 v[10:11], v[10:11], -v[20:21]
	v_add_f64 v[4:5], v[18:19], v[6:7]
	v_fma_f64 v[6:7], v[8:9], s[16:17], v[6:7]
	v_add_f64 v[4:5], v[10:11], v[4:5]
	v_add_f64 v[4:5], v[4:5], -v[6:7]
	v_fma_f64 v[6:7], v[8:9], s[14:15], v[4:5]
	v_add_f64 v[4:5], v[20:21], v[6:7]
	v_add_f64 v[10:11], v[4:5], -v[20:21]
	v_add_f64 v[6:7], v[6:7], -v[10:11]
.LBB105_73:
	s_or_b64 exec, exec, s[4:5]
                                        ; implicit-def: $vgpr22
                                        ; implicit-def: $vgpr8_vgpr9
                                        ; implicit-def: $vgpr10_vgpr11
	s_and_saveexec_b64 s[4:5], s[12:13]
	s_xor_b64 s[12:13], exec, s[4:5]
	s_cbranch_execz .LBB105_75
; %bb.74:
	s_mov_b32 s4, 0
	s_mov_b32 s5, 0x7b000000
	v_cmp_ge_f64_e64 vcc, |v[2:3]|, s[4:5]
	s_movk_i32 s4, 0xff80
	v_ldexp_f64 v[8:9], |v[2:3]|, s4
	v_and_b32_e32 v10, 0x7fffffff, v3
	s_mov_b32 s4, 0
	s_mov_b32 s5, 0x7ff00000
	;; [unrolled: 1-line block ×4, first 2 shown]
	v_cndmask_b32_e32 v9, v10, v9, vcc
	v_cndmask_b32_e32 v8, v2, v8, vcc
	v_mul_f64 v[18:19], v[16:17], v[8:9]
	v_mul_f64 v[10:11], v[14:15], v[8:9]
	v_fma_f64 v[16:17], v[16:17], v[8:9], -v[18:19]
	v_add_f64 v[20:21], v[10:11], v[16:17]
	v_add_f64 v[30:31], v[20:21], -v[10:11]
	v_add_f64 v[24:25], v[18:19], v[20:21]
	v_add_f64 v[16:17], v[16:17], -v[30:31]
	v_add_f64 v[30:31], v[20:21], -v[30:31]
	v_ldexp_f64 v[26:27], v[24:25], -2
	v_add_f64 v[18:19], v[24:25], -v[18:19]
	v_add_f64 v[30:31], v[10:11], -v[30:31]
	v_fma_f64 v[10:11], v[14:15], v[8:9], -v[10:11]
	v_mul_f64 v[14:15], v[12:13], v[8:9]
	v_fract_f64_e32 v[28:29], v[26:27]
	v_add_f64 v[18:19], v[20:21], -v[18:19]
	v_cmp_neq_f64_e64 vcc, |v[26:27]|, s[4:5]
	v_add_f64 v[16:17], v[16:17], v[30:31]
	v_add_f64 v[30:31], v[14:15], v[10:11]
	v_fma_f64 v[8:9], v[12:13], v[8:9], -v[14:15]
	v_add_f64 v[32:33], v[30:31], v[16:17]
	v_add_f64 v[24:25], v[32:33], -v[30:31]
	v_add_f64 v[20:21], v[18:19], v[32:33]
	v_add_f64 v[16:17], v[16:17], -v[24:25]
	v_add_f64 v[24:25], v[32:33], -v[24:25]
	;; [unrolled: 1-line block ×5, first 2 shown]
	v_add_f64 v[16:17], v[16:17], v[24:25]
	v_add_f64 v[24:25], v[30:31], -v[14:15]
	v_add_f64 v[10:11], v[10:11], -v[24:25]
	;; [unrolled: 1-line block ×4, first 2 shown]
	v_add_f64 v[10:11], v[10:11], v[24:25]
	v_add_f64 v[10:11], v[10:11], v[16:17]
	;; [unrolled: 1-line block ×3, first 2 shown]
	v_ldexp_f64 v[10:11], v[28:29], 2
	v_add_f64 v[8:9], v[18:19], v[8:9]
	v_cndmask_b32_e32 v11, 0, v11, vcc
	v_cndmask_b32_e32 v10, 0, v10, vcc
	v_add_f64 v[12:13], v[20:21], v[10:11]
	v_cmp_gt_f64_e32 vcc, 0, v[12:13]
	v_mov_b32_e32 v12, 0x40100000
	v_cndmask_b32_e32 v13, 0, v12, vcc
	v_mov_b32_e32 v12, 0
	v_add_f64 v[10:11], v[10:11], v[12:13]
	v_add_f64 v[13:14], v[20:21], v[10:11]
	v_cvt_i32_f64_e32 v16, v[13:14]
	v_cvt_f64_i32_e32 v[13:14], v16
	v_add_f64 v[10:11], v[10:11], -v[13:14]
	v_add_f64 v[14:15], v[20:21], v[10:11]
	v_add_f64 v[10:11], v[14:15], -v[10:11]
	v_cmp_le_f64_e32 vcc, 0.5, v[14:15]
	v_add_f64 v[10:11], v[20:21], -v[10:11]
	v_addc_co_u32_e64 v22, s[4:5], 0, v16, vcc
	s_mov_b32 s4, 0x54442d18
	s_mov_b32 s5, 0x3ff921fb
	v_add_f64 v[8:9], v[8:9], v[10:11]
	v_mov_b32_e32 v10, 0x3ff00000
	v_cndmask_b32_e32 v13, 0, v10, vcc
	v_add_f64 v[10:11], v[14:15], -v[12:13]
	v_add_f64 v[12:13], v[10:11], v[8:9]
	v_add_f64 v[10:11], v[12:13], -v[10:11]
	v_add_f64 v[8:9], v[8:9], -v[10:11]
	v_mul_f64 v[10:11], v[12:13], s[4:5]
	v_fma_f64 v[14:15], v[12:13], s[4:5], -v[10:11]
	v_fma_f64 v[12:13], v[12:13], s[14:15], v[14:15]
	v_fma_f64 v[12:13], v[8:9], s[4:5], v[12:13]
	v_add_f64 v[8:9], v[10:11], v[12:13]
	v_add_f64 v[10:11], v[8:9], -v[10:11]
	v_add_f64 v[10:11], v[12:13], -v[10:11]
	s_andn2_saveexec_b64 s[4:5], s[12:13]
	s_cbranch_execnz .LBB105_76
	s_branch .LBB105_77
.LBB105_75:
	s_andn2_saveexec_b64 s[4:5], s[12:13]
	s_cbranch_execz .LBB105_77
.LBB105_76:
	s_mov_b32 s12, 0x6dc9c883
	s_mov_b32 s13, 0x3fe45f30
	v_mul_f64 v[8:9], |v[2:3]|, s[12:13]
	s_mov_b32 s12, 0x54442d18
	s_mov_b32 s13, 0xbff921fb
	s_mov_b32 s15, 0xbc91a626
	s_mov_b32 s14, 0x33145c00
	v_rndne_f64_e32 v[12:13], v[8:9]
	v_fma_f64 v[8:9], v[12:13], s[12:13], |v[2:3]|
	v_mul_f64 v[10:11], v[12:13], s[14:15]
	s_mov_b32 s12, 0x252049c0
	s_mov_b32 s13, 0xb97b839a
	v_cvt_i32_f64_e32 v22, v[12:13]
	v_fma_f64 v[18:19], v[12:13], s[14:15], v[8:9]
	v_add_f64 v[14:15], v[8:9], v[10:11]
	s_mov_b32 s15, 0x3c91a626
	v_add_f64 v[16:17], v[8:9], -v[14:15]
	v_add_f64 v[14:15], v[14:15], -v[18:19]
	v_add_f64 v[8:9], v[16:17], v[10:11]
	v_fma_f64 v[10:11], v[12:13], s[14:15], v[10:11]
	v_add_f64 v[8:9], v[14:15], v[8:9]
	v_add_f64 v[8:9], v[8:9], -v[10:11]
	v_fma_f64 v[10:11], v[12:13], s[12:13], v[8:9]
	v_add_f64 v[8:9], v[18:19], v[10:11]
	v_add_f64 v[14:15], v[8:9], -v[18:19]
	v_add_f64 v[10:11], v[10:11], -v[14:15]
.LBB105_77:
	s_or_b64 exec, exec, s[4:5]
	s_mov_b32 s5, 0xbfe62e42
	s_mov_b32 s4, 0xfefa39ef
	v_add_f64 v[12:13], |v[0:1]|, s[4:5]
	s_mov_b32 s13, 0x3fe62e42
	s_mov_b32 s12, s4
	;; [unrolled: 1-line block ×5, first 2 shown]
	v_and_b32_e32 v34, 0x7fffffff, v1
	s_brev_b32 s16, -2
	v_add_f64 v[14:15], v[12:13], -|v[0:1]|
	s_mov_b32 s20, 0xa17f65f6
	s_mov_b32 s21, 0xbe927e4f
	;; [unrolled: 1-line block ×7, first 2 shown]
	v_add_f64 v[16:17], v[14:15], -v[12:13]
	v_add_f64 v[14:15], v[14:15], s[12:13]
	s_mov_b32 s12, 0x3b39803f
	s_mov_b32 s13, 0xbc7abc9e
	s_mov_b32 s23, 0x3de5e0b2
	s_mov_b32 s26, 0x796cde01
	s_mov_b32 s27, 0x3ec71de3
	s_mov_b32 s40, 0x19e83e5c
	v_add_f64 v[16:17], |v[0:1]|, v[16:17]
	s_mov_b32 s41, 0xbf2a01a0
	v_mul_f64 v[35:36], v[6:7], 0.5
	s_mov_b32 s19, 0xbfc55555
	v_add_f64 v[14:15], v[16:17], -v[14:15]
	v_add_f64 v[14:15], v[14:15], s[12:13]
	s_mov_b32 s12, 0x652b82fe
	s_mov_b32 s13, 0x3ff71547
	v_add_f64 v[16:17], v[12:13], v[14:15]
	v_add_f64 v[12:13], v[12:13], -v[16:17]
	v_add_f64 v[12:13], v[14:15], v[12:13]
	v_mul_f64 v[14:15], v[16:17], s[12:13]
	s_mov_b32 s13, 0x3f811111
	s_mov_b32 s12, 0x11122322
	v_rndne_f64_e32 v[14:15], v[14:15]
	v_fma_f64 v[16:17], v[14:15], s[4:5], v[16:17]
	s_mov_b32 s4, 0xf278e000
	s_mov_b32 s5, 0xbd53de6a
	v_add_f64 v[18:19], v[12:13], v[16:17]
	v_add_f64 v[16:17], v[16:17], -v[18:19]
	v_add_f64 v[12:13], v[12:13], v[16:17]
	v_mul_f64 v[16:17], v[14:15], s[4:5]
	s_mov_b32 s4, 0xf97b57a0
	s_mov_b32 s5, 0xbac9cc01
	v_add_f64 v[20:21], v[18:19], v[16:17]
	v_add_f64 v[18:19], v[18:19], -v[20:21]
	v_add_f64 v[16:17], v[18:19], v[16:17]
	v_add_f64 v[12:13], v[12:13], v[16:17]
	;; [unrolled: 1-line block ×3, first 2 shown]
	v_add_f64 v[18:19], v[20:21], -v[16:17]
	v_add_f64 v[12:13], v[12:13], v[18:19]
	v_mul_f64 v[18:19], v[14:15], s[4:5]
	s_mov_b32 s4, 0x6a5dcb37
	s_mov_b32 s5, 0x3e5ade15
	v_add_f64 v[20:21], v[16:17], v[18:19]
	v_add_f64 v[16:17], v[16:17], -v[20:21]
	v_add_f64 v[16:17], v[16:17], v[18:19]
	v_add_f64 v[12:13], v[12:13], v[16:17]
	v_add_f64 v[16:17], v[20:21], v[12:13]
	v_add_f64 v[18:19], v[20:21], -v[16:17]
	v_mul_f64 v[20:21], v[16:17], v[16:17]
	v_add_f64 v[12:13], v[12:13], v[18:19]
	v_mov_b32_e32 v18, 0xfca7ab0c
	v_mov_b32_e32 v19, 0x3e928af3
	v_fma_f64 v[18:19], v[16:17], s[4:5], v[18:19]
	s_mov_b32 s4, 0x623fde64
	s_mov_b32 s5, 0x3ec71dee
	v_fma_f64 v[24:25], v[16:17], v[16:17], -v[20:21]
	v_add_f64 v[26:27], v[12:13], v[12:13]
	v_fma_f64 v[18:19], v[16:17], v[18:19], s[4:5]
	s_mov_b32 s4, 0x7c89e6b0
	s_mov_b32 s5, 0x3efa0199
	v_fma_f64 v[24:25], v[16:17], v[26:27], v[24:25]
	v_fma_f64 v[18:19], v[16:17], v[18:19], s[4:5]
	s_mov_b32 s4, 0x14761f6e
	s_mov_b32 s5, 0x3f2a01a0
	v_add_f64 v[26:27], v[20:21], v[24:25]
	v_fma_f64 v[18:19], v[16:17], v[18:19], s[4:5]
	s_mov_b32 s4, 0x1852b7b0
	s_mov_b32 s5, 0x3f56c16c
	v_add_f64 v[20:21], v[26:27], -v[20:21]
	v_fma_f64 v[18:19], v[16:17], v[18:19], s[4:5]
	s_mov_b32 s4, 0x55555511
	s_mov_b32 s5, 0x3fc55555
	v_add_f64 v[20:21], v[24:25], -v[20:21]
	v_fma_f64 v[18:19], v[16:17], v[18:19], s[12:13]
	s_mov_b32 s12, 0x11110bb3
	v_fma_f64 v[18:19], v[16:17], v[18:19], s[14:15]
	s_mov_b32 s14, 0x55555555
	s_mov_b32 s18, s14
	v_fma_f64 v[18:19], v[16:17], v[18:19], s[4:5]
	s_mov_b32 s4, 11
	;; [unrolled: 3-line block ×3, first 2 shown]
	s_mov_b32 s5, 0x408633ce
	v_cmp_ge_f64_e64 vcc, |v[0:1]|, s[4:5]
	s_mov_b32 s4, 0
	s_mov_b32 s5, 0x3e400000
	v_cmp_lt_f64_e64 s[4:5], |v[0:1]|, s[4:5]
	v_mul_f64 v[24:25], v[26:27], v[18:19]
	v_fma_f64 v[26:27], v[26:27], v[18:19], -v[24:25]
	v_fma_f64 v[18:19], v[20:21], v[18:19], v[26:27]
	v_add_f64 v[20:21], v[24:25], v[18:19]
	v_add_f64 v[24:25], v[20:21], -v[24:25]
	v_add_f64 v[18:19], v[18:19], -v[24:25]
	v_add_f64 v[24:25], v[16:17], v[20:21]
	v_add_f64 v[12:13], v[12:13], v[18:19]
	v_add_f64 v[16:17], v[24:25], -v[16:17]
	v_add_f64 v[16:17], v[20:21], -v[16:17]
	v_add_f64 v[12:13], v[12:13], v[16:17]
	v_add_f64 v[16:17], v[24:25], v[12:13]
	v_add_f64 v[18:19], v[16:17], -v[24:25]
	v_add_f64 v[12:13], v[12:13], -v[18:19]
	v_add_f64 v[18:19], v[16:17], 1.0
	v_add_f64 v[20:21], v[18:19], -1.0
	v_add_f64 v[16:17], v[16:17], -v[20:21]
	v_add_f64 v[12:13], v[12:13], v[16:17]
	v_add_f64 v[16:17], v[18:19], v[12:13]
	v_add_f64 v[18:19], v[16:17], -v[18:19]
	v_add_f64 v[12:13], v[12:13], -v[18:19]
	v_cvt_i32_f64_e32 v18, v[14:15]
	v_ldexp_f64 v[14:15], v[16:17], v18
	v_ldexp_f64 v[12:13], v[12:13], v18
	v_rcp_f64_e32 v[16:17], v[14:15]
	v_fma_f64 v[18:19], -v[14:15], v[16:17], 1.0
	v_fma_f64 v[16:17], v[18:19], v[16:17], v[16:17]
	v_fma_f64 v[18:19], -v[14:15], v[16:17], 1.0
	v_fma_f64 v[16:17], v[18:19], v[16:17], v[16:17]
	v_mul_f64 v[18:19], v[14:15], v[16:17]
	v_fma_f64 v[20:21], v[16:17], v[14:15], -v[18:19]
	v_fma_f64 v[20:21], v[16:17], v[12:13], v[20:21]
	v_add_f64 v[24:25], v[18:19], v[20:21]
	v_add_f64 v[26:27], -v[24:25], 1.0
	v_add_f64 v[18:19], v[24:25], -v[18:19]
	v_add_f64 v[28:29], -v[26:27], 1.0
	v_add_f64 v[18:19], v[18:19], -v[20:21]
	v_add_f64 v[24:25], v[28:29], -v[24:25]
	v_add_f64 v[18:19], v[18:19], v[24:25]
	v_add_f64 v[20:21], v[26:27], v[18:19]
	v_add_f64 v[24:25], v[26:27], -v[20:21]
	v_add_f64 v[18:19], v[18:19], v[24:25]
	v_mul_f64 v[24:25], v[16:17], v[20:21]
	v_mul_f64 v[26:27], v[14:15], v[24:25]
	v_fma_f64 v[28:29], v[24:25], v[14:15], -v[26:27]
	v_fma_f64 v[28:29], v[24:25], v[12:13], v[28:29]
	v_add_f64 v[30:31], v[26:27], v[28:29]
	v_add_f64 v[32:33], v[20:21], -v[30:31]
	v_add_f64 v[26:27], v[30:31], -v[26:27]
	;; [unrolled: 1-line block ×4, first 2 shown]
	v_add_f64 v[18:19], v[18:19], v[20:21]
	v_add_f64 v[20:21], v[26:27], -v[28:29]
	v_add_f64 v[18:19], v[20:21], v[18:19]
	v_add_f64 v[20:21], v[16:17], v[24:25]
	;; [unrolled: 1-line block ×3, first 2 shown]
	v_mul_f64 v[18:19], v[16:17], v[18:19]
	v_add_f64 v[16:17], v[20:21], -v[16:17]
	v_add_f64 v[16:17], v[24:25], -v[16:17]
	v_add_f64 v[16:17], v[16:17], v[18:19]
	v_add_f64 v[18:19], v[20:21], v[16:17]
	v_add_f64 v[20:21], v[18:19], -v[20:21]
	v_add_f64 v[20:21], v[16:17], -v[20:21]
	v_ldexp_f64 v[16:17], v[18:19], -2
	v_ldexp_f64 v[18:19], v[20:21], -2
	v_add_f64 v[20:21], v[14:15], -v[16:17]
	v_add_f64 v[24:25], v[14:15], -v[20:21]
	v_add_f64 v[24:25], v[24:25], -v[16:17]
	v_add_f64 v[24:25], v[12:13], v[24:25]
	v_add_f64 v[12:13], v[12:13], v[18:19]
	v_add_f64 v[24:25], v[24:25], -v[18:19]
	v_add_f64 v[20:21], v[20:21], v[24:25]
	v_mul_f64 v[25:26], v[4:5], v[4:5]
	v_mov_b32_e32 v24, 0x7ff00000
	v_cndmask_b32_e32 v21, v21, v24, vcc
	v_cndmask_b32_e64 v20, v20, 0, vcc
	v_cndmask_b32_e64 v0, v20, v0, s[4:5]
	v_cndmask_b32_e64 v20, v21, v34, s[4:5]
	v_bfi_b32 v1, s16, v20, v1
	v_mul_f64 v[20:21], v[25:26], 0.5
	s_mov_b32 s4, 0x9037ab78
	s_mov_b32 s5, 0x3e21eeb6
	;; [unrolled: 1-line block ×4, first 2 shown]
	v_mul_f64 v[31:32], v[25:26], v[25:26]
	v_add_f64 v[27:28], -v[20:21], 1.0
	v_add_f64 v[29:30], -v[27:28], 1.0
	v_add_f64 v[29:30], v[29:30], -v[20:21]
	v_mov_b32_e32 v21, s5
	v_mov_b32_e32 v20, s4
	v_fma_f64 v[33:34], v[25:26], s[16:17], v[20:21]
	s_mov_b32 s4, 0xb42fdfa7
	s_mov_b32 s5, 0xbe5ae600
	v_fma_f64 v[29:30], v[4:5], -v[6:7], v[29:30]
	v_fma_f64 v[33:34], v[25:26], v[33:34], s[20:21]
	v_fma_f64 v[33:34], v[25:26], v[33:34], s[24:25]
	;; [unrolled: 1-line block ×5, first 2 shown]
	v_mul_f64 v[33:34], v[4:5], -v[25:26]
	v_add_f64 v[27:28], v[27:28], v[29:30]
	v_mov_b32_e32 v30, s5
	v_mov_b32_e32 v29, s4
	v_fma_f64 v[31:32], v[25:26], s[22:23], v[29:30]
	v_fma_f64 v[31:32], v[25:26], v[31:32], s[26:27]
	;; [unrolled: 1-line block ×5, first 2 shown]
	v_fma_f64 v[6:7], v[25:26], v[31:32], -v[6:7]
	v_fma_f64 v[6:7], v[33:34], s[18:19], v[6:7]
	v_add_f64 v[4:5], v[4:5], -v[6:7]
	v_and_b32_e32 v6, 1, v23
	v_cmp_eq_u32_e64 s[4:5], 0, v6
	v_lshlrev_b32_e32 v6, 30, v23
	v_and_b32_e32 v6, 0x80000000, v6
	v_xor_b32_e32 v5, 0x80000000, v5
	v_cndmask_b32_e64 v4, v4, v27, s[4:5]
	v_cndmask_b32_e64 v5, v5, v28, s[4:5]
	s_movk_i32 s4, 0x1f8
	v_cmp_class_f64_e64 s[4:5], v[2:3], s4
	v_xor_b32_e32 v5, v5, v6
	v_mov_b32_e32 v2, 0x7ff80000
	v_cndmask_b32_e64 v4, 0, v4, s[4:5]
	v_cndmask_b32_e64 v5, v2, v5, s[4:5]
	v_mul_f64 v[4:5], v[0:1], v[4:5]
	v_add_f64 v[0:1], v[14:15], v[16:17]
	v_add_f64 v[6:7], v[0:1], -v[14:15]
	v_add_f64 v[6:7], v[16:17], -v[6:7]
	v_add_f64 v[6:7], v[12:13], v[6:7]
	v_add_f64 v[0:1], v[0:1], v[6:7]
	v_mul_f64 v[6:7], v[8:9], v[8:9]
	v_cndmask_b32_e32 v1, v1, v24, vcc
	v_mul_f64 v[12:13], v[6:7], 0.5
	v_fma_f64 v[18:19], v[6:7], s[16:17], v[20:21]
	v_cndmask_b32_e64 v0, v0, 0, vcc
	v_add_f64 v[14:15], -v[12:13], 1.0
	v_fma_f64 v[18:19], v[6:7], v[18:19], s[20:21]
	v_add_f64 v[16:17], -v[14:15], 1.0
	v_fma_f64 v[18:19], v[6:7], v[18:19], s[24:25]
	v_add_f64 v[12:13], v[16:17], -v[12:13]
	v_fma_f64 v[18:19], v[6:7], v[18:19], s[28:29]
	v_mul_f64 v[16:17], v[6:7], v[6:7]
	v_fma_f64 v[12:13], v[8:9], -v[10:11], v[12:13]
	v_fma_f64 v[18:19], v[6:7], v[18:19], s[14:15]
	v_fma_f64 v[12:13], v[16:17], v[18:19], v[12:13]
	v_mul_f64 v[16:17], v[8:9], -v[6:7]
	v_mul_f64 v[18:19], v[10:11], 0.5
	v_add_f64 v[12:13], v[14:15], v[12:13]
	v_fma_f64 v[14:15], v[6:7], s[22:23], v[29:30]
	v_fma_f64 v[14:15], v[6:7], v[14:15], s[26:27]
	;; [unrolled: 1-line block ×5, first 2 shown]
	v_fma_f64 v[6:7], v[6:7], v[14:15], -v[10:11]
	v_fma_f64 v[6:7], v[16:17], s[18:19], v[6:7]
	v_add_f64 v[6:7], v[8:9], -v[6:7]
	v_and_b32_e32 v8, 1, v22
	v_cmp_eq_u32_e32 vcc, 0, v8
	v_lshlrev_b32_e32 v8, 30, v22
	v_xor_b32_e32 v3, v8, v3
	v_and_b32_e32 v3, 0x80000000, v3
	v_cndmask_b32_e32 v7, v13, v7, vcc
	v_cndmask_b32_e32 v6, v12, v6, vcc
	v_xor_b32_e32 v3, v7, v3
	v_cndmask_b32_e64 v6, 0, v6, s[4:5]
	v_cndmask_b32_e64 v7, v2, v3, s[4:5]
	v_mul_f64 v[6:7], v[0:1], v[6:7]
.LBB105_78:
	s_or_b64 exec, exec, s[6:7]
                                        ; implicit-def: $vgpr0_vgpr1
                                        ; implicit-def: $vgpr2_vgpr3
.LBB105_79:
	s_andn2_saveexec_b64 s[4:5], s[10:11]
	s_cbranch_execz .LBB105_81
; %bb.80:
	s_mov_b32 s7, 0xbfe62e42
	s_mov_b32 s6, 0xfefa39ef
	v_add_f64 v[4:5], |v[0:1]|, s[6:7]
	s_mov_b32 s11, 0x3fe62e42
	s_mov_b32 s10, s6
	;; [unrolled: 1-line block ×3, first 2 shown]
	v_add_f64 v[6:7], v[4:5], -|v[0:1]|
	v_add_f64 v[8:9], v[6:7], -v[4:5]
	v_add_f64 v[6:7], v[6:7], s[10:11]
	s_mov_b32 s10, 0x3b39803f
	s_mov_b32 s11, 0xbc7abc9e
	v_add_f64 v[8:9], |v[0:1]|, v[8:9]
	v_add_f64 v[6:7], v[8:9], -v[6:7]
	v_add_f64 v[6:7], v[6:7], s[10:11]
	s_mov_b32 s10, 0x652b82fe
	s_mov_b32 s11, 0x3ff71547
	v_add_f64 v[8:9], v[4:5], v[6:7]
	v_mul_f64 v[10:11], v[8:9], s[10:11]
	v_add_f64 v[4:5], v[4:5], -v[8:9]
	v_rndne_f64_e32 v[10:11], v[10:11]
	v_add_f64 v[4:5], v[6:7], v[4:5]
	v_fma_f64 v[6:7], v[10:11], s[6:7], v[8:9]
	s_mov_b32 s6, 0xf278e000
	s_mov_b32 s7, 0xbd53de6a
	v_mul_f64 v[8:9], v[10:11], s[6:7]
	s_mov_b32 s6, 0xf97b57a0
	s_mov_b32 s7, 0xbac9cc01
	v_add_f64 v[12:13], v[4:5], v[6:7]
	v_add_f64 v[14:15], v[12:13], v[8:9]
	v_add_f64 v[6:7], v[6:7], -v[12:13]
	v_add_f64 v[12:13], v[12:13], -v[14:15]
	v_add_f64 v[4:5], v[4:5], v[6:7]
	v_add_f64 v[6:7], v[12:13], v[8:9]
	;; [unrolled: 1-line block ×3, first 2 shown]
	v_mul_f64 v[6:7], v[10:11], s[6:7]
	s_mov_b32 s6, 0x6a5dcb37
	s_mov_b32 s7, 0x3e5ade15
	v_add_f64 v[8:9], v[14:15], v[4:5]
	v_add_f64 v[12:13], v[8:9], v[6:7]
	v_add_f64 v[14:15], v[14:15], -v[8:9]
	v_add_f64 v[8:9], v[8:9], -v[12:13]
	v_add_f64 v[4:5], v[4:5], v[14:15]
	v_add_f64 v[6:7], v[8:9], v[6:7]
	v_mov_b32_e32 v8, 0xfca7ab0c
	v_mov_b32_e32 v9, 0x3e928af3
	v_add_f64 v[4:5], v[4:5], v[6:7]
	v_add_f64 v[6:7], v[12:13], v[4:5]
	v_fma_f64 v[8:9], v[6:7], s[6:7], v[8:9]
	s_mov_b32 s6, 0x623fde64
	s_mov_b32 s7, 0x3ec71dee
	v_add_f64 v[12:13], v[12:13], -v[6:7]
	v_mul_f64 v[14:15], v[6:7], v[6:7]
	v_fma_f64 v[8:9], v[6:7], v[8:9], s[6:7]
	s_mov_b32 s6, 0x7c89e6b0
	s_mov_b32 s7, 0x3efa0199
	v_add_f64 v[4:5], v[4:5], v[12:13]
	v_fma_f64 v[12:13], v[6:7], v[6:7], -v[14:15]
	v_fma_f64 v[8:9], v[6:7], v[8:9], s[6:7]
	s_mov_b32 s6, 0x14761f6e
	s_mov_b32 s7, 0x3f2a01a0
	v_add_f64 v[16:17], v[4:5], v[4:5]
	v_fma_f64 v[8:9], v[6:7], v[8:9], s[6:7]
	s_mov_b32 s6, 0x1852b7b0
	s_mov_b32 s7, 0x3f56c16c
	v_fma_f64 v[12:13], v[6:7], v[16:17], v[12:13]
	v_fma_f64 v[8:9], v[6:7], v[8:9], s[6:7]
	s_mov_b32 s6, 0x11122322
	s_mov_b32 s7, 0x3f811111
	v_add_f64 v[16:17], v[14:15], v[12:13]
	v_fma_f64 v[8:9], v[6:7], v[8:9], s[6:7]
	s_mov_b32 s6, 0x555502a1
	s_mov_b32 s7, 0x3fa55555
	v_add_f64 v[14:15], v[16:17], -v[14:15]
	v_fma_f64 v[8:9], v[6:7], v[8:9], s[6:7]
	s_mov_b32 s6, 0x55555511
	s_mov_b32 s7, 0x3fc55555
	v_add_f64 v[12:13], v[12:13], -v[14:15]
	v_fma_f64 v[8:9], v[6:7], v[8:9], s[6:7]
	s_mov_b32 s6, 11
	s_mov_b32 s7, 0x3fe00000
	v_fma_f64 v[8:9], v[6:7], v[8:9], s[6:7]
	s_mov_b32 s6, 0x8fb9f87e
	s_mov_b32 s7, 0x408633ce
	v_cmp_nge_f64_e64 vcc, |v[0:1]|, s[6:7]
	s_mov_b32 s6, 0
	s_mov_b32 s7, 0x3e400000
	v_mul_f64 v[18:19], v[16:17], v[8:9]
	v_fma_f64 v[14:15], v[16:17], v[8:9], -v[18:19]
	v_fma_f64 v[8:9], v[12:13], v[8:9], v[14:15]
	v_add_f64 v[12:13], v[18:19], v[8:9]
	v_add_f64 v[14:15], v[6:7], v[12:13]
	v_add_f64 v[16:17], v[12:13], -v[18:19]
	v_add_f64 v[6:7], v[14:15], -v[6:7]
	;; [unrolled: 1-line block ×3, first 2 shown]
	v_cvt_i32_f64_e32 v16, v[10:11]
	v_add_f64 v[6:7], v[12:13], -v[6:7]
	v_add_f64 v[4:5], v[4:5], v[8:9]
	v_add_f64 v[4:5], v[4:5], v[6:7]
	;; [unrolled: 1-line block ×3, first 2 shown]
	v_add_f64 v[8:9], v[6:7], 1.0
	v_add_f64 v[12:13], v[6:7], -v[14:15]
	v_add_f64 v[14:15], v[8:9], -1.0
	v_add_f64 v[4:5], v[4:5], -v[12:13]
	v_add_f64 v[6:7], v[6:7], -v[14:15]
	v_add_f64 v[4:5], v[4:5], v[6:7]
	v_add_f64 v[6:7], v[8:9], v[4:5]
	v_ldexp_f64 v[10:11], v[6:7], v16
	v_add_f64 v[6:7], v[6:7], -v[8:9]
	v_rcp_f64_e32 v[12:13], v[10:11]
	v_add_f64 v[4:5], v[4:5], -v[6:7]
	v_ldexp_f64 v[4:5], v[4:5], v16
	v_fma_f64 v[14:15], -v[10:11], v[12:13], 1.0
	v_fma_f64 v[12:13], v[14:15], v[12:13], v[12:13]
	v_fma_f64 v[14:15], -v[10:11], v[12:13], 1.0
	v_fma_f64 v[8:9], v[14:15], v[12:13], v[12:13]
	v_mul_f64 v[6:7], v[10:11], v[8:9]
	v_fma_f64 v[12:13], v[8:9], v[10:11], -v[6:7]
	v_fma_f64 v[12:13], v[8:9], v[4:5], v[12:13]
	v_add_f64 v[14:15], v[6:7], v[12:13]
	v_add_f64 v[16:17], -v[14:15], 1.0
	v_add_f64 v[6:7], v[14:15], -v[6:7]
	v_add_f64 v[18:19], -v[16:17], 1.0
	v_add_f64 v[6:7], v[6:7], -v[12:13]
	v_add_f64 v[12:13], v[18:19], -v[14:15]
	v_add_f64 v[6:7], v[6:7], v[12:13]
	v_add_f64 v[12:13], v[16:17], v[6:7]
	v_mul_f64 v[14:15], v[8:9], v[12:13]
	v_add_f64 v[16:17], v[16:17], -v[12:13]
	v_mul_f64 v[18:19], v[10:11], v[14:15]
	v_add_f64 v[6:7], v[6:7], v[16:17]
	v_fma_f64 v[20:21], v[14:15], v[10:11], -v[18:19]
	v_fma_f64 v[20:21], v[14:15], v[4:5], v[20:21]
	v_add_f64 v[22:23], v[18:19], v[20:21]
	v_add_f64 v[24:25], v[12:13], -v[22:23]
	v_add_f64 v[16:17], v[22:23], -v[18:19]
	;; [unrolled: 1-line block ×5, first 2 shown]
	v_add_f64 v[6:7], v[6:7], v[12:13]
	v_add_f64 v[12:13], v[8:9], v[14:15]
	;; [unrolled: 1-line block ×3, first 2 shown]
	v_add_f64 v[16:17], v[12:13], -v[8:9]
	v_add_f64 v[6:7], v[24:25], v[6:7]
	v_add_f64 v[14:15], v[14:15], -v[16:17]
	v_mul_f64 v[6:7], v[8:9], v[6:7]
	v_add_f64 v[6:7], v[14:15], v[6:7]
	v_add_f64 v[8:9], v[12:13], v[6:7]
	v_ldexp_f64 v[14:15], v[8:9], -2
	v_add_f64 v[8:9], v[8:9], -v[12:13]
	v_add_f64 v[16:17], v[10:11], -v[14:15]
	;; [unrolled: 1-line block ×4, first 2 shown]
	v_ldexp_f64 v[6:7], v[6:7], -2
	v_add_f64 v[8:9], v[10:11], -v[14:15]
	v_add_f64 v[4:5], v[4:5], v[8:9]
	v_add_f64 v[4:5], v[4:5], -v[6:7]
	v_mov_b32_e32 v6, 0x7ff00000
	v_add_f64 v[4:5], v[16:17], v[4:5]
	v_cndmask_b32_e32 v5, v6, v5, vcc
	v_cndmask_b32_e32 v4, 0, v4, vcc
	v_cmp_lt_f64_e64 vcc, |v[0:1]|, s[6:7]
	v_and_b32_e32 v6, 0x7fffffff, v1
	s_brev_b32 s6, -2
	v_cndmask_b32_e32 v4, v4, v0, vcc
	v_cndmask_b32_e32 v0, v5, v6, vcc
	v_mov_b32_e32 v7, v3
	v_bfi_b32 v5, s6, v0, v1
	v_mov_b32_e32 v6, v2
.LBB105_81:
	s_or_b64 exec, exec, s[4:5]
.LBB105_82:
	s_or_b64 exec, exec, s[8:9]
	v_mov_b32_e32 v0, v4
	v_mov_b32_e32 v1, v5
	;; [unrolled: 1-line block ×4, first 2 shown]
	s_setpc_b64 s[30:31]
.Lfunc_end105:
	.size	_ZN6thrust23THRUST_200600_302600_NS6detail7complex5csinhERKNS0_7complexIdEE, .Lfunc_end105-_ZN6thrust23THRUST_200600_302600_NS6detail7complex5csinhERKNS0_7complexIdEE
                                        ; -- End function
	.set .L_ZN6thrust23THRUST_200600_302600_NS6detail7complex5csinhERKNS0_7complexIdEE.num_vgpr, 38
	.set .L_ZN6thrust23THRUST_200600_302600_NS6detail7complex5csinhERKNS0_7complexIdEE.num_agpr, 0
	.set .L_ZN6thrust23THRUST_200600_302600_NS6detail7complex5csinhERKNS0_7complexIdEE.numbered_sgpr, 43
	.set .L_ZN6thrust23THRUST_200600_302600_NS6detail7complex5csinhERKNS0_7complexIdEE.num_named_barrier, 0
	.set .L_ZN6thrust23THRUST_200600_302600_NS6detail7complex5csinhERKNS0_7complexIdEE.private_seg_size, 0
	.set .L_ZN6thrust23THRUST_200600_302600_NS6detail7complex5csinhERKNS0_7complexIdEE.uses_vcc, 1
	.set .L_ZN6thrust23THRUST_200600_302600_NS6detail7complex5csinhERKNS0_7complexIdEE.uses_flat_scratch, 0
	.set .L_ZN6thrust23THRUST_200600_302600_NS6detail7complex5csinhERKNS0_7complexIdEE.has_dyn_sized_stack, 0
	.set .L_ZN6thrust23THRUST_200600_302600_NS6detail7complex5csinhERKNS0_7complexIdEE.has_recursion, 0
	.set .L_ZN6thrust23THRUST_200600_302600_NS6detail7complex5csinhERKNS0_7complexIdEE.has_indirect_call, 0
	.section	.AMDGPU.csdata,"",@progbits
; Function info:
; codeLenInByte = 16528
; TotalNumSgprs: 47
; NumVgprs: 38
; ScratchSize: 0
; MemoryBound: 0
	.section	.text._ZN2at6native12_GLOBAL__N_125multi_tensor_apply_kernelINS1_18TensorListMetadataILi2EEENS1_14UnaryOpFunctorIN3c107complexIdEELi2ELi1ELi1EEEJNS0_3SinIS8_EEEEEvT_T0_DpT1_,"axG",@progbits,_ZN2at6native12_GLOBAL__N_125multi_tensor_apply_kernelINS1_18TensorListMetadataILi2EEENS1_14UnaryOpFunctorIN3c107complexIdEELi2ELi1ELi1EEEJNS0_3SinIS8_EEEEEvT_T0_DpT1_,comdat
	.globl	_ZN2at6native12_GLOBAL__N_125multi_tensor_apply_kernelINS1_18TensorListMetadataILi2EEENS1_14UnaryOpFunctorIN3c107complexIdEELi2ELi1ELi1EEEJNS0_3SinIS8_EEEEEvT_T0_DpT1_ ; -- Begin function _ZN2at6native12_GLOBAL__N_125multi_tensor_apply_kernelINS1_18TensorListMetadataILi2EEENS1_14UnaryOpFunctorIN3c107complexIdEELi2ELi1ELi1EEEJNS0_3SinIS8_EEEEEvT_T0_DpT1_
	.p2align	8
	.type	_ZN2at6native12_GLOBAL__N_125multi_tensor_apply_kernelINS1_18TensorListMetadataILi2EEENS1_14UnaryOpFunctorIN3c107complexIdEELi2ELi1ELi1EEEJNS0_3SinIS8_EEEEEvT_T0_DpT1_,@function
_ZN2at6native12_GLOBAL__N_125multi_tensor_apply_kernelINS1_18TensorListMetadataILi2EEENS1_14UnaryOpFunctorIN3c107complexIdEELi2ELi1ELi1EEEJNS0_3SinIS8_EEEEEvT_T0_DpT1_: ; @_ZN2at6native12_GLOBAL__N_125multi_tensor_apply_kernelINS1_18TensorListMetadataILi2EEENS1_14UnaryOpFunctorIN3c107complexIdEELi2ELi1ELi1EEEJNS0_3SinIS8_EEEEEvT_T0_DpT1_
; %bb.0:
	v_mov_b32_e32 v50, v0
	v_mov_b32_e32 v0, s6
	global_load_ubyte v0, v0, s[4:5] offset:1536
	s_add_u32 s0, s0, s7
	s_addc_u32 s1, s1, 0
	s_mov_b64 s[34:35], s[4:5]
	s_add_u32 s4, s34, s6
	s_mul_hi_u32 s9, s6, 3
	s_mul_i32 s6, s6, 3
	s_addc_u32 s10, s35, 0
	s_add_u32 s8, s4, s6
	s_addc_u32 s9, s10, s9
	s_load_dword s8, s[8:9], 0x740
	s_mov_b32 s5, 0
	s_mov_b32 s7, s5
	;; [unrolled: 1-line block ×3, first 2 shown]
	s_waitcnt lgkmcnt(0)
	s_ashr_i32 s9, s8, 31
	s_lshl_b64 s[16:17], s[8:9], 20
	s_waitcnt vmcnt(0)
	v_readfirstlane_b32 s4, v0
	s_lshl_b32 s4, s4, 3
	s_load_dwordx2 s[10:11], s[34:35], s4 offset:0x0
	s_load_dwordx2 s[12:13], s[34:35], s4 offset:0x400
	s_load_dwordx2 s[14:15], s[34:35], s4 offset:0x200
	s_waitcnt lgkmcnt(0)
	s_add_u32 s44, s10, s16
	s_addc_u32 s45, s11, s17
	s_and_b32 s4, s44, 63
	s_add_u32 s46, s14, s16
	s_addc_u32 s47, s15, s17
	s_lshl_b64 s[8:9], s[8:9], 16
	s_and_b32 s6, s46, 63
	s_sub_u32 s36, s12, s8
	s_subb_u32 s37, s13, s9
	s_and_b32 s8, s12, 3
	s_mov_b32 s9, s5
	s_or_b64 s[6:7], s[6:7], s[8:9]
	s_or_b64 s[4:5], s[6:7], s[4:5]
	s_cmp_eq_u64 s[4:5], 0
	s_mov_b64 s[4:5], -1
	s_cbranch_scc0 .LBB106_5
; %bb.1:
	v_mov_b32_e32 v0, 0x10000
	v_mov_b32_e32 v1, 0
	v_cmp_lt_i64_e32 vcc, s[36:37], v[0:1]
	v_mov_b32_e32 v1, 0
	s_and_b64 s[4:5], vcc, exec
	s_cselect_b32 s39, s37, 0
	s_cselect_b32 s38, s36, 0x10000
	v_lshlrev_b32_e32 v0, 2, v50
	v_cmp_gt_i64_e32 vcc, s[38:39], v[0:1]
	s_and_saveexec_b64 s[48:49], vcc
	s_cbranch_execz .LBB106_4
; %bb.2:
	s_load_dword s4, s[34:35], 0xc5c
	v_mov_b32_e32 v51, v1
	v_mov_b32_e32 v56, v51
	v_lshlrev_b32_e32 v57, 6, v50
	s_mov_b64 s[50:51], 0
	s_waitcnt lgkmcnt(0)
	s_and_b32 s33, s4, 0xffff
	s_mov_b64 s[52:53], s[44:45]
	s_lshl_b32 s43, s33, 6
	s_mov_b64 s[54:55], s[46:47]
	v_mov_b32_e32 v55, v50
.LBB106_3:                              ; =>This Inner Loop Header: Depth=1
	v_mov_b32_e32 v1, s53
	v_add_co_u32_e32 v0, vcc, s52, v57
	v_addc_co_u32_e32 v1, vcc, 0, v1, vcc
	global_load_dwordx4 v[2:5], v[0:1], off
	global_load_dwordx4 v[38:41], v[0:1], off offset:16
	global_load_dwordx4 v[42:45], v[0:1], off offset:48
	;; [unrolled: 1-line block ×3, first 2 shown]
	s_getpc_b64 s[56:57]
	s_add_u32 s56, s56, _ZN6thrust23THRUST_200600_302600_NS6detail7complex5csinhERKNS0_7complexIdEE@rel32@lo+4
	s_addc_u32 s57, s57, _ZN6thrust23THRUST_200600_302600_NS6detail7complex5csinhERKNS0_7complexIdEE@rel32@hi+12
	s_waitcnt vmcnt(3)
	v_xor_b32_e32 v1, 0x80000000, v5
	v_mov_b32_e32 v0, v4
	s_swappc_b64 s[30:31], s[56:57]
	v_mov_b32_e32 v53, v0
	v_mov_b32_e32 v51, v2
	v_mov_b32_e32 v52, v3
	v_xor_b32_e32 v54, 0x80000000, v1
	v_xor_b32_e32 v1, 0x80000000, v41
	v_mov_b32_e32 v0, v40
	v_mov_b32_e32 v2, v38
	v_mov_b32_e32 v3, v39
	s_swappc_b64 s[30:31], s[56:57]
	v_mov_b32_e32 v40, v0
	v_mov_b32_e32 v38, v2
	v_mov_b32_e32 v39, v3
	v_xor_b32_e32 v41, 0x80000000, v1
	v_xor_b32_e32 v1, 0x80000000, v49
	v_mov_b32_e32 v0, v48
	v_mov_b32_e32 v2, v46
	;; [unrolled: 9-line block ×3, first 2 shown]
	v_mov_b32_e32 v3, v43
	s_swappc_b64 s[30:31], s[56:57]
	v_add_co_u32_e32 v55, vcc, s33, v55
	v_addc_co_u32_e32 v56, vcc, 0, v56, vcc
	v_mov_b32_e32 v4, v0
	v_mov_b32_e32 v0, s55
	v_add_co_u32_e32 v6, vcc, s54, v57
	v_addc_co_u32_e32 v7, vcc, 0, v0, vcc
	v_xor_b32_e32 v5, 0x80000000, v1
	v_lshlrev_b64 v[0:1], 2, v[55:56]
	s_add_u32 s54, s54, s43
	s_addc_u32 s55, s55, 0
	s_add_u32 s52, s52, s43
	v_cmp_le_i64_e32 vcc, s[38:39], v[0:1]
	s_addc_u32 s53, s53, 0
	s_or_b64 s[50:51], vcc, s[50:51]
	global_store_dwordx4 v[6:7], v[51:54], off
	global_store_dwordx4 v[6:7], v[38:41], off offset:16
	global_store_dwordx4 v[6:7], v[46:49], off offset:32
	;; [unrolled: 1-line block ×3, first 2 shown]
	s_andn2_b64 exec, exec, s[50:51]
	s_cbranch_execnz .LBB106_3
.LBB106_4:
	s_or_b64 exec, exec, s[48:49]
	s_mov_b64 s[4:5], 0
.LBB106_5:
	s_andn2_b64 vcc, exec, s[4:5]
	s_cbranch_vccnz .LBB106_25
; %bb.6:
	v_cmp_lt_i64_e64 s[4:5], s[36:37], 1
	s_and_b64 vcc, exec, s[4:5]
	s_cbranch_vccnz .LBB106_25
; %bb.7:
	v_mov_b32_e32 v0, 0x10000
	s_load_dword s6, s[34:35], 0xc5c
	v_mov_b32_e32 v1, 0
	v_cmp_lt_i64_e32 vcc, s[36:37], v[0:1]
	s_mov_b64 s[52:53], 0
	s_and_b64 s[4:5], vcc, exec
	v_cmp_lt_u64_e32 vcc, s[36:37], v[0:1]
	s_cselect_b32 s49, s37, 0
	s_cselect_b32 s48, s36, 0x10000
	s_waitcnt lgkmcnt(0)
	s_and_b32 s33, s6, 0xffff
	s_and_b64 s[4:5], vcc, exec
	s_cselect_b32 s51, s37, 0
	s_cselect_b32 s50, s36, 0x10000
	s_lshl_b32 s43, s33, 1
	s_mul_i32 s56, s33, 3
	s_lshl_b32 s57, s33, 2
	s_branch .LBB106_9
.LBB106_8:                              ;   in Loop: Header=BB106_9 Depth=1
	s_or_b64 exec, exec, s[36:37]
	s_add_u32 s52, s52, s57
	v_mov_b32_e32 v0, s48
	s_addc_u32 s53, s53, 0
	v_mov_b32_e32 v1, s49
	v_cmp_ge_i64_e32 vcc, s[52:53], v[0:1]
	s_cbranch_vccnz .LBB106_25
.LBB106_9:                              ; =>This Inner Loop Header: Depth=1
	v_mov_b32_e32 v0, s53
	v_add_co_u32_e32 v57, vcc, s52, v50
	v_addc_co_u32_e32 v58, vcc, 0, v0, vcc
	v_cmp_gt_u64_e32 vcc, s[50:51], v[57:58]
	s_waitcnt vmcnt(0)
	v_mov_b32_e32 v44, 0
	v_mov_b32_e32 v4, 0
	;; [unrolled: 1-line block ×6, first 2 shown]
	s_and_saveexec_b64 s[6:7], vcc
	s_cbranch_execz .LBB106_11
; %bb.10:                               ;   in Loop: Header=BB106_9 Depth=1
	v_lshlrev_b64 v[0:1], 4, v[57:58]
	v_mov_b32_e32 v2, s45
	v_add_co_u32_e64 v0, s[4:5], s44, v0
	v_addc_co_u32_e64 v1, s[4:5], v2, v1, s[4:5]
	global_load_dwordx4 v[2:5], v[0:1], off
.LBB106_11:                             ;   in Loop: Header=BB106_9 Depth=1
	s_or_b64 exec, exec, s[6:7]
	v_add_co_u32_e64 v55, s[4:5], s33, v57
	v_addc_co_u32_e64 v56, s[4:5], 0, v58, s[4:5]
	v_cmp_gt_u64_e64 s[38:39], s[50:51], v[55:56]
	v_mov_b32_e32 v42, 0
	v_mov_b32_e32 v43, 0
	s_and_saveexec_b64 s[6:7], s[38:39]
	s_cbranch_execz .LBB106_13
; %bb.12:                               ;   in Loop: Header=BB106_9 Depth=1
	v_lshlrev_b64 v[0:1], 4, v[55:56]
	v_mov_b32_e32 v6, s45
	v_add_co_u32_e64 v0, s[4:5], s44, v0
	v_addc_co_u32_e64 v1, s[4:5], v6, v1, s[4:5]
	global_load_dwordx4 v[42:45], v[0:1], off
.LBB106_13:                             ;   in Loop: Header=BB106_9 Depth=1
	s_or_b64 exec, exec, s[6:7]
	v_add_co_u32_e64 v53, s[4:5], s43, v57
	v_addc_co_u32_e64 v54, s[4:5], 0, v58, s[4:5]
	v_cmp_gt_u64_e64 s[36:37], s[50:51], v[53:54]
	v_mov_b32_e32 v40, 0
	v_mov_b32_e32 v48, 0
	;; [unrolled: 1-line block ×6, first 2 shown]
	s_and_saveexec_b64 s[6:7], s[36:37]
	s_cbranch_execz .LBB106_15
; %bb.14:                               ;   in Loop: Header=BB106_9 Depth=1
	v_lshlrev_b64 v[0:1], 4, v[53:54]
	v_mov_b32_e32 v6, s45
	v_add_co_u32_e64 v0, s[4:5], s44, v0
	v_addc_co_u32_e64 v1, s[4:5], v6, v1, s[4:5]
	global_load_dwordx4 v[46:49], v[0:1], off
.LBB106_15:                             ;   in Loop: Header=BB106_9 Depth=1
	s_or_b64 exec, exec, s[6:7]
	v_add_co_u32_e64 v51, s[4:5], s56, v57
	v_addc_co_u32_e64 v52, s[4:5], 0, v58, s[4:5]
	v_cmp_gt_u64_e64 s[34:35], s[50:51], v[51:52]
	v_mov_b32_e32 v38, 0
	v_mov_b32_e32 v39, 0
	s_and_saveexec_b64 s[6:7], s[34:35]
	s_cbranch_execnz .LBB106_20
; %bb.16:                               ;   in Loop: Header=BB106_9 Depth=1
	s_or_b64 exec, exec, s[6:7]
	s_and_saveexec_b64 s[54:55], vcc
	s_cbranch_execnz .LBB106_21
.LBB106_17:                             ;   in Loop: Header=BB106_9 Depth=1
	s_or_b64 exec, exec, s[54:55]
	s_and_saveexec_b64 s[54:55], s[38:39]
	s_cbranch_execnz .LBB106_22
.LBB106_18:                             ;   in Loop: Header=BB106_9 Depth=1
	s_or_b64 exec, exec, s[54:55]
	s_and_saveexec_b64 s[38:39], s[36:37]
	s_cbranch_execnz .LBB106_23
.LBB106_19:                             ;   in Loop: Header=BB106_9 Depth=1
	s_or_b64 exec, exec, s[38:39]
	s_and_saveexec_b64 s[36:37], s[34:35]
	s_cbranch_execz .LBB106_8
	s_branch .LBB106_24
.LBB106_20:                             ;   in Loop: Header=BB106_9 Depth=1
	v_lshlrev_b64 v[0:1], 4, v[51:52]
	v_mov_b32_e32 v6, s45
	v_add_co_u32_e64 v0, s[4:5], s44, v0
	v_addc_co_u32_e64 v1, s[4:5], v6, v1, s[4:5]
	global_load_dwordx4 v[38:41], v[0:1], off
	s_or_b64 exec, exec, s[6:7]
	s_and_saveexec_b64 s[54:55], vcc
	s_cbranch_execz .LBB106_17
.LBB106_21:                             ;   in Loop: Header=BB106_9 Depth=1
	s_waitcnt vmcnt(0)
	v_xor_b32_e32 v1, 0x80000000, v5
	s_getpc_b64 s[4:5]
	s_add_u32 s4, s4, _ZN6thrust23THRUST_200600_302600_NS6detail7complex5csinhERKNS0_7complexIdEE@rel32@lo+4
	s_addc_u32 s5, s5, _ZN6thrust23THRUST_200600_302600_NS6detail7complex5csinhERKNS0_7complexIdEE@rel32@hi+12
	v_mov_b32_e32 v0, v4
	s_swappc_b64 s[30:31], s[4:5]
	v_mov_b32_e32 v4, v0
	v_xor_b32_e32 v5, 0x80000000, v1
	v_lshlrev_b64 v[0:1], 4, v[57:58]
	v_mov_b32_e32 v6, s47
	v_add_co_u32_e32 v0, vcc, s46, v0
	v_addc_co_u32_e32 v1, vcc, v6, v1, vcc
	global_store_dwordx4 v[0:1], v[2:5], off
	s_or_b64 exec, exec, s[54:55]
	s_and_saveexec_b64 s[54:55], s[38:39]
	s_cbranch_execz .LBB106_18
.LBB106_22:                             ;   in Loop: Header=BB106_9 Depth=1
	s_waitcnt vmcnt(0)
	v_xor_b32_e32 v1, 0x80000000, v45
	s_getpc_b64 s[4:5]
	s_add_u32 s4, s4, _ZN6thrust23THRUST_200600_302600_NS6detail7complex5csinhERKNS0_7complexIdEE@rel32@lo+4
	s_addc_u32 s5, s5, _ZN6thrust23THRUST_200600_302600_NS6detail7complex5csinhERKNS0_7complexIdEE@rel32@hi+12
	v_mov_b32_e32 v0, v44
	v_mov_b32_e32 v2, v42
	;; [unrolled: 1-line block ×3, first 2 shown]
	s_swappc_b64 s[30:31], s[4:5]
	v_mov_b32_e32 v4, v0
	v_xor_b32_e32 v5, 0x80000000, v1
	v_lshlrev_b64 v[0:1], 4, v[55:56]
	v_mov_b32_e32 v6, s47
	v_add_co_u32_e32 v0, vcc, s46, v0
	v_addc_co_u32_e32 v1, vcc, v6, v1, vcc
	global_store_dwordx4 v[0:1], v[2:5], off
	s_or_b64 exec, exec, s[54:55]
	s_and_saveexec_b64 s[38:39], s[36:37]
	s_cbranch_execz .LBB106_19
.LBB106_23:                             ;   in Loop: Header=BB106_9 Depth=1
	s_waitcnt vmcnt(0)
	v_xor_b32_e32 v1, 0x80000000, v49
	s_getpc_b64 s[4:5]
	s_add_u32 s4, s4, _ZN6thrust23THRUST_200600_302600_NS6detail7complex5csinhERKNS0_7complexIdEE@rel32@lo+4
	s_addc_u32 s5, s5, _ZN6thrust23THRUST_200600_302600_NS6detail7complex5csinhERKNS0_7complexIdEE@rel32@hi+12
	v_mov_b32_e32 v0, v48
	v_mov_b32_e32 v2, v46
	;; [unrolled: 1-line block ×3, first 2 shown]
	s_swappc_b64 s[30:31], s[4:5]
	v_mov_b32_e32 v4, v0
	v_xor_b32_e32 v5, 0x80000000, v1
	v_lshlrev_b64 v[0:1], 4, v[53:54]
	v_mov_b32_e32 v6, s47
	v_add_co_u32_e32 v0, vcc, s46, v0
	v_addc_co_u32_e32 v1, vcc, v6, v1, vcc
	global_store_dwordx4 v[0:1], v[2:5], off
	s_or_b64 exec, exec, s[38:39]
	s_and_saveexec_b64 s[36:37], s[34:35]
	s_cbranch_execz .LBB106_8
.LBB106_24:                             ;   in Loop: Header=BB106_9 Depth=1
	s_waitcnt vmcnt(0)
	v_xor_b32_e32 v1, 0x80000000, v41
	s_getpc_b64 s[4:5]
	s_add_u32 s4, s4, _ZN6thrust23THRUST_200600_302600_NS6detail7complex5csinhERKNS0_7complexIdEE@rel32@lo+4
	s_addc_u32 s5, s5, _ZN6thrust23THRUST_200600_302600_NS6detail7complex5csinhERKNS0_7complexIdEE@rel32@hi+12
	v_mov_b32_e32 v0, v40
	v_mov_b32_e32 v2, v38
	v_mov_b32_e32 v3, v39
	s_swappc_b64 s[30:31], s[4:5]
	v_mov_b32_e32 v4, v0
	v_xor_b32_e32 v5, 0x80000000, v1
	v_lshlrev_b64 v[0:1], 4, v[51:52]
	v_mov_b32_e32 v6, s47
	v_add_co_u32_e32 v0, vcc, s46, v0
	v_addc_co_u32_e32 v1, vcc, v6, v1, vcc
	global_store_dwordx4 v[0:1], v[2:5], off
	s_branch .LBB106_8
.LBB106_25:
	s_endpgm
	.section	.rodata,"a",@progbits
	.p2align	6, 0x0
	.amdhsa_kernel _ZN2at6native12_GLOBAL__N_125multi_tensor_apply_kernelINS1_18TensorListMetadataILi2EEENS1_14UnaryOpFunctorIN3c107complexIdEELi2ELi1ELi1EEEJNS0_3SinIS8_EEEEEvT_T0_DpT1_
		.amdhsa_group_segment_fixed_size 0
		.amdhsa_private_segment_fixed_size 0
		.amdhsa_kernarg_size 3408
		.amdhsa_user_sgpr_count 6
		.amdhsa_user_sgpr_private_segment_buffer 1
		.amdhsa_user_sgpr_dispatch_ptr 0
		.amdhsa_user_sgpr_queue_ptr 0
		.amdhsa_user_sgpr_kernarg_segment_ptr 1
		.amdhsa_user_sgpr_dispatch_id 0
		.amdhsa_user_sgpr_flat_scratch_init 0
		.amdhsa_user_sgpr_private_segment_size 0
		.amdhsa_uses_dynamic_stack 0
		.amdhsa_system_sgpr_private_segment_wavefront_offset 0
		.amdhsa_system_sgpr_workgroup_id_x 1
		.amdhsa_system_sgpr_workgroup_id_y 0
		.amdhsa_system_sgpr_workgroup_id_z 0
		.amdhsa_system_sgpr_workgroup_info 0
		.amdhsa_system_vgpr_workitem_id 0
		.amdhsa_next_free_vgpr 59
		.amdhsa_next_free_sgpr 58
		.amdhsa_reserve_vcc 1
		.amdhsa_reserve_flat_scratch 0
		.amdhsa_float_round_mode_32 0
		.amdhsa_float_round_mode_16_64 0
		.amdhsa_float_denorm_mode_32 3
		.amdhsa_float_denorm_mode_16_64 3
		.amdhsa_dx10_clamp 1
		.amdhsa_ieee_mode 1
		.amdhsa_fp16_overflow 0
		.amdhsa_exception_fp_ieee_invalid_op 0
		.amdhsa_exception_fp_denorm_src 0
		.amdhsa_exception_fp_ieee_div_zero 0
		.amdhsa_exception_fp_ieee_overflow 0
		.amdhsa_exception_fp_ieee_underflow 0
		.amdhsa_exception_fp_ieee_inexact 0
		.amdhsa_exception_int_div_zero 0
	.end_amdhsa_kernel
	.section	.text._ZN2at6native12_GLOBAL__N_125multi_tensor_apply_kernelINS1_18TensorListMetadataILi2EEENS1_14UnaryOpFunctorIN3c107complexIdEELi2ELi1ELi1EEEJNS0_3SinIS8_EEEEEvT_T0_DpT1_,"axG",@progbits,_ZN2at6native12_GLOBAL__N_125multi_tensor_apply_kernelINS1_18TensorListMetadataILi2EEENS1_14UnaryOpFunctorIN3c107complexIdEELi2ELi1ELi1EEEJNS0_3SinIS8_EEEEEvT_T0_DpT1_,comdat
.Lfunc_end106:
	.size	_ZN2at6native12_GLOBAL__N_125multi_tensor_apply_kernelINS1_18TensorListMetadataILi2EEENS1_14UnaryOpFunctorIN3c107complexIdEELi2ELi1ELi1EEEJNS0_3SinIS8_EEEEEvT_T0_DpT1_, .Lfunc_end106-_ZN2at6native12_GLOBAL__N_125multi_tensor_apply_kernelINS1_18TensorListMetadataILi2EEENS1_14UnaryOpFunctorIN3c107complexIdEELi2ELi1ELi1EEEJNS0_3SinIS8_EEEEEvT_T0_DpT1_
                                        ; -- End function
	.set _ZN2at6native12_GLOBAL__N_125multi_tensor_apply_kernelINS1_18TensorListMetadataILi2EEENS1_14UnaryOpFunctorIN3c107complexIdEELi2ELi1ELi1EEEJNS0_3SinIS8_EEEEEvT_T0_DpT1_.num_vgpr, max(59, .L_ZN6thrust23THRUST_200600_302600_NS6detail7complex5csinhERKNS0_7complexIdEE.num_vgpr)
	.set _ZN2at6native12_GLOBAL__N_125multi_tensor_apply_kernelINS1_18TensorListMetadataILi2EEENS1_14UnaryOpFunctorIN3c107complexIdEELi2ELi1ELi1EEEJNS0_3SinIS8_EEEEEvT_T0_DpT1_.num_agpr, max(0, .L_ZN6thrust23THRUST_200600_302600_NS6detail7complex5csinhERKNS0_7complexIdEE.num_agpr)
	.set _ZN2at6native12_GLOBAL__N_125multi_tensor_apply_kernelINS1_18TensorListMetadataILi2EEENS1_14UnaryOpFunctorIN3c107complexIdEELi2ELi1ELi1EEEJNS0_3SinIS8_EEEEEvT_T0_DpT1_.numbered_sgpr, max(58, .L_ZN6thrust23THRUST_200600_302600_NS6detail7complex5csinhERKNS0_7complexIdEE.numbered_sgpr)
	.set _ZN2at6native12_GLOBAL__N_125multi_tensor_apply_kernelINS1_18TensorListMetadataILi2EEENS1_14UnaryOpFunctorIN3c107complexIdEELi2ELi1ELi1EEEJNS0_3SinIS8_EEEEEvT_T0_DpT1_.num_named_barrier, max(0, .L_ZN6thrust23THRUST_200600_302600_NS6detail7complex5csinhERKNS0_7complexIdEE.num_named_barrier)
	.set _ZN2at6native12_GLOBAL__N_125multi_tensor_apply_kernelINS1_18TensorListMetadataILi2EEENS1_14UnaryOpFunctorIN3c107complexIdEELi2ELi1ELi1EEEJNS0_3SinIS8_EEEEEvT_T0_DpT1_.private_seg_size, 0+max(.L_ZN6thrust23THRUST_200600_302600_NS6detail7complex5csinhERKNS0_7complexIdEE.private_seg_size)
	.set _ZN2at6native12_GLOBAL__N_125multi_tensor_apply_kernelINS1_18TensorListMetadataILi2EEENS1_14UnaryOpFunctorIN3c107complexIdEELi2ELi1ELi1EEEJNS0_3SinIS8_EEEEEvT_T0_DpT1_.uses_vcc, or(1, .L_ZN6thrust23THRUST_200600_302600_NS6detail7complex5csinhERKNS0_7complexIdEE.uses_vcc)
	.set _ZN2at6native12_GLOBAL__N_125multi_tensor_apply_kernelINS1_18TensorListMetadataILi2EEENS1_14UnaryOpFunctorIN3c107complexIdEELi2ELi1ELi1EEEJNS0_3SinIS8_EEEEEvT_T0_DpT1_.uses_flat_scratch, or(0, .L_ZN6thrust23THRUST_200600_302600_NS6detail7complex5csinhERKNS0_7complexIdEE.uses_flat_scratch)
	.set _ZN2at6native12_GLOBAL__N_125multi_tensor_apply_kernelINS1_18TensorListMetadataILi2EEENS1_14UnaryOpFunctorIN3c107complexIdEELi2ELi1ELi1EEEJNS0_3SinIS8_EEEEEvT_T0_DpT1_.has_dyn_sized_stack, or(0, .L_ZN6thrust23THRUST_200600_302600_NS6detail7complex5csinhERKNS0_7complexIdEE.has_dyn_sized_stack)
	.set _ZN2at6native12_GLOBAL__N_125multi_tensor_apply_kernelINS1_18TensorListMetadataILi2EEENS1_14UnaryOpFunctorIN3c107complexIdEELi2ELi1ELi1EEEJNS0_3SinIS8_EEEEEvT_T0_DpT1_.has_recursion, or(0, .L_ZN6thrust23THRUST_200600_302600_NS6detail7complex5csinhERKNS0_7complexIdEE.has_recursion)
	.set _ZN2at6native12_GLOBAL__N_125multi_tensor_apply_kernelINS1_18TensorListMetadataILi2EEENS1_14UnaryOpFunctorIN3c107complexIdEELi2ELi1ELi1EEEJNS0_3SinIS8_EEEEEvT_T0_DpT1_.has_indirect_call, or(0, .L_ZN6thrust23THRUST_200600_302600_NS6detail7complex5csinhERKNS0_7complexIdEE.has_indirect_call)
	.section	.AMDGPU.csdata,"",@progbits
; Kernel info:
; codeLenInByte = 1560
; TotalNumSgprs: 62
; NumVgprs: 59
; ScratchSize: 0
; MemoryBound: 1
; FloatMode: 240
; IeeeMode: 1
; LDSByteSize: 0 bytes/workgroup (compile time only)
; SGPRBlocks: 7
; VGPRBlocks: 14
; NumSGPRsForWavesPerEU: 62
; NumVGPRsForWavesPerEU: 59
; Occupancy: 4
; WaveLimiterHint : 0
; COMPUTE_PGM_RSRC2:SCRATCH_EN: 0
; COMPUTE_PGM_RSRC2:USER_SGPR: 6
; COMPUTE_PGM_RSRC2:TRAP_HANDLER: 0
; COMPUTE_PGM_RSRC2:TGID_X_EN: 1
; COMPUTE_PGM_RSRC2:TGID_Y_EN: 0
; COMPUTE_PGM_RSRC2:TGID_Z_EN: 0
; COMPUTE_PGM_RSRC2:TIDIG_COMP_CNT: 0
	.text
	.p2align	2                               ; -- Begin function _ZN6thrust23THRUST_200600_302600_NS6detail7complex6csinhfERKNS0_7complexIfEE
	.type	_ZN6thrust23THRUST_200600_302600_NS6detail7complex6csinhfERKNS0_7complexIfEE,@function
_ZN6thrust23THRUST_200600_302600_NS6detail7complex6csinhfERKNS0_7complexIfEE: ; @_ZN6thrust23THRUST_200600_302600_NS6detail7complex6csinhfERKNS0_7complexIfEE
; %bb.0:
	s_waitcnt vmcnt(0) expcnt(0) lgkmcnt(0)
	v_and_b32_e32 v4, 0x7fffffff, v0
	v_and_b32_e32 v3, 0x7fffffff, v1
	s_mov_b32 s10, 0x7f800000
	v_max_u32_e32 v2, v4, v3
	s_mov_b32 s6, 0x7f7fffff
	v_cmp_gt_u32_e64 s[4:5], s10, v4
	v_cmp_lt_u32_e32 vcc, s6, v2
                                        ; implicit-def: $vgpr2
	s_and_saveexec_b64 s[8:9], vcc
	s_xor_b64 s[14:15], exec, s[8:9]
	s_cbranch_execz .LBB107_10
; %bb.1:
	v_cmp_ne_u32_e64 s[8:9], 0, v4
	v_cmp_gt_u32_e32 vcc, s10, v3
	v_cmp_lt_u32_e64 s[6:7], s6, v3
	s_or_b64 s[8:9], s[8:9], vcc
                                        ; implicit-def: $vgpr2
	s_and_saveexec_b64 s[10:11], s[8:9]
	s_xor_b64 s[16:17], exec, s[10:11]
	s_cbranch_execz .LBB107_77
; %bb.2:
	s_mov_b32 s12, 0x7f800000
	v_cmp_ne_u32_e64 s[10:11], 0, v3
	s_mov_b32 s8, 0x7f7fffff
	v_cmp_gt_u32_e64 s[12:13], s12, v4
	v_cmp_lt_u32_e64 s[8:9], s8, v4
	s_or_b64 s[10:11], s[10:11], s[12:13]
                                        ; implicit-def: $vgpr2
	s_and_saveexec_b64 s[12:13], s[10:11]
	s_xor_b64 s[10:11], exec, s[12:13]
	s_cbranch_execz .LBB107_74
; %bb.3:
	s_and_b64 s[4:5], s[4:5], s[6:7]
	s_xor_b64 s[4:5], s[4:5], -1
                                        ; implicit-def: $vgpr2
	s_and_saveexec_b64 s[6:7], s[4:5]
	s_xor_b64 s[12:13], exec, s[6:7]
	s_cbranch_execz .LBB107_71
; %bb.4:
	v_and_b32_e32 v2, 0x7fffff, v0
	v_cmp_ne_u32_e64 s[4:5], 0, v2
	s_xor_b64 s[6:7], s[8:9], -1
	s_or_b64 s[4:5], s[6:7], s[4:5]
                                        ; implicit-def: $vgpr2
	s_and_saveexec_b64 s[6:7], s[4:5]
	s_xor_b64 s[4:5], exec, s[6:7]
; %bb.5:
	v_mul_f32_e32 v2, v0, v0
	v_sub_f32_e32 v1, v1, v1
	v_add_f32_e32 v0, v0, v0
	v_mul_f32_e32 v2, v2, v1
	v_mul_f32_e32 v1, v0, v1
                                        ; implicit-def: $vgpr0
                                        ; implicit-def: $vgpr3
; %bb.6:
	s_andn2_saveexec_b64 s[18:19], s[4:5]
	s_cbranch_execz .LBB107_70
; %bb.7:
                                        ; implicit-def: $vgpr2
	s_and_saveexec_b64 s[4:5], vcc
	s_xor_b64 s[20:21], exec, s[4:5]
	s_cbranch_execz .LBB107_67
; %bb.8:
	s_brev_b32 s4, 18
	v_cmp_nlt_f32_e64 s[22:23], |v1|, s4
                                        ; implicit-def: $vgpr2
                                        ; implicit-def: $vgpr4
	s_and_saveexec_b64 s[4:5], s[22:23]
	s_xor_b64 s[24:25], exec, s[4:5]
	s_cbranch_execz .LBB107_60
; %bb.9:
	v_and_b32_e32 v2, 0x7fffff, v3
	v_or_b32_e32 v2, 0x800000, v2
	s_mov_b32 s4, 0xfe5163ab
	v_mad_u64_u32 v[4:5], s[4:5], v2, s4, 0
	v_mov_b32_e32 v6, 0
	s_mov_b32 s4, 0x3c439041
	v_mad_u64_u32 v[7:8], s[4:5], v2, s4, v[5:6]
	s_mov_b32 s4, 0xdb629599
	v_not_b32_e32 v12, 63
	v_mov_b32_e32 v5, v8
	v_mad_u64_u32 v[8:9], s[4:5], v2, s4, v[5:6]
	s_mov_b32 s4, 0xf534ddc0
	v_not_b32_e32 v14, 31
	v_mov_b32_e32 v5, v9
	v_mad_u64_u32 v[9:10], s[4:5], v2, s4, v[5:6]
	v_lshrrev_b32_e32 v5, 23, v3
	v_add_u32_e32 v13, 0xffffff88, v5
	v_mov_b32_e32 v5, v10
	s_mov_b32 s4, 0xfc2757d1
	v_mad_u64_u32 v[10:11], s[4:5], v2, s4, v[5:6]
	v_cmp_lt_u32_e32 vcc, 63, v13
	v_cndmask_b32_e32 v5, 0, v12, vcc
	v_add_u32_e32 v13, v5, v13
	v_mov_b32_e32 v5, v11
	s_mov_b32 s4, 0x4e441529
	v_mad_u64_u32 v[11:12], s[4:5], v2, s4, v[5:6]
	v_cmp_lt_u32_e64 s[4:5], 31, v13
	v_cndmask_b32_e64 v5, 0, v14, s[4:5]
	v_add_u32_e32 v13, v5, v13
	v_mov_b32_e32 v5, v12
	s_mov_b32 s6, 0xa2f9836e
	v_mad_u64_u32 v[5:6], s[6:7], v2, s6, v[5:6]
	v_cmp_lt_u32_e64 s[6:7], 31, v13
	v_cndmask_b32_e64 v2, 0, v14, s[6:7]
	v_cndmask_b32_e32 v12, v11, v9, vcc
	v_cndmask_b32_e32 v5, v5, v10, vcc
	v_cndmask_b32_e32 v6, v6, v11, vcc
	v_add_u32_e32 v2, v2, v13
	v_cndmask_b32_e64 v13, v5, v12, s[4:5]
	v_cndmask_b32_e64 v5, v6, v5, s[4:5]
	v_cndmask_b32_e32 v6, v10, v8, vcc
	v_cndmask_b32_e64 v10, v12, v6, s[4:5]
	v_cndmask_b32_e64 v5, v5, v13, s[6:7]
	;; [unrolled: 1-line block ×3, first 2 shown]
	v_sub_u32_e32 v12, 32, v2
	v_alignbit_b32 v13, v5, v11, v12
	v_cmp_eq_u32_e64 s[8:9], 0, v2
	v_cndmask_b32_e64 v2, v13, v5, s[8:9]
	v_cndmask_b32_e32 v5, v9, v7, vcc
	v_cndmask_b32_e64 v6, v6, v5, s[4:5]
	v_cndmask_b32_e64 v7, v10, v6, s[6:7]
	v_alignbit_b32 v9, v11, v7, v12
	v_cndmask_b32_e32 v4, v8, v4, vcc
	v_cndmask_b32_e64 v9, v9, v11, s[8:9]
	v_bfe_u32 v13, v2, 29, 1
	v_cndmask_b32_e64 v4, v5, v4, s[4:5]
	v_alignbit_b32 v10, v2, v9, 30
	v_sub_u32_e32 v14, 0, v13
	v_cndmask_b32_e64 v4, v6, v4, s[6:7]
	v_xor_b32_e32 v10, v10, v14
	v_alignbit_b32 v5, v7, v4, v12
	v_cndmask_b32_e64 v5, v5, v7, s[8:9]
	v_ffbh_u32_e32 v7, v10
	v_alignbit_b32 v6, v9, v5, 30
	v_min_u32_e32 v7, 32, v7
	v_alignbit_b32 v4, v5, v4, 30
	v_xor_b32_e32 v6, v6, v14
	v_sub_u32_e32 v8, 31, v7
	v_xor_b32_e32 v4, v4, v14
	v_alignbit_b32 v9, v10, v6, v8
	v_alignbit_b32 v4, v6, v4, v8
	v_alignbit_b32 v5, v9, v4, 9
	v_ffbh_u32_e32 v6, v5
	v_min_u32_e32 v6, 32, v6
	v_lshrrev_b32_e32 v11, 29, v2
	v_not_b32_e32 v8, v6
	v_alignbit_b32 v4, v5, v4, v8
	v_lshlrev_b32_e32 v5, 31, v11
	v_or_b32_e32 v8, 0x33000000, v5
	v_add_lshl_u32 v6, v6, v7, 23
	v_lshrrev_b32_e32 v4, 9, v4
	v_sub_u32_e32 v6, v8, v6
	v_or_b32_e32 v5, 0.5, v5
	v_lshlrev_b32_e32 v7, 23, v7
	v_or_b32_e32 v4, v6, v4
	v_lshrrev_b32_e32 v6, 9, v9
	v_sub_u32_e32 v5, v5, v7
	v_or_b32_e32 v5, v6, v5
	s_mov_b32 s4, 0x3fc90fda
	v_mul_f32_e32 v6, 0x3fc90fda, v5
	v_fma_f32 v7, v5, s4, -v6
	v_fmac_f32_e32 v7, 0x33a22168, v5
	v_fmac_f32_e32 v7, 0x3fc90fda, v4
	v_lshrrev_b32_e32 v2, 30, v2
	v_add_f32_e32 v4, v6, v7
	v_add_u32_e32 v2, v13, v2
	s_andn2_saveexec_b64 s[4:5], s[24:25]
	s_cbranch_execz .LBB107_62
	s_branch .LBB107_61
.LBB107_10:
	s_andn2_saveexec_b64 s[10:11], s[14:15]
	s_cbranch_execz .LBB107_80
.LBB107_11:
	v_cmp_ne_u32_e32 vcc, 0, v3
                                        ; implicit-def: $vgpr2
	s_and_saveexec_b64 s[4:5], vcc
	s_xor_b64 s[12:13], exec, s[4:5]
	s_cbranch_execz .LBB107_57
; %bb.12:
	s_mov_b32 s4, 0x410fffff
	v_cmp_lt_u32_e32 vcc, s4, v4
                                        ; implicit-def: $vgpr2
	s_and_saveexec_b64 s[4:5], vcc
	s_xor_b64 s[14:15], exec, s[4:5]
	s_cbranch_execz .LBB107_46
; %bb.13:
	s_mov_b32 s4, 0x42b17217
	v_cmp_lt_u32_e32 vcc, s4, v4
	;; [unrolled: 7-line block ×3, first 2 shown]
                                        ; implicit-def: $vgpr2
	s_and_saveexec_b64 s[4:5], vcc
	s_xor_b64 s[18:19], exec, s[4:5]
	s_cbranch_execz .LBB107_24
; %bb.15:
	s_brev_b32 s4, 18
	v_cmp_nlt_f32_e64 s[20:21], |v1|, s4
                                        ; implicit-def: $vgpr2
                                        ; implicit-def: $vgpr4
	s_and_saveexec_b64 s[4:5], s[20:21]
	s_xor_b64 s[22:23], exec, s[4:5]
	s_cbranch_execz .LBB107_17
; %bb.16:
	v_and_b32_e32 v2, 0x7fffff, v3
	v_or_b32_e32 v2, 0x800000, v2
	s_mov_b32 s4, 0xfe5163ab
	v_mad_u64_u32 v[4:5], s[4:5], v2, s4, 0
	v_mov_b32_e32 v6, 0
	s_mov_b32 s4, 0x3c439041
	v_mad_u64_u32 v[7:8], s[4:5], v2, s4, v[5:6]
	s_mov_b32 s4, 0xdb629599
	v_not_b32_e32 v12, 63
	v_mov_b32_e32 v5, v8
	v_mad_u64_u32 v[8:9], s[4:5], v2, s4, v[5:6]
	s_mov_b32 s4, 0xf534ddc0
	v_not_b32_e32 v14, 31
	v_mov_b32_e32 v5, v9
	v_mad_u64_u32 v[9:10], s[4:5], v2, s4, v[5:6]
	v_lshrrev_b32_e32 v5, 23, v3
	v_add_u32_e32 v13, 0xffffff88, v5
	v_mov_b32_e32 v5, v10
	s_mov_b32 s4, 0xfc2757d1
	v_mad_u64_u32 v[10:11], s[4:5], v2, s4, v[5:6]
	v_cmp_lt_u32_e32 vcc, 63, v13
	v_cndmask_b32_e32 v5, 0, v12, vcc
	v_add_u32_e32 v13, v5, v13
	v_mov_b32_e32 v5, v11
	s_mov_b32 s4, 0x4e441529
	v_mad_u64_u32 v[11:12], s[4:5], v2, s4, v[5:6]
	v_cmp_lt_u32_e64 s[4:5], 31, v13
	v_cndmask_b32_e64 v5, 0, v14, s[4:5]
	v_add_u32_e32 v13, v5, v13
	v_mov_b32_e32 v5, v12
	s_mov_b32 s6, 0xa2f9836e
	v_mad_u64_u32 v[5:6], s[6:7], v2, s6, v[5:6]
	v_cmp_lt_u32_e64 s[6:7], 31, v13
	v_cndmask_b32_e64 v2, 0, v14, s[6:7]
	v_cndmask_b32_e32 v12, v11, v9, vcc
	v_cndmask_b32_e32 v5, v5, v10, vcc
	;; [unrolled: 1-line block ×3, first 2 shown]
	v_add_u32_e32 v2, v2, v13
	v_cndmask_b32_e64 v13, v5, v12, s[4:5]
	v_cndmask_b32_e64 v5, v6, v5, s[4:5]
	v_cndmask_b32_e32 v6, v10, v8, vcc
	v_cndmask_b32_e64 v10, v12, v6, s[4:5]
	v_cndmask_b32_e64 v5, v5, v13, s[6:7]
	;; [unrolled: 1-line block ×3, first 2 shown]
	v_sub_u32_e32 v12, 32, v2
	v_alignbit_b32 v13, v5, v11, v12
	v_cmp_eq_u32_e64 s[8:9], 0, v2
	v_cndmask_b32_e64 v2, v13, v5, s[8:9]
	v_cndmask_b32_e32 v5, v9, v7, vcc
	v_cndmask_b32_e64 v6, v6, v5, s[4:5]
	v_cndmask_b32_e64 v7, v10, v6, s[6:7]
	v_alignbit_b32 v9, v11, v7, v12
	v_cndmask_b32_e32 v4, v8, v4, vcc
	v_cndmask_b32_e64 v9, v9, v11, s[8:9]
	v_bfe_u32 v13, v2, 29, 1
	v_cndmask_b32_e64 v4, v5, v4, s[4:5]
	v_alignbit_b32 v10, v2, v9, 30
	v_sub_u32_e32 v14, 0, v13
	v_cndmask_b32_e64 v4, v6, v4, s[6:7]
	v_xor_b32_e32 v10, v10, v14
	v_alignbit_b32 v5, v7, v4, v12
	v_cndmask_b32_e64 v5, v5, v7, s[8:9]
	v_ffbh_u32_e32 v7, v10
	v_alignbit_b32 v6, v9, v5, 30
	v_min_u32_e32 v7, 32, v7
	v_alignbit_b32 v4, v5, v4, 30
	v_xor_b32_e32 v6, v6, v14
	v_sub_u32_e32 v8, 31, v7
	v_xor_b32_e32 v4, v4, v14
	v_alignbit_b32 v9, v10, v6, v8
	v_alignbit_b32 v4, v6, v4, v8
	;; [unrolled: 1-line block ×3, first 2 shown]
	v_ffbh_u32_e32 v6, v5
	v_min_u32_e32 v6, 32, v6
	v_lshrrev_b32_e32 v11, 29, v2
	v_not_b32_e32 v8, v6
	v_alignbit_b32 v4, v5, v4, v8
	v_lshlrev_b32_e32 v5, 31, v11
	v_or_b32_e32 v8, 0x33000000, v5
	v_add_lshl_u32 v6, v6, v7, 23
	v_lshrrev_b32_e32 v4, 9, v4
	v_sub_u32_e32 v6, v8, v6
	v_or_b32_e32 v5, 0.5, v5
	v_lshlrev_b32_e32 v7, 23, v7
	v_or_b32_e32 v4, v6, v4
	v_lshrrev_b32_e32 v6, 9, v9
	v_sub_u32_e32 v5, v5, v7
	v_or_b32_e32 v5, v6, v5
	s_mov_b32 s4, 0x3fc90fda
	v_mul_f32_e32 v6, 0x3fc90fda, v5
	v_fma_f32 v7, v5, s4, -v6
	v_fmac_f32_e32 v7, 0x33a22168, v5
	v_fmac_f32_e32 v7, 0x3fc90fda, v4
	v_lshrrev_b32_e32 v2, 30, v2
	v_add_f32_e32 v4, v6, v7
	v_add_u32_e32 v2, v13, v2
	s_andn2_saveexec_b64 s[4:5], s[22:23]
	s_cbranch_execz .LBB107_19
	s_branch .LBB107_18
.LBB107_17:
	s_andn2_saveexec_b64 s[4:5], s[22:23]
	s_cbranch_execz .LBB107_19
.LBB107_18:
	s_mov_b32 s6, 0x3f22f983
	v_mul_f32_e64 v2, |v1|, s6
	v_rndne_f32_e32 v5, v2
	s_mov_b32 s6, 0xbfc90fda
	v_cvt_i32_f32_e32 v2, v5
	v_fma_f32 v4, v5, s6, |v1|
	v_fmac_f32_e32 v4, 0xb3a22168, v5
	v_fmac_f32_e32 v4, 0xa7c234c4, v5
.LBB107_19:
	s_or_b64 exec, exec, s[4:5]
                                        ; implicit-def: $vgpr5
                                        ; implicit-def: $vgpr6
	s_and_saveexec_b64 s[4:5], s[20:21]
	s_xor_b64 s[20:21], exec, s[4:5]
	s_cbranch_execz .LBB107_21
; %bb.20:
	v_and_b32_e32 v5, 0x7fffff, v3
	v_or_b32_e32 v14, 0x800000, v5
	s_mov_b32 s4, 0xfe5163ab
	v_mad_u64_u32 v[5:6], s[4:5], v14, s4, 0
	v_mov_b32_e32 v7, 0
	s_mov_b32 s4, 0x3c439041
	v_mad_u64_u32 v[8:9], s[4:5], v14, s4, v[6:7]
	s_mov_b32 s4, 0xdb629599
	v_not_b32_e32 v13, 63
	v_mov_b32_e32 v6, v9
	v_mad_u64_u32 v[9:10], s[4:5], v14, s4, v[6:7]
	s_mov_b32 s4, 0xf534ddc0
	v_not_b32_e32 v16, 31
	v_mov_b32_e32 v6, v10
	v_mad_u64_u32 v[10:11], s[4:5], v14, s4, v[6:7]
	v_lshrrev_b32_e32 v6, 23, v3
	v_add_u32_e32 v15, 0xffffff88, v6
	v_mov_b32_e32 v6, v11
	s_mov_b32 s4, 0xfc2757d1
	v_mad_u64_u32 v[11:12], s[4:5], v14, s4, v[6:7]
	v_cmp_lt_u32_e32 vcc, 63, v15
	v_cndmask_b32_e32 v6, 0, v13, vcc
	v_add_u32_e32 v15, v6, v15
	v_mov_b32_e32 v6, v12
	s_mov_b32 s4, 0x4e441529
	v_mad_u64_u32 v[12:13], s[4:5], v14, s4, v[6:7]
	v_cmp_lt_u32_e64 s[4:5], 31, v15
	v_cndmask_b32_e64 v6, 0, v16, s[4:5]
	v_add_u32_e32 v15, v6, v15
	v_mov_b32_e32 v6, v13
	s_mov_b32 s6, 0xa2f9836e
	v_mad_u64_u32 v[6:7], s[6:7], v14, s6, v[6:7]
	v_cmp_lt_u32_e64 s[6:7], 31, v15
	v_cndmask_b32_e64 v13, 0, v16, s[6:7]
	v_cndmask_b32_e32 v14, v12, v10, vcc
	v_cndmask_b32_e32 v6, v6, v11, vcc
	;; [unrolled: 1-line block ×3, first 2 shown]
	v_add_u32_e32 v13, v13, v15
	v_cndmask_b32_e64 v15, v6, v14, s[4:5]
	v_cndmask_b32_e64 v6, v7, v6, s[4:5]
	v_cndmask_b32_e32 v7, v11, v9, vcc
	v_cndmask_b32_e64 v11, v14, v7, s[4:5]
	v_cndmask_b32_e64 v6, v6, v15, s[6:7]
	;; [unrolled: 1-line block ×3, first 2 shown]
	v_sub_u32_e32 v14, 32, v13
	v_alignbit_b32 v15, v6, v12, v14
	v_cmp_eq_u32_e64 s[8:9], 0, v13
	v_cndmask_b32_e64 v13, v15, v6, s[8:9]
	v_cndmask_b32_e32 v6, v10, v8, vcc
	v_cndmask_b32_e64 v7, v7, v6, s[4:5]
	v_cndmask_b32_e64 v8, v11, v7, s[6:7]
	v_alignbit_b32 v10, v12, v8, v14
	v_cndmask_b32_e32 v5, v9, v5, vcc
	v_cndmask_b32_e64 v10, v10, v12, s[8:9]
	v_bfe_u32 v15, v13, 29, 1
	v_cndmask_b32_e64 v5, v6, v5, s[4:5]
	v_alignbit_b32 v11, v13, v10, 30
	v_sub_u32_e32 v16, 0, v15
	v_cndmask_b32_e64 v5, v7, v5, s[6:7]
	v_xor_b32_e32 v11, v11, v16
	v_alignbit_b32 v6, v8, v5, v14
	v_cndmask_b32_e64 v6, v6, v8, s[8:9]
	v_ffbh_u32_e32 v8, v11
	v_alignbit_b32 v7, v10, v6, 30
	v_min_u32_e32 v8, 32, v8
	v_alignbit_b32 v5, v6, v5, 30
	v_xor_b32_e32 v7, v7, v16
	v_sub_u32_e32 v9, 31, v8
	v_xor_b32_e32 v5, v5, v16
	v_alignbit_b32 v10, v11, v7, v9
	v_alignbit_b32 v5, v7, v5, v9
	;; [unrolled: 1-line block ×3, first 2 shown]
	v_ffbh_u32_e32 v7, v6
	v_min_u32_e32 v7, 32, v7
	v_lshrrev_b32_e32 v12, 29, v13
	v_not_b32_e32 v9, v7
	v_alignbit_b32 v5, v6, v5, v9
	v_lshlrev_b32_e32 v6, 31, v12
	v_or_b32_e32 v9, 0x33000000, v6
	v_add_lshl_u32 v7, v7, v8, 23
	v_lshrrev_b32_e32 v5, 9, v5
	v_sub_u32_e32 v7, v9, v7
	v_or_b32_e32 v6, 0.5, v6
	v_lshlrev_b32_e32 v8, 23, v8
	v_or_b32_e32 v5, v7, v5
	v_lshrrev_b32_e32 v7, 9, v10
	v_sub_u32_e32 v6, v6, v8
	v_or_b32_e32 v6, v7, v6
	s_mov_b32 s4, 0x3fc90fda
	v_mul_f32_e32 v7, 0x3fc90fda, v6
	v_fma_f32 v8, v6, s4, -v7
	v_fmac_f32_e32 v8, 0x33a22168, v6
	v_fmac_f32_e32 v8, 0x3fc90fda, v5
	v_lshrrev_b32_e32 v5, 30, v13
	v_add_f32_e32 v6, v7, v8
	v_add_u32_e32 v5, v15, v5
	s_andn2_saveexec_b64 s[4:5], s[20:21]
	s_cbranch_execnz .LBB107_22
	s_branch .LBB107_23
.LBB107_21:
	s_andn2_saveexec_b64 s[4:5], s[20:21]
	s_cbranch_execz .LBB107_23
.LBB107_22:
	s_mov_b32 s6, 0x3f22f983
	v_mul_f32_e64 v5, |v1|, s6
	v_rndne_f32_e32 v7, v5
	s_mov_b32 s6, 0xbfc90fda
	v_cvt_i32_f32_e32 v5, v7
	v_fma_f32 v6, v7, s6, |v1|
	v_fmac_f32_e32 v6, 0xb3a22168, v7
	v_fmac_f32_e32 v6, 0xa7c234c4, v7
.LBB107_23:
	s_or_b64 exec, exec, s[4:5]
	v_mul_f32_e32 v7, v4, v4
	v_mov_b32_e32 v11, 0xbab64f3b
	v_mov_b32_e32 v9, 0x3c0881c4
	v_fmac_f32_e32 v11, 0x37d75334, v7
	v_mov_b32_e32 v12, 0x3d2aabf7
	v_fmac_f32_e32 v9, 0xb94c1982, v7
	v_mov_b32_e32 v10, 0xbe2aaa9d
	v_fma_f32 v11, v7, v11, v12
	v_mov_b32_e32 v13, 0xbf000004
	v_fma_f32 v9, v7, v9, v10
	v_fma_f32 v11, v7, v11, v13
	v_mul_f32_e32 v9, v7, v9
	v_fma_f32 v7, v7, v11, 1.0
	v_and_b32_e32 v11, 1, v2
	v_fmac_f32_e32 v4, v4, v9
	v_cmp_eq_u32_e32 vcc, 0, v11
	v_mov_b32_e32 v8, 0x3c0881c4
	v_cndmask_b32_e64 v4, -v4, v7, vcc
	v_mul_f32_e32 v7, v6, v6
	v_mov_b32_e32 v9, 0xbab64f3b
	v_fmac_f32_e32 v8, 0xb94c1982, v7
	v_fmac_f32_e32 v10, v7, v8
	;; [unrolled: 1-line block ×3, first 2 shown]
	v_mul_f32_e32 v8, v7, v10
	v_fmac_f32_e32 v12, v7, v9
	s_movk_i32 s4, 0x1f8
	v_fmac_f32_e32 v6, v6, v8
	v_fmac_f32_e32 v13, v7, v12
	v_and_b32_e32 v8, 1, v5
	v_lshlrev_b32_e32 v2, 30, v2
	s_brev_b32 s6, 1
	v_cmp_class_f32_e64 vcc, v1, s4
	v_fma_f32 v7, v7, v13, 1.0
	v_cmp_eq_u32_e64 s[4:5], 0, v8
	v_lshlrev_b32_e32 v5, 30, v5
	v_and_b32_e32 v2, 0x80000000, v2
	v_cndmask_b32_e64 v6, v7, v6, s[4:5]
	v_and_or_b32 v3, v5, s6, v3
	v_xor_b32_e32 v2, v2, v4
	v_mov_b32_e32 v4, 0x7fc00000
	v_xor_b32_e32 v3, v3, v6
	v_mul_f32_e32 v0, 0x7f000000, v0
	v_cndmask_b32_e32 v2, v4, v2, vcc
	v_xor_b32_e32 v1, v3, v1
	v_mul_f32_e32 v2, v0, v2
	v_mul_f32_e32 v0, v0, v0
	v_cndmask_b32_e32 v1, v4, v1, vcc
	v_mul_f32_e32 v1, v0, v1
                                        ; implicit-def: $vgpr0
                                        ; implicit-def: $vgpr3
.LBB107_24:
	s_andn2_saveexec_b64 s[18:19], s[18:19]
	s_cbranch_execz .LBB107_34
; %bb.25:
	s_brev_b32 s4, 18
	v_cmp_nlt_f32_e64 s[20:21], |v1|, s4
                                        ; implicit-def: $vgpr4
                                        ; implicit-def: $vgpr2
	s_and_saveexec_b64 s[4:5], s[20:21]
	s_xor_b64 s[22:23], exec, s[4:5]
	s_cbranch_execz .LBB107_27
; %bb.26:
	v_and_b32_e32 v2, 0x7fffff, v3
	v_or_b32_e32 v2, 0x800000, v2
	s_mov_b32 s4, 0xfe5163ab
	v_mad_u64_u32 v[4:5], s[4:5], v2, s4, 0
	v_mov_b32_e32 v6, 0
	s_mov_b32 s4, 0x3c439041
	v_mad_u64_u32 v[7:8], s[4:5], v2, s4, v[5:6]
	s_mov_b32 s4, 0xdb629599
	v_not_b32_e32 v12, 63
	v_mov_b32_e32 v5, v8
	v_mad_u64_u32 v[8:9], s[4:5], v2, s4, v[5:6]
	s_mov_b32 s4, 0xf534ddc0
	v_not_b32_e32 v14, 31
	v_mov_b32_e32 v5, v9
	v_mad_u64_u32 v[9:10], s[4:5], v2, s4, v[5:6]
	v_lshrrev_b32_e32 v5, 23, v3
	v_add_u32_e32 v13, 0xffffff88, v5
	v_mov_b32_e32 v5, v10
	s_mov_b32 s4, 0xfc2757d1
	v_mad_u64_u32 v[10:11], s[4:5], v2, s4, v[5:6]
	v_cmp_lt_u32_e32 vcc, 63, v13
	v_cndmask_b32_e32 v5, 0, v12, vcc
	v_add_u32_e32 v13, v5, v13
	v_mov_b32_e32 v5, v11
	s_mov_b32 s4, 0x4e441529
	v_mad_u64_u32 v[11:12], s[4:5], v2, s4, v[5:6]
	v_cmp_lt_u32_e64 s[4:5], 31, v13
	v_cndmask_b32_e64 v5, 0, v14, s[4:5]
	v_add_u32_e32 v13, v5, v13
	v_mov_b32_e32 v5, v12
	s_mov_b32 s6, 0xa2f9836e
	v_mad_u64_u32 v[5:6], s[6:7], v2, s6, v[5:6]
	v_cmp_lt_u32_e64 s[6:7], 31, v13
	v_cndmask_b32_e64 v2, 0, v14, s[6:7]
	v_cndmask_b32_e32 v12, v11, v9, vcc
	v_cndmask_b32_e32 v5, v5, v10, vcc
	;; [unrolled: 1-line block ×3, first 2 shown]
	v_add_u32_e32 v2, v2, v13
	v_cndmask_b32_e64 v13, v5, v12, s[4:5]
	v_cndmask_b32_e64 v5, v6, v5, s[4:5]
	v_cndmask_b32_e32 v6, v10, v8, vcc
	v_cndmask_b32_e64 v10, v12, v6, s[4:5]
	v_sub_u32_e32 v12, 32, v2
	v_cmp_eq_u32_e64 s[8:9], 0, v2
	v_cndmask_b32_e32 v2, v9, v7, vcc
	v_cndmask_b32_e64 v5, v5, v13, s[6:7]
	v_cndmask_b32_e64 v11, v13, v10, s[6:7]
	;; [unrolled: 1-line block ×3, first 2 shown]
	v_alignbit_b32 v13, v5, v11, v12
	v_cndmask_b32_e64 v7, v10, v6, s[6:7]
	v_cndmask_b32_e64 v5, v13, v5, s[8:9]
	v_alignbit_b32 v9, v11, v7, v12
	v_cndmask_b32_e32 v4, v8, v4, vcc
	v_cndmask_b32_e64 v9, v9, v11, s[8:9]
	v_bfe_u32 v13, v5, 29, 1
	v_cndmask_b32_e64 v2, v2, v4, s[4:5]
	v_alignbit_b32 v10, v5, v9, 30
	v_sub_u32_e32 v14, 0, v13
	v_cndmask_b32_e64 v2, v6, v2, s[6:7]
	v_xor_b32_e32 v10, v10, v14
	v_alignbit_b32 v4, v7, v2, v12
	v_cndmask_b32_e64 v4, v4, v7, s[8:9]
	v_ffbh_u32_e32 v7, v10
	v_alignbit_b32 v6, v9, v4, 30
	v_min_u32_e32 v7, 32, v7
	v_alignbit_b32 v2, v4, v2, 30
	v_xor_b32_e32 v6, v6, v14
	v_sub_u32_e32 v8, 31, v7
	v_xor_b32_e32 v2, v2, v14
	v_alignbit_b32 v9, v10, v6, v8
	v_alignbit_b32 v2, v6, v2, v8
	;; [unrolled: 1-line block ×3, first 2 shown]
	v_ffbh_u32_e32 v6, v4
	v_min_u32_e32 v6, 32, v6
	v_lshrrev_b32_e32 v11, 29, v5
	v_not_b32_e32 v8, v6
	v_alignbit_b32 v2, v4, v2, v8
	v_lshlrev_b32_e32 v4, 31, v11
	v_or_b32_e32 v8, 0x33000000, v4
	v_add_lshl_u32 v6, v6, v7, 23
	v_lshrrev_b32_e32 v2, 9, v2
	v_sub_u32_e32 v6, v8, v6
	v_or_b32_e32 v4, 0.5, v4
	v_lshlrev_b32_e32 v7, 23, v7
	v_or_b32_e32 v2, v6, v2
	v_lshrrev_b32_e32 v6, 9, v9
	v_sub_u32_e32 v4, v4, v7
	v_or_b32_e32 v4, v6, v4
	s_mov_b32 s4, 0x3fc90fda
	v_mul_f32_e32 v6, 0x3fc90fda, v4
	v_fma_f32 v7, v4, s4, -v6
	v_fmac_f32_e32 v7, 0x33a22168, v4
	v_fmac_f32_e32 v7, 0x3fc90fda, v2
	v_lshrrev_b32_e32 v4, 30, v5
	v_add_f32_e32 v2, v6, v7
	v_add_u32_e32 v4, v13, v4
	s_andn2_saveexec_b64 s[4:5], s[22:23]
	s_cbranch_execz .LBB107_29
	s_branch .LBB107_28
.LBB107_27:
	s_andn2_saveexec_b64 s[4:5], s[22:23]
	s_cbranch_execz .LBB107_29
.LBB107_28:
	s_mov_b32 s6, 0x3f22f983
	v_mul_f32_e64 v2, |v1|, s6
	v_rndne_f32_e32 v5, v2
	s_mov_b32 s6, 0xbfc90fda
	v_cvt_i32_f32_e32 v4, v5
	v_fma_f32 v2, v5, s6, |v1|
	v_fmac_f32_e32 v2, 0xb3a22168, v5
	v_fmac_f32_e32 v2, 0xa7c234c4, v5
.LBB107_29:
	s_or_b64 exec, exec, s[4:5]
                                        ; implicit-def: $vgpr5
                                        ; implicit-def: $vgpr6
	s_and_saveexec_b64 s[4:5], s[20:21]
	s_xor_b64 s[20:21], exec, s[4:5]
	s_cbranch_execz .LBB107_31
; %bb.30:
	v_and_b32_e32 v5, 0x7fffff, v3
	v_or_b32_e32 v14, 0x800000, v5
	s_mov_b32 s4, 0xfe5163ab
	v_mad_u64_u32 v[5:6], s[4:5], v14, s4, 0
	v_mov_b32_e32 v7, 0
	s_mov_b32 s4, 0x3c439041
	v_mad_u64_u32 v[8:9], s[4:5], v14, s4, v[6:7]
	s_mov_b32 s4, 0xdb629599
	v_not_b32_e32 v13, 63
	v_mov_b32_e32 v6, v9
	v_mad_u64_u32 v[9:10], s[4:5], v14, s4, v[6:7]
	s_mov_b32 s4, 0xf534ddc0
	v_not_b32_e32 v16, 31
	v_mov_b32_e32 v6, v10
	v_mad_u64_u32 v[10:11], s[4:5], v14, s4, v[6:7]
	v_lshrrev_b32_e32 v6, 23, v3
	v_add_u32_e32 v15, 0xffffff88, v6
	v_mov_b32_e32 v6, v11
	s_mov_b32 s4, 0xfc2757d1
	v_mad_u64_u32 v[11:12], s[4:5], v14, s4, v[6:7]
	v_cmp_lt_u32_e32 vcc, 63, v15
	v_cndmask_b32_e32 v6, 0, v13, vcc
	v_add_u32_e32 v15, v6, v15
	v_mov_b32_e32 v6, v12
	s_mov_b32 s4, 0x4e441529
	v_mad_u64_u32 v[12:13], s[4:5], v14, s4, v[6:7]
	v_cmp_lt_u32_e64 s[4:5], 31, v15
	v_cndmask_b32_e64 v6, 0, v16, s[4:5]
	v_add_u32_e32 v15, v6, v15
	v_mov_b32_e32 v6, v13
	s_mov_b32 s6, 0xa2f9836e
	v_mad_u64_u32 v[6:7], s[6:7], v14, s6, v[6:7]
	v_cmp_lt_u32_e64 s[6:7], 31, v15
	v_cndmask_b32_e64 v13, 0, v16, s[6:7]
	v_cndmask_b32_e32 v14, v12, v10, vcc
	v_cndmask_b32_e32 v6, v6, v11, vcc
	;; [unrolled: 1-line block ×3, first 2 shown]
	v_add_u32_e32 v13, v13, v15
	v_cndmask_b32_e64 v15, v6, v14, s[4:5]
	v_cndmask_b32_e64 v6, v7, v6, s[4:5]
	v_cndmask_b32_e32 v7, v11, v9, vcc
	v_cndmask_b32_e64 v11, v14, v7, s[4:5]
	v_cndmask_b32_e64 v6, v6, v15, s[6:7]
	;; [unrolled: 1-line block ×3, first 2 shown]
	v_sub_u32_e32 v14, 32, v13
	v_alignbit_b32 v15, v6, v12, v14
	v_cmp_eq_u32_e64 s[8:9], 0, v13
	v_cndmask_b32_e64 v13, v15, v6, s[8:9]
	v_cndmask_b32_e32 v6, v10, v8, vcc
	v_cndmask_b32_e64 v7, v7, v6, s[4:5]
	v_cndmask_b32_e64 v8, v11, v7, s[6:7]
	v_alignbit_b32 v10, v12, v8, v14
	v_cndmask_b32_e32 v5, v9, v5, vcc
	v_cndmask_b32_e64 v10, v10, v12, s[8:9]
	v_bfe_u32 v15, v13, 29, 1
	v_cndmask_b32_e64 v5, v6, v5, s[4:5]
	v_alignbit_b32 v11, v13, v10, 30
	v_sub_u32_e32 v16, 0, v15
	v_cndmask_b32_e64 v5, v7, v5, s[6:7]
	v_xor_b32_e32 v11, v11, v16
	v_alignbit_b32 v6, v8, v5, v14
	v_cndmask_b32_e64 v6, v6, v8, s[8:9]
	v_ffbh_u32_e32 v8, v11
	v_alignbit_b32 v7, v10, v6, 30
	v_min_u32_e32 v8, 32, v8
	v_alignbit_b32 v5, v6, v5, 30
	v_xor_b32_e32 v7, v7, v16
	v_sub_u32_e32 v9, 31, v8
	v_xor_b32_e32 v5, v5, v16
	v_alignbit_b32 v10, v11, v7, v9
	v_alignbit_b32 v5, v7, v5, v9
	;; [unrolled: 1-line block ×3, first 2 shown]
	v_ffbh_u32_e32 v7, v6
	v_min_u32_e32 v7, 32, v7
	v_lshrrev_b32_e32 v12, 29, v13
	v_not_b32_e32 v9, v7
	v_alignbit_b32 v5, v6, v5, v9
	v_lshlrev_b32_e32 v6, 31, v12
	v_or_b32_e32 v9, 0x33000000, v6
	v_add_lshl_u32 v7, v7, v8, 23
	v_lshrrev_b32_e32 v5, 9, v5
	v_sub_u32_e32 v7, v9, v7
	v_or_b32_e32 v6, 0.5, v6
	v_lshlrev_b32_e32 v8, 23, v8
	v_or_b32_e32 v5, v7, v5
	v_lshrrev_b32_e32 v7, 9, v10
	v_sub_u32_e32 v6, v6, v8
	v_or_b32_e32 v6, v7, v6
	s_mov_b32 s4, 0x3fc90fda
	v_mul_f32_e32 v7, 0x3fc90fda, v6
	v_fma_f32 v8, v6, s4, -v7
	v_fmac_f32_e32 v8, 0x33a22168, v6
	v_fmac_f32_e32 v8, 0x3fc90fda, v5
	v_lshrrev_b32_e32 v5, 30, v13
	v_add_f32_e32 v6, v7, v8
	v_add_u32_e32 v5, v15, v5
	s_andn2_saveexec_b64 s[4:5], s[20:21]
	s_cbranch_execnz .LBB107_32
	s_branch .LBB107_33
.LBB107_31:
	s_andn2_saveexec_b64 s[4:5], s[20:21]
	s_cbranch_execz .LBB107_33
.LBB107_32:
	s_mov_b32 s6, 0x3f22f983
	v_mul_f32_e64 v5, |v1|, s6
	v_rndne_f32_e32 v7, v5
	s_mov_b32 s6, 0xbfc90fda
	v_cvt_i32_f32_e32 v5, v7
	v_fma_f32 v6, v7, s6, |v1|
	v_fmac_f32_e32 v6, 0xb3a22168, v7
	v_fmac_f32_e32 v6, 0xa7c234c4, v7
.LBB107_33:
	s_or_b64 exec, exec, s[4:5]
	v_mul_f32_e32 v8, v2, v2
	v_mov_b32_e32 v10, 0xbab64f3b
	v_fmac_f32_e32 v10, 0x37d75334, v8
	v_mov_b32_e32 v11, 0x3d2aabf7
	v_mov_b32_e32 v14, 0x3c0881c4
	v_fma_f32 v10, v8, v10, v11
	v_mov_b32_e32 v12, 0xbf000004
	v_fmac_f32_e32 v14, 0xb94c1982, v8
	v_mov_b32_e32 v15, 0xbe2aaa9d
	v_fma_f32 v10, v8, v10, v12
	v_fma_f32 v14, v8, v14, v15
	v_lshlrev_b32_e32 v7, 30, v4
	v_and_b32_e32 v4, 1, v4
	v_fma_f32 v10, v8, v10, 1.0
	v_mul_f32_e32 v8, v8, v14
	v_fmac_f32_e32 v2, v2, v8
	v_cmp_eq_u32_e32 vcc, 0, v4
	s_mov_b32 s5, 0xc322e3bc
	v_and_b32_e32 v7, 0x80000000, v7
	v_cndmask_b32_e64 v2, -v2, v10, vcc
	v_add_f32_e64 v4, |v0|, s5
	v_xor_b32_e32 v2, v7, v2
	s_mov_b32 s5, 0x3fb8aa3b
	v_mul_f32_e32 v7, 0x3fb8aa3b, v4
	v_fma_f32 v8, v4, s5, -v7
	v_rndne_f32_e32 v10, v7
	v_fmac_f32_e32 v8, 0x32a5705f, v4
	v_sub_f32_e32 v7, v7, v10
	v_add_f32_e32 v7, v7, v8
	v_exp_f32_e32 v7, v7
	v_cvt_i32_f32_e32 v8, v10
	s_movk_i32 s4, 0x1f8
	v_cmp_class_f32_e64 vcc, v1, s4
	s_mov_b32 s4, 0xc2ce8ed0
	v_ldexp_f32 v7, v7, v8
	v_cmp_ngt_f32_e64 s[4:5], s4, v4
	v_cndmask_b32_e64 v7, 0, v7, s[4:5]
	s_mov_b32 s4, 0x42b17218
	v_mov_b32_e32 v8, 0x7f800000
	v_cmp_nlt_f32_e64 s[4:5], s4, v4
	v_cndmask_b32_e64 v4, v8, v7, s[4:5]
	v_and_b32_e32 v7, 0x7fffff, v4
	v_lshrrev_b32_e32 v4, 23, v4
	v_subrev_u32_e32 v4, 20, v4
	v_lshrrev_b16_e32 v8, 15, v4
	v_add_u16_e32 v8, v4, v8
	v_ashrrev_i16_e32 v8, 1, v8
	v_bfe_i32 v8, v8, 0, 16
	v_mov_b32_e32 v9, 0xbab64f3b
	v_mov_b32_e32 v13, 0x3c0881c4
	v_lshl_add_u32 v14, v8, 23, 1.0
	v_sub_u32_e32 v4, v4, v8
	v_mul_f32_e32 v8, v6, v6
	v_fmac_f32_e32 v13, 0xb94c1982, v8
	v_fmac_f32_e32 v9, 0x37d75334, v8
	;; [unrolled: 1-line block ×4, first 2 shown]
	v_mul_f32_e32 v13, v8, v15
	v_fmac_f32_e32 v12, v8, v11
	v_and_b32_e32 v9, 1, v5
	s_brev_b32 s6, 1
	v_fmac_f32_e32 v6, v6, v13
	v_fma_f32 v8, v8, v12, 1.0
	v_cmp_eq_u32_e64 s[4:5], 0, v9
	v_lshlrev_b32_e32 v5, 30, v5
	v_cndmask_b32_e64 v6, v8, v6, s[4:5]
	v_and_or_b32 v3, v5, s6, v3
	v_mov_b32_e32 v10, 0x7fc00000
	v_xor_b32_e32 v3, v3, v6
	v_cndmask_b32_e32 v2, v10, v2, vcc
	v_or_b32_e32 v7, 0x7f000000, v7
	v_xor_b32_e32 v1, v3, v1
	v_mul_f32_e32 v2, v2, v7
	v_cndmask_b32_e32 v1, v10, v1, vcc
	v_mul_f32_e32 v2, v2, v14
	v_lshl_add_u32 v4, v4, 23, 1.0
	v_mul_f32_e32 v1, v1, v7
	s_brev_b32 s4, -2
	v_mul_f32_e32 v2, v2, v4
	v_mul_f32_e32 v1, v1, v14
	v_bfi_b32 v0, s4, 1.0, v0
	v_mul_f32_e32 v1, v1, v4
	v_mul_f32_e32 v2, v0, v2
.LBB107_34:
	s_or_b64 exec, exec, s[18:19]
                                        ; implicit-def: $vgpr0
                                        ; implicit-def: $vgpr3
.LBB107_35:
	s_andn2_saveexec_b64 s[16:17], s[16:17]
	s_cbranch_execz .LBB107_45
; %bb.36:
	s_brev_b32 s4, 18
	v_cmp_nlt_f32_e64 s[18:19], |v1|, s4
                                        ; implicit-def: $vgpr2
                                        ; implicit-def: $vgpr4
	s_and_saveexec_b64 s[4:5], s[18:19]
	s_xor_b64 s[20:21], exec, s[4:5]
	s_cbranch_execz .LBB107_38
; %bb.37:
	v_and_b32_e32 v2, 0x7fffff, v3
	v_or_b32_e32 v2, 0x800000, v2
	s_mov_b32 s4, 0xfe5163ab
	v_mad_u64_u32 v[4:5], s[4:5], v2, s4, 0
	v_mov_b32_e32 v6, 0
	s_mov_b32 s4, 0x3c439041
	v_mad_u64_u32 v[7:8], s[4:5], v2, s4, v[5:6]
	s_mov_b32 s4, 0xdb629599
	v_not_b32_e32 v12, 63
	v_mov_b32_e32 v5, v8
	v_mad_u64_u32 v[8:9], s[4:5], v2, s4, v[5:6]
	s_mov_b32 s4, 0xf534ddc0
	v_not_b32_e32 v14, 31
	v_mov_b32_e32 v5, v9
	v_mad_u64_u32 v[9:10], s[4:5], v2, s4, v[5:6]
	v_lshrrev_b32_e32 v5, 23, v3
	v_add_u32_e32 v13, 0xffffff88, v5
	v_mov_b32_e32 v5, v10
	s_mov_b32 s4, 0xfc2757d1
	v_mad_u64_u32 v[10:11], s[4:5], v2, s4, v[5:6]
	v_cmp_lt_u32_e32 vcc, 63, v13
	v_cndmask_b32_e32 v5, 0, v12, vcc
	v_add_u32_e32 v13, v5, v13
	v_mov_b32_e32 v5, v11
	s_mov_b32 s4, 0x4e441529
	v_mad_u64_u32 v[11:12], s[4:5], v2, s4, v[5:6]
	v_cmp_lt_u32_e64 s[4:5], 31, v13
	v_cndmask_b32_e64 v5, 0, v14, s[4:5]
	v_add_u32_e32 v13, v5, v13
	v_mov_b32_e32 v5, v12
	s_mov_b32 s6, 0xa2f9836e
	v_mad_u64_u32 v[5:6], s[6:7], v2, s6, v[5:6]
	v_cmp_lt_u32_e64 s[6:7], 31, v13
	v_cndmask_b32_e64 v2, 0, v14, s[6:7]
	v_cndmask_b32_e32 v12, v11, v9, vcc
	v_cndmask_b32_e32 v5, v5, v10, vcc
	;; [unrolled: 1-line block ×3, first 2 shown]
	v_add_u32_e32 v2, v2, v13
	v_cndmask_b32_e64 v13, v5, v12, s[4:5]
	v_cndmask_b32_e64 v5, v6, v5, s[4:5]
	v_cndmask_b32_e32 v6, v10, v8, vcc
	v_cndmask_b32_e64 v10, v12, v6, s[4:5]
	v_cndmask_b32_e64 v5, v5, v13, s[6:7]
	;; [unrolled: 1-line block ×3, first 2 shown]
	v_sub_u32_e32 v12, 32, v2
	v_alignbit_b32 v13, v5, v11, v12
	v_cmp_eq_u32_e64 s[8:9], 0, v2
	v_cndmask_b32_e64 v2, v13, v5, s[8:9]
	v_cndmask_b32_e32 v5, v9, v7, vcc
	v_cndmask_b32_e64 v6, v6, v5, s[4:5]
	v_cndmask_b32_e64 v7, v10, v6, s[6:7]
	v_alignbit_b32 v9, v11, v7, v12
	v_cndmask_b32_e32 v4, v8, v4, vcc
	v_cndmask_b32_e64 v9, v9, v11, s[8:9]
	v_bfe_u32 v13, v2, 29, 1
	v_cndmask_b32_e64 v4, v5, v4, s[4:5]
	v_alignbit_b32 v10, v2, v9, 30
	v_sub_u32_e32 v14, 0, v13
	v_cndmask_b32_e64 v4, v6, v4, s[6:7]
	v_xor_b32_e32 v10, v10, v14
	v_alignbit_b32 v5, v7, v4, v12
	v_cndmask_b32_e64 v5, v5, v7, s[8:9]
	v_ffbh_u32_e32 v7, v10
	v_alignbit_b32 v6, v9, v5, 30
	v_min_u32_e32 v7, 32, v7
	v_alignbit_b32 v4, v5, v4, 30
	v_xor_b32_e32 v6, v6, v14
	v_sub_u32_e32 v8, 31, v7
	v_xor_b32_e32 v4, v4, v14
	v_alignbit_b32 v9, v10, v6, v8
	v_alignbit_b32 v4, v6, v4, v8
	;; [unrolled: 1-line block ×3, first 2 shown]
	v_ffbh_u32_e32 v6, v5
	v_min_u32_e32 v6, 32, v6
	v_lshrrev_b32_e32 v11, 29, v2
	v_not_b32_e32 v8, v6
	v_alignbit_b32 v4, v5, v4, v8
	v_lshlrev_b32_e32 v5, 31, v11
	v_or_b32_e32 v8, 0x33000000, v5
	v_add_lshl_u32 v6, v6, v7, 23
	v_lshrrev_b32_e32 v4, 9, v4
	v_sub_u32_e32 v6, v8, v6
	v_or_b32_e32 v5, 0.5, v5
	v_lshlrev_b32_e32 v7, 23, v7
	v_or_b32_e32 v4, v6, v4
	v_lshrrev_b32_e32 v6, 9, v9
	v_sub_u32_e32 v5, v5, v7
	v_or_b32_e32 v5, v6, v5
	s_mov_b32 s4, 0x3fc90fda
	v_mul_f32_e32 v6, 0x3fc90fda, v5
	v_fma_f32 v7, v5, s4, -v6
	v_fmac_f32_e32 v7, 0x33a22168, v5
	v_fmac_f32_e32 v7, 0x3fc90fda, v4
	v_lshrrev_b32_e32 v2, 30, v2
	v_add_f32_e32 v4, v6, v7
	v_add_u32_e32 v2, v13, v2
	s_andn2_saveexec_b64 s[4:5], s[20:21]
	s_cbranch_execz .LBB107_40
	s_branch .LBB107_39
.LBB107_38:
	s_andn2_saveexec_b64 s[4:5], s[20:21]
	s_cbranch_execz .LBB107_40
.LBB107_39:
	s_mov_b32 s6, 0x3f22f983
	v_mul_f32_e64 v2, |v1|, s6
	v_rndne_f32_e32 v5, v2
	s_mov_b32 s6, 0xbfc90fda
	v_cvt_i32_f32_e32 v2, v5
	v_fma_f32 v4, v5, s6, |v1|
	v_fmac_f32_e32 v4, 0xb3a22168, v5
	v_fmac_f32_e32 v4, 0xa7c234c4, v5
.LBB107_40:
	s_or_b64 exec, exec, s[4:5]
                                        ; implicit-def: $vgpr5
                                        ; implicit-def: $vgpr6
	s_and_saveexec_b64 s[4:5], s[18:19]
	s_xor_b64 s[18:19], exec, s[4:5]
	s_cbranch_execz .LBB107_42
; %bb.41:
	v_and_b32_e32 v5, 0x7fffff, v3
	v_or_b32_e32 v14, 0x800000, v5
	s_mov_b32 s4, 0xfe5163ab
	v_mad_u64_u32 v[5:6], s[4:5], v14, s4, 0
	v_mov_b32_e32 v7, 0
	s_mov_b32 s4, 0x3c439041
	v_mad_u64_u32 v[8:9], s[4:5], v14, s4, v[6:7]
	s_mov_b32 s4, 0xdb629599
	v_not_b32_e32 v13, 63
	v_mov_b32_e32 v6, v9
	v_mad_u64_u32 v[9:10], s[4:5], v14, s4, v[6:7]
	s_mov_b32 s4, 0xf534ddc0
	v_not_b32_e32 v16, 31
	v_mov_b32_e32 v6, v10
	v_mad_u64_u32 v[10:11], s[4:5], v14, s4, v[6:7]
	v_lshrrev_b32_e32 v6, 23, v3
	v_add_u32_e32 v15, 0xffffff88, v6
	v_mov_b32_e32 v6, v11
	s_mov_b32 s4, 0xfc2757d1
	v_mad_u64_u32 v[11:12], s[4:5], v14, s4, v[6:7]
	v_cmp_lt_u32_e32 vcc, 63, v15
	v_cndmask_b32_e32 v6, 0, v13, vcc
	v_add_u32_e32 v15, v6, v15
	v_mov_b32_e32 v6, v12
	s_mov_b32 s4, 0x4e441529
	v_mad_u64_u32 v[12:13], s[4:5], v14, s4, v[6:7]
	v_cmp_lt_u32_e64 s[4:5], 31, v15
	v_cndmask_b32_e64 v6, 0, v16, s[4:5]
	v_add_u32_e32 v15, v6, v15
	v_mov_b32_e32 v6, v13
	s_mov_b32 s6, 0xa2f9836e
	v_mad_u64_u32 v[6:7], s[6:7], v14, s6, v[6:7]
	v_cmp_lt_u32_e64 s[6:7], 31, v15
	v_cndmask_b32_e64 v13, 0, v16, s[6:7]
	v_cndmask_b32_e32 v14, v12, v10, vcc
	v_cndmask_b32_e32 v6, v6, v11, vcc
	;; [unrolled: 1-line block ×3, first 2 shown]
	v_add_u32_e32 v13, v13, v15
	v_cndmask_b32_e64 v15, v6, v14, s[4:5]
	v_cndmask_b32_e64 v6, v7, v6, s[4:5]
	v_cndmask_b32_e32 v7, v11, v9, vcc
	v_cndmask_b32_e64 v11, v14, v7, s[4:5]
	v_cndmask_b32_e64 v6, v6, v15, s[6:7]
	;; [unrolled: 1-line block ×3, first 2 shown]
	v_sub_u32_e32 v14, 32, v13
	v_alignbit_b32 v15, v6, v12, v14
	v_cmp_eq_u32_e64 s[8:9], 0, v13
	v_cndmask_b32_e64 v13, v15, v6, s[8:9]
	v_cndmask_b32_e32 v6, v10, v8, vcc
	v_cndmask_b32_e64 v7, v7, v6, s[4:5]
	v_cndmask_b32_e64 v8, v11, v7, s[6:7]
	v_alignbit_b32 v10, v12, v8, v14
	v_cndmask_b32_e32 v5, v9, v5, vcc
	v_cndmask_b32_e64 v10, v10, v12, s[8:9]
	v_bfe_u32 v15, v13, 29, 1
	v_cndmask_b32_e64 v5, v6, v5, s[4:5]
	v_alignbit_b32 v11, v13, v10, 30
	v_sub_u32_e32 v16, 0, v15
	v_cndmask_b32_e64 v5, v7, v5, s[6:7]
	v_xor_b32_e32 v11, v11, v16
	v_alignbit_b32 v6, v8, v5, v14
	v_cndmask_b32_e64 v6, v6, v8, s[8:9]
	v_ffbh_u32_e32 v8, v11
	v_alignbit_b32 v7, v10, v6, 30
	v_min_u32_e32 v8, 32, v8
	v_alignbit_b32 v5, v6, v5, 30
	v_xor_b32_e32 v7, v7, v16
	v_sub_u32_e32 v9, 31, v8
	v_xor_b32_e32 v5, v5, v16
	v_alignbit_b32 v10, v11, v7, v9
	v_alignbit_b32 v5, v7, v5, v9
	;; [unrolled: 1-line block ×3, first 2 shown]
	v_ffbh_u32_e32 v7, v6
	v_min_u32_e32 v7, 32, v7
	v_lshrrev_b32_e32 v12, 29, v13
	v_not_b32_e32 v9, v7
	v_alignbit_b32 v5, v6, v5, v9
	v_lshlrev_b32_e32 v6, 31, v12
	v_or_b32_e32 v9, 0x33000000, v6
	v_add_lshl_u32 v7, v7, v8, 23
	v_lshrrev_b32_e32 v5, 9, v5
	v_sub_u32_e32 v7, v9, v7
	v_or_b32_e32 v6, 0.5, v6
	v_lshlrev_b32_e32 v8, 23, v8
	v_or_b32_e32 v5, v7, v5
	v_lshrrev_b32_e32 v7, 9, v10
	v_sub_u32_e32 v6, v6, v8
	v_or_b32_e32 v6, v7, v6
	s_mov_b32 s4, 0x3fc90fda
	v_mul_f32_e32 v7, 0x3fc90fda, v6
	v_fma_f32 v8, v6, s4, -v7
	v_fmac_f32_e32 v8, 0x33a22168, v6
	v_fmac_f32_e32 v8, 0x3fc90fda, v5
	v_lshrrev_b32_e32 v5, 30, v13
	v_add_f32_e32 v6, v7, v8
	v_add_u32_e32 v5, v15, v5
	s_andn2_saveexec_b64 s[4:5], s[18:19]
	s_cbranch_execnz .LBB107_43
	s_branch .LBB107_44
.LBB107_42:
	s_andn2_saveexec_b64 s[4:5], s[18:19]
	s_cbranch_execz .LBB107_44
.LBB107_43:
	s_mov_b32 s6, 0x3f22f983
	v_mul_f32_e64 v5, |v1|, s6
	v_rndne_f32_e32 v7, v5
	s_mov_b32 s6, 0xbfc90fda
	v_cvt_i32_f32_e32 v5, v7
	v_fma_f32 v6, v7, s6, |v1|
	v_fmac_f32_e32 v6, 0xb3a22168, v7
	v_fmac_f32_e32 v6, 0xa7c234c4, v7
.LBB107_44:
	s_or_b64 exec, exec, s[4:5]
	s_mov_b32 s4, 0x3fb8aa3b
	v_mul_f32_e64 v7, |v0|, s4
	v_rndne_f32_e32 v8, v7
	v_sub_f32_e32 v9, v7, v8
	v_fma_f32 v7, |v0|, s4, -v7
	s_mov_b32 s4, 0x32a5705f
	v_fma_f32 v7, |v0|, s4, v7
	v_add_f32_e32 v7, v9, v7
	v_exp_f32_e32 v7, v7
	v_cvt_i32_f32_e32 v8, v8
	s_mov_b32 s4, 0xc2ce8ed0
	v_cmp_nlt_f32_e64 vcc, |v0|, s4
	s_mov_b32 s4, 0x42b17218
	v_ldexp_f32 v7, v7, v8
	v_cndmask_b32_e32 v7, 0, v7, vcc
	v_mov_b32_e32 v8, 0x7f800000
	v_cmp_ngt_f32_e64 vcc, |v0|, s4
	v_cndmask_b32_e32 v7, v8, v7, vcc
	v_mul_f32_e32 v8, v4, v4
	v_mov_b32_e32 v12, 0xbab64f3b
	v_mov_b32_e32 v10, 0x3c0881c4
	v_fmac_f32_e32 v12, 0x37d75334, v8
	v_mov_b32_e32 v13, 0x3d2aabf7
	v_fmac_f32_e32 v10, 0xb94c1982, v8
	v_mov_b32_e32 v11, 0xbe2aaa9d
	v_fma_f32 v12, v8, v12, v13
	v_mov_b32_e32 v14, 0xbf000004
	v_fma_f32 v10, v8, v10, v11
	v_fma_f32 v12, v8, v12, v14
	v_mul_f32_e32 v10, v8, v10
	v_fma_f32 v8, v8, v12, 1.0
	v_and_b32_e32 v12, 1, v2
	v_mul_f32_e32 v7, 0.5, v7
	s_brev_b32 s4, -2
	v_fmac_f32_e32 v4, v4, v10
	v_cmp_eq_u32_e32 vcc, 0, v12
	v_lshlrev_b32_e32 v2, 30, v2
	v_bfi_b32 v0, s4, v7, v0
	v_cndmask_b32_e64 v4, -v4, v8, vcc
	v_and_b32_e32 v2, 0x80000000, v2
	s_movk_i32 s4, 0x1f8
	v_xor_b32_e32 v2, v2, v4
	v_mov_b32_e32 v4, 0x7fc00000
	v_cmp_class_f32_e64 vcc, v1, s4
	v_cndmask_b32_e32 v2, v4, v2, vcc
	v_mov_b32_e32 v9, 0x3c0881c4
	v_mul_f32_e32 v2, v0, v2
	v_mul_f32_e32 v0, v6, v6
	v_mov_b32_e32 v10, 0xbab64f3b
	v_fmac_f32_e32 v9, 0xb94c1982, v0
	v_fmac_f32_e32 v11, v0, v9
	;; [unrolled: 1-line block ×3, first 2 shown]
	v_mul_f32_e32 v8, v0, v11
	v_fmac_f32_e32 v13, v0, v10
	v_fmac_f32_e32 v6, v6, v8
	v_fmac_f32_e32 v14, v0, v13
	v_and_b32_e32 v8, 1, v5
	s_brev_b32 s6, 1
	v_fma_f32 v0, v0, v14, 1.0
	v_cmp_eq_u32_e64 s[4:5], 0, v8
	v_lshlrev_b32_e32 v5, 30, v5
	v_cndmask_b32_e64 v0, v0, v6, s[4:5]
	v_and_or_b32 v3, v5, s6, v3
	v_xor_b32_e32 v0, v3, v0
	v_xor_b32_e32 v0, v0, v1
	v_cndmask_b32_e32 v0, v4, v0, vcc
	v_mul_f32_e32 v1, v7, v0
.LBB107_45:
	s_or_b64 exec, exec, s[16:17]
                                        ; implicit-def: $vgpr0
                                        ; implicit-def: $vgpr3
.LBB107_46:
	s_andn2_saveexec_b64 s[14:15], s[14:15]
	s_cbranch_execz .LBB107_56
; %bb.47:
	s_brev_b32 s4, 18
	v_cmp_nlt_f32_e64 s[16:17], |v1|, s4
	v_lshrrev_b32_e32 v7, 23, v3
                                        ; implicit-def: $vgpr2
                                        ; implicit-def: $vgpr4
	s_and_saveexec_b64 s[4:5], s[16:17]
	s_xor_b64 s[18:19], exec, s[4:5]
	s_cbranch_execz .LBB107_49
; %bb.48:
	v_and_b32_e32 v2, 0x7fffff, v3
	v_or_b32_e32 v2, 0x800000, v2
	s_mov_b32 s4, 0xfe5163ab
	v_mad_u64_u32 v[4:5], s[4:5], v2, s4, 0
	v_mov_b32_e32 v6, 0
	s_mov_b32 s4, 0x3c439041
	v_mad_u64_u32 v[8:9], s[4:5], v2, s4, v[5:6]
	s_mov_b32 s4, 0xdb629599
	v_add_u32_e32 v13, 0xffffff88, v7
	v_mov_b32_e32 v5, v9
	v_mad_u64_u32 v[9:10], s[4:5], v2, s4, v[5:6]
	s_mov_b32 s4, 0xf534ddc0
	v_not_b32_e32 v14, 63
	v_mov_b32_e32 v5, v10
	v_mad_u64_u32 v[10:11], s[4:5], v2, s4, v[5:6]
	s_mov_b32 s4, 0xfc2757d1
	v_cmp_lt_u32_e32 vcc, 63, v13
	v_mov_b32_e32 v5, v11
	v_mad_u64_u32 v[11:12], s[4:5], v2, s4, v[5:6]
	v_cndmask_b32_e32 v5, 0, v14, vcc
	v_add_u32_e32 v14, v5, v13
	v_mov_b32_e32 v5, v12
	s_mov_b32 s4, 0x4e441529
	v_mad_u64_u32 v[12:13], s[4:5], v2, s4, v[5:6]
	v_not_b32_e32 v15, 31
	v_cmp_lt_u32_e64 s[4:5], 31, v14
	v_cndmask_b32_e64 v5, 0, v15, s[4:5]
	v_add_u32_e32 v14, v5, v14
	v_mov_b32_e32 v5, v13
	s_mov_b32 s6, 0xa2f9836e
	v_mad_u64_u32 v[5:6], s[6:7], v2, s6, v[5:6]
	v_cmp_lt_u32_e64 s[6:7], 31, v14
	v_cndmask_b32_e64 v2, 0, v15, s[6:7]
	v_cndmask_b32_e32 v13, v12, v10, vcc
	v_cndmask_b32_e32 v5, v5, v11, vcc
	;; [unrolled: 1-line block ×3, first 2 shown]
	v_add_u32_e32 v2, v2, v14
	v_cndmask_b32_e64 v14, v5, v13, s[4:5]
	v_cndmask_b32_e64 v5, v6, v5, s[4:5]
	v_cndmask_b32_e32 v6, v11, v9, vcc
	v_cndmask_b32_e64 v11, v13, v6, s[4:5]
	v_cndmask_b32_e64 v5, v5, v14, s[6:7]
	;; [unrolled: 1-line block ×3, first 2 shown]
	v_sub_u32_e32 v13, 32, v2
	v_alignbit_b32 v14, v5, v12, v13
	v_cmp_eq_u32_e64 s[8:9], 0, v2
	v_cndmask_b32_e64 v2, v14, v5, s[8:9]
	v_cndmask_b32_e32 v5, v10, v8, vcc
	v_cndmask_b32_e64 v6, v6, v5, s[4:5]
	v_cndmask_b32_e64 v8, v11, v6, s[6:7]
	v_alignbit_b32 v10, v12, v8, v13
	v_cndmask_b32_e32 v4, v9, v4, vcc
	v_cndmask_b32_e64 v10, v10, v12, s[8:9]
	v_bfe_u32 v14, v2, 29, 1
	v_cndmask_b32_e64 v4, v5, v4, s[4:5]
	v_alignbit_b32 v11, v2, v10, 30
	v_sub_u32_e32 v15, 0, v14
	v_cndmask_b32_e64 v4, v6, v4, s[6:7]
	v_xor_b32_e32 v11, v11, v15
	v_alignbit_b32 v5, v8, v4, v13
	v_cndmask_b32_e64 v5, v5, v8, s[8:9]
	v_ffbh_u32_e32 v8, v11
	v_alignbit_b32 v6, v10, v5, 30
	v_min_u32_e32 v8, 32, v8
	v_alignbit_b32 v4, v5, v4, 30
	v_xor_b32_e32 v6, v6, v15
	v_sub_u32_e32 v9, 31, v8
	v_xor_b32_e32 v4, v4, v15
	v_alignbit_b32 v10, v11, v6, v9
	v_alignbit_b32 v4, v6, v4, v9
	;; [unrolled: 1-line block ×3, first 2 shown]
	v_ffbh_u32_e32 v6, v5
	v_min_u32_e32 v6, 32, v6
	v_lshrrev_b32_e32 v12, 29, v2
	v_not_b32_e32 v9, v6
	v_alignbit_b32 v4, v5, v4, v9
	v_lshlrev_b32_e32 v5, 31, v12
	v_or_b32_e32 v9, 0x33000000, v5
	v_add_lshl_u32 v6, v6, v8, 23
	v_lshrrev_b32_e32 v4, 9, v4
	v_sub_u32_e32 v6, v9, v6
	v_or_b32_e32 v5, 0.5, v5
	v_lshlrev_b32_e32 v8, 23, v8
	v_or_b32_e32 v4, v6, v4
	v_lshrrev_b32_e32 v6, 9, v10
	v_sub_u32_e32 v5, v5, v8
	v_or_b32_e32 v5, v6, v5
	s_mov_b32 s4, 0x3fc90fda
	v_mul_f32_e32 v6, 0x3fc90fda, v5
	v_fma_f32 v8, v5, s4, -v6
	v_fmac_f32_e32 v8, 0x33a22168, v5
	v_fmac_f32_e32 v8, 0x3fc90fda, v4
	v_lshrrev_b32_e32 v2, 30, v2
	v_add_f32_e32 v4, v6, v8
	v_add_u32_e32 v2, v14, v2
	s_andn2_saveexec_b64 s[4:5], s[18:19]
	s_cbranch_execz .LBB107_51
	s_branch .LBB107_50
.LBB107_49:
	s_andn2_saveexec_b64 s[4:5], s[18:19]
	s_cbranch_execz .LBB107_51
.LBB107_50:
	s_mov_b32 s6, 0x3f22f983
	v_mul_f32_e64 v2, |v1|, s6
	v_rndne_f32_e32 v5, v2
	s_mov_b32 s6, 0xbfc90fda
	v_cvt_i32_f32_e32 v2, v5
	v_fma_f32 v4, v5, s6, |v1|
	v_fmac_f32_e32 v4, 0xb3a22168, v5
	v_fmac_f32_e32 v4, 0xa7c234c4, v5
.LBB107_51:
	s_or_b64 exec, exec, s[4:5]
                                        ; implicit-def: $vgpr5
                                        ; implicit-def: $vgpr6
	s_and_saveexec_b64 s[4:5], s[16:17]
	s_xor_b64 s[16:17], exec, s[4:5]
	s_cbranch_execz .LBB107_53
; %bb.52:
	v_and_b32_e32 v5, 0x7fffff, v3
	v_or_b32_e32 v14, 0x800000, v5
	s_mov_b32 s4, 0xfe5163ab
	v_mad_u64_u32 v[5:6], s[4:5], v14, s4, 0
	v_mov_b32_e32 v9, 0
	s_mov_b32 s4, 0x3c439041
	v_mov_b32_e32 v8, v6
	v_mad_u64_u32 v[10:11], s[4:5], v14, s4, v[8:9]
	s_mov_b32 s4, 0xdb629599
	v_add_u32_e32 v15, 0xffffff88, v7
	v_mov_b32_e32 v8, v11
	v_mad_u64_u32 v[11:12], s[4:5], v14, s4, v[8:9]
	s_mov_b32 s4, 0xf534ddc0
	v_not_b32_e32 v16, 63
	v_mov_b32_e32 v8, v12
	v_mad_u64_u32 v[12:13], s[4:5], v14, s4, v[8:9]
	s_mov_b32 s4, 0xfc2757d1
	v_cmp_lt_u32_e32 vcc, 63, v15
	v_mov_b32_e32 v8, v13
	v_mad_u64_u32 v[6:7], s[4:5], v14, s4, v[8:9]
	v_cndmask_b32_e32 v8, 0, v16, vcc
	v_add_u32_e32 v13, v8, v15
	v_mov_b32_e32 v8, v7
	s_mov_b32 s4, 0x4e441529
	v_mad_u64_u32 v[7:8], s[4:5], v14, s4, v[8:9]
	v_not_b32_e32 v15, 31
	v_cmp_lt_u32_e64 s[4:5], 31, v13
	s_mov_b32 s6, 0xa2f9836e
	v_cndmask_b32_e64 v16, 0, v15, s[4:5]
	v_mad_u64_u32 v[8:9], s[6:7], v14, s6, v[8:9]
	v_add_u32_e32 v13, v16, v13
	v_cmp_lt_u32_e64 s[6:7], 31, v13
	v_cndmask_b32_e64 v14, 0, v15, s[6:7]
	v_add_u32_e32 v13, v14, v13
	v_cndmask_b32_e32 v14, v7, v12, vcc
	v_cndmask_b32_e32 v8, v8, v6, vcc
	;; [unrolled: 1-line block ×4, first 2 shown]
	v_cndmask_b32_e64 v15, v8, v14, s[4:5]
	v_cndmask_b32_e64 v7, v7, v8, s[4:5]
	;; [unrolled: 1-line block ×3, first 2 shown]
	v_cndmask_b32_e32 v10, v12, v10, vcc
	v_cndmask_b32_e64 v7, v7, v15, s[6:7]
	v_cndmask_b32_e64 v9, v15, v8, s[6:7]
	v_sub_u32_e32 v14, 32, v13
	v_cndmask_b32_e64 v6, v6, v10, s[4:5]
	v_alignbit_b32 v15, v7, v9, v14
	v_cmp_eq_u32_e64 s[8:9], 0, v13
	v_cndmask_b32_e64 v8, v8, v6, s[6:7]
	v_cndmask_b32_e32 v5, v11, v5, vcc
	v_cndmask_b32_e64 v7, v15, v7, s[8:9]
	v_alignbit_b32 v12, v9, v8, v14
	v_cndmask_b32_e64 v5, v10, v5, s[4:5]
	v_cndmask_b32_e64 v9, v12, v9, s[8:9]
	v_bfe_u32 v15, v7, 29, 1
	v_cndmask_b32_e64 v5, v6, v5, s[6:7]
	v_alignbit_b32 v12, v7, v9, 30
	v_sub_u32_e32 v16, 0, v15
	v_alignbit_b32 v6, v8, v5, v14
	v_xor_b32_e32 v12, v12, v16
	v_cndmask_b32_e64 v6, v6, v8, s[8:9]
	v_alignbit_b32 v8, v9, v6, 30
	v_ffbh_u32_e32 v9, v12
	v_min_u32_e32 v9, 32, v9
	v_alignbit_b32 v5, v6, v5, 30
	v_xor_b32_e32 v8, v8, v16
	v_sub_u32_e32 v10, 31, v9
	v_xor_b32_e32 v5, v5, v16
	v_alignbit_b32 v11, v12, v8, v10
	v_alignbit_b32 v5, v8, v5, v10
	;; [unrolled: 1-line block ×3, first 2 shown]
	v_ffbh_u32_e32 v8, v6
	v_min_u32_e32 v8, 32, v8
	v_lshrrev_b32_e32 v13, 29, v7
	v_not_b32_e32 v10, v8
	v_alignbit_b32 v5, v6, v5, v10
	v_lshlrev_b32_e32 v6, 31, v13
	v_or_b32_e32 v10, 0x33000000, v6
	v_add_lshl_u32 v8, v8, v9, 23
	v_lshrrev_b32_e32 v5, 9, v5
	v_sub_u32_e32 v8, v10, v8
	v_or_b32_e32 v6, 0.5, v6
	v_lshlrev_b32_e32 v9, 23, v9
	v_or_b32_e32 v5, v8, v5
	v_lshrrev_b32_e32 v8, 9, v11
	v_sub_u32_e32 v6, v6, v9
	v_or_b32_e32 v6, v8, v6
	s_mov_b32 s4, 0x3fc90fda
	v_mul_f32_e32 v8, 0x3fc90fda, v6
	v_fma_f32 v9, v6, s4, -v8
	v_fmac_f32_e32 v9, 0x33a22168, v6
	v_fmac_f32_e32 v9, 0x3fc90fda, v5
	v_lshrrev_b32_e32 v5, 30, v7
	v_add_f32_e32 v6, v8, v9
	v_add_u32_e32 v5, v15, v5
	s_andn2_saveexec_b64 s[4:5], s[16:17]
	s_cbranch_execnz .LBB107_54
	s_branch .LBB107_55
.LBB107_53:
	s_andn2_saveexec_b64 s[4:5], s[16:17]
	s_cbranch_execz .LBB107_55
.LBB107_54:
	s_mov_b32 s6, 0x3f22f983
	v_mul_f32_e64 v5, |v1|, s6
	v_rndne_f32_e32 v7, v5
	s_mov_b32 s6, 0xbfc90fda
	v_cvt_i32_f32_e32 v5, v7
	v_fma_f32 v6, v7, s6, |v1|
	v_fmac_f32_e32 v6, 0xb3a22168, v7
	v_fmac_f32_e32 v6, 0xa7c234c4, v7
.LBB107_55:
	s_or_b64 exec, exec, s[4:5]
	s_mov_b32 s4, 0xbf317218
	v_add_f32_e64 v7, |v0|, s4
	v_sub_f32_e64 v8, v7, |v0|
	v_sub_f32_e32 v9, v8, v7
	v_add_f32_e64 v9, |v0|, v9
	v_add_f32_e32 v8, 0x3f317218, v8
	v_sub_f32_e32 v8, v9, v8
	v_add_f32_e32 v8, 0x3102e308, v8
	v_add_f32_e32 v9, v7, v8
	v_sub_f32_e32 v7, v7, v9
	v_add_f32_e32 v7, v8, v7
	v_mul_f32_e32 v8, 0x3fb8aa3b, v9
	v_rndne_f32_e32 v8, v8
	v_fmac_f32_e32 v9, 0xbf317200, v8
	v_add_f32_e32 v10, v7, v9
	v_sub_f32_e32 v9, v9, v10
	v_add_f32_e32 v7, v7, v9
	v_mul_f32_e32 v9, 0x35bfbc00, v8
	v_sub_f32_e32 v11, v10, v9
	v_sub_f32_e32 v10, v10, v11
	;; [unrolled: 1-line block ×3, first 2 shown]
	v_add_f32_e32 v7, v7, v9
	v_add_f32_e32 v9, v11, v7
	v_sub_f32_e32 v10, v11, v9
	v_add_f32_e32 v7, v7, v10
	v_mul_f32_e32 v10, 0x2ea39ef3, v8
	v_sub_f32_e32 v11, v9, v10
	v_sub_f32_e32 v9, v9, v11
	v_sub_f32_e32 v9, v9, v10
	v_add_f32_e32 v7, v7, v9
	v_add_f32_e32 v9, v11, v7
	v_mov_b32_e32 v10, 0x3c091de6
	v_fmac_f32_e32 v10, 0x3ab42872, v9
	v_mov_b32_e32 v12, 0x3d2aadcc
	v_fmac_f32_e32 v12, v9, v10
	;; [unrolled: 2-line block ×4, first 2 shown]
	v_sub_f32_e32 v10, v11, v9
	v_add_f32_e32 v7, v7, v10
	v_mul_f32_e32 v11, v9, v9
	v_add_f32_e32 v10, v7, v7
	v_fma_f32 v13, v9, v9, -v11
	v_fmac_f32_e32 v13, v9, v10
	v_add_f32_e32 v10, v11, v13
	v_sub_f32_e32 v11, v10, v11
	v_sub_f32_e32 v11, v13, v11
	v_mul_f32_e32 v13, v12, v10
	v_fma_f32 v10, v10, v12, -v13
	v_fmac_f32_e32 v10, v11, v12
	v_add_f32_e32 v11, v13, v10
	v_sub_f32_e32 v12, v11, v13
	v_sub_f32_e32 v10, v10, v12
	v_add_f32_e32 v12, v9, v11
	v_sub_f32_e32 v9, v12, v9
	v_sub_f32_e32 v9, v11, v9
	v_add_f32_e32 v7, v7, v10
	v_add_f32_e32 v7, v7, v9
	;; [unrolled: 1-line block ×3, first 2 shown]
	v_sub_f32_e32 v10, v9, v12
	v_sub_f32_e32 v7, v7, v10
	v_add_f32_e32 v10, 1.0, v9
	v_add_f32_e32 v11, -1.0, v10
	v_cvt_i32_f32_e32 v8, v8
	v_sub_f32_e32 v9, v9, v11
	v_add_f32_e32 v7, v7, v9
	v_add_f32_e32 v9, v10, v7
	v_ldexp_f32 v11, v9, v8
	v_rcp_f32_e32 v12, v11
	v_sub_f32_e32 v9, v9, v10
	v_sub_f32_e32 v7, v7, v9
	v_ldexp_f32 v7, v7, v8
	v_mul_f32_e32 v8, v11, v12
	v_fma_f32 v9, v12, v11, -v8
	v_fmac_f32_e32 v9, v12, v7
	v_add_f32_e32 v10, v8, v9
	v_sub_f32_e32 v13, 1.0, v10
	v_sub_f32_e32 v14, 1.0, v13
	v_sub_f32_e32 v8, v10, v8
	v_sub_f32_e32 v14, v14, v10
	;; [unrolled: 1-line block ×3, first 2 shown]
	v_add_f32_e32 v8, v8, v14
	v_add_f32_e32 v9, v13, v8
	v_mul_f32_e32 v10, v12, v9
	v_mul_f32_e32 v14, v11, v10
	v_fma_f32 v15, v10, v11, -v14
	v_fmac_f32_e32 v15, v10, v7
	v_sub_f32_e32 v13, v13, v9
	v_add_f32_e32 v8, v8, v13
	v_add_f32_e32 v13, v14, v15
	v_sub_f32_e32 v16, v9, v13
	v_sub_f32_e32 v9, v9, v16
	;; [unrolled: 1-line block ×4, first 2 shown]
	v_add_f32_e32 v8, v8, v9
	v_sub_f32_e32 v9, v14, v15
	v_add_f32_e32 v8, v9, v8
	v_add_f32_e32 v8, v16, v8
	;; [unrolled: 1-line block ×3, first 2 shown]
	v_mul_f32_e32 v8, v12, v8
	v_sub_f32_e32 v12, v9, v12
	v_sub_f32_e32 v10, v10, v12
	v_add_f32_e32 v8, v10, v8
	v_add_f32_e32 v10, v9, v8
	v_sub_f32_e32 v9, v10, v9
	v_sub_f32_e32 v8, v8, v9
	v_ldexp_f32 v9, v10, -2
	v_sub_f32_e32 v10, v11, v9
	v_sub_f32_e32 v12, v11, v10
	;; [unrolled: 1-line block ×3, first 2 shown]
	v_ldexp_f32 v8, v8, -2
	v_add_f32_e32 v12, v7, v12
	v_sub_f32_e32 v12, v12, v8
	s_mov_b32 s4, 0x42b2d4fc
	v_add_f32_e32 v10, v10, v12
	v_mov_b32_e32 v12, 0x7f800000
	v_cmp_gt_f32_e64 vcc, |v0|, s4
	s_mov_b32 s4, 0x39800000
	v_cndmask_b32_e32 v10, v10, v12, vcc
	v_cmp_lt_f32_e64 s[4:5], |v0|, s4
	v_cndmask_b32_e64 v10, v10, |v0|, s[4:5]
	s_brev_b32 s4, -2
	v_bfi_b32 v0, s4, v10, v0
	v_mul_f32_e32 v10, v4, v4
	v_mov_b32_e32 v16, 0xbab64f3b
	v_mov_b32_e32 v14, 0x3c0881c4
	v_fmac_f32_e32 v16, 0x37d75334, v10
	v_mov_b32_e32 v17, 0x3d2aabf7
	v_fmac_f32_e32 v14, 0xb94c1982, v10
	v_mov_b32_e32 v15, 0xbe2aaa9d
	v_fma_f32 v16, v10, v16, v17
	v_mov_b32_e32 v18, 0xbf000004
	v_fma_f32 v14, v10, v14, v15
	v_fma_f32 v16, v10, v16, v18
	v_mul_f32_e32 v14, v10, v14
	v_fma_f32 v10, v10, v16, 1.0
	v_and_b32_e32 v16, 1, v2
	v_fmac_f32_e32 v4, v4, v14
	v_cmp_eq_u32_e64 s[4:5], 0, v16
	v_lshlrev_b32_e32 v2, 30, v2
	v_cndmask_b32_e64 v4, -v4, v10, s[4:5]
	v_and_b32_e32 v2, 0x80000000, v2
	s_movk_i32 s4, 0x1f8
	v_xor_b32_e32 v2, v2, v4
	v_mov_b32_e32 v4, 0x7fc00000
	v_cmp_class_f32_e64 s[4:5], v1, s4
	v_cndmask_b32_e64 v2, v4, v2, s[4:5]
	v_mul_f32_e32 v2, v0, v2
	v_add_f32_e32 v0, v11, v9
	v_sub_f32_e32 v10, v0, v11
	v_sub_f32_e32 v9, v9, v10
	v_add_f32_e32 v7, v7, v8
	v_add_f32_e32 v7, v7, v9
	v_mov_b32_e32 v13, 0x3c0881c4
	v_add_f32_e32 v0, v0, v7
	v_mul_f32_e32 v7, v6, v6
	v_mov_b32_e32 v14, 0xbab64f3b
	v_fmac_f32_e32 v13, 0xb94c1982, v7
	v_fmac_f32_e32 v15, v7, v13
	;; [unrolled: 1-line block ×3, first 2 shown]
	v_mul_f32_e32 v8, v7, v15
	v_fmac_f32_e32 v17, v7, v14
	v_fmac_f32_e32 v6, v6, v8
	;; [unrolled: 1-line block ×3, first 2 shown]
	v_and_b32_e32 v8, 1, v5
	s_brev_b32 s6, 1
	v_cndmask_b32_e32 v0, v0, v12, vcc
	v_fma_f32 v7, v7, v18, 1.0
	v_cmp_eq_u32_e32 vcc, 0, v8
	v_lshlrev_b32_e32 v5, 30, v5
	v_cndmask_b32_e32 v6, v7, v6, vcc
	v_and_or_b32 v3, v5, s6, v3
	v_xor_b32_e32 v3, v3, v6
	v_xor_b32_e32 v1, v3, v1
	v_cndmask_b32_e64 v1, v4, v1, s[4:5]
	v_mul_f32_e32 v1, v0, v1
.LBB107_56:
	s_or_b64 exec, exec, s[14:15]
                                        ; implicit-def: $vgpr0
.LBB107_57:
	s_andn2_saveexec_b64 s[4:5], s[12:13]
	s_cbranch_execz .LBB107_59
; %bb.58:
	s_mov_b32 s6, 0xbf317218
	v_add_f32_e64 v2, |v0|, s6
	v_sub_f32_e64 v3, v2, |v0|
	v_sub_f32_e32 v4, v3, v2
	v_add_f32_e64 v4, |v0|, v4
	v_add_f32_e32 v3, 0x3f317218, v3
	v_sub_f32_e32 v3, v4, v3
	v_add_f32_e32 v3, 0x3102e308, v3
	v_add_f32_e32 v4, v2, v3
	v_sub_f32_e32 v2, v2, v4
	v_add_f32_e32 v2, v3, v2
	v_mul_f32_e32 v3, 0x3fb8aa3b, v4
	v_rndne_f32_e32 v3, v3
	v_fmac_f32_e32 v4, 0xbf317200, v3
	v_add_f32_e32 v5, v2, v4
	v_sub_f32_e32 v4, v4, v5
	v_add_f32_e32 v2, v2, v4
	v_mul_f32_e32 v4, 0x35bfbc00, v3
	v_sub_f32_e32 v6, v5, v4
	v_sub_f32_e32 v5, v5, v6
	;; [unrolled: 1-line block ×3, first 2 shown]
	v_add_f32_e32 v2, v2, v4
	v_add_f32_e32 v4, v6, v2
	v_sub_f32_e32 v5, v6, v4
	v_add_f32_e32 v2, v2, v5
	v_mul_f32_e32 v5, 0x2ea39ef3, v3
	v_sub_f32_e32 v6, v4, v5
	v_sub_f32_e32 v4, v4, v6
	;; [unrolled: 1-line block ×3, first 2 shown]
	v_add_f32_e32 v2, v2, v4
	v_add_f32_e32 v4, v6, v2
	v_mov_b32_e32 v5, 0x3c091de6
	v_fmac_f32_e32 v5, 0x3ab42872, v4
	v_mov_b32_e32 v7, 0x3d2aadcc
	v_fmac_f32_e32 v7, v4, v5
	;; [unrolled: 2-line block ×4, first 2 shown]
	v_sub_f32_e32 v5, v6, v4
	v_add_f32_e32 v2, v2, v5
	v_mul_f32_e32 v6, v4, v4
	v_add_f32_e32 v5, v2, v2
	v_fma_f32 v8, v4, v4, -v6
	v_fmac_f32_e32 v8, v4, v5
	v_add_f32_e32 v5, v6, v8
	v_sub_f32_e32 v6, v5, v6
	v_sub_f32_e32 v6, v8, v6
	v_mul_f32_e32 v8, v7, v5
	v_fma_f32 v5, v5, v7, -v8
	v_fmac_f32_e32 v5, v6, v7
	v_add_f32_e32 v6, v8, v5
	v_sub_f32_e32 v7, v6, v8
	v_sub_f32_e32 v5, v5, v7
	v_add_f32_e32 v7, v4, v6
	v_sub_f32_e32 v4, v7, v4
	v_sub_f32_e32 v4, v6, v4
	v_add_f32_e32 v2, v2, v5
	v_add_f32_e32 v2, v2, v4
	;; [unrolled: 1-line block ×3, first 2 shown]
	v_sub_f32_e32 v5, v4, v7
	v_sub_f32_e32 v2, v2, v5
	v_add_f32_e32 v5, 1.0, v4
	v_add_f32_e32 v6, -1.0, v5
	v_cvt_i32_f32_e32 v3, v3
	v_sub_f32_e32 v4, v4, v6
	v_add_f32_e32 v2, v2, v4
	v_add_f32_e32 v4, v5, v2
	v_ldexp_f32 v6, v4, v3
	v_rcp_f32_e32 v7, v6
	v_sub_f32_e32 v4, v4, v5
	v_sub_f32_e32 v2, v2, v4
	v_ldexp_f32 v2, v2, v3
	v_mul_f32_e32 v3, v6, v7
	v_fma_f32 v4, v7, v6, -v3
	v_fmac_f32_e32 v4, v7, v2
	v_add_f32_e32 v5, v3, v4
	v_sub_f32_e32 v8, 1.0, v5
	v_sub_f32_e32 v9, 1.0, v8
	v_sub_f32_e32 v3, v5, v3
	v_sub_f32_e32 v9, v9, v5
	;; [unrolled: 1-line block ×3, first 2 shown]
	v_add_f32_e32 v3, v3, v9
	v_add_f32_e32 v4, v8, v3
	v_mul_f32_e32 v5, v7, v4
	v_mul_f32_e32 v9, v6, v5
	v_fma_f32 v10, v5, v6, -v9
	v_fmac_f32_e32 v10, v5, v2
	v_sub_f32_e32 v8, v8, v4
	v_add_f32_e32 v3, v3, v8
	v_add_f32_e32 v8, v9, v10
	v_sub_f32_e32 v11, v4, v8
	v_sub_f32_e32 v4, v4, v11
	;; [unrolled: 1-line block ×4, first 2 shown]
	v_add_f32_e32 v3, v3, v4
	v_sub_f32_e32 v4, v9, v10
	v_add_f32_e32 v3, v4, v3
	v_add_f32_e32 v3, v11, v3
	;; [unrolled: 1-line block ×3, first 2 shown]
	v_mul_f32_e32 v3, v7, v3
	v_sub_f32_e32 v7, v4, v7
	v_sub_f32_e32 v5, v5, v7
	v_add_f32_e32 v3, v5, v3
	v_add_f32_e32 v5, v4, v3
	v_sub_f32_e32 v4, v5, v4
	v_sub_f32_e32 v3, v3, v4
	v_ldexp_f32 v4, v5, -2
	v_sub_f32_e32 v5, v6, v4
	v_sub_f32_e32 v6, v6, v5
	;; [unrolled: 1-line block ×3, first 2 shown]
	v_ldexp_f32 v3, v3, -2
	v_add_f32_e32 v2, v2, v4
	v_sub_f32_e32 v2, v2, v3
	s_mov_b32 s6, 0x42b2d4fc
	v_add_f32_e32 v2, v5, v2
	v_mov_b32_e32 v3, 0x7f800000
	v_cmp_ngt_f32_e64 vcc, |v0|, s6
	s_mov_b32 s6, 0x39800000
	v_cndmask_b32_e32 v2, v3, v2, vcc
	v_cmp_lt_f32_e64 s[6:7], |v0|, s6
	v_cndmask_b32_e64 v2, v2, |v0|, s[6:7]
	s_brev_b32 s6, -2
	v_bfi_b32 v2, s6, v2, v0
.LBB107_59:
	s_or_b64 exec, exec, s[4:5]
	s_or_b64 exec, exec, s[10:11]
	v_mov_b32_e32 v0, v2
	s_setpc_b64 s[30:31]
.LBB107_60:
	s_andn2_saveexec_b64 s[4:5], s[24:25]
	s_cbranch_execz .LBB107_62
.LBB107_61:
	s_mov_b32 s6, 0x3f22f983
	v_mul_f32_e64 v2, |v1|, s6
	v_rndne_f32_e32 v5, v2
	s_mov_b32 s6, 0xbfc90fda
	v_cvt_i32_f32_e32 v2, v5
	v_fma_f32 v4, v5, s6, |v1|
	v_fmac_f32_e32 v4, 0xb3a22168, v5
	v_fmac_f32_e32 v4, 0xa7c234c4, v5
.LBB107_62:
	s_or_b64 exec, exec, s[4:5]
                                        ; implicit-def: $vgpr5
                                        ; implicit-def: $vgpr6
	s_and_saveexec_b64 s[4:5], s[22:23]
	s_xor_b64 s[22:23], exec, s[4:5]
	s_cbranch_execz .LBB107_64
; %bb.63:
	v_and_b32_e32 v5, 0x7fffff, v3
	v_or_b32_e32 v14, 0x800000, v5
	s_mov_b32 s4, 0xfe5163ab
	v_mad_u64_u32 v[5:6], s[4:5], v14, s4, 0
	v_mov_b32_e32 v7, 0
	s_mov_b32 s4, 0x3c439041
	v_mad_u64_u32 v[8:9], s[4:5], v14, s4, v[6:7]
	s_mov_b32 s4, 0xdb629599
	v_not_b32_e32 v13, 63
	v_mov_b32_e32 v6, v9
	v_mad_u64_u32 v[9:10], s[4:5], v14, s4, v[6:7]
	s_mov_b32 s4, 0xf534ddc0
	v_not_b32_e32 v16, 31
	v_mov_b32_e32 v6, v10
	v_mad_u64_u32 v[10:11], s[4:5], v14, s4, v[6:7]
	v_lshrrev_b32_e32 v6, 23, v3
	v_add_u32_e32 v15, 0xffffff88, v6
	v_mov_b32_e32 v6, v11
	s_mov_b32 s4, 0xfc2757d1
	v_mad_u64_u32 v[11:12], s[4:5], v14, s4, v[6:7]
	v_cmp_lt_u32_e32 vcc, 63, v15
	v_cndmask_b32_e32 v6, 0, v13, vcc
	v_add_u32_e32 v15, v6, v15
	v_mov_b32_e32 v6, v12
	s_mov_b32 s4, 0x4e441529
	v_mad_u64_u32 v[12:13], s[4:5], v14, s4, v[6:7]
	v_cmp_lt_u32_e64 s[4:5], 31, v15
	v_cndmask_b32_e64 v6, 0, v16, s[4:5]
	v_add_u32_e32 v15, v6, v15
	v_mov_b32_e32 v6, v13
	s_mov_b32 s6, 0xa2f9836e
	v_mad_u64_u32 v[6:7], s[6:7], v14, s6, v[6:7]
	v_cmp_lt_u32_e64 s[6:7], 31, v15
	v_cndmask_b32_e64 v13, 0, v16, s[6:7]
	v_cndmask_b32_e32 v14, v12, v10, vcc
	v_cndmask_b32_e32 v6, v6, v11, vcc
	v_cndmask_b32_e32 v7, v7, v12, vcc
	v_add_u32_e32 v13, v13, v15
	v_cndmask_b32_e64 v15, v6, v14, s[4:5]
	v_cndmask_b32_e64 v6, v7, v6, s[4:5]
	v_cndmask_b32_e32 v7, v11, v9, vcc
	v_cndmask_b32_e64 v11, v14, v7, s[4:5]
	v_cndmask_b32_e64 v6, v6, v15, s[6:7]
	;; [unrolled: 1-line block ×3, first 2 shown]
	v_sub_u32_e32 v14, 32, v13
	v_alignbit_b32 v15, v6, v12, v14
	v_cmp_eq_u32_e64 s[8:9], 0, v13
	v_cndmask_b32_e64 v13, v15, v6, s[8:9]
	v_cndmask_b32_e32 v6, v10, v8, vcc
	v_cndmask_b32_e64 v7, v7, v6, s[4:5]
	v_cndmask_b32_e64 v8, v11, v7, s[6:7]
	v_alignbit_b32 v10, v12, v8, v14
	v_cndmask_b32_e32 v5, v9, v5, vcc
	v_cndmask_b32_e64 v10, v10, v12, s[8:9]
	v_bfe_u32 v15, v13, 29, 1
	v_cndmask_b32_e64 v5, v6, v5, s[4:5]
	v_alignbit_b32 v11, v13, v10, 30
	v_sub_u32_e32 v16, 0, v15
	v_cndmask_b32_e64 v5, v7, v5, s[6:7]
	v_xor_b32_e32 v11, v11, v16
	v_alignbit_b32 v6, v8, v5, v14
	v_cndmask_b32_e64 v6, v6, v8, s[8:9]
	v_ffbh_u32_e32 v8, v11
	v_alignbit_b32 v7, v10, v6, 30
	v_min_u32_e32 v8, 32, v8
	v_alignbit_b32 v5, v6, v5, 30
	v_xor_b32_e32 v7, v7, v16
	v_sub_u32_e32 v9, 31, v8
	v_xor_b32_e32 v5, v5, v16
	v_alignbit_b32 v10, v11, v7, v9
	v_alignbit_b32 v5, v7, v5, v9
	v_alignbit_b32 v6, v10, v5, 9
	v_ffbh_u32_e32 v7, v6
	v_min_u32_e32 v7, 32, v7
	v_lshrrev_b32_e32 v12, 29, v13
	v_not_b32_e32 v9, v7
	v_alignbit_b32 v5, v6, v5, v9
	v_lshlrev_b32_e32 v6, 31, v12
	v_or_b32_e32 v9, 0x33000000, v6
	v_add_lshl_u32 v7, v7, v8, 23
	v_lshrrev_b32_e32 v5, 9, v5
	v_sub_u32_e32 v7, v9, v7
	v_or_b32_e32 v6, 0.5, v6
	v_lshlrev_b32_e32 v8, 23, v8
	v_or_b32_e32 v5, v7, v5
	v_lshrrev_b32_e32 v7, 9, v10
	v_sub_u32_e32 v6, v6, v8
	v_or_b32_e32 v6, v7, v6
	s_mov_b32 s4, 0x3fc90fda
	v_mul_f32_e32 v7, 0x3fc90fda, v6
	v_fma_f32 v8, v6, s4, -v7
	v_fmac_f32_e32 v8, 0x33a22168, v6
	v_fmac_f32_e32 v8, 0x3fc90fda, v5
	v_lshrrev_b32_e32 v5, 30, v13
	v_add_f32_e32 v6, v7, v8
	v_add_u32_e32 v5, v15, v5
	s_andn2_saveexec_b64 s[4:5], s[22:23]
	s_cbranch_execnz .LBB107_65
	s_branch .LBB107_66
.LBB107_64:
	s_andn2_saveexec_b64 s[4:5], s[22:23]
	s_cbranch_execz .LBB107_66
.LBB107_65:
	s_mov_b32 s6, 0x3f22f983
	v_mul_f32_e64 v5, |v1|, s6
	v_rndne_f32_e32 v7, v5
	s_mov_b32 s6, 0xbfc90fda
	v_cvt_i32_f32_e32 v5, v7
	v_fma_f32 v6, v7, s6, |v1|
	v_fmac_f32_e32 v6, 0xb3a22168, v7
	v_fmac_f32_e32 v6, 0xa7c234c4, v7
.LBB107_66:
	s_or_b64 exec, exec, s[4:5]
	v_mul_f32_e32 v7, v4, v4
	v_mov_b32_e32 v11, 0xbab64f3b
	v_mov_b32_e32 v9, 0x3c0881c4
	v_fmac_f32_e32 v11, 0x37d75334, v7
	v_mov_b32_e32 v12, 0x3d2aabf7
	v_fmac_f32_e32 v9, 0xb94c1982, v7
	v_mov_b32_e32 v10, 0xbe2aaa9d
	v_fma_f32 v11, v7, v11, v12
	v_mov_b32_e32 v13, 0xbf000004
	v_fma_f32 v9, v7, v9, v10
	v_fma_f32 v11, v7, v11, v13
	v_mul_f32_e32 v9, v7, v9
	v_fma_f32 v7, v7, v11, 1.0
	v_and_b32_e32 v11, 1, v2
	v_fmac_f32_e32 v4, v4, v9
	v_cmp_eq_u32_e32 vcc, 0, v11
	v_lshlrev_b32_e32 v2, 30, v2
	v_cndmask_b32_e64 v4, -v4, v7, vcc
	v_and_b32_e32 v2, 0x80000000, v2
	s_movk_i32 s4, 0x1f8
	v_xor_b32_e32 v2, v2, v4
	v_mov_b32_e32 v4, 0x7fc00000
	v_cmp_class_f32_e64 vcc, v1, s4
	v_cndmask_b32_e32 v2, v4, v2, vcc
	v_mov_b32_e32 v8, 0x3c0881c4
	v_mul_f32_e32 v2, v0, v2
	v_mul_f32_e32 v0, v6, v6
	v_mov_b32_e32 v9, 0xbab64f3b
	v_fmac_f32_e32 v8, 0xb94c1982, v0
	v_fmac_f32_e32 v10, v0, v8
	;; [unrolled: 1-line block ×3, first 2 shown]
	v_mul_f32_e32 v7, v0, v10
	v_fmac_f32_e32 v12, v0, v9
	v_fmac_f32_e32 v6, v6, v7
	;; [unrolled: 1-line block ×3, first 2 shown]
	v_and_b32_e32 v7, 1, v5
	s_brev_b32 s6, 1
	v_fma_f32 v0, v0, v13, 1.0
	v_cmp_eq_u32_e64 s[4:5], 0, v7
	v_lshlrev_b32_e32 v5, 30, v5
	v_cndmask_b32_e64 v0, v0, v6, s[4:5]
	v_and_or_b32 v3, v5, s6, v3
	v_xor_b32_e32 v0, v3, v0
	v_xor_b32_e32 v0, v0, v1
	v_mul_f32_e32 v0, 0x7f800000, v0
	v_cndmask_b32_e32 v1, v4, v0, vcc
                                        ; implicit-def: $vgpr0
.LBB107_67:
	s_andn2_saveexec_b64 s[4:5], s[20:21]
; %bb.68:
	v_sub_f32_e32 v1, v1, v1
	v_mul_f32_e32 v2, v0, v0
	v_mul_f32_e32 v1, v0, v1
; %bb.69:
	s_or_b64 exec, exec, s[4:5]
.LBB107_70:
	s_or_b64 exec, exec, s[18:19]
                                        ; implicit-def: $vgpr0
.LBB107_71:
	s_andn2_saveexec_b64 s[4:5], s[12:13]
; %bb.72:
	v_sub_f32_e32 v2, v1, v1
	v_mul_f32_e32 v1, v0, v2
; %bb.73:
	s_or_b64 exec, exec, s[4:5]
                                        ; implicit-def: $vgpr0
.LBB107_74:
	s_andn2_saveexec_b64 s[4:5], s[10:11]
; %bb.75:
	v_and_b32_e32 v2, 0x7fffff, v0
	s_brev_b32 s6, -2
	v_bfi_b32 v3, s6, 0, v1
	v_cmp_eq_u32_e32 vcc, 0, v2
	v_cndmask_b32_e32 v1, v3, v1, vcc
	v_mov_b32_e32 v2, v0
; %bb.76:
	s_or_b64 exec, exec, s[4:5]
                                        ; implicit-def: $vgpr0
.LBB107_77:
	s_andn2_saveexec_b64 s[4:5], s[16:17]
; %bb.78:
	v_sub_f32_e32 v1, v1, v1
	v_mul_f32_e32 v0, v0, v1
	s_brev_b32 s6, -2
	v_bfi_b32 v2, s6, 0, v0
; %bb.79:
	s_or_b64 exec, exec, s[4:5]
                                        ; implicit-def: $vgpr0
                                        ; implicit-def: $vgpr3
                                        ; implicit-def: $vgpr4
	s_andn2_saveexec_b64 s[10:11], s[14:15]
	s_cbranch_execnz .LBB107_11
.LBB107_80:
	s_or_b64 exec, exec, s[10:11]
	v_mov_b32_e32 v0, v2
	s_setpc_b64 s[30:31]
.Lfunc_end107:
	.size	_ZN6thrust23THRUST_200600_302600_NS6detail7complex6csinhfERKNS0_7complexIfEE, .Lfunc_end107-_ZN6thrust23THRUST_200600_302600_NS6detail7complex6csinhfERKNS0_7complexIfEE
                                        ; -- End function
	.set .L_ZN6thrust23THRUST_200600_302600_NS6detail7complex6csinhfERKNS0_7complexIfEE.num_vgpr, 19
	.set .L_ZN6thrust23THRUST_200600_302600_NS6detail7complex6csinhfERKNS0_7complexIfEE.num_agpr, 0
	.set .L_ZN6thrust23THRUST_200600_302600_NS6detail7complex6csinhfERKNS0_7complexIfEE.numbered_sgpr, 32
	.set .L_ZN6thrust23THRUST_200600_302600_NS6detail7complex6csinhfERKNS0_7complexIfEE.num_named_barrier, 0
	.set .L_ZN6thrust23THRUST_200600_302600_NS6detail7complex6csinhfERKNS0_7complexIfEE.private_seg_size, 0
	.set .L_ZN6thrust23THRUST_200600_302600_NS6detail7complex6csinhfERKNS0_7complexIfEE.uses_vcc, 1
	.set .L_ZN6thrust23THRUST_200600_302600_NS6detail7complex6csinhfERKNS0_7complexIfEE.uses_flat_scratch, 0
	.set .L_ZN6thrust23THRUST_200600_302600_NS6detail7complex6csinhfERKNS0_7complexIfEE.has_dyn_sized_stack, 0
	.set .L_ZN6thrust23THRUST_200600_302600_NS6detail7complex6csinhfERKNS0_7complexIfEE.has_recursion, 0
	.set .L_ZN6thrust23THRUST_200600_302600_NS6detail7complex6csinhfERKNS0_7complexIfEE.has_indirect_call, 0
	.section	.AMDGPU.csdata,"",@progbits
; Function info:
; codeLenInByte = 10448
; TotalNumSgprs: 36
; NumVgprs: 19
; ScratchSize: 0
; MemoryBound: 0
	.section	.text._ZN2at6native12_GLOBAL__N_125multi_tensor_apply_kernelINS1_18TensorListMetadataILi2EEENS1_14UnaryOpFunctorIN3c107complexIfEELi2ELi1ELi1EEEJNS0_3SinIS8_EEEEEvT_T0_DpT1_,"axG",@progbits,_ZN2at6native12_GLOBAL__N_125multi_tensor_apply_kernelINS1_18TensorListMetadataILi2EEENS1_14UnaryOpFunctorIN3c107complexIfEELi2ELi1ELi1EEEJNS0_3SinIS8_EEEEEvT_T0_DpT1_,comdat
	.globl	_ZN2at6native12_GLOBAL__N_125multi_tensor_apply_kernelINS1_18TensorListMetadataILi2EEENS1_14UnaryOpFunctorIN3c107complexIfEELi2ELi1ELi1EEEJNS0_3SinIS8_EEEEEvT_T0_DpT1_ ; -- Begin function _ZN2at6native12_GLOBAL__N_125multi_tensor_apply_kernelINS1_18TensorListMetadataILi2EEENS1_14UnaryOpFunctorIN3c107complexIfEELi2ELi1ELi1EEEJNS0_3SinIS8_EEEEEvT_T0_DpT1_
	.p2align	8
	.type	_ZN2at6native12_GLOBAL__N_125multi_tensor_apply_kernelINS1_18TensorListMetadataILi2EEENS1_14UnaryOpFunctorIN3c107complexIfEELi2ELi1ELi1EEEJNS0_3SinIS8_EEEEEvT_T0_DpT1_,@function
_ZN2at6native12_GLOBAL__N_125multi_tensor_apply_kernelINS1_18TensorListMetadataILi2EEENS1_14UnaryOpFunctorIN3c107complexIfEELi2ELi1ELi1EEEJNS0_3SinIS8_EEEEEvT_T0_DpT1_: ; @_ZN2at6native12_GLOBAL__N_125multi_tensor_apply_kernelINS1_18TensorListMetadataILi2EEENS1_14UnaryOpFunctorIN3c107complexIfEELi2ELi1ELi1EEEJNS0_3SinIS8_EEEEEvT_T0_DpT1_
; %bb.0:
	v_mov_b32_e32 v19, v0
	v_mov_b32_e32 v0, s6
	global_load_ubyte v0, v0, s[4:5] offset:1536
	s_add_u32 s0, s0, s7
	s_addc_u32 s1, s1, 0
	s_mov_b64 s[26:27], s[4:5]
	s_add_u32 s4, s26, s6
	s_mul_hi_u32 s9, s6, 3
	s_mul_i32 s6, s6, 3
	s_addc_u32 s10, s27, 0
	s_add_u32 s8, s4, s6
	s_addc_u32 s9, s10, s9
	s_load_dword s8, s[8:9], 0x740
	s_mov_b32 s5, 0
	s_mov_b32 s7, s5
	;; [unrolled: 1-line block ×3, first 2 shown]
	s_waitcnt lgkmcnt(0)
	s_ashr_i32 s9, s8, 31
	s_lshl_b64 s[16:17], s[8:9], 19
	s_waitcnt vmcnt(0)
	v_readfirstlane_b32 s4, v0
	s_lshl_b32 s4, s4, 3
	s_load_dwordx2 s[10:11], s[26:27], s4 offset:0x0
	s_load_dwordx2 s[12:13], s[26:27], s4 offset:0x400
	;; [unrolled: 1-line block ×3, first 2 shown]
	s_waitcnt lgkmcnt(0)
	s_add_u32 s36, s10, s16
	s_addc_u32 s37, s11, s17
	s_and_b32 s4, s36, 31
	s_add_u32 s38, s14, s16
	s_addc_u32 s39, s15, s17
	s_lshl_b64 s[8:9], s[8:9], 16
	s_and_b32 s6, s38, 31
	s_sub_u32 s28, s12, s8
	s_subb_u32 s29, s13, s9
	s_and_b32 s8, s12, 3
	s_mov_b32 s9, s5
	s_or_b64 s[6:7], s[6:7], s[8:9]
	s_or_b64 s[4:5], s[6:7], s[4:5]
	s_cmp_eq_u64 s[4:5], 0
	s_mov_b64 s[4:5], -1
	s_cbranch_scc0 .LBB108_5
; %bb.1:
	v_mov_b32_e32 v0, 0x10000
	v_mov_b32_e32 v1, 0
	v_cmp_lt_i64_e32 vcc, s[28:29], v[0:1]
	v_mov_b32_e32 v1, 0
	s_and_b64 s[4:5], vcc, exec
	s_cselect_b32 s35, s29, 0
	s_cselect_b32 s34, s28, 0x10000
	v_lshlrev_b32_e32 v0, 2, v19
	v_cmp_gt_i64_e32 vcc, s[34:35], v[0:1]
	s_and_saveexec_b64 s[40:41], vcc
	s_cbranch_execz .LBB108_4
; %bb.2:
	s_load_dword s4, s[26:27], 0xc5c
	v_mov_b32_e32 v20, v1
	v_mov_b32_e32 v29, v20
	v_lshlrev_b32_e32 v30, 5, v19
	s_mov_b64 s[42:43], 0
	s_waitcnt lgkmcnt(0)
	s_and_b32 s33, s4, 0xffff
	s_mov_b64 s[44:45], s[36:37]
	s_lshl_b32 s48, s33, 5
	s_mov_b64 s[46:47], s[38:39]
	v_mov_b32_e32 v28, v19
.LBB108_3:                              ; =>This Inner Loop Header: Depth=1
	v_mov_b32_e32 v1, s45
	v_add_co_u32_e32 v0, vcc, s44, v30
	v_addc_co_u32_e32 v1, vcc, 0, v1, vcc
	global_load_dwordx4 v[20:23], v[0:1], off
	global_load_dwordx4 v[24:27], v[0:1], off offset:16
	s_getpc_b64 s[50:51]
	s_add_u32 s50, s50, _ZN6thrust23THRUST_200600_302600_NS6detail7complex6csinhfERKNS0_7complexIfEE@rel32@lo+4
	s_addc_u32 s51, s51, _ZN6thrust23THRUST_200600_302600_NS6detail7complex6csinhfERKNS0_7complexIfEE@rel32@hi+12
	s_waitcnt vmcnt(1)
	v_xor_b32_e32 v0, 0x80000000, v21
	v_mov_b32_e32 v1, v20
	s_swappc_b64 s[30:31], s[50:51]
	v_mov_b32_e32 v20, v1
	v_xor_b32_e32 v21, 0x80000000, v0
	v_xor_b32_e32 v0, 0x80000000, v23
	v_mov_b32_e32 v1, v22
	s_swappc_b64 s[30:31], s[50:51]
	v_mov_b32_e32 v22, v1
	v_xor_b32_e32 v23, 0x80000000, v0
	;; [unrolled: 5-line block ×3, first 2 shown]
	v_xor_b32_e32 v0, 0x80000000, v27
	v_mov_b32_e32 v1, v26
	s_swappc_b64 s[30:31], s[50:51]
	v_add_co_u32_e64 v28, s[4:5], s33, v28
	v_addc_co_u32_e64 v29, s[4:5], 0, v29, s[4:5]
	v_mov_b32_e32 v26, v1
	v_mov_b32_e32 v2, s47
	v_add_co_u32_e32 v1, vcc, s46, v30
	v_lshlrev_b64 v[3:4], 2, v[28:29]
	s_add_u32 s46, s46, s48
	v_addc_co_u32_e32 v2, vcc, 0, v2, vcc
	s_addc_u32 s47, s47, 0
	s_add_u32 s44, s44, s48
	v_cmp_le_i64_e32 vcc, s[34:35], v[3:4]
	s_addc_u32 s45, s45, 0
	v_xor_b32_e32 v27, 0x80000000, v0
	s_or_b64 s[42:43], vcc, s[42:43]
	global_store_dwordx4 v[1:2], v[20:23], off
	global_store_dwordx4 v[1:2], v[24:27], off offset:16
	s_andn2_b64 exec, exec, s[42:43]
	s_cbranch_execnz .LBB108_3
.LBB108_4:
	s_or_b64 exec, exec, s[40:41]
	s_mov_b64 s[4:5], 0
.LBB108_5:
	s_andn2_b64 vcc, exec, s[4:5]
	s_cbranch_vccnz .LBB108_25
; %bb.6:
	v_cmp_lt_i64_e64 s[4:5], s[28:29], 1
	s_and_b64 vcc, exec, s[4:5]
	s_cbranch_vccnz .LBB108_25
; %bb.7:
	v_mov_b32_e32 v0, 0x10000
	s_load_dword s6, s[26:27], 0xc5c
	v_mov_b32_e32 v1, 0
	v_cmp_lt_i64_e32 vcc, s[28:29], v[0:1]
	s_mov_b64 s[44:45], 0
	s_and_b64 s[4:5], vcc, exec
	v_cmp_lt_u64_e32 vcc, s[28:29], v[0:1]
	s_cselect_b32 s41, s29, 0
	s_cselect_b32 s40, s28, 0x10000
	s_waitcnt lgkmcnt(0)
	s_and_b32 s33, s6, 0xffff
	s_and_b64 s[4:5], vcc, exec
	s_cselect_b32 s43, s29, 0
	s_cselect_b32 s42, s28, 0x10000
	s_lshl_b32 s48, s33, 1
	s_mul_i32 s49, s33, 3
	s_lshl_b32 s50, s33, 2
	s_branch .LBB108_9
.LBB108_8:                              ;   in Loop: Header=BB108_9 Depth=1
	s_or_b64 exec, exec, s[28:29]
	s_add_u32 s44, s44, s50
	s_waitcnt vmcnt(0)
	v_mov_b32_e32 v0, s40
	s_addc_u32 s45, s45, 0
	v_mov_b32_e32 v1, s41
	v_cmp_ge_i64_e32 vcc, s[44:45], v[0:1]
	s_cbranch_vccnz .LBB108_25
.LBB108_9:                              ; =>This Inner Loop Header: Depth=1
	v_mov_b32_e32 v0, s45
	v_add_co_u32_e32 v32, vcc, s44, v19
	v_addc_co_u32_e32 v33, vcc, 0, v0, vcc
	v_cmp_gt_u64_e32 vcc, s[42:43], v[32:33]
	v_mov_b32_e32 v2, 0
	v_mov_b32_e32 v1, 0
	s_and_saveexec_b64 s[6:7], vcc
	s_cbranch_execz .LBB108_11
; %bb.10:                               ;   in Loop: Header=BB108_9 Depth=1
	v_lshlrev_b64 v[0:1], 3, v[32:33]
	v_mov_b32_e32 v2, s37
	v_add_co_u32_e64 v0, s[4:5], s36, v0
	v_addc_co_u32_e64 v1, s[4:5], v2, v1, s[4:5]
	global_load_dwordx2 v[1:2], v[0:1], off
.LBB108_11:                             ;   in Loop: Header=BB108_9 Depth=1
	s_or_b64 exec, exec, s[6:7]
	v_add_co_u32_e64 v28, s[4:5], s33, v32
	v_addc_co_u32_e64 v29, s[4:5], 0, v33, s[4:5]
	v_cmp_gt_u64_e64 s[28:29], s[42:43], v[28:29]
	v_mov_b32_e32 v21, 0
	v_mov_b32_e32 v25, 0
	;; [unrolled: 1-line block ×3, first 2 shown]
	s_and_saveexec_b64 s[6:7], s[28:29]
	s_cbranch_execz .LBB108_13
; %bb.12:                               ;   in Loop: Header=BB108_9 Depth=1
	v_lshlrev_b64 v[3:4], 3, v[28:29]
	v_mov_b32_e32 v0, s37
	v_add_co_u32_e64 v3, s[4:5], s36, v3
	v_addc_co_u32_e64 v4, s[4:5], v0, v4, s[4:5]
	global_load_dwordx2 v[24:25], v[3:4], off
.LBB108_13:                             ;   in Loop: Header=BB108_9 Depth=1
	s_or_b64 exec, exec, s[6:7]
	v_add_co_u32_e64 v30, s[4:5], s48, v32
	v_addc_co_u32_e64 v31, s[4:5], 0, v33, s[4:5]
	v_cmp_gt_u64_e64 s[34:35], s[42:43], v[30:31]
	v_mov_b32_e32 v20, 0
	s_and_saveexec_b64 s[6:7], s[34:35]
	s_cbranch_execz .LBB108_15
; %bb.14:                               ;   in Loop: Header=BB108_9 Depth=1
	v_lshlrev_b64 v[3:4], 3, v[30:31]
	v_mov_b32_e32 v0, s37
	v_add_co_u32_e64 v3, s[4:5], s36, v3
	v_addc_co_u32_e64 v4, s[4:5], v0, v4, s[4:5]
	global_load_dwordx2 v[20:21], v[3:4], off
.LBB108_15:                             ;   in Loop: Header=BB108_9 Depth=1
	s_or_b64 exec, exec, s[6:7]
	v_add_co_u32_e64 v26, s[4:5], s49, v32
	v_addc_co_u32_e64 v27, s[4:5], 0, v33, s[4:5]
	v_cmp_gt_u64_e64 s[26:27], s[42:43], v[26:27]
	v_mov_b32_e32 v23, 0
	v_mov_b32_e32 v22, 0
	s_and_saveexec_b64 s[6:7], s[26:27]
	s_cbranch_execnz .LBB108_20
; %bb.16:                               ;   in Loop: Header=BB108_9 Depth=1
	s_or_b64 exec, exec, s[6:7]
	s_and_saveexec_b64 s[46:47], vcc
	s_cbranch_execnz .LBB108_21
.LBB108_17:                             ;   in Loop: Header=BB108_9 Depth=1
	s_or_b64 exec, exec, s[46:47]
	s_and_saveexec_b64 s[46:47], s[28:29]
	s_cbranch_execnz .LBB108_22
.LBB108_18:                             ;   in Loop: Header=BB108_9 Depth=1
	s_or_b64 exec, exec, s[46:47]
	s_and_saveexec_b64 s[28:29], s[34:35]
	s_cbranch_execnz .LBB108_23
.LBB108_19:                             ;   in Loop: Header=BB108_9 Depth=1
	s_or_b64 exec, exec, s[28:29]
	s_and_saveexec_b64 s[28:29], s[26:27]
	s_cbranch_execz .LBB108_8
	s_branch .LBB108_24
.LBB108_20:                             ;   in Loop: Header=BB108_9 Depth=1
	v_lshlrev_b64 v[3:4], 3, v[26:27]
	v_mov_b32_e32 v0, s37
	v_add_co_u32_e64 v3, s[4:5], s36, v3
	v_addc_co_u32_e64 v4, s[4:5], v0, v4, s[4:5]
	global_load_dwordx2 v[22:23], v[3:4], off
	s_or_b64 exec, exec, s[6:7]
	s_and_saveexec_b64 s[46:47], vcc
	s_cbranch_execz .LBB108_17
.LBB108_21:                             ;   in Loop: Header=BB108_9 Depth=1
	s_waitcnt vmcnt(0)
	v_xor_b32_e32 v0, 0x80000000, v2
	s_getpc_b64 s[4:5]
	s_add_u32 s4, s4, _ZN6thrust23THRUST_200600_302600_NS6detail7complex6csinhfERKNS0_7complexIfEE@rel32@lo+4
	s_addc_u32 s5, s5, _ZN6thrust23THRUST_200600_302600_NS6detail7complex6csinhfERKNS0_7complexIfEE@rel32@hi+12
	s_swappc_b64 s[30:31], s[4:5]
	v_lshlrev_b64 v[3:4], 3, v[32:33]
	v_xor_b32_e32 v2, 0x80000000, v0
	v_mov_b32_e32 v0, s39
	v_add_co_u32_e32 v3, vcc, s38, v3
	v_addc_co_u32_e32 v4, vcc, v0, v4, vcc
	global_store_dwordx2 v[3:4], v[1:2], off
	s_or_b64 exec, exec, s[46:47]
	s_and_saveexec_b64 s[46:47], s[28:29]
	s_cbranch_execz .LBB108_18
.LBB108_22:                             ;   in Loop: Header=BB108_9 Depth=1
	s_waitcnt vmcnt(0)
	v_xor_b32_e32 v0, 0x80000000, v25
	s_getpc_b64 s[4:5]
	s_add_u32 s4, s4, _ZN6thrust23THRUST_200600_302600_NS6detail7complex6csinhfERKNS0_7complexIfEE@rel32@lo+4
	s_addc_u32 s5, s5, _ZN6thrust23THRUST_200600_302600_NS6detail7complex6csinhfERKNS0_7complexIfEE@rel32@hi+12
	v_mov_b32_e32 v1, v24
	s_swappc_b64 s[30:31], s[4:5]
	v_lshlrev_b64 v[3:4], 3, v[28:29]
	v_xor_b32_e32 v2, 0x80000000, v0
	v_mov_b32_e32 v0, s39
	v_add_co_u32_e32 v3, vcc, s38, v3
	v_addc_co_u32_e32 v4, vcc, v0, v4, vcc
	global_store_dwordx2 v[3:4], v[1:2], off
	s_or_b64 exec, exec, s[46:47]
	s_and_saveexec_b64 s[28:29], s[34:35]
	s_cbranch_execz .LBB108_19
.LBB108_23:                             ;   in Loop: Header=BB108_9 Depth=1
	s_waitcnt vmcnt(0)
	v_xor_b32_e32 v0, 0x80000000, v21
	s_getpc_b64 s[4:5]
	s_add_u32 s4, s4, _ZN6thrust23THRUST_200600_302600_NS6detail7complex6csinhfERKNS0_7complexIfEE@rel32@lo+4
	s_addc_u32 s5, s5, _ZN6thrust23THRUST_200600_302600_NS6detail7complex6csinhfERKNS0_7complexIfEE@rel32@hi+12
	v_mov_b32_e32 v1, v20
	s_swappc_b64 s[30:31], s[4:5]
	v_lshlrev_b64 v[3:4], 3, v[30:31]
	v_xor_b32_e32 v2, 0x80000000, v0
	v_mov_b32_e32 v0, s39
	v_add_co_u32_e32 v3, vcc, s38, v3
	v_addc_co_u32_e32 v4, vcc, v0, v4, vcc
	global_store_dwordx2 v[3:4], v[1:2], off
	s_or_b64 exec, exec, s[28:29]
	s_and_saveexec_b64 s[28:29], s[26:27]
	s_cbranch_execz .LBB108_8
.LBB108_24:                             ;   in Loop: Header=BB108_9 Depth=1
	s_waitcnt vmcnt(0)
	v_xor_b32_e32 v0, 0x80000000, v23
	s_getpc_b64 s[4:5]
	s_add_u32 s4, s4, _ZN6thrust23THRUST_200600_302600_NS6detail7complex6csinhfERKNS0_7complexIfEE@rel32@lo+4
	s_addc_u32 s5, s5, _ZN6thrust23THRUST_200600_302600_NS6detail7complex6csinhfERKNS0_7complexIfEE@rel32@hi+12
	v_mov_b32_e32 v1, v22
	s_swappc_b64 s[30:31], s[4:5]
	v_lshlrev_b64 v[3:4], 3, v[26:27]
	v_xor_b32_e32 v2, 0x80000000, v0
	v_mov_b32_e32 v0, s39
	v_add_co_u32_e32 v3, vcc, s38, v3
	v_addc_co_u32_e32 v4, vcc, v0, v4, vcc
	global_store_dwordx2 v[3:4], v[1:2], off
	s_branch .LBB108_8
.LBB108_25:
	s_endpgm
	.section	.rodata,"a",@progbits
	.p2align	6, 0x0
	.amdhsa_kernel _ZN2at6native12_GLOBAL__N_125multi_tensor_apply_kernelINS1_18TensorListMetadataILi2EEENS1_14UnaryOpFunctorIN3c107complexIfEELi2ELi1ELi1EEEJNS0_3SinIS8_EEEEEvT_T0_DpT1_
		.amdhsa_group_segment_fixed_size 0
		.amdhsa_private_segment_fixed_size 0
		.amdhsa_kernarg_size 3408
		.amdhsa_user_sgpr_count 6
		.amdhsa_user_sgpr_private_segment_buffer 1
		.amdhsa_user_sgpr_dispatch_ptr 0
		.amdhsa_user_sgpr_queue_ptr 0
		.amdhsa_user_sgpr_kernarg_segment_ptr 1
		.amdhsa_user_sgpr_dispatch_id 0
		.amdhsa_user_sgpr_flat_scratch_init 0
		.amdhsa_user_sgpr_private_segment_size 0
		.amdhsa_uses_dynamic_stack 0
		.amdhsa_system_sgpr_private_segment_wavefront_offset 0
		.amdhsa_system_sgpr_workgroup_id_x 1
		.amdhsa_system_sgpr_workgroup_id_y 0
		.amdhsa_system_sgpr_workgroup_id_z 0
		.amdhsa_system_sgpr_workgroup_info 0
		.amdhsa_system_vgpr_workitem_id 0
		.amdhsa_next_free_vgpr 34
		.amdhsa_next_free_sgpr 52
		.amdhsa_reserve_vcc 1
		.amdhsa_reserve_flat_scratch 0
		.amdhsa_float_round_mode_32 0
		.amdhsa_float_round_mode_16_64 0
		.amdhsa_float_denorm_mode_32 3
		.amdhsa_float_denorm_mode_16_64 3
		.amdhsa_dx10_clamp 1
		.amdhsa_ieee_mode 1
		.amdhsa_fp16_overflow 0
		.amdhsa_exception_fp_ieee_invalid_op 0
		.amdhsa_exception_fp_denorm_src 0
		.amdhsa_exception_fp_ieee_div_zero 0
		.amdhsa_exception_fp_ieee_overflow 0
		.amdhsa_exception_fp_ieee_underflow 0
		.amdhsa_exception_fp_ieee_inexact 0
		.amdhsa_exception_int_div_zero 0
	.end_amdhsa_kernel
	.section	.text._ZN2at6native12_GLOBAL__N_125multi_tensor_apply_kernelINS1_18TensorListMetadataILi2EEENS1_14UnaryOpFunctorIN3c107complexIfEELi2ELi1ELi1EEEJNS0_3SinIS8_EEEEEvT_T0_DpT1_,"axG",@progbits,_ZN2at6native12_GLOBAL__N_125multi_tensor_apply_kernelINS1_18TensorListMetadataILi2EEENS1_14UnaryOpFunctorIN3c107complexIfEELi2ELi1ELi1EEEJNS0_3SinIS8_EEEEEvT_T0_DpT1_,comdat
.Lfunc_end108:
	.size	_ZN2at6native12_GLOBAL__N_125multi_tensor_apply_kernelINS1_18TensorListMetadataILi2EEENS1_14UnaryOpFunctorIN3c107complexIfEELi2ELi1ELi1EEEJNS0_3SinIS8_EEEEEvT_T0_DpT1_, .Lfunc_end108-_ZN2at6native12_GLOBAL__N_125multi_tensor_apply_kernelINS1_18TensorListMetadataILi2EEENS1_14UnaryOpFunctorIN3c107complexIfEELi2ELi1ELi1EEEJNS0_3SinIS8_EEEEEvT_T0_DpT1_
                                        ; -- End function
	.set _ZN2at6native12_GLOBAL__N_125multi_tensor_apply_kernelINS1_18TensorListMetadataILi2EEENS1_14UnaryOpFunctorIN3c107complexIfEELi2ELi1ELi1EEEJNS0_3SinIS8_EEEEEvT_T0_DpT1_.num_vgpr, max(34, .L_ZN6thrust23THRUST_200600_302600_NS6detail7complex6csinhfERKNS0_7complexIfEE.num_vgpr)
	.set _ZN2at6native12_GLOBAL__N_125multi_tensor_apply_kernelINS1_18TensorListMetadataILi2EEENS1_14UnaryOpFunctorIN3c107complexIfEELi2ELi1ELi1EEEJNS0_3SinIS8_EEEEEvT_T0_DpT1_.num_agpr, max(0, .L_ZN6thrust23THRUST_200600_302600_NS6detail7complex6csinhfERKNS0_7complexIfEE.num_agpr)
	.set _ZN2at6native12_GLOBAL__N_125multi_tensor_apply_kernelINS1_18TensorListMetadataILi2EEENS1_14UnaryOpFunctorIN3c107complexIfEELi2ELi1ELi1EEEJNS0_3SinIS8_EEEEEvT_T0_DpT1_.numbered_sgpr, max(52, .L_ZN6thrust23THRUST_200600_302600_NS6detail7complex6csinhfERKNS0_7complexIfEE.numbered_sgpr)
	.set _ZN2at6native12_GLOBAL__N_125multi_tensor_apply_kernelINS1_18TensorListMetadataILi2EEENS1_14UnaryOpFunctorIN3c107complexIfEELi2ELi1ELi1EEEJNS0_3SinIS8_EEEEEvT_T0_DpT1_.num_named_barrier, max(0, .L_ZN6thrust23THRUST_200600_302600_NS6detail7complex6csinhfERKNS0_7complexIfEE.num_named_barrier)
	.set _ZN2at6native12_GLOBAL__N_125multi_tensor_apply_kernelINS1_18TensorListMetadataILi2EEENS1_14UnaryOpFunctorIN3c107complexIfEELi2ELi1ELi1EEEJNS0_3SinIS8_EEEEEvT_T0_DpT1_.private_seg_size, 0+max(.L_ZN6thrust23THRUST_200600_302600_NS6detail7complex6csinhfERKNS0_7complexIfEE.private_seg_size)
	.set _ZN2at6native12_GLOBAL__N_125multi_tensor_apply_kernelINS1_18TensorListMetadataILi2EEENS1_14UnaryOpFunctorIN3c107complexIfEELi2ELi1ELi1EEEJNS0_3SinIS8_EEEEEvT_T0_DpT1_.uses_vcc, or(1, .L_ZN6thrust23THRUST_200600_302600_NS6detail7complex6csinhfERKNS0_7complexIfEE.uses_vcc)
	.set _ZN2at6native12_GLOBAL__N_125multi_tensor_apply_kernelINS1_18TensorListMetadataILi2EEENS1_14UnaryOpFunctorIN3c107complexIfEELi2ELi1ELi1EEEJNS0_3SinIS8_EEEEEvT_T0_DpT1_.uses_flat_scratch, or(0, .L_ZN6thrust23THRUST_200600_302600_NS6detail7complex6csinhfERKNS0_7complexIfEE.uses_flat_scratch)
	.set _ZN2at6native12_GLOBAL__N_125multi_tensor_apply_kernelINS1_18TensorListMetadataILi2EEENS1_14UnaryOpFunctorIN3c107complexIfEELi2ELi1ELi1EEEJNS0_3SinIS8_EEEEEvT_T0_DpT1_.has_dyn_sized_stack, or(0, .L_ZN6thrust23THRUST_200600_302600_NS6detail7complex6csinhfERKNS0_7complexIfEE.has_dyn_sized_stack)
	.set _ZN2at6native12_GLOBAL__N_125multi_tensor_apply_kernelINS1_18TensorListMetadataILi2EEENS1_14UnaryOpFunctorIN3c107complexIfEELi2ELi1ELi1EEEJNS0_3SinIS8_EEEEEvT_T0_DpT1_.has_recursion, or(0, .L_ZN6thrust23THRUST_200600_302600_NS6detail7complex6csinhfERKNS0_7complexIfEE.has_recursion)
	.set _ZN2at6native12_GLOBAL__N_125multi_tensor_apply_kernelINS1_18TensorListMetadataILi2EEENS1_14UnaryOpFunctorIN3c107complexIfEELi2ELi1ELi1EEEJNS0_3SinIS8_EEEEEvT_T0_DpT1_.has_indirect_call, or(0, .L_ZN6thrust23THRUST_200600_302600_NS6detail7complex6csinhfERKNS0_7complexIfEE.has_indirect_call)
	.section	.AMDGPU.csdata,"",@progbits
; Kernel info:
; codeLenInByte = 1412
; TotalNumSgprs: 56
; NumVgprs: 34
; ScratchSize: 0
; MemoryBound: 0
; FloatMode: 240
; IeeeMode: 1
; LDSByteSize: 0 bytes/workgroup (compile time only)
; SGPRBlocks: 6
; VGPRBlocks: 8
; NumSGPRsForWavesPerEU: 56
; NumVGPRsForWavesPerEU: 34
; Occupancy: 7
; WaveLimiterHint : 0
; COMPUTE_PGM_RSRC2:SCRATCH_EN: 0
; COMPUTE_PGM_RSRC2:USER_SGPR: 6
; COMPUTE_PGM_RSRC2:TRAP_HANDLER: 0
; COMPUTE_PGM_RSRC2:TGID_X_EN: 1
; COMPUTE_PGM_RSRC2:TGID_Y_EN: 0
; COMPUTE_PGM_RSRC2:TGID_Z_EN: 0
; COMPUTE_PGM_RSRC2:TIDIG_COMP_CNT: 0
	.section	.text._ZN2at6native12_GLOBAL__N_125multi_tensor_apply_kernelINS1_18TensorListMetadataILi2EEENS1_14UnaryOpFunctorIN3c104HalfELi2ELi1ELi1EEEJNS0_3SinIfEEEEEvT_T0_DpT1_,"axG",@progbits,_ZN2at6native12_GLOBAL__N_125multi_tensor_apply_kernelINS1_18TensorListMetadataILi2EEENS1_14UnaryOpFunctorIN3c104HalfELi2ELi1ELi1EEEJNS0_3SinIfEEEEEvT_T0_DpT1_,comdat
	.globl	_ZN2at6native12_GLOBAL__N_125multi_tensor_apply_kernelINS1_18TensorListMetadataILi2EEENS1_14UnaryOpFunctorIN3c104HalfELi2ELi1ELi1EEEJNS0_3SinIfEEEEEvT_T0_DpT1_ ; -- Begin function _ZN2at6native12_GLOBAL__N_125multi_tensor_apply_kernelINS1_18TensorListMetadataILi2EEENS1_14UnaryOpFunctorIN3c104HalfELi2ELi1ELi1EEEJNS0_3SinIfEEEEEvT_T0_DpT1_
	.p2align	8
	.type	_ZN2at6native12_GLOBAL__N_125multi_tensor_apply_kernelINS1_18TensorListMetadataILi2EEENS1_14UnaryOpFunctorIN3c104HalfELi2ELi1ELi1EEEJNS0_3SinIfEEEEEvT_T0_DpT1_,@function
_ZN2at6native12_GLOBAL__N_125multi_tensor_apply_kernelINS1_18TensorListMetadataILi2EEENS1_14UnaryOpFunctorIN3c104HalfELi2ELi1ELi1EEEJNS0_3SinIfEEEEEvT_T0_DpT1_: ; @_ZN2at6native12_GLOBAL__N_125multi_tensor_apply_kernelINS1_18TensorListMetadataILi2EEENS1_14UnaryOpFunctorIN3c104HalfELi2ELi1ELi1EEEJNS0_3SinIfEEEEEvT_T0_DpT1_
; %bb.0:
	v_mov_b32_e32 v1, s6
	global_load_ubyte v1, v1, s[4:5] offset:1536
	s_add_u32 s0, s4, s6
	s_mul_hi_u32 s2, s6, 3
	s_mul_i32 s6, s6, 3
	s_addc_u32 s7, s5, 0
	s_add_u32 s6, s0, s6
	s_addc_u32 s7, s7, s2
	s_load_dword s6, s[6:7], 0x740
	s_mov_b32 s1, 0
	s_mov_b32 s3, s1
	s_waitcnt lgkmcnt(0)
	s_ashr_i32 s7, s6, 31
	s_lshl_b64 s[14:15], s[6:7], 17
	s_lshl_b64 s[6:7], s[6:7], 16
	s_waitcnt vmcnt(0)
	v_readfirstlane_b32 s0, v1
	s_lshl_b32 s0, s0, 3
	s_load_dwordx2 s[16:17], s[4:5], s0 offset:0x400
	s_load_dwordx2 s[10:11], s[4:5], s0 offset:0x0
	;; [unrolled: 1-line block ×3, first 2 shown]
	s_waitcnt lgkmcnt(0)
	s_add_u32 s0, s10, s14
	s_and_b32 s2, s8, 7
	s_and_b32 s0, s0, 7
	s_sub_u32 s12, s16, s6
	s_subb_u32 s13, s17, s7
	s_and_b32 s6, s16, 3
	s_mov_b32 s7, s1
	s_or_b64 s[2:3], s[2:3], s[6:7]
	s_or_b64 s[0:1], s[2:3], s[0:1]
	s_cmp_eq_u64 s[0:1], 0
	s_mov_b64 s[0:1], -1
	s_cbranch_scc0 .LBB109_21
; %bb.1:
	v_mov_b32_e32 v1, 0x10000
	v_mov_b32_e32 v2, 0
	v_cmp_lt_i64_e32 vcc, s[12:13], v[1:2]
	v_mov_b32_e32 v2, 0
	s_and_b64 s[0:1], vcc, exec
	s_cselect_b32 s17, s13, 0
	s_cselect_b32 s16, s12, 0x10000
	v_lshlrev_b32_e32 v1, 2, v0
	v_cmp_gt_i64_e32 vcc, s[16:17], v[1:2]
	s_and_saveexec_b64 s[18:19], vcc
	s_cbranch_execz .LBB109_20
; %bb.2:
	s_load_dword s0, s[4:5], 0xc5c
	v_lshlrev_b32_e32 v3, 3, v0
	v_mov_b32_e32 v1, v2
	v_mov_b32_e32 v4, s15
	v_add_co_u32_e32 v7, vcc, s14, v3
	s_waitcnt lgkmcnt(0)
	s_and_b32 s24, s0, 0xffff
	v_addc_co_u32_e32 v8, vcc, 0, v4, vcc
	v_mov_b32_e32 v4, v1
	s_lshl_b32 s25, s24, 3
	s_mov_b64 s[20:21], 0
	v_mov_b32_e32 v9, s11
	s_brev_b32 s26, 18
	s_mov_b32 s27, 0xfe5163ab
	s_mov_b32 s28, 0x3c439041
	;; [unrolled: 1-line block ×10, first 2 shown]
	v_mov_b32_e32 v10, 0xbe2aaa9d
	v_mov_b32_e32 v11, 0x3d2aabf7
	;; [unrolled: 1-line block ×3, first 2 shown]
	s_movk_i32 s38, 0x1f8
	v_not_b32_e32 v13, 63
	v_not_b32_e32 v14, 31
	v_mov_b32_e32 v15, 0x7fc00000
	v_mov_b32_e32 v3, v0
	s_branch .LBB109_4
.LBB109_3:                              ;   in Loop: Header=BB109_4 Depth=1
	s_or_b64 exec, exec, s[0:1]
	v_mul_f32_e32 v29, v27, v27
	v_mov_b32_e32 v30, 0x3c0881c4
	v_fmac_f32_e32 v30, 0xb94c1982, v29
	v_fma_f32 v30, v29, v30, v10
	v_mul_f32_e32 v30, v29, v30
	v_fmac_f32_e32 v27, v27, v30
	v_mov_b32_e32 v30, 0xbab64f3b
	v_fmac_f32_e32 v30, 0x37d75334, v29
	v_fma_f32 v30, v29, v30, v11
	v_fma_f32 v30, v29, v30, v12
	v_fma_f32 v29, v29, v30, 1.0
	v_and_b32_e32 v30, 1, v26
	v_lshlrev_b32_e32 v26, 30, v26
	v_cmp_eq_u32_e32 vcc, 0, v30
	v_and_b32_e32 v26, 0x80000000, v26
	v_xor_b32_e32 v24, v24, v23
	v_cndmask_b32_e32 v27, v29, v27, vcc
	v_xor_b32_e32 v24, v24, v26
	v_xor_b32_e32 v24, v24, v27
	v_cmp_class_f32_e64 vcc, v23, s38
	v_cndmask_b32_e32 v23, v15, v24, vcc
	v_mul_f32_e32 v24, v22, v22
	v_mov_b32_e32 v26, 0x3c0881c4
	v_fmac_f32_e32 v26, 0xb94c1982, v24
	v_fma_f32 v26, v24, v26, v10
	v_mul_f32_e32 v26, v24, v26
	v_fmac_f32_e32 v22, v22, v26
	v_mov_b32_e32 v26, 0xbab64f3b
	v_fmac_f32_e32 v26, 0x37d75334, v24
	v_fma_f32 v26, v24, v26, v11
	v_fma_f32 v26, v24, v26, v12
	v_fma_f32 v24, v24, v26, 1.0
	v_and_b32_e32 v26, 1, v21
	v_lshlrev_b32_e32 v21, 30, v21
	v_cmp_eq_u32_e32 vcc, 0, v26
	v_and_b32_e32 v21, 0x80000000, v21
	v_xor_b32_e32 v20, v20, v5
	v_cndmask_b32_e32 v22, v24, v22, vcc
	v_xor_b32_e32 v20, v20, v21
	v_xor_b32_e32 v20, v20, v22
	v_cmp_class_f32_e64 vcc, v5, s38
	v_cndmask_b32_e32 v5, v15, v20, vcc
	v_cvt_f16_f32_e32 v20, v5
	v_mul_f32_e32 v5, v19, v19
	v_mov_b32_e32 v21, 0x3c0881c4
	v_fmac_f32_e32 v21, 0xb94c1982, v5
	v_fma_f32 v21, v5, v21, v10
	v_mul_f32_e32 v21, v5, v21
	v_fmac_f32_e32 v19, v19, v21
	v_mov_b32_e32 v21, 0xbab64f3b
	v_fmac_f32_e32 v21, 0x37d75334, v5
	v_fma_f32 v21, v5, v21, v11
	v_fma_f32 v21, v5, v21, v12
	v_fma_f32 v5, v5, v21, 1.0
	v_and_b32_e32 v21, 1, v18
	v_lshlrev_b32_e32 v18, 30, v18
	v_cmp_eq_u32_e32 vcc, 0, v21
	v_and_b32_e32 v18, 0x80000000, v18
	v_xor_b32_e32 v17, v17, v16
	v_cndmask_b32_e32 v5, v5, v19, vcc
	v_xor_b32_e32 v17, v17, v18
	v_xor_b32_e32 v5, v17, v5
	v_cmp_class_f32_e64 vcc, v16, s38
	v_cndmask_b32_e32 v5, v15, v5, vcc
	v_cvt_f16_f32_e32 v16, v5
	v_mul_f32_e32 v5, v28, v28
	v_mov_b32_e32 v17, 0x3c0881c4
	v_fmac_f32_e32 v17, 0xb94c1982, v5
	v_fma_f32 v17, v5, v17, v10
	v_mul_f32_e32 v17, v5, v17
	v_fmac_f32_e32 v28, v28, v17
	v_mov_b32_e32 v17, 0xbab64f3b
	v_fmac_f32_e32 v17, 0x37d75334, v5
	v_fma_f32 v17, v5, v17, v11
	v_fma_f32 v17, v5, v17, v12
	v_fma_f32 v5, v5, v17, 1.0
	v_and_b32_e32 v17, 1, v1
	v_lshlrev_b32_e32 v1, 30, v1
	v_cmp_eq_u32_e32 vcc, 0, v17
	v_and_b32_e32 v1, 0x80000000, v1
	v_xor_b32_e32 v17, v25, v6
	v_cndmask_b32_e32 v5, v5, v28, vcc
	v_xor_b32_e32 v1, v17, v1
	v_xor_b32_e32 v1, v1, v5
	v_cmp_class_f32_e64 vcc, v6, s38
	v_cndmask_b32_e32 v1, v15, v1, vcc
	v_mov_b32_e32 v6, s9
	v_add_co_u32_e32 v5, vcc, s8, v7
	v_addc_co_u32_e32 v6, vcc, v6, v8, vcc
	v_add_co_u32_e32 v3, vcc, s24, v3
	v_addc_co_u32_e32 v4, vcc, 0, v4, vcc
	v_lshlrev_b64 v[18:19], 2, v[3:4]
	v_cvt_f16_f32_e32 v23, v23
	v_cvt_f16_f32_e32 v1, v1
	v_cmp_le_i64_e32 vcc, s[16:17], v[18:19]
	v_pack_b32_f16 v16, v16, v20
	s_or_b64 s[20:21], vcc, s[20:21]
	v_add_co_u32_e32 v7, vcc, s25, v7
	v_pack_b32_f16 v17, v23, v1
	v_addc_co_u32_e32 v8, vcc, 0, v8, vcc
	global_store_dwordx2 v[5:6], v[16:17], off
	s_andn2_b64 exec, exec, s[20:21]
	s_cbranch_execz .LBB109_20
.LBB109_4:                              ; =>This Inner Loop Header: Depth=1
	v_add_co_u32_e32 v5, vcc, s10, v7
	v_addc_co_u32_e32 v6, vcc, v9, v8, vcc
	global_load_dwordx2 v[5:6], v[5:6], off
                                        ; implicit-def: $vgpr18
                                        ; implicit-def: $vgpr19
	s_waitcnt vmcnt(0)
	v_cvt_f32_f16_e32 v16, v5
	v_and_b32_e32 v17, 0x7fffffff, v16
	v_cmp_nlt_f32_e64 s[0:1], |v16|, s26
	s_and_saveexec_b64 s[2:3], s[0:1]
	s_xor_b64 s[22:23], exec, s[2:3]
	s_cbranch_execz .LBB109_6
; %bb.5:                                ;   in Loop: Header=BB109_4 Depth=1
	v_and_b32_e32 v1, 0x7fffff, v17
	v_or_b32_e32 v25, 0x800000, v1
	v_mad_u64_u32 v[18:19], s[0:1], v25, s27, 0
	v_mov_b32_e32 v1, v19
	v_mad_u64_u32 v[19:20], s[0:1], v25, s28, v[1:2]
	v_mov_b32_e32 v1, v20
	;; [unrolled: 2-line block ×3, first 2 shown]
	v_mad_u64_u32 v[21:22], s[0:1], v25, s30, v[1:2]
	v_lshrrev_b32_e32 v1, 23, v17
	v_add_u32_e32 v24, 0xffffff88, v1
	v_mov_b32_e32 v1, v22
	v_mad_u64_u32 v[22:23], s[0:1], v25, s31, v[1:2]
	v_cmp_lt_u32_e32 vcc, 63, v24
	v_cndmask_b32_e32 v1, 0, v13, vcc
	v_add_u32_e32 v26, v1, v24
	v_mov_b32_e32 v1, v23
	v_mad_u64_u32 v[23:24], s[0:1], v25, s33, v[1:2]
	v_cmp_lt_u32_e64 s[0:1], 31, v26
	v_cndmask_b32_e64 v1, 0, v14, s[0:1]
	v_add_u32_e32 v26, v1, v26
	v_mov_b32_e32 v1, v24
	v_mad_u64_u32 v[24:25], s[2:3], v25, s34, v[1:2]
	v_cmp_lt_u32_e64 s[2:3], 31, v26
	v_cndmask_b32_e64 v1, 0, v14, s[2:3]
	v_add_u32_e32 v1, v1, v26
	v_cndmask_b32_e32 v26, v23, v21, vcc
	v_cndmask_b32_e32 v24, v24, v22, vcc
	v_cndmask_b32_e32 v23, v25, v23, vcc
	v_cndmask_b32_e32 v22, v22, v20, vcc
	v_cndmask_b32_e64 v25, v24, v26, s[0:1]
	v_cndmask_b32_e64 v23, v23, v24, s[0:1]
	;; [unrolled: 1-line block ×3, first 2 shown]
	v_cndmask_b32_e32 v19, v21, v19, vcc
	v_cndmask_b32_e64 v23, v23, v25, s[2:3]
	v_cndmask_b32_e64 v25, v25, v24, s[2:3]
	v_sub_u32_e32 v26, 32, v1
	v_cndmask_b32_e64 v21, v22, v19, s[0:1]
	v_alignbit_b32 v27, v23, v25, v26
	v_cmp_eq_u32_e64 s[6:7], 0, v1
	v_cndmask_b32_e64 v22, v24, v21, s[2:3]
	v_cndmask_b32_e64 v1, v27, v23, s[6:7]
	v_alignbit_b32 v23, v25, v22, v26
	v_cndmask_b32_e32 v18, v20, v18, vcc
	v_cndmask_b32_e64 v23, v23, v25, s[6:7]
	v_bfe_u32 v27, v1, 29, 1
	v_cndmask_b32_e64 v18, v19, v18, s[0:1]
	v_alignbit_b32 v24, v1, v23, 30
	v_sub_u32_e32 v28, 0, v27
	v_cndmask_b32_e64 v18, v21, v18, s[2:3]
	v_xor_b32_e32 v24, v24, v28
	v_alignbit_b32 v19, v22, v18, v26
	v_cndmask_b32_e64 v19, v19, v22, s[6:7]
	v_ffbh_u32_e32 v21, v24
	v_alignbit_b32 v20, v23, v19, 30
	v_min_u32_e32 v21, 32, v21
	v_alignbit_b32 v18, v19, v18, 30
	v_xor_b32_e32 v20, v20, v28
	v_sub_u32_e32 v22, 31, v21
	v_xor_b32_e32 v18, v18, v28
	v_alignbit_b32 v23, v24, v20, v22
	v_alignbit_b32 v18, v20, v18, v22
	v_alignbit_b32 v19, v23, v18, 9
	v_ffbh_u32_e32 v20, v19
	v_min_u32_e32 v20, 32, v20
	v_lshrrev_b32_e32 v25, 29, v1
	v_not_b32_e32 v22, v20
	v_alignbit_b32 v18, v19, v18, v22
	v_lshlrev_b32_e32 v19, 31, v25
	v_or_b32_e32 v22, 0x33000000, v19
	v_add_lshl_u32 v20, v20, v21, 23
	v_lshrrev_b32_e32 v18, 9, v18
	v_sub_u32_e32 v20, v22, v20
	v_or_b32_e32 v19, 0.5, v19
	v_lshlrev_b32_e32 v21, 23, v21
	v_or_b32_e32 v18, v20, v18
	v_lshrrev_b32_e32 v20, 9, v23
	v_sub_u32_e32 v19, v19, v21
	v_or_b32_e32 v19, v20, v19
	v_mul_f32_e32 v20, 0x3fc90fda, v19
	v_fma_f32 v21, v19, s35, -v20
	v_fmac_f32_e32 v21, 0x33a22168, v19
	v_fmac_f32_e32 v21, 0x3fc90fda, v18
	v_lshrrev_b32_e32 v1, 30, v1
	v_add_f32_e32 v19, v20, v21
	v_add_u32_e32 v18, v27, v1
.LBB109_6:                              ;   in Loop: Header=BB109_4 Depth=1
	s_andn2_saveexec_b64 s[0:1], s[22:23]
; %bb.7:                                ;   in Loop: Header=BB109_4 Depth=1
	v_mul_f32_e64 v1, |v16|, s36
	v_rndne_f32_e32 v1, v1
	v_cvt_i32_f32_e32 v18, v1
	v_fma_f32 v19, v1, s37, |v16|
	v_fmac_f32_e32 v19, 0xb3a22168, v1
	v_fmac_f32_e32 v19, 0xa7c234c4, v1
; %bb.8:                                ;   in Loop: Header=BB109_4 Depth=1
	s_or_b64 exec, exec, s[0:1]
	v_cvt_f32_f16_sdwa v5, v5 dst_sel:DWORD dst_unused:UNUSED_PAD src0_sel:WORD_1
                                        ; implicit-def: $vgpr21
                                        ; implicit-def: $vgpr22
	v_and_b32_e32 v20, 0x7fffffff, v5
	v_cmp_nlt_f32_e64 s[0:1], |v5|, s26
	s_and_saveexec_b64 s[2:3], s[0:1]
	s_xor_b64 s[22:23], exec, s[2:3]
	s_cbranch_execz .LBB109_10
; %bb.9:                                ;   in Loop: Header=BB109_4 Depth=1
	v_and_b32_e32 v1, 0x7fffff, v20
	v_or_b32_e32 v28, 0x800000, v1
	v_mad_u64_u32 v[21:22], s[0:1], v28, s27, 0
	v_mov_b32_e32 v1, v22
	v_mad_u64_u32 v[22:23], s[0:1], v28, s28, v[1:2]
	v_mov_b32_e32 v1, v23
	;; [unrolled: 2-line block ×3, first 2 shown]
	v_mad_u64_u32 v[24:25], s[0:1], v28, s30, v[1:2]
	v_lshrrev_b32_e32 v1, 23, v20
	v_add_u32_e32 v27, 0xffffff88, v1
	v_mov_b32_e32 v1, v25
	v_mad_u64_u32 v[25:26], s[0:1], v28, s31, v[1:2]
	v_cmp_lt_u32_e32 vcc, 63, v27
	v_cndmask_b32_e32 v1, 0, v13, vcc
	v_add_u32_e32 v29, v1, v27
	v_mov_b32_e32 v1, v26
	v_mad_u64_u32 v[26:27], s[0:1], v28, s33, v[1:2]
	v_cmp_lt_u32_e64 s[0:1], 31, v29
	v_cndmask_b32_e64 v1, 0, v14, s[0:1]
	v_add_u32_e32 v29, v1, v29
	v_mov_b32_e32 v1, v27
	v_mad_u64_u32 v[27:28], s[2:3], v28, s34, v[1:2]
	v_cmp_lt_u32_e64 s[2:3], 31, v29
	v_cndmask_b32_e64 v1, 0, v14, s[2:3]
	v_add_u32_e32 v1, v1, v29
	v_cndmask_b32_e32 v29, v26, v24, vcc
	v_cndmask_b32_e32 v27, v27, v25, vcc
	;; [unrolled: 1-line block ×4, first 2 shown]
	v_cndmask_b32_e64 v28, v27, v29, s[0:1]
	v_cndmask_b32_e64 v26, v26, v27, s[0:1]
	;; [unrolled: 1-line block ×3, first 2 shown]
	v_cndmask_b32_e32 v22, v24, v22, vcc
	v_cndmask_b32_e64 v26, v26, v28, s[2:3]
	v_cndmask_b32_e64 v28, v28, v27, s[2:3]
	v_sub_u32_e32 v29, 32, v1
	v_cndmask_b32_e64 v24, v25, v22, s[0:1]
	v_alignbit_b32 v30, v26, v28, v29
	v_cmp_eq_u32_e64 s[6:7], 0, v1
	v_cndmask_b32_e64 v25, v27, v24, s[2:3]
	v_cndmask_b32_e64 v1, v30, v26, s[6:7]
	v_alignbit_b32 v26, v28, v25, v29
	v_cndmask_b32_e32 v21, v23, v21, vcc
	v_cndmask_b32_e64 v26, v26, v28, s[6:7]
	v_bfe_u32 v30, v1, 29, 1
	v_cndmask_b32_e64 v21, v22, v21, s[0:1]
	v_alignbit_b32 v27, v1, v26, 30
	v_sub_u32_e32 v31, 0, v30
	v_cndmask_b32_e64 v21, v24, v21, s[2:3]
	v_xor_b32_e32 v27, v27, v31
	v_alignbit_b32 v22, v25, v21, v29
	v_cndmask_b32_e64 v22, v22, v25, s[6:7]
	v_ffbh_u32_e32 v24, v27
	v_alignbit_b32 v23, v26, v22, 30
	v_min_u32_e32 v24, 32, v24
	v_alignbit_b32 v21, v22, v21, 30
	v_xor_b32_e32 v23, v23, v31
	v_sub_u32_e32 v25, 31, v24
	v_xor_b32_e32 v21, v21, v31
	v_alignbit_b32 v26, v27, v23, v25
	v_alignbit_b32 v21, v23, v21, v25
	v_alignbit_b32 v22, v26, v21, 9
	v_ffbh_u32_e32 v23, v22
	v_min_u32_e32 v23, 32, v23
	v_lshrrev_b32_e32 v28, 29, v1
	v_not_b32_e32 v25, v23
	v_alignbit_b32 v21, v22, v21, v25
	v_lshlrev_b32_e32 v22, 31, v28
	v_or_b32_e32 v25, 0x33000000, v22
	v_add_lshl_u32 v23, v23, v24, 23
	v_lshrrev_b32_e32 v21, 9, v21
	v_sub_u32_e32 v23, v25, v23
	v_or_b32_e32 v22, 0.5, v22
	v_lshlrev_b32_e32 v24, 23, v24
	v_or_b32_e32 v21, v23, v21
	v_lshrrev_b32_e32 v23, 9, v26
	v_sub_u32_e32 v22, v22, v24
	v_or_b32_e32 v22, v23, v22
	v_mul_f32_e32 v23, 0x3fc90fda, v22
	v_fma_f32 v24, v22, s35, -v23
	v_fmac_f32_e32 v24, 0x33a22168, v22
	v_fmac_f32_e32 v24, 0x3fc90fda, v21
	v_lshrrev_b32_e32 v1, 30, v1
	v_add_f32_e32 v22, v23, v24
	v_add_u32_e32 v21, v30, v1
.LBB109_10:                             ;   in Loop: Header=BB109_4 Depth=1
	s_andn2_saveexec_b64 s[0:1], s[22:23]
; %bb.11:                               ;   in Loop: Header=BB109_4 Depth=1
	v_mul_f32_e64 v1, |v5|, s36
	v_rndne_f32_e32 v1, v1
	v_cvt_i32_f32_e32 v21, v1
	v_fma_f32 v22, v1, s37, |v5|
	v_fmac_f32_e32 v22, 0xb3a22168, v1
	v_fmac_f32_e32 v22, 0xa7c234c4, v1
; %bb.12:                               ;   in Loop: Header=BB109_4 Depth=1
	s_or_b64 exec, exec, s[0:1]
	v_cvt_f32_f16_e32 v23, v6
                                        ; implicit-def: $vgpr26
                                        ; implicit-def: $vgpr27
	v_and_b32_e32 v24, 0x7fffffff, v23
	v_cmp_nlt_f32_e64 s[0:1], |v23|, s26
	s_and_saveexec_b64 s[2:3], s[0:1]
	s_xor_b64 s[22:23], exec, s[2:3]
	s_cbranch_execz .LBB109_14
; %bb.13:                               ;   in Loop: Header=BB109_4 Depth=1
	v_and_b32_e32 v1, 0x7fffff, v24
	v_or_b32_e32 v32, 0x800000, v1
	v_mad_u64_u32 v[25:26], s[0:1], v32, s27, 0
	v_mov_b32_e32 v1, v26
	v_mad_u64_u32 v[26:27], s[0:1], v32, s28, v[1:2]
	v_mov_b32_e32 v1, v27
	;; [unrolled: 2-line block ×3, first 2 shown]
	v_mad_u64_u32 v[28:29], s[0:1], v32, s30, v[1:2]
	v_lshrrev_b32_e32 v1, 23, v24
	v_add_u32_e32 v31, 0xffffff88, v1
	v_mov_b32_e32 v1, v29
	v_mad_u64_u32 v[29:30], s[0:1], v32, s31, v[1:2]
	v_cmp_lt_u32_e32 vcc, 63, v31
	v_cndmask_b32_e32 v1, 0, v13, vcc
	v_add_u32_e32 v33, v1, v31
	v_mov_b32_e32 v1, v30
	v_mad_u64_u32 v[30:31], s[0:1], v32, s33, v[1:2]
	v_cmp_lt_u32_e64 s[0:1], 31, v33
	v_cndmask_b32_e64 v1, 0, v14, s[0:1]
	v_add_u32_e32 v33, v1, v33
	v_mov_b32_e32 v1, v31
	v_mad_u64_u32 v[31:32], s[2:3], v32, s34, v[1:2]
	v_cmp_lt_u32_e64 s[2:3], 31, v33
	v_cndmask_b32_e64 v1, 0, v14, s[2:3]
	v_add_u32_e32 v1, v1, v33
	v_cndmask_b32_e32 v33, v30, v28, vcc
	v_cndmask_b32_e32 v31, v31, v29, vcc
	;; [unrolled: 1-line block ×4, first 2 shown]
	v_cndmask_b32_e64 v32, v31, v33, s[0:1]
	v_cndmask_b32_e64 v30, v30, v31, s[0:1]
	;; [unrolled: 1-line block ×3, first 2 shown]
	v_cndmask_b32_e32 v26, v28, v26, vcc
	v_cndmask_b32_e64 v30, v30, v32, s[2:3]
	v_cndmask_b32_e64 v32, v32, v31, s[2:3]
	v_sub_u32_e32 v33, 32, v1
	v_cndmask_b32_e64 v28, v29, v26, s[0:1]
	v_alignbit_b32 v34, v30, v32, v33
	v_cmp_eq_u32_e64 s[6:7], 0, v1
	v_cndmask_b32_e64 v29, v31, v28, s[2:3]
	v_cndmask_b32_e64 v1, v34, v30, s[6:7]
	v_alignbit_b32 v30, v32, v29, v33
	v_cndmask_b32_e32 v25, v27, v25, vcc
	v_cndmask_b32_e64 v30, v30, v32, s[6:7]
	v_bfe_u32 v34, v1, 29, 1
	v_cndmask_b32_e64 v25, v26, v25, s[0:1]
	v_alignbit_b32 v31, v1, v30, 30
	v_sub_u32_e32 v35, 0, v34
	v_cndmask_b32_e64 v25, v28, v25, s[2:3]
	v_xor_b32_e32 v31, v31, v35
	v_alignbit_b32 v26, v29, v25, v33
	v_cndmask_b32_e64 v26, v26, v29, s[6:7]
	v_ffbh_u32_e32 v28, v31
	v_alignbit_b32 v27, v30, v26, 30
	v_min_u32_e32 v28, 32, v28
	v_alignbit_b32 v25, v26, v25, 30
	v_xor_b32_e32 v27, v27, v35
	v_sub_u32_e32 v29, 31, v28
	v_xor_b32_e32 v25, v25, v35
	v_alignbit_b32 v30, v31, v27, v29
	v_alignbit_b32 v25, v27, v25, v29
	;; [unrolled: 1-line block ×3, first 2 shown]
	v_ffbh_u32_e32 v27, v26
	v_min_u32_e32 v27, 32, v27
	v_lshrrev_b32_e32 v32, 29, v1
	v_not_b32_e32 v29, v27
	v_alignbit_b32 v25, v26, v25, v29
	v_lshlrev_b32_e32 v26, 31, v32
	v_or_b32_e32 v29, 0x33000000, v26
	v_add_lshl_u32 v27, v27, v28, 23
	v_lshrrev_b32_e32 v25, 9, v25
	v_sub_u32_e32 v27, v29, v27
	v_or_b32_e32 v26, 0.5, v26
	v_lshlrev_b32_e32 v28, 23, v28
	v_or_b32_e32 v25, v27, v25
	v_lshrrev_b32_e32 v27, 9, v30
	v_sub_u32_e32 v26, v26, v28
	v_or_b32_e32 v26, v27, v26
	v_mul_f32_e32 v27, 0x3fc90fda, v26
	v_fma_f32 v28, v26, s35, -v27
	v_fmac_f32_e32 v28, 0x33a22168, v26
	v_fmac_f32_e32 v28, 0x3fc90fda, v25
	v_lshrrev_b32_e32 v1, 30, v1
	v_add_f32_e32 v27, v27, v28
	v_add_u32_e32 v26, v34, v1
.LBB109_14:                             ;   in Loop: Header=BB109_4 Depth=1
	s_andn2_saveexec_b64 s[0:1], s[22:23]
; %bb.15:                               ;   in Loop: Header=BB109_4 Depth=1
	v_mul_f32_e64 v1, |v23|, s36
	v_rndne_f32_e32 v1, v1
	v_cvt_i32_f32_e32 v26, v1
	v_fma_f32 v27, v1, s37, |v23|
	v_fmac_f32_e32 v27, 0xb3a22168, v1
	v_fmac_f32_e32 v27, 0xa7c234c4, v1
; %bb.16:                               ;   in Loop: Header=BB109_4 Depth=1
	s_or_b64 exec, exec, s[0:1]
	v_cvt_f32_f16_sdwa v6, v6 dst_sel:DWORD dst_unused:UNUSED_PAD src0_sel:WORD_1
                                        ; implicit-def: $vgpr1
                                        ; implicit-def: $vgpr28
	v_and_b32_e32 v25, 0x7fffffff, v6
	v_cmp_nlt_f32_e64 s[0:1], |v6|, s26
	s_and_saveexec_b64 s[2:3], s[0:1]
	s_xor_b64 s[22:23], exec, s[2:3]
	s_cbranch_execz .LBB109_18
; %bb.17:                               ;   in Loop: Header=BB109_4 Depth=1
	v_and_b32_e32 v1, 0x7fffff, v25
	v_or_b32_e32 v35, 0x800000, v1
	v_mad_u64_u32 v[28:29], s[0:1], v35, s27, 0
	v_mov_b32_e32 v1, v29
	v_mad_u64_u32 v[29:30], s[0:1], v35, s28, v[1:2]
	v_mov_b32_e32 v1, v30
	;; [unrolled: 2-line block ×3, first 2 shown]
	v_mad_u64_u32 v[31:32], s[0:1], v35, s30, v[1:2]
	v_lshrrev_b32_e32 v1, 23, v25
	v_add_u32_e32 v34, 0xffffff88, v1
	v_mov_b32_e32 v1, v32
	v_mad_u64_u32 v[32:33], s[0:1], v35, s31, v[1:2]
	v_cmp_lt_u32_e32 vcc, 63, v34
	v_cndmask_b32_e32 v1, 0, v13, vcc
	v_add_u32_e32 v36, v1, v34
	v_mov_b32_e32 v1, v33
	v_mad_u64_u32 v[33:34], s[0:1], v35, s33, v[1:2]
	v_cmp_lt_u32_e64 s[0:1], 31, v36
	v_cndmask_b32_e64 v1, 0, v14, s[0:1]
	v_add_u32_e32 v36, v1, v36
	v_mov_b32_e32 v1, v34
	v_mad_u64_u32 v[34:35], s[2:3], v35, s34, v[1:2]
	v_cmp_lt_u32_e64 s[2:3], 31, v36
	v_cndmask_b32_e64 v1, 0, v14, s[2:3]
	v_add_u32_e32 v1, v1, v36
	v_cndmask_b32_e32 v36, v33, v31, vcc
	v_cndmask_b32_e32 v34, v34, v32, vcc
	;; [unrolled: 1-line block ×4, first 2 shown]
	v_cndmask_b32_e64 v35, v34, v36, s[0:1]
	v_cndmask_b32_e64 v33, v33, v34, s[0:1]
	;; [unrolled: 1-line block ×3, first 2 shown]
	v_cndmask_b32_e32 v29, v31, v29, vcc
	v_cndmask_b32_e64 v33, v33, v35, s[2:3]
	v_cndmask_b32_e64 v35, v35, v34, s[2:3]
	v_sub_u32_e32 v36, 32, v1
	v_cndmask_b32_e64 v31, v32, v29, s[0:1]
	v_alignbit_b32 v37, v33, v35, v36
	v_cmp_eq_u32_e64 s[6:7], 0, v1
	v_cndmask_b32_e64 v32, v34, v31, s[2:3]
	v_cndmask_b32_e64 v1, v37, v33, s[6:7]
	v_alignbit_b32 v33, v35, v32, v36
	v_cndmask_b32_e32 v28, v30, v28, vcc
	v_cndmask_b32_e64 v33, v33, v35, s[6:7]
	v_bfe_u32 v37, v1, 29, 1
	v_cndmask_b32_e64 v28, v29, v28, s[0:1]
	v_alignbit_b32 v34, v1, v33, 30
	v_sub_u32_e32 v38, 0, v37
	v_cndmask_b32_e64 v28, v31, v28, s[2:3]
	v_xor_b32_e32 v34, v34, v38
	v_alignbit_b32 v29, v32, v28, v36
	v_cndmask_b32_e64 v29, v29, v32, s[6:7]
	v_ffbh_u32_e32 v31, v34
	v_alignbit_b32 v30, v33, v29, 30
	v_min_u32_e32 v31, 32, v31
	v_alignbit_b32 v28, v29, v28, 30
	v_xor_b32_e32 v30, v30, v38
	v_sub_u32_e32 v32, 31, v31
	v_xor_b32_e32 v28, v28, v38
	v_alignbit_b32 v33, v34, v30, v32
	v_alignbit_b32 v28, v30, v28, v32
	;; [unrolled: 1-line block ×3, first 2 shown]
	v_ffbh_u32_e32 v30, v29
	v_min_u32_e32 v30, 32, v30
	v_lshrrev_b32_e32 v35, 29, v1
	v_not_b32_e32 v32, v30
	v_alignbit_b32 v28, v29, v28, v32
	v_lshlrev_b32_e32 v29, 31, v35
	v_or_b32_e32 v32, 0x33000000, v29
	v_add_lshl_u32 v30, v30, v31, 23
	v_lshrrev_b32_e32 v28, 9, v28
	v_sub_u32_e32 v30, v32, v30
	v_or_b32_e32 v29, 0.5, v29
	v_lshlrev_b32_e32 v31, 23, v31
	v_or_b32_e32 v28, v30, v28
	v_lshrrev_b32_e32 v30, 9, v33
	v_sub_u32_e32 v29, v29, v31
	v_or_b32_e32 v29, v30, v29
	v_mul_f32_e32 v30, 0x3fc90fda, v29
	v_fma_f32 v31, v29, s35, -v30
	v_fmac_f32_e32 v31, 0x33a22168, v29
	v_fmac_f32_e32 v31, 0x3fc90fda, v28
	v_lshrrev_b32_e32 v1, 30, v1
	v_add_f32_e32 v28, v30, v31
	v_add_u32_e32 v1, v37, v1
.LBB109_18:                             ;   in Loop: Header=BB109_4 Depth=1
	s_andn2_saveexec_b64 s[0:1], s[22:23]
	s_cbranch_execz .LBB109_3
; %bb.19:                               ;   in Loop: Header=BB109_4 Depth=1
	v_mul_f32_e64 v1, |v6|, s36
	v_rndne_f32_e32 v29, v1
	v_cvt_i32_f32_e32 v1, v29
	v_fma_f32 v28, v29, s37, |v6|
	v_fmac_f32_e32 v28, 0xb3a22168, v29
	v_fmac_f32_e32 v28, 0xa7c234c4, v29
	s_branch .LBB109_3
.LBB109_20:
	s_or_b64 exec, exec, s[18:19]
	s_mov_b64 s[0:1], 0
.LBB109_21:
	s_andn2_b64 vcc, exec, s[0:1]
	s_cbranch_vccnz .LBB109_57
; %bb.22:
	v_cmp_lt_i64_e64 s[0:1], s[12:13], 1
	s_and_b64 vcc, exec, s[0:1]
	s_cbranch_vccnz .LBB109_57
; %bb.23:
	v_mov_b32_e32 v3, 0x10000
	s_load_dword s2, s[4:5], 0xc5c
	v_mov_b32_e32 v4, 0
	v_cmp_lt_i64_e32 vcc, s[12:13], v[3:4]
	v_mov_b32_e32 v2, 0
	s_and_b64 s[0:1], vcc, exec
	v_cmp_lt_u64_e32 vcc, s[12:13], v[3:4]
	s_cselect_b32 s17, s13, 0
	s_cselect_b32 s16, s12, 0x10000
	s_waitcnt lgkmcnt(0)
	s_and_b32 s2, s2, 0xffff
	v_lshlrev_b32_e32 v1, 1, v0
	s_and_b64 s[0:1], vcc, exec
	v_mov_b32_e32 v4, s11
	v_add_co_u32_e32 v3, vcc, s10, v1
	v_mad_u64_u32 v[9:10], s[0:1], s2, 6, v[1:2]
	v_addc_co_u32_e32 v4, vcc, 0, v4, vcc
	v_mov_b32_e32 v6, s9
	v_add_co_u32_e32 v5, vcc, s8, v1
	v_addc_co_u32_e32 v6, vcc, 0, v6, vcc
	v_mov_b32_e32 v8, s11
	v_add_co_u32_e32 v7, vcc, s10, v9
	;; [unrolled: 3-line block ×3, first 2 shown]
	s_cselect_b32 s19, s13, 0
	s_cselect_b32 s18, s12, 0x10000
	s_lshl_b32 s24, s2, 2
	v_addc_co_u32_e32 v10, vcc, v11, v10, vcc
	v_add_co_u32_e32 v1, vcc, s24, v1
	v_addc_co_u32_e64 v14, s[0:1], 0, 0, vcc
	v_mov_b32_e32 v12, s11
	v_add_co_u32_e32 v11, vcc, s10, v1
	v_addc_co_u32_e32 v12, vcc, v12, v14, vcc
	v_mov_b32_e32 v15, s9
	v_add_co_u32_e32 v13, vcc, s8, v1
	v_addc_co_u32_e32 v14, vcc, v15, v14, vcc
	v_add_co_u32_e32 v15, vcc, s2, v0
	v_lshlrev_b32_e32 v1, 1, v15
	v_addc_co_u32_e64 v16, s[0:1], 0, 0, vcc
	v_mov_b32_e32 v18, s11
	v_add_co_u32_e32 v17, vcc, s10, v1
	v_addc_co_u32_e32 v18, vcc, 0, v18, vcc
	v_mov_b32_e32 v20, s9
	v_add_co_u32_e32 v19, vcc, s8, v1
	s_mul_i32 s4, s2, 3
	v_addc_co_u32_e32 v20, vcc, 0, v20, vcc
	s_lshl_b32 s3, s2, 1
	v_add_co_u32_e32 v21, vcc, s4, v0
	v_addc_co_u32_e64 v22, s[0:1], 0, 0, vcc
	v_add_co_u32_e32 v23, vcc, s3, v0
	s_lshl_b32 s25, s2, 3
	s_mov_b64 s[20:21], 0
	s_brev_b32 s26, 18
	s_mov_b32 s27, 0xfe5163ab
	s_mov_b32 s28, 0x3c439041
	;; [unrolled: 1-line block ×10, first 2 shown]
	s_movk_i32 s38, 0x1f8
	v_addc_co_u32_e64 v24, s[0:1], 0, 0, vcc
	v_mov_b32_e32 v25, 0xbe2aaa9d
	v_mov_b32_e32 v26, 0x3d2aabf7
	;; [unrolled: 1-line block ×3, first 2 shown]
	v_not_b32_e32 v28, 63
	v_not_b32_e32 v29, 31
	v_mov_b32_e32 v30, 0x7fc00000
	s_branch .LBB109_25
.LBB109_24:                             ;   in Loop: Header=BB109_25 Depth=1
	s_or_b64 exec, exec, s[0:1]
	v_add_co_u32_e32 v3, vcc, s25, v3
	v_addc_co_u32_e32 v4, vcc, 0, v4, vcc
	v_add_co_u32_e32 v5, vcc, s25, v5
	v_addc_co_u32_e32 v6, vcc, 0, v6, vcc
	;; [unrolled: 2-line block ×6, first 2 shown]
	s_add_u32 s20, s20, s24
	v_add_co_u32_e32 v17, vcc, s25, v17
	v_mov_b32_e32 v32, s17
	s_addc_u32 s21, s21, 0
	v_addc_co_u32_e32 v18, vcc, 0, v18, vcc
	v_mov_b32_e32 v31, s16
	v_cmp_ge_i64_e32 vcc, s[20:21], v[31:32]
	v_add_co_u32_e64 v19, s[0:1], s25, v19
	v_addc_co_u32_e64 v20, s[0:1], 0, v20, s[0:1]
	s_cbranch_vccnz .LBB109_57
.LBB109_25:                             ; =>This Inner Loop Header: Depth=1
	v_mov_b32_e32 v1, s21
	v_add_co_u32_e32 v31, vcc, s20, v0
	v_addc_co_u32_e32 v32, vcc, 0, v1, vcc
	v_cmp_gt_u64_e64 s[4:5], s[18:19], v[31:32]
	v_mov_b32_e32 v34, 0
	s_and_saveexec_b64 s[0:1], s[4:5]
	s_cbranch_execz .LBB109_27
; %bb.26:                               ;   in Loop: Header=BB109_25 Depth=1
	v_mov_b32_e32 v1, s15
	v_add_co_u32_e32 v31, vcc, s14, v3
	v_addc_co_u32_e32 v32, vcc, v4, v1, vcc
	global_load_ushort v1, v[31:32], off
	s_waitcnt vmcnt(0)
	v_cvt_f32_f16_e32 v34, v1
.LBB109_27:                             ;   in Loop: Header=BB109_25 Depth=1
	s_or_b64 exec, exec, s[0:1]
	v_mov_b32_e32 v1, s21
	v_add_co_u32_e32 v31, vcc, s20, v15
	v_addc_co_u32_e32 v32, vcc, v16, v1, vcc
	v_cmp_gt_u64_e64 s[2:3], s[18:19], v[31:32]
	v_mov_b32_e32 v31, 0
	v_mov_b32_e32 v33, 0
	s_and_saveexec_b64 s[0:1], s[2:3]
	s_cbranch_execz .LBB109_29
; %bb.28:                               ;   in Loop: Header=BB109_25 Depth=1
	v_mov_b32_e32 v1, s15
	v_add_co_u32_e32 v32, vcc, s14, v17
	v_addc_co_u32_e32 v33, vcc, v18, v1, vcc
	global_load_ushort v1, v[32:33], off
	s_waitcnt vmcnt(0)
	v_cvt_f32_f16_e32 v33, v1
.LBB109_29:                             ;   in Loop: Header=BB109_25 Depth=1
	s_or_b64 exec, exec, s[0:1]
	v_mov_b32_e32 v1, s21
	v_add_co_u32_e32 v35, vcc, s20, v23
	v_addc_co_u32_e32 v36, vcc, v24, v1, vcc
	v_cmp_gt_u64_e64 s[0:1], s[18:19], v[35:36]
	s_and_saveexec_b64 s[6:7], s[0:1]
	s_cbranch_execz .LBB109_31
; %bb.30:                               ;   in Loop: Header=BB109_25 Depth=1
	v_mov_b32_e32 v1, s15
	v_add_co_u32_e32 v31, vcc, s14, v11
	v_addc_co_u32_e32 v32, vcc, v12, v1, vcc
	global_load_ushort v1, v[31:32], off
	s_waitcnt vmcnt(0)
	v_cvt_f32_f16_e32 v31, v1
.LBB109_31:                             ;   in Loop: Header=BB109_25 Depth=1
	s_or_b64 exec, exec, s[6:7]
	v_mov_b32_e32 v1, s21
	v_add_co_u32_e32 v35, vcc, s20, v21
	v_addc_co_u32_e32 v36, vcc, v22, v1, vcc
	v_cmp_gt_u64_e32 vcc, s[18:19], v[35:36]
	v_mov_b32_e32 v32, 0
	s_and_saveexec_b64 s[8:9], vcc
	s_cbranch_execz .LBB109_33
; %bb.32:                               ;   in Loop: Header=BB109_25 Depth=1
	v_mov_b32_e32 v1, s15
	v_add_co_u32_e64 v35, s[6:7], s14, v7
	v_addc_co_u32_e64 v36, s[6:7], v8, v1, s[6:7]
	global_load_ushort v1, v[35:36], off
	s_waitcnt vmcnt(0)
	v_cvt_f32_f16_e32 v32, v1
.LBB109_33:                             ;   in Loop: Header=BB109_25 Depth=1
	s_or_b64 exec, exec, s[8:9]
	v_and_b32_e32 v35, 0x7fffffff, v34
	v_cmp_nlt_f32_e64 s[6:7], |v34|, s26
                                        ; implicit-def: $vgpr36
                                        ; implicit-def: $vgpr37
	s_and_saveexec_b64 s[8:9], s[6:7]
	s_xor_b64 s[22:23], exec, s[8:9]
	s_cbranch_execz .LBB109_35
; %bb.34:                               ;   in Loop: Header=BB109_25 Depth=1
	v_and_b32_e32 v1, 0x7fffff, v35
	v_or_b32_e32 v43, 0x800000, v1
	v_mad_u64_u32 v[36:37], s[6:7], v43, s27, 0
	v_mov_b32_e32 v1, v37
	v_mad_u64_u32 v[37:38], s[6:7], v43, s28, v[1:2]
	v_mov_b32_e32 v1, v38
	;; [unrolled: 2-line block ×3, first 2 shown]
	v_mad_u64_u32 v[39:40], s[6:7], v43, s30, v[1:2]
	v_lshrrev_b32_e32 v1, 23, v35
	v_add_u32_e32 v42, 0xffffff88, v1
	v_mov_b32_e32 v1, v40
	v_mad_u64_u32 v[40:41], s[6:7], v43, s31, v[1:2]
	v_cmp_lt_u32_e64 s[6:7], 63, v42
	v_cndmask_b32_e64 v1, 0, v28, s[6:7]
	v_add_u32_e32 v44, v1, v42
	v_mov_b32_e32 v1, v41
	v_mad_u64_u32 v[41:42], s[8:9], v43, s33, v[1:2]
	v_cmp_lt_u32_e64 s[8:9], 31, v44
	v_cndmask_b32_e64 v1, 0, v29, s[8:9]
	v_add_u32_e32 v44, v1, v44
	v_mov_b32_e32 v1, v42
	v_mad_u64_u32 v[42:43], s[10:11], v43, s34, v[1:2]
	v_cmp_lt_u32_e64 s[10:11], 31, v44
	v_cndmask_b32_e64 v1, 0, v29, s[10:11]
	v_add_u32_e32 v1, v1, v44
	v_cndmask_b32_e64 v44, v41, v39, s[6:7]
	v_cndmask_b32_e64 v42, v42, v40, s[6:7]
	;; [unrolled: 1-line block ×10, first 2 shown]
	v_sub_u32_e32 v44, 32, v1
	v_cndmask_b32_e64 v39, v40, v37, s[8:9]
	v_alignbit_b32 v45, v41, v43, v44
	v_cmp_eq_u32_e64 s[12:13], 0, v1
	v_cndmask_b32_e64 v40, v42, v39, s[10:11]
	v_cndmask_b32_e64 v1, v45, v41, s[12:13]
	v_alignbit_b32 v41, v43, v40, v44
	v_cndmask_b32_e64 v36, v38, v36, s[6:7]
	v_cndmask_b32_e64 v41, v41, v43, s[12:13]
	v_bfe_u32 v45, v1, 29, 1
	v_cndmask_b32_e64 v36, v37, v36, s[8:9]
	v_alignbit_b32 v42, v1, v41, 30
	v_sub_u32_e32 v46, 0, v45
	v_cndmask_b32_e64 v36, v39, v36, s[10:11]
	v_xor_b32_e32 v42, v42, v46
	v_alignbit_b32 v37, v40, v36, v44
	v_cndmask_b32_e64 v37, v37, v40, s[12:13]
	v_ffbh_u32_e32 v39, v42
	v_alignbit_b32 v38, v41, v37, 30
	v_min_u32_e32 v39, 32, v39
	v_alignbit_b32 v36, v37, v36, 30
	v_xor_b32_e32 v38, v38, v46
	v_sub_u32_e32 v40, 31, v39
	v_xor_b32_e32 v36, v36, v46
	v_alignbit_b32 v41, v42, v38, v40
	v_alignbit_b32 v36, v38, v36, v40
	;; [unrolled: 1-line block ×3, first 2 shown]
	v_ffbh_u32_e32 v38, v37
	v_min_u32_e32 v38, 32, v38
	v_lshrrev_b32_e32 v43, 29, v1
	v_not_b32_e32 v40, v38
	v_alignbit_b32 v36, v37, v36, v40
	v_lshlrev_b32_e32 v37, 31, v43
	v_or_b32_e32 v40, 0x33000000, v37
	v_add_lshl_u32 v38, v38, v39, 23
	v_lshrrev_b32_e32 v36, 9, v36
	v_sub_u32_e32 v38, v40, v38
	v_or_b32_e32 v37, 0.5, v37
	v_lshlrev_b32_e32 v39, 23, v39
	v_or_b32_e32 v36, v38, v36
	v_lshrrev_b32_e32 v38, 9, v41
	v_sub_u32_e32 v37, v37, v39
	v_or_b32_e32 v37, v38, v37
	v_mul_f32_e32 v38, 0x3fc90fda, v37
	v_fma_f32 v39, v37, s35, -v38
	v_fmac_f32_e32 v39, 0x33a22168, v37
	v_fmac_f32_e32 v39, 0x3fc90fda, v36
	v_lshrrev_b32_e32 v1, 30, v1
	v_add_f32_e32 v37, v38, v39
	v_add_u32_e32 v36, v45, v1
.LBB109_35:                             ;   in Loop: Header=BB109_25 Depth=1
	s_andn2_saveexec_b64 s[6:7], s[22:23]
; %bb.36:                               ;   in Loop: Header=BB109_25 Depth=1
	v_mul_f32_e64 v1, |v34|, s36
	v_rndne_f32_e32 v1, v1
	v_cvt_i32_f32_e32 v36, v1
	v_fma_f32 v37, v1, s37, |v34|
	v_fmac_f32_e32 v37, 0xb3a22168, v1
	v_fmac_f32_e32 v37, 0xa7c234c4, v1
; %bb.37:                               ;   in Loop: Header=BB109_25 Depth=1
	s_or_b64 exec, exec, s[6:7]
	v_and_b32_e32 v38, 0x7fffffff, v33
	v_cmp_nlt_f32_e64 s[6:7], |v33|, s26
                                        ; implicit-def: $vgpr39
                                        ; implicit-def: $vgpr41
	s_and_saveexec_b64 s[8:9], s[6:7]
	s_xor_b64 s[22:23], exec, s[8:9]
	s_cbranch_execz .LBB109_39
; %bb.38:                               ;   in Loop: Header=BB109_25 Depth=1
	v_and_b32_e32 v1, 0x7fffff, v38
	v_or_b32_e32 v46, 0x800000, v1
	v_mad_u64_u32 v[39:40], s[6:7], v46, s27, 0
	v_mov_b32_e32 v1, v40
	v_mad_u64_u32 v[40:41], s[6:7], v46, s28, v[1:2]
	v_mov_b32_e32 v1, v41
	;; [unrolled: 2-line block ×3, first 2 shown]
	v_mad_u64_u32 v[42:43], s[6:7], v46, s30, v[1:2]
	v_lshrrev_b32_e32 v1, 23, v38
	v_add_u32_e32 v45, 0xffffff88, v1
	v_mov_b32_e32 v1, v43
	v_mad_u64_u32 v[43:44], s[6:7], v46, s31, v[1:2]
	v_cmp_lt_u32_e64 s[6:7], 63, v45
	v_cndmask_b32_e64 v1, 0, v28, s[6:7]
	v_add_u32_e32 v47, v1, v45
	v_mov_b32_e32 v1, v44
	v_mad_u64_u32 v[44:45], s[8:9], v46, s33, v[1:2]
	v_cmp_lt_u32_e64 s[8:9], 31, v47
	v_cndmask_b32_e64 v1, 0, v29, s[8:9]
	v_add_u32_e32 v47, v1, v47
	v_mov_b32_e32 v1, v45
	v_mad_u64_u32 v[45:46], s[10:11], v46, s34, v[1:2]
	v_cmp_lt_u32_e64 s[10:11], 31, v47
	v_cndmask_b32_e64 v1, 0, v29, s[10:11]
	v_add_u32_e32 v1, v1, v47
	v_cndmask_b32_e64 v47, v44, v42, s[6:7]
	v_cndmask_b32_e64 v45, v45, v43, s[6:7]
	;; [unrolled: 1-line block ×10, first 2 shown]
	v_sub_u32_e32 v47, 32, v1
	v_cndmask_b32_e64 v42, v43, v40, s[8:9]
	v_alignbit_b32 v48, v44, v46, v47
	v_cmp_eq_u32_e64 s[12:13], 0, v1
	v_cndmask_b32_e64 v43, v45, v42, s[10:11]
	v_cndmask_b32_e64 v1, v48, v44, s[12:13]
	v_alignbit_b32 v44, v46, v43, v47
	v_cndmask_b32_e64 v39, v41, v39, s[6:7]
	v_cndmask_b32_e64 v44, v44, v46, s[12:13]
	v_bfe_u32 v48, v1, 29, 1
	v_cndmask_b32_e64 v39, v40, v39, s[8:9]
	v_alignbit_b32 v45, v1, v44, 30
	v_sub_u32_e32 v49, 0, v48
	v_cndmask_b32_e64 v39, v42, v39, s[10:11]
	v_xor_b32_e32 v45, v45, v49
	v_alignbit_b32 v40, v43, v39, v47
	v_cndmask_b32_e64 v40, v40, v43, s[12:13]
	v_ffbh_u32_e32 v42, v45
	v_alignbit_b32 v41, v44, v40, 30
	v_min_u32_e32 v42, 32, v42
	v_alignbit_b32 v39, v40, v39, 30
	v_xor_b32_e32 v41, v41, v49
	v_sub_u32_e32 v43, 31, v42
	v_xor_b32_e32 v39, v39, v49
	v_alignbit_b32 v44, v45, v41, v43
	v_alignbit_b32 v39, v41, v39, v43
	;; [unrolled: 1-line block ×3, first 2 shown]
	v_ffbh_u32_e32 v41, v40
	v_min_u32_e32 v41, 32, v41
	v_lshrrev_b32_e32 v46, 29, v1
	v_not_b32_e32 v43, v41
	v_alignbit_b32 v39, v40, v39, v43
	v_lshlrev_b32_e32 v40, 31, v46
	v_or_b32_e32 v43, 0x33000000, v40
	v_add_lshl_u32 v41, v41, v42, 23
	v_lshrrev_b32_e32 v39, 9, v39
	v_sub_u32_e32 v41, v43, v41
	v_or_b32_e32 v40, 0.5, v40
	v_lshlrev_b32_e32 v42, 23, v42
	v_or_b32_e32 v39, v41, v39
	v_lshrrev_b32_e32 v41, 9, v44
	v_sub_u32_e32 v40, v40, v42
	v_or_b32_e32 v40, v41, v40
	v_mul_f32_e32 v41, 0x3fc90fda, v40
	v_fma_f32 v42, v40, s35, -v41
	v_fmac_f32_e32 v42, 0x33a22168, v40
	v_fmac_f32_e32 v42, 0x3fc90fda, v39
	v_lshrrev_b32_e32 v1, 30, v1
	v_add_f32_e32 v41, v41, v42
	v_add_u32_e32 v39, v48, v1
.LBB109_39:                             ;   in Loop: Header=BB109_25 Depth=1
	s_andn2_saveexec_b64 s[6:7], s[22:23]
; %bb.40:                               ;   in Loop: Header=BB109_25 Depth=1
	v_mul_f32_e64 v1, |v33|, s36
	v_rndne_f32_e32 v1, v1
	v_cvt_i32_f32_e32 v39, v1
	v_fma_f32 v41, v1, s37, |v33|
	v_fmac_f32_e32 v41, 0xb3a22168, v1
	v_fmac_f32_e32 v41, 0xa7c234c4, v1
; %bb.41:                               ;   in Loop: Header=BB109_25 Depth=1
	s_or_b64 exec, exec, s[6:7]
	v_and_b32_e32 v40, 0x7fffffff, v31
	v_cmp_nlt_f32_e64 s[6:7], |v31|, s26
                                        ; implicit-def: $vgpr42
                                        ; implicit-def: $vgpr44
	s_and_saveexec_b64 s[8:9], s[6:7]
	s_xor_b64 s[22:23], exec, s[8:9]
	s_cbranch_execz .LBB109_43
; %bb.42:                               ;   in Loop: Header=BB109_25 Depth=1
	v_and_b32_e32 v1, 0x7fffff, v40
	v_or_b32_e32 v49, 0x800000, v1
	v_mad_u64_u32 v[42:43], s[6:7], v49, s27, 0
	v_mov_b32_e32 v1, v43
	v_mad_u64_u32 v[43:44], s[6:7], v49, s28, v[1:2]
	v_mov_b32_e32 v1, v44
	;; [unrolled: 2-line block ×3, first 2 shown]
	v_mad_u64_u32 v[45:46], s[6:7], v49, s30, v[1:2]
	v_lshrrev_b32_e32 v1, 23, v40
	v_add_u32_e32 v48, 0xffffff88, v1
	v_mov_b32_e32 v1, v46
	v_mad_u64_u32 v[46:47], s[6:7], v49, s31, v[1:2]
	v_cmp_lt_u32_e64 s[6:7], 63, v48
	v_cndmask_b32_e64 v1, 0, v28, s[6:7]
	v_add_u32_e32 v50, v1, v48
	v_mov_b32_e32 v1, v47
	v_mad_u64_u32 v[47:48], s[8:9], v49, s33, v[1:2]
	v_cmp_lt_u32_e64 s[8:9], 31, v50
	v_cndmask_b32_e64 v1, 0, v29, s[8:9]
	;; [unrolled: 5-line block ×3, first 2 shown]
	v_add_u32_e32 v1, v1, v50
	v_cndmask_b32_e64 v50, v47, v45, s[6:7]
	v_cndmask_b32_e64 v48, v48, v46, s[6:7]
	;; [unrolled: 1-line block ×10, first 2 shown]
	v_sub_u32_e32 v50, 32, v1
	v_cndmask_b32_e64 v45, v46, v43, s[8:9]
	v_alignbit_b32 v51, v47, v49, v50
	v_cmp_eq_u32_e64 s[12:13], 0, v1
	v_cndmask_b32_e64 v46, v48, v45, s[10:11]
	v_cndmask_b32_e64 v1, v51, v47, s[12:13]
	v_alignbit_b32 v47, v49, v46, v50
	v_cndmask_b32_e64 v42, v44, v42, s[6:7]
	v_cndmask_b32_e64 v47, v47, v49, s[12:13]
	v_bfe_u32 v51, v1, 29, 1
	v_cndmask_b32_e64 v42, v43, v42, s[8:9]
	v_alignbit_b32 v48, v1, v47, 30
	v_sub_u32_e32 v52, 0, v51
	v_cndmask_b32_e64 v42, v45, v42, s[10:11]
	v_xor_b32_e32 v48, v48, v52
	v_alignbit_b32 v43, v46, v42, v50
	v_cndmask_b32_e64 v43, v43, v46, s[12:13]
	v_ffbh_u32_e32 v45, v48
	v_alignbit_b32 v44, v47, v43, 30
	v_min_u32_e32 v45, 32, v45
	v_alignbit_b32 v42, v43, v42, 30
	v_xor_b32_e32 v44, v44, v52
	v_sub_u32_e32 v46, 31, v45
	v_xor_b32_e32 v42, v42, v52
	v_alignbit_b32 v47, v48, v44, v46
	v_alignbit_b32 v42, v44, v42, v46
	;; [unrolled: 1-line block ×3, first 2 shown]
	v_ffbh_u32_e32 v44, v43
	v_min_u32_e32 v44, 32, v44
	v_lshrrev_b32_e32 v49, 29, v1
	v_not_b32_e32 v46, v44
	v_alignbit_b32 v42, v43, v42, v46
	v_lshlrev_b32_e32 v43, 31, v49
	v_or_b32_e32 v46, 0x33000000, v43
	v_add_lshl_u32 v44, v44, v45, 23
	v_lshrrev_b32_e32 v42, 9, v42
	v_sub_u32_e32 v44, v46, v44
	v_or_b32_e32 v43, 0.5, v43
	v_lshlrev_b32_e32 v45, 23, v45
	v_or_b32_e32 v42, v44, v42
	v_lshrrev_b32_e32 v44, 9, v47
	v_sub_u32_e32 v43, v43, v45
	v_or_b32_e32 v43, v44, v43
	v_mul_f32_e32 v44, 0x3fc90fda, v43
	v_fma_f32 v45, v43, s35, -v44
	v_fmac_f32_e32 v45, 0x33a22168, v43
	v_fmac_f32_e32 v45, 0x3fc90fda, v42
	v_lshrrev_b32_e32 v1, 30, v1
	v_add_f32_e32 v44, v44, v45
	v_add_u32_e32 v42, v51, v1
.LBB109_43:                             ;   in Loop: Header=BB109_25 Depth=1
	s_andn2_saveexec_b64 s[6:7], s[22:23]
; %bb.44:                               ;   in Loop: Header=BB109_25 Depth=1
	v_mul_f32_e64 v1, |v31|, s36
	v_rndne_f32_e32 v1, v1
	v_cvt_i32_f32_e32 v42, v1
	v_fma_f32 v44, v1, s37, |v31|
	v_fmac_f32_e32 v44, 0xb3a22168, v1
	v_fmac_f32_e32 v44, 0xa7c234c4, v1
; %bb.45:                               ;   in Loop: Header=BB109_25 Depth=1
	s_or_b64 exec, exec, s[6:7]
	v_and_b32_e32 v43, 0x7fffffff, v32
	v_cmp_nlt_f32_e64 s[6:7], |v32|, s26
                                        ; implicit-def: $vgpr1
                                        ; implicit-def: $vgpr45
	s_and_saveexec_b64 s[8:9], s[6:7]
	s_xor_b64 s[22:23], exec, s[8:9]
	s_cbranch_execnz .LBB109_51
; %bb.46:                               ;   in Loop: Header=BB109_25 Depth=1
	s_andn2_saveexec_b64 s[6:7], s[22:23]
	s_cbranch_execnz .LBB109_52
.LBB109_47:                             ;   in Loop: Header=BB109_25 Depth=1
	s_or_b64 exec, exec, s[6:7]
	s_and_saveexec_b64 s[6:7], s[4:5]
	s_xor_b64 s[6:7], exec, s[6:7]
	s_cbranch_execnz .LBB109_53
.LBB109_48:                             ;   in Loop: Header=BB109_25 Depth=1
	s_or_b64 exec, exec, s[6:7]
	s_and_saveexec_b64 s[4:5], s[2:3]
	s_cbranch_execnz .LBB109_54
.LBB109_49:                             ;   in Loop: Header=BB109_25 Depth=1
	s_or_b64 exec, exec, s[4:5]
	s_and_saveexec_b64 s[2:3], s[0:1]
	s_cbranch_execnz .LBB109_55
.LBB109_50:                             ;   in Loop: Header=BB109_25 Depth=1
	s_or_b64 exec, exec, s[2:3]
	s_and_saveexec_b64 s[0:1], vcc
	s_cbranch_execz .LBB109_24
	s_branch .LBB109_56
.LBB109_51:                             ;   in Loop: Header=BB109_25 Depth=1
	v_and_b32_e32 v1, 0x7fffff, v43
	v_or_b32_e32 v52, 0x800000, v1
	v_mad_u64_u32 v[45:46], s[6:7], v52, s27, 0
	v_mov_b32_e32 v1, v46
	v_mad_u64_u32 v[46:47], s[6:7], v52, s28, v[1:2]
	v_mov_b32_e32 v1, v47
	;; [unrolled: 2-line block ×3, first 2 shown]
	v_mad_u64_u32 v[48:49], s[6:7], v52, s30, v[1:2]
	v_lshrrev_b32_e32 v1, 23, v43
	v_add_u32_e32 v51, 0xffffff88, v1
	v_mov_b32_e32 v1, v49
	v_mad_u64_u32 v[49:50], s[6:7], v52, s31, v[1:2]
	v_cmp_lt_u32_e64 s[6:7], 63, v51
	v_cndmask_b32_e64 v1, 0, v28, s[6:7]
	v_add_u32_e32 v53, v1, v51
	v_mov_b32_e32 v1, v50
	v_mad_u64_u32 v[50:51], s[8:9], v52, s33, v[1:2]
	v_cmp_lt_u32_e64 s[8:9], 31, v53
	v_cndmask_b32_e64 v1, 0, v29, s[8:9]
	;; [unrolled: 5-line block ×3, first 2 shown]
	v_add_u32_e32 v1, v1, v53
	v_cndmask_b32_e64 v53, v50, v48, s[6:7]
	v_cndmask_b32_e64 v51, v51, v49, s[6:7]
	;; [unrolled: 1-line block ×10, first 2 shown]
	v_sub_u32_e32 v53, 32, v1
	v_cndmask_b32_e64 v48, v49, v46, s[8:9]
	v_alignbit_b32 v54, v50, v52, v53
	v_cmp_eq_u32_e64 s[12:13], 0, v1
	v_cndmask_b32_e64 v49, v51, v48, s[10:11]
	v_cndmask_b32_e64 v1, v54, v50, s[12:13]
	v_alignbit_b32 v50, v52, v49, v53
	v_cndmask_b32_e64 v45, v47, v45, s[6:7]
	v_cndmask_b32_e64 v50, v50, v52, s[12:13]
	v_bfe_u32 v54, v1, 29, 1
	v_cndmask_b32_e64 v45, v46, v45, s[8:9]
	v_alignbit_b32 v51, v1, v50, 30
	v_sub_u32_e32 v55, 0, v54
	v_cndmask_b32_e64 v45, v48, v45, s[10:11]
	v_xor_b32_e32 v51, v51, v55
	v_alignbit_b32 v46, v49, v45, v53
	v_cndmask_b32_e64 v46, v46, v49, s[12:13]
	v_ffbh_u32_e32 v48, v51
	v_alignbit_b32 v47, v50, v46, 30
	v_min_u32_e32 v48, 32, v48
	v_alignbit_b32 v45, v46, v45, 30
	v_xor_b32_e32 v47, v47, v55
	v_sub_u32_e32 v49, 31, v48
	v_xor_b32_e32 v45, v45, v55
	v_alignbit_b32 v50, v51, v47, v49
	v_alignbit_b32 v45, v47, v45, v49
	;; [unrolled: 1-line block ×3, first 2 shown]
	v_ffbh_u32_e32 v47, v46
	v_min_u32_e32 v47, 32, v47
	v_lshrrev_b32_e32 v52, 29, v1
	v_not_b32_e32 v49, v47
	v_alignbit_b32 v45, v46, v45, v49
	v_lshlrev_b32_e32 v46, 31, v52
	v_or_b32_e32 v49, 0x33000000, v46
	v_add_lshl_u32 v47, v47, v48, 23
	v_lshrrev_b32_e32 v45, 9, v45
	v_sub_u32_e32 v47, v49, v47
	v_or_b32_e32 v46, 0.5, v46
	v_lshlrev_b32_e32 v48, 23, v48
	v_or_b32_e32 v45, v47, v45
	v_lshrrev_b32_e32 v47, 9, v50
	v_sub_u32_e32 v46, v46, v48
	v_or_b32_e32 v46, v47, v46
	v_mul_f32_e32 v47, 0x3fc90fda, v46
	v_fma_f32 v48, v46, s35, -v47
	v_fmac_f32_e32 v48, 0x33a22168, v46
	v_fmac_f32_e32 v48, 0x3fc90fda, v45
	v_lshrrev_b32_e32 v1, 30, v1
	v_add_f32_e32 v45, v47, v48
	v_add_u32_e32 v1, v54, v1
	s_andn2_saveexec_b64 s[6:7], s[22:23]
	s_cbranch_execz .LBB109_47
.LBB109_52:                             ;   in Loop: Header=BB109_25 Depth=1
	v_mul_f32_e64 v1, |v32|, s36
	v_rndne_f32_e32 v46, v1
	v_cvt_i32_f32_e32 v1, v46
	v_fma_f32 v45, v46, s37, |v32|
	v_fmac_f32_e32 v45, 0xb3a22168, v46
	v_fmac_f32_e32 v45, 0xa7c234c4, v46
	s_or_b64 exec, exec, s[6:7]
	s_and_saveexec_b64 s[6:7], s[4:5]
	s_xor_b64 s[6:7], exec, s[6:7]
	s_cbranch_execz .LBB109_48
.LBB109_53:                             ;   in Loop: Header=BB109_25 Depth=1
	v_mul_f32_e32 v46, v37, v37
	v_mov_b32_e32 v47, 0x3c0881c4
	v_fmac_f32_e32 v47, 0xb94c1982, v46
	v_fma_f32 v47, v46, v47, v25
	v_mul_f32_e32 v47, v46, v47
	v_fmac_f32_e32 v37, v37, v47
	v_mov_b32_e32 v47, 0xbab64f3b
	v_fmac_f32_e32 v47, 0x37d75334, v46
	v_fma_f32 v47, v46, v47, v26
	v_fma_f32 v47, v46, v47, v27
	v_fma_f32 v46, v46, v47, 1.0
	v_and_b32_e32 v47, 1, v36
	v_lshlrev_b32_e32 v36, 30, v36
	v_cmp_eq_u32_e64 s[4:5], 0, v47
	v_and_b32_e32 v36, 0x80000000, v36
	v_xor_b32_e32 v35, v35, v34
	v_cndmask_b32_e64 v37, v46, v37, s[4:5]
	v_xor_b32_e32 v35, v35, v36
	v_xor_b32_e32 v35, v35, v37
	v_cmp_class_f32_e64 s[4:5], v34, s38
	v_cndmask_b32_e64 v34, v30, v35, s[4:5]
	v_cvt_f16_f32_e32 v36, v34
	v_mov_b32_e32 v35, s15
	v_add_co_u32_e64 v34, s[4:5], s14, v5
	v_addc_co_u32_e64 v35, s[4:5], v6, v35, s[4:5]
	global_store_short v[34:35], v36, off
	s_or_b64 exec, exec, s[6:7]
	s_and_saveexec_b64 s[4:5], s[2:3]
	s_cbranch_execz .LBB109_49
.LBB109_54:                             ;   in Loop: Header=BB109_25 Depth=1
	v_mul_f32_e32 v34, v41, v41
	v_mov_b32_e32 v35, 0x3c0881c4
	v_fmac_f32_e32 v35, 0xb94c1982, v34
	v_fma_f32 v35, v34, v35, v25
	v_mul_f32_e32 v35, v34, v35
	v_fmac_f32_e32 v41, v41, v35
	v_mov_b32_e32 v35, 0xbab64f3b
	v_fmac_f32_e32 v35, 0x37d75334, v34
	v_fma_f32 v35, v34, v35, v26
	v_fma_f32 v35, v34, v35, v27
	v_fma_f32 v34, v34, v35, 1.0
	v_and_b32_e32 v35, 1, v39
	v_cmp_eq_u32_e64 s[2:3], 0, v35
	v_lshlrev_b32_e32 v35, 30, v39
	v_and_b32_e32 v35, 0x80000000, v35
	v_xor_b32_e32 v36, v38, v33
	v_cndmask_b32_e64 v34, v34, v41, s[2:3]
	v_xor_b32_e32 v35, v36, v35
	v_xor_b32_e32 v34, v35, v34
	v_cmp_class_f32_e64 s[2:3], v33, s38
	v_cndmask_b32_e64 v33, v30, v34, s[2:3]
	v_cvt_f16_f32_e32 v35, v33
	v_mov_b32_e32 v34, s15
	v_add_co_u32_e64 v33, s[2:3], s14, v19
	v_addc_co_u32_e64 v34, s[2:3], v20, v34, s[2:3]
	global_store_short v[33:34], v35, off
	s_or_b64 exec, exec, s[4:5]
	s_and_saveexec_b64 s[2:3], s[0:1]
	s_cbranch_execz .LBB109_50
.LBB109_55:                             ;   in Loop: Header=BB109_25 Depth=1
	v_mul_f32_e32 v33, v44, v44
	v_mov_b32_e32 v34, 0x3c0881c4
	v_fmac_f32_e32 v34, 0xb94c1982, v33
	v_fma_f32 v34, v33, v34, v25
	v_mul_f32_e32 v34, v33, v34
	v_fmac_f32_e32 v44, v44, v34
	v_mov_b32_e32 v34, 0xbab64f3b
	v_fmac_f32_e32 v34, 0x37d75334, v33
	v_fma_f32 v34, v33, v34, v26
	v_fma_f32 v34, v33, v34, v27
	v_fma_f32 v33, v33, v34, 1.0
	v_and_b32_e32 v34, 1, v42
	v_cmp_eq_u32_e64 s[0:1], 0, v34
	v_lshlrev_b32_e32 v34, 30, v42
	v_and_b32_e32 v34, 0x80000000, v34
	v_xor_b32_e32 v35, v40, v31
	v_cndmask_b32_e64 v33, v33, v44, s[0:1]
	v_xor_b32_e32 v34, v35, v34
	v_xor_b32_e32 v33, v34, v33
	v_cmp_class_f32_e64 s[0:1], v31, s38
	v_cndmask_b32_e64 v31, v30, v33, s[0:1]
	v_cvt_f16_f32_e32 v31, v31
	v_mov_b32_e32 v34, s15
	v_add_co_u32_e64 v33, s[0:1], s14, v13
	v_addc_co_u32_e64 v34, s[0:1], v14, v34, s[0:1]
	global_store_short v[33:34], v31, off
	s_or_b64 exec, exec, s[2:3]
	s_and_saveexec_b64 s[0:1], vcc
	s_cbranch_execz .LBB109_24
.LBB109_56:                             ;   in Loop: Header=BB109_25 Depth=1
	v_mul_f32_e32 v31, v45, v45
	v_mov_b32_e32 v33, 0x3c0881c4
	v_fmac_f32_e32 v33, 0xb94c1982, v31
	v_fma_f32 v33, v31, v33, v25
	v_mul_f32_e32 v33, v31, v33
	v_fmac_f32_e32 v45, v45, v33
	v_mov_b32_e32 v33, 0xbab64f3b
	v_fmac_f32_e32 v33, 0x37d75334, v31
	v_fma_f32 v33, v31, v33, v26
	v_fma_f32 v33, v31, v33, v27
	v_fma_f32 v31, v31, v33, 1.0
	v_and_b32_e32 v33, 1, v1
	v_lshlrev_b32_e32 v1, 30, v1
	v_cmp_eq_u32_e32 vcc, 0, v33
	v_and_b32_e32 v1, 0x80000000, v1
	v_xor_b32_e32 v33, v43, v32
	v_cndmask_b32_e32 v31, v31, v45, vcc
	v_xor_b32_e32 v1, v33, v1
	v_xor_b32_e32 v1, v1, v31
	v_cmp_class_f32_e64 vcc, v32, s38
	v_cndmask_b32_e32 v1, v30, v1, vcc
	v_cvt_f16_f32_e32 v1, v1
	v_mov_b32_e32 v32, s15
	v_add_co_u32_e32 v31, vcc, s14, v9
	v_addc_co_u32_e32 v32, vcc, v10, v32, vcc
	global_store_short v[31:32], v1, off
	s_branch .LBB109_24
.LBB109_57:
	s_endpgm
	.section	.rodata,"a",@progbits
	.p2align	6, 0x0
	.amdhsa_kernel _ZN2at6native12_GLOBAL__N_125multi_tensor_apply_kernelINS1_18TensorListMetadataILi2EEENS1_14UnaryOpFunctorIN3c104HalfELi2ELi1ELi1EEEJNS0_3SinIfEEEEEvT_T0_DpT1_
		.amdhsa_group_segment_fixed_size 0
		.amdhsa_private_segment_fixed_size 0
		.amdhsa_kernarg_size 3408
		.amdhsa_user_sgpr_count 6
		.amdhsa_user_sgpr_private_segment_buffer 1
		.amdhsa_user_sgpr_dispatch_ptr 0
		.amdhsa_user_sgpr_queue_ptr 0
		.amdhsa_user_sgpr_kernarg_segment_ptr 1
		.amdhsa_user_sgpr_dispatch_id 0
		.amdhsa_user_sgpr_flat_scratch_init 0
		.amdhsa_user_sgpr_private_segment_size 0
		.amdhsa_uses_dynamic_stack 0
		.amdhsa_system_sgpr_private_segment_wavefront_offset 0
		.amdhsa_system_sgpr_workgroup_id_x 1
		.amdhsa_system_sgpr_workgroup_id_y 0
		.amdhsa_system_sgpr_workgroup_id_z 0
		.amdhsa_system_sgpr_workgroup_info 0
		.amdhsa_system_vgpr_workitem_id 0
		.amdhsa_next_free_vgpr 56
		.amdhsa_next_free_sgpr 39
		.amdhsa_reserve_vcc 1
		.amdhsa_reserve_flat_scratch 0
		.amdhsa_float_round_mode_32 0
		.amdhsa_float_round_mode_16_64 0
		.amdhsa_float_denorm_mode_32 3
		.amdhsa_float_denorm_mode_16_64 3
		.amdhsa_dx10_clamp 1
		.amdhsa_ieee_mode 1
		.amdhsa_fp16_overflow 0
		.amdhsa_exception_fp_ieee_invalid_op 0
		.amdhsa_exception_fp_denorm_src 0
		.amdhsa_exception_fp_ieee_div_zero 0
		.amdhsa_exception_fp_ieee_overflow 0
		.amdhsa_exception_fp_ieee_underflow 0
		.amdhsa_exception_fp_ieee_inexact 0
		.amdhsa_exception_int_div_zero 0
	.end_amdhsa_kernel
	.section	.text._ZN2at6native12_GLOBAL__N_125multi_tensor_apply_kernelINS1_18TensorListMetadataILi2EEENS1_14UnaryOpFunctorIN3c104HalfELi2ELi1ELi1EEEJNS0_3SinIfEEEEEvT_T0_DpT1_,"axG",@progbits,_ZN2at6native12_GLOBAL__N_125multi_tensor_apply_kernelINS1_18TensorListMetadataILi2EEENS1_14UnaryOpFunctorIN3c104HalfELi2ELi1ELi1EEEJNS0_3SinIfEEEEEvT_T0_DpT1_,comdat
.Lfunc_end109:
	.size	_ZN2at6native12_GLOBAL__N_125multi_tensor_apply_kernelINS1_18TensorListMetadataILi2EEENS1_14UnaryOpFunctorIN3c104HalfELi2ELi1ELi1EEEJNS0_3SinIfEEEEEvT_T0_DpT1_, .Lfunc_end109-_ZN2at6native12_GLOBAL__N_125multi_tensor_apply_kernelINS1_18TensorListMetadataILi2EEENS1_14UnaryOpFunctorIN3c104HalfELi2ELi1ELi1EEEJNS0_3SinIfEEEEEvT_T0_DpT1_
                                        ; -- End function
	.set _ZN2at6native12_GLOBAL__N_125multi_tensor_apply_kernelINS1_18TensorListMetadataILi2EEENS1_14UnaryOpFunctorIN3c104HalfELi2ELi1ELi1EEEJNS0_3SinIfEEEEEvT_T0_DpT1_.num_vgpr, 56
	.set _ZN2at6native12_GLOBAL__N_125multi_tensor_apply_kernelINS1_18TensorListMetadataILi2EEENS1_14UnaryOpFunctorIN3c104HalfELi2ELi1ELi1EEEJNS0_3SinIfEEEEEvT_T0_DpT1_.num_agpr, 0
	.set _ZN2at6native12_GLOBAL__N_125multi_tensor_apply_kernelINS1_18TensorListMetadataILi2EEENS1_14UnaryOpFunctorIN3c104HalfELi2ELi1ELi1EEEJNS0_3SinIfEEEEEvT_T0_DpT1_.numbered_sgpr, 39
	.set _ZN2at6native12_GLOBAL__N_125multi_tensor_apply_kernelINS1_18TensorListMetadataILi2EEENS1_14UnaryOpFunctorIN3c104HalfELi2ELi1ELi1EEEJNS0_3SinIfEEEEEvT_T0_DpT1_.num_named_barrier, 0
	.set _ZN2at6native12_GLOBAL__N_125multi_tensor_apply_kernelINS1_18TensorListMetadataILi2EEENS1_14UnaryOpFunctorIN3c104HalfELi2ELi1ELi1EEEJNS0_3SinIfEEEEEvT_T0_DpT1_.private_seg_size, 0
	.set _ZN2at6native12_GLOBAL__N_125multi_tensor_apply_kernelINS1_18TensorListMetadataILi2EEENS1_14UnaryOpFunctorIN3c104HalfELi2ELi1ELi1EEEJNS0_3SinIfEEEEEvT_T0_DpT1_.uses_vcc, 1
	.set _ZN2at6native12_GLOBAL__N_125multi_tensor_apply_kernelINS1_18TensorListMetadataILi2EEENS1_14UnaryOpFunctorIN3c104HalfELi2ELi1ELi1EEEJNS0_3SinIfEEEEEvT_T0_DpT1_.uses_flat_scratch, 0
	.set _ZN2at6native12_GLOBAL__N_125multi_tensor_apply_kernelINS1_18TensorListMetadataILi2EEENS1_14UnaryOpFunctorIN3c104HalfELi2ELi1ELi1EEEJNS0_3SinIfEEEEEvT_T0_DpT1_.has_dyn_sized_stack, 0
	.set _ZN2at6native12_GLOBAL__N_125multi_tensor_apply_kernelINS1_18TensorListMetadataILi2EEENS1_14UnaryOpFunctorIN3c104HalfELi2ELi1ELi1EEEJNS0_3SinIfEEEEEvT_T0_DpT1_.has_recursion, 0
	.set _ZN2at6native12_GLOBAL__N_125multi_tensor_apply_kernelINS1_18TensorListMetadataILi2EEENS1_14UnaryOpFunctorIN3c104HalfELi2ELi1ELi1EEEJNS0_3SinIfEEEEEvT_T0_DpT1_.has_indirect_call, 0
	.section	.AMDGPU.csdata,"",@progbits
; Kernel info:
; codeLenInByte = 7492
; TotalNumSgprs: 43
; NumVgprs: 56
; ScratchSize: 0
; MemoryBound: 0
; FloatMode: 240
; IeeeMode: 1
; LDSByteSize: 0 bytes/workgroup (compile time only)
; SGPRBlocks: 5
; VGPRBlocks: 13
; NumSGPRsForWavesPerEU: 43
; NumVGPRsForWavesPerEU: 56
; Occupancy: 4
; WaveLimiterHint : 0
; COMPUTE_PGM_RSRC2:SCRATCH_EN: 0
; COMPUTE_PGM_RSRC2:USER_SGPR: 6
; COMPUTE_PGM_RSRC2:TRAP_HANDLER: 0
; COMPUTE_PGM_RSRC2:TGID_X_EN: 1
; COMPUTE_PGM_RSRC2:TGID_Y_EN: 0
; COMPUTE_PGM_RSRC2:TGID_Z_EN: 0
; COMPUTE_PGM_RSRC2:TIDIG_COMP_CNT: 0
	.section	.text._ZN2at6native12_GLOBAL__N_125multi_tensor_apply_kernelINS1_18TensorListMetadataILi2EEENS1_14UnaryOpFunctorIN3c108BFloat16ELi2ELi1ELi1EEEJNS0_3SinIfEEEEEvT_T0_DpT1_,"axG",@progbits,_ZN2at6native12_GLOBAL__N_125multi_tensor_apply_kernelINS1_18TensorListMetadataILi2EEENS1_14UnaryOpFunctorIN3c108BFloat16ELi2ELi1ELi1EEEJNS0_3SinIfEEEEEvT_T0_DpT1_,comdat
	.globl	_ZN2at6native12_GLOBAL__N_125multi_tensor_apply_kernelINS1_18TensorListMetadataILi2EEENS1_14UnaryOpFunctorIN3c108BFloat16ELi2ELi1ELi1EEEJNS0_3SinIfEEEEEvT_T0_DpT1_ ; -- Begin function _ZN2at6native12_GLOBAL__N_125multi_tensor_apply_kernelINS1_18TensorListMetadataILi2EEENS1_14UnaryOpFunctorIN3c108BFloat16ELi2ELi1ELi1EEEJNS0_3SinIfEEEEEvT_T0_DpT1_
	.p2align	8
	.type	_ZN2at6native12_GLOBAL__N_125multi_tensor_apply_kernelINS1_18TensorListMetadataILi2EEENS1_14UnaryOpFunctorIN3c108BFloat16ELi2ELi1ELi1EEEJNS0_3SinIfEEEEEvT_T0_DpT1_,@function
_ZN2at6native12_GLOBAL__N_125multi_tensor_apply_kernelINS1_18TensorListMetadataILi2EEENS1_14UnaryOpFunctorIN3c108BFloat16ELi2ELi1ELi1EEEJNS0_3SinIfEEEEEvT_T0_DpT1_: ; @_ZN2at6native12_GLOBAL__N_125multi_tensor_apply_kernelINS1_18TensorListMetadataILi2EEENS1_14UnaryOpFunctorIN3c108BFloat16ELi2ELi1ELi1EEEJNS0_3SinIfEEEEEvT_T0_DpT1_
; %bb.0:
	v_mov_b32_e32 v1, s6
	global_load_ubyte v1, v1, s[4:5] offset:1536
	s_add_u32 s0, s4, s6
	s_mul_hi_u32 s2, s6, 3
	s_mul_i32 s6, s6, 3
	s_addc_u32 s7, s5, 0
	s_add_u32 s6, s0, s6
	s_addc_u32 s7, s7, s2
	s_load_dword s6, s[6:7], 0x740
	s_mov_b32 s1, 0
	s_mov_b32 s3, s1
	s_waitcnt lgkmcnt(0)
	s_ashr_i32 s7, s6, 31
	s_lshl_b64 s[14:15], s[6:7], 17
	s_lshl_b64 s[6:7], s[6:7], 16
	s_waitcnt vmcnt(0)
	v_readfirstlane_b32 s0, v1
	s_lshl_b32 s0, s0, 3
	s_load_dwordx2 s[16:17], s[4:5], s0 offset:0x400
	s_load_dwordx2 s[10:11], s[4:5], s0 offset:0x0
	;; [unrolled: 1-line block ×3, first 2 shown]
	s_waitcnt lgkmcnt(0)
	s_add_u32 s0, s10, s14
	s_and_b32 s2, s8, 7
	s_and_b32 s0, s0, 7
	s_sub_u32 s12, s16, s6
	s_subb_u32 s13, s17, s7
	s_and_b32 s6, s16, 3
	s_mov_b32 s7, s1
	s_or_b64 s[2:3], s[2:3], s[6:7]
	s_or_b64 s[0:1], s[2:3], s[0:1]
	s_cmp_eq_u64 s[0:1], 0
	s_mov_b64 s[0:1], -1
	s_cbranch_scc0 .LBB110_21
; %bb.1:
	v_mov_b32_e32 v1, 0x10000
	v_mov_b32_e32 v2, 0
	v_cmp_lt_i64_e32 vcc, s[12:13], v[1:2]
	v_mov_b32_e32 v2, 0
	s_and_b64 s[0:1], vcc, exec
	s_cselect_b32 s17, s13, 0
	s_cselect_b32 s16, s12, 0x10000
	v_lshlrev_b32_e32 v1, 2, v0
	v_cmp_gt_i64_e32 vcc, s[16:17], v[1:2]
	s_and_saveexec_b64 s[18:19], vcc
	s_cbranch_execz .LBB110_20
; %bb.2:
	s_load_dword s0, s[4:5], 0xc5c
	v_lshlrev_b32_e32 v3, 3, v0
	v_mov_b32_e32 v1, v2
	v_mov_b32_e32 v4, s15
	v_add_co_u32_e32 v7, vcc, s14, v3
	s_waitcnt lgkmcnt(0)
	s_and_b32 s24, s0, 0xffff
	v_addc_co_u32_e32 v8, vcc, 0, v4, vcc
	v_mov_b32_e32 v4, v1
	s_lshl_b32 s25, s24, 3
	s_mov_b64 s[20:21], 0
	v_mov_b32_e32 v9, s11
	s_brev_b32 s26, 18
	s_mov_b32 s27, 0xfe5163ab
	s_mov_b32 s28, 0x3c439041
	;; [unrolled: 1-line block ×10, first 2 shown]
	v_mov_b32_e32 v10, 0xbe2aaa9d
	v_mov_b32_e32 v11, 0x3d2aabf7
	;; [unrolled: 1-line block ×3, first 2 shown]
	s_movk_i32 s38, 0x1f8
	s_movk_i32 s39, 0x7fff
	v_not_b32_e32 v13, 63
	v_not_b32_e32 v14, 31
	v_mov_b32_e32 v15, 0x7fc00000
	v_mov_b32_e32 v16, 0x7fc0
	;; [unrolled: 1-line block ×3, first 2 shown]
	s_branch .LBB110_4
.LBB110_3:                              ;   in Loop: Header=BB110_4 Depth=1
	s_or_b64 exec, exec, s[0:1]
	v_mul_f32_e32 v30, v28, v28
	v_mov_b32_e32 v31, 0x3c0881c4
	v_fmac_f32_e32 v31, 0xb94c1982, v30
	v_fma_f32 v31, v30, v31, v10
	v_mul_f32_e32 v31, v30, v31
	v_fmac_f32_e32 v28, v28, v31
	v_mov_b32_e32 v31, 0xbab64f3b
	v_fmac_f32_e32 v31, 0x37d75334, v30
	v_fma_f32 v31, v30, v31, v11
	v_fma_f32 v31, v30, v31, v12
	v_fma_f32 v30, v30, v31, 1.0
	v_and_b32_e32 v31, 1, v27
	v_lshlrev_b32_e32 v27, 30, v27
	v_cmp_eq_u32_e32 vcc, 0, v31
	v_and_b32_e32 v27, 0x80000000, v27
	v_cndmask_b32_e32 v28, v30, v28, vcc
	v_xor_b32_e32 v25, v25, v27
	v_xor_b32_e32 v25, v25, v28
	;; [unrolled: 1-line block ×3, first 2 shown]
	v_cmp_class_f32_e64 vcc, v5, s38
	v_cndmask_b32_e32 v25, v15, v25, vcc
	v_bfe_u32 v5, v25, 16, 1
	v_add3_u32 v5, v25, v5, s39
	v_lshrrev_b32_e32 v27, 16, v5
	v_mul_f32_e32 v5, v24, v24
	v_mov_b32_e32 v28, 0x3c0881c4
	v_fmac_f32_e32 v28, 0xb94c1982, v5
	v_fma_f32 v28, v5, v28, v10
	v_mul_f32_e32 v28, v5, v28
	v_fmac_f32_e32 v24, v24, v28
	v_mov_b32_e32 v28, 0xbab64f3b
	v_fmac_f32_e32 v28, 0x37d75334, v5
	v_fma_f32 v28, v5, v28, v11
	v_fma_f32 v28, v5, v28, v12
	v_fma_f32 v5, v5, v28, 1.0
	v_and_b32_e32 v28, 1, v23
	v_lshlrev_b32_e32 v23, 30, v23
	v_cmp_eq_u32_e32 vcc, 0, v28
	v_and_b32_e32 v23, 0x80000000, v23
	v_cndmask_b32_e32 v5, v5, v24, vcc
	v_xor_b32_e32 v22, v22, v23
	v_xor_b32_e32 v5, v22, v5
	;; [unrolled: 1-line block ×3, first 2 shown]
	v_cmp_class_f32_e64 vcc, v21, s38
	v_cndmask_b32_e32 v21, v15, v5, vcc
	v_bfe_u32 v5, v21, 16, 1
	v_add3_u32 v5, v21, v5, s39
	v_and_b32_e32 v22, 0xffff0000, v5
	v_mul_f32_e32 v5, v20, v20
	v_mov_b32_e32 v23, 0x3c0881c4
	v_fmac_f32_e32 v23, 0xb94c1982, v5
	v_fma_f32 v23, v5, v23, v10
	v_mul_f32_e32 v23, v5, v23
	v_fmac_f32_e32 v20, v20, v23
	v_mov_b32_e32 v23, 0xbab64f3b
	v_fmac_f32_e32 v23, 0x37d75334, v5
	v_fma_f32 v23, v5, v23, v11
	v_fma_f32 v23, v5, v23, v12
	v_fma_f32 v5, v5, v23, 1.0
	v_and_b32_e32 v23, 1, v19
	v_lshlrev_b32_e32 v19, 30, v19
	v_cmp_eq_u32_e32 vcc, 0, v23
	v_and_b32_e32 v19, 0x80000000, v19
	v_cndmask_b32_e32 v5, v5, v20, vcc
	v_xor_b32_e32 v18, v18, v19
	v_xor_b32_e32 v5, v18, v5
	;; [unrolled: 1-line block ×3, first 2 shown]
	v_cmp_class_f32_e64 vcc, v17, s38
	v_cndmask_b32_e32 v17, v15, v5, vcc
	v_bfe_u32 v5, v17, 16, 1
	v_add3_u32 v5, v17, v5, s39
	v_lshrrev_b32_e32 v18, 16, v5
	v_mul_f32_e32 v5, v29, v29
	v_mov_b32_e32 v19, 0x3c0881c4
	v_fmac_f32_e32 v19, 0xb94c1982, v5
	v_fma_f32 v19, v5, v19, v10
	v_mul_f32_e32 v19, v5, v19
	v_fmac_f32_e32 v29, v29, v19
	v_mov_b32_e32 v19, 0xbab64f3b
	v_fmac_f32_e32 v19, 0x37d75334, v5
	v_fma_f32 v19, v5, v19, v11
	v_fma_f32 v19, v5, v19, v12
	v_fma_f32 v5, v5, v19, 1.0
	v_and_b32_e32 v19, 1, v1
	v_lshlrev_b32_e32 v1, 30, v1
	v_cmp_eq_u32_e32 vcc, 0, v19
	v_and_b32_e32 v1, 0x80000000, v1
	v_cndmask_b32_e32 v5, v5, v29, vcc
	v_xor_b32_e32 v1, v26, v1
	v_xor_b32_e32 v1, v1, v5
	;; [unrolled: 1-line block ×3, first 2 shown]
	v_cmp_class_f32_e64 vcc, v6, s38
	v_cndmask_b32_e32 v1, v15, v1, vcc
	v_bfe_u32 v5, v1, 16, 1
	v_add3_u32 v19, v1, v5, s39
	v_mov_b32_e32 v6, s9
	v_add_co_u32_e32 v5, vcc, s8, v7
	v_addc_co_u32_e32 v6, vcc, v6, v8, vcc
	v_and_b32_e32 v19, 0xffff0000, v19
	v_cmp_o_f32_e32 vcc, v1, v1
	v_cndmask_b32_e32 v1, v15, v19, vcc
	v_cmp_o_f32_e32 vcc, v25, v25
	v_cndmask_b32_e32 v19, v16, v27, vcc
	;; [unrolled: 2-line block ×4, first 2 shown]
	v_add_co_u32_e32 v3, vcc, s24, v3
	v_addc_co_u32_e32 v4, vcc, 0, v4, vcc
	v_or_b32_e32 v17, v20, v17
	v_or3_b32 v18, 0, v19, v1
	v_lshlrev_b64 v[19:20], 2, v[3:4]
	v_or3_b32 v17, v17, 0, 0
	v_cmp_le_i64_e32 vcc, s[16:17], v[19:20]
	global_store_dwordx2 v[5:6], v[17:18], off
	s_or_b64 s[20:21], vcc, s[20:21]
	v_add_co_u32_e32 v7, vcc, s25, v7
	v_addc_co_u32_e32 v8, vcc, 0, v8, vcc
	s_andn2_b64 exec, exec, s[20:21]
	s_cbranch_execz .LBB110_20
.LBB110_4:                              ; =>This Inner Loop Header: Depth=1
	v_add_co_u32_e32 v5, vcc, s10, v7
	v_addc_co_u32_e32 v6, vcc, v9, v8, vcc
	global_load_dwordx2 v[5:6], v[5:6], off
                                        ; implicit-def: $vgpr19
                                        ; implicit-def: $vgpr20
	s_waitcnt vmcnt(0)
	v_lshlrev_b32_e32 v17, 16, v5
	v_and_b32_e32 v18, 0x7fffffff, v17
	v_cmp_nlt_f32_e64 s[0:1], |v17|, s26
	s_and_saveexec_b64 s[2:3], s[0:1]
	s_xor_b64 s[22:23], exec, s[2:3]
	s_cbranch_execz .LBB110_6
; %bb.5:                                ;   in Loop: Header=BB110_4 Depth=1
	v_and_b32_e32 v1, 0x7fffff, v18
	v_or_b32_e32 v26, 0x800000, v1
	v_mad_u64_u32 v[19:20], s[0:1], v26, s27, 0
	v_mov_b32_e32 v1, v20
	v_mad_u64_u32 v[20:21], s[0:1], v26, s28, v[1:2]
	v_mov_b32_e32 v1, v21
	;; [unrolled: 2-line block ×3, first 2 shown]
	v_mad_u64_u32 v[22:23], s[0:1], v26, s30, v[1:2]
	v_lshrrev_b32_e32 v1, 23, v18
	v_add_u32_e32 v25, 0xffffff88, v1
	v_mov_b32_e32 v1, v23
	v_mad_u64_u32 v[23:24], s[0:1], v26, s31, v[1:2]
	v_cmp_lt_u32_e32 vcc, 63, v25
	v_cndmask_b32_e32 v1, 0, v13, vcc
	v_add_u32_e32 v27, v1, v25
	v_mov_b32_e32 v1, v24
	v_mad_u64_u32 v[24:25], s[0:1], v26, s33, v[1:2]
	v_cmp_lt_u32_e64 s[0:1], 31, v27
	v_cndmask_b32_e64 v1, 0, v14, s[0:1]
	v_add_u32_e32 v27, v1, v27
	v_mov_b32_e32 v1, v25
	v_mad_u64_u32 v[25:26], s[2:3], v26, s34, v[1:2]
	v_cmp_lt_u32_e64 s[2:3], 31, v27
	v_cndmask_b32_e64 v1, 0, v14, s[2:3]
	v_add_u32_e32 v1, v1, v27
	v_cndmask_b32_e32 v27, v24, v22, vcc
	v_cndmask_b32_e32 v25, v25, v23, vcc
	v_cndmask_b32_e32 v24, v26, v24, vcc
	v_cndmask_b32_e32 v23, v23, v21, vcc
	v_cndmask_b32_e64 v26, v25, v27, s[0:1]
	v_cndmask_b32_e64 v24, v24, v25, s[0:1]
	;; [unrolled: 1-line block ×3, first 2 shown]
	v_cndmask_b32_e32 v20, v22, v20, vcc
	v_cndmask_b32_e64 v24, v24, v26, s[2:3]
	v_cndmask_b32_e64 v26, v26, v25, s[2:3]
	v_sub_u32_e32 v27, 32, v1
	v_cndmask_b32_e64 v22, v23, v20, s[0:1]
	v_alignbit_b32 v28, v24, v26, v27
	v_cmp_eq_u32_e64 s[6:7], 0, v1
	v_cndmask_b32_e64 v23, v25, v22, s[2:3]
	v_cndmask_b32_e64 v1, v28, v24, s[6:7]
	v_alignbit_b32 v24, v26, v23, v27
	v_cndmask_b32_e32 v19, v21, v19, vcc
	v_cndmask_b32_e64 v24, v24, v26, s[6:7]
	v_bfe_u32 v28, v1, 29, 1
	v_cndmask_b32_e64 v19, v20, v19, s[0:1]
	v_alignbit_b32 v25, v1, v24, 30
	v_sub_u32_e32 v29, 0, v28
	v_cndmask_b32_e64 v19, v22, v19, s[2:3]
	v_xor_b32_e32 v25, v25, v29
	v_alignbit_b32 v20, v23, v19, v27
	v_cndmask_b32_e64 v20, v20, v23, s[6:7]
	v_ffbh_u32_e32 v22, v25
	v_alignbit_b32 v21, v24, v20, 30
	v_min_u32_e32 v22, 32, v22
	v_alignbit_b32 v19, v20, v19, 30
	v_xor_b32_e32 v21, v21, v29
	v_sub_u32_e32 v23, 31, v22
	v_xor_b32_e32 v19, v19, v29
	v_alignbit_b32 v24, v25, v21, v23
	v_alignbit_b32 v19, v21, v19, v23
	;; [unrolled: 1-line block ×3, first 2 shown]
	v_ffbh_u32_e32 v21, v20
	v_min_u32_e32 v21, 32, v21
	v_lshrrev_b32_e32 v26, 29, v1
	v_not_b32_e32 v23, v21
	v_alignbit_b32 v19, v20, v19, v23
	v_lshlrev_b32_e32 v20, 31, v26
	v_or_b32_e32 v23, 0x33000000, v20
	v_add_lshl_u32 v21, v21, v22, 23
	v_lshrrev_b32_e32 v19, 9, v19
	v_sub_u32_e32 v21, v23, v21
	v_or_b32_e32 v20, 0.5, v20
	v_lshlrev_b32_e32 v22, 23, v22
	v_or_b32_e32 v19, v21, v19
	v_lshrrev_b32_e32 v21, 9, v24
	v_sub_u32_e32 v20, v20, v22
	v_or_b32_e32 v20, v21, v20
	v_mul_f32_e32 v21, 0x3fc90fda, v20
	v_fma_f32 v22, v20, s35, -v21
	v_fmac_f32_e32 v22, 0x33a22168, v20
	v_fmac_f32_e32 v22, 0x3fc90fda, v19
	v_lshrrev_b32_e32 v1, 30, v1
	v_add_f32_e32 v20, v21, v22
	v_add_u32_e32 v19, v28, v1
.LBB110_6:                              ;   in Loop: Header=BB110_4 Depth=1
	s_andn2_saveexec_b64 s[0:1], s[22:23]
; %bb.7:                                ;   in Loop: Header=BB110_4 Depth=1
	v_mul_f32_e64 v1, |v17|, s36
	v_rndne_f32_e32 v1, v1
	v_cvt_i32_f32_e32 v19, v1
	v_fma_f32 v20, v1, s37, |v17|
	v_fmac_f32_e32 v20, 0xb3a22168, v1
	v_fmac_f32_e32 v20, 0xa7c234c4, v1
; %bb.8:                                ;   in Loop: Header=BB110_4 Depth=1
	s_or_b64 exec, exec, s[0:1]
	v_and_b32_e32 v21, 0xffff0000, v5
	v_and_b32_e32 v22, 0x7fffffff, v21
	v_cmp_nlt_f32_e64 s[0:1], |v21|, s26
                                        ; implicit-def: $vgpr23
                                        ; implicit-def: $vgpr24
	s_and_saveexec_b64 s[2:3], s[0:1]
	s_xor_b64 s[22:23], exec, s[2:3]
	s_cbranch_execz .LBB110_10
; %bb.9:                                ;   in Loop: Header=BB110_4 Depth=1
	v_and_b32_e32 v1, 0x7fffff, v22
	v_or_b32_e32 v30, 0x800000, v1
	v_mad_u64_u32 v[23:24], s[0:1], v30, s27, 0
	v_mov_b32_e32 v1, v24
	v_mad_u64_u32 v[24:25], s[0:1], v30, s28, v[1:2]
	v_mov_b32_e32 v1, v25
	;; [unrolled: 2-line block ×3, first 2 shown]
	v_mad_u64_u32 v[26:27], s[0:1], v30, s30, v[1:2]
	v_lshrrev_b32_e32 v1, 23, v22
	v_add_u32_e32 v29, 0xffffff88, v1
	v_mov_b32_e32 v1, v27
	v_mad_u64_u32 v[27:28], s[0:1], v30, s31, v[1:2]
	v_cmp_lt_u32_e32 vcc, 63, v29
	v_cndmask_b32_e32 v1, 0, v13, vcc
	v_add_u32_e32 v31, v1, v29
	v_mov_b32_e32 v1, v28
	v_mad_u64_u32 v[28:29], s[0:1], v30, s33, v[1:2]
	v_cmp_lt_u32_e64 s[0:1], 31, v31
	v_cndmask_b32_e64 v1, 0, v14, s[0:1]
	v_add_u32_e32 v31, v1, v31
	v_mov_b32_e32 v1, v29
	v_mad_u64_u32 v[29:30], s[2:3], v30, s34, v[1:2]
	v_cmp_lt_u32_e64 s[2:3], 31, v31
	v_cndmask_b32_e64 v1, 0, v14, s[2:3]
	v_add_u32_e32 v1, v1, v31
	v_cndmask_b32_e32 v31, v28, v26, vcc
	v_cndmask_b32_e32 v29, v29, v27, vcc
	;; [unrolled: 1-line block ×4, first 2 shown]
	v_cndmask_b32_e64 v30, v29, v31, s[0:1]
	v_cndmask_b32_e64 v28, v28, v29, s[0:1]
	v_cndmask_b32_e64 v29, v31, v27, s[0:1]
	v_cndmask_b32_e32 v24, v26, v24, vcc
	v_cndmask_b32_e64 v28, v28, v30, s[2:3]
	v_cndmask_b32_e64 v30, v30, v29, s[2:3]
	v_sub_u32_e32 v31, 32, v1
	v_cndmask_b32_e64 v26, v27, v24, s[0:1]
	v_alignbit_b32 v32, v28, v30, v31
	v_cmp_eq_u32_e64 s[6:7], 0, v1
	v_cndmask_b32_e64 v27, v29, v26, s[2:3]
	v_cndmask_b32_e64 v1, v32, v28, s[6:7]
	v_alignbit_b32 v28, v30, v27, v31
	v_cndmask_b32_e32 v23, v25, v23, vcc
	v_cndmask_b32_e64 v28, v28, v30, s[6:7]
	v_bfe_u32 v32, v1, 29, 1
	v_cndmask_b32_e64 v23, v24, v23, s[0:1]
	v_alignbit_b32 v29, v1, v28, 30
	v_sub_u32_e32 v33, 0, v32
	v_cndmask_b32_e64 v23, v26, v23, s[2:3]
	v_xor_b32_e32 v29, v29, v33
	v_alignbit_b32 v24, v27, v23, v31
	v_cndmask_b32_e64 v24, v24, v27, s[6:7]
	v_ffbh_u32_e32 v26, v29
	v_alignbit_b32 v25, v28, v24, 30
	v_min_u32_e32 v26, 32, v26
	v_alignbit_b32 v23, v24, v23, 30
	v_xor_b32_e32 v25, v25, v33
	v_sub_u32_e32 v27, 31, v26
	v_xor_b32_e32 v23, v23, v33
	v_alignbit_b32 v28, v29, v25, v27
	v_alignbit_b32 v23, v25, v23, v27
	;; [unrolled: 1-line block ×3, first 2 shown]
	v_ffbh_u32_e32 v25, v24
	v_min_u32_e32 v25, 32, v25
	v_lshrrev_b32_e32 v30, 29, v1
	v_not_b32_e32 v27, v25
	v_alignbit_b32 v23, v24, v23, v27
	v_lshlrev_b32_e32 v24, 31, v30
	v_or_b32_e32 v27, 0x33000000, v24
	v_add_lshl_u32 v25, v25, v26, 23
	v_lshrrev_b32_e32 v23, 9, v23
	v_sub_u32_e32 v25, v27, v25
	v_or_b32_e32 v24, 0.5, v24
	v_lshlrev_b32_e32 v26, 23, v26
	v_or_b32_e32 v23, v25, v23
	v_lshrrev_b32_e32 v25, 9, v28
	v_sub_u32_e32 v24, v24, v26
	v_or_b32_e32 v24, v25, v24
	v_mul_f32_e32 v25, 0x3fc90fda, v24
	v_fma_f32 v26, v24, s35, -v25
	v_fmac_f32_e32 v26, 0x33a22168, v24
	v_fmac_f32_e32 v26, 0x3fc90fda, v23
	v_lshrrev_b32_e32 v1, 30, v1
	v_add_f32_e32 v24, v25, v26
	v_add_u32_e32 v23, v32, v1
.LBB110_10:                             ;   in Loop: Header=BB110_4 Depth=1
	s_andn2_saveexec_b64 s[0:1], s[22:23]
; %bb.11:                               ;   in Loop: Header=BB110_4 Depth=1
	v_mul_f32_e64 v1, |v21|, s36
	v_rndne_f32_e32 v1, v1
	v_cvt_i32_f32_e32 v23, v1
	v_fma_f32 v24, v1, s37, |v21|
	v_fmac_f32_e32 v24, 0xb3a22168, v1
	v_fmac_f32_e32 v24, 0xa7c234c4, v1
; %bb.12:                               ;   in Loop: Header=BB110_4 Depth=1
	s_or_b64 exec, exec, s[0:1]
	v_alignbit_b32 v1, v6, v5, 16
	v_and_b32_e32 v5, 0xffff0000, v1
	v_and_b32_e32 v25, 0x7fffffff, v5
	v_cmp_nlt_f32_e64 s[0:1], |v5|, s26
                                        ; implicit-def: $vgpr27
                                        ; implicit-def: $vgpr28
	s_and_saveexec_b64 s[2:3], s[0:1]
	s_xor_b64 s[22:23], exec, s[2:3]
	s_cbranch_execz .LBB110_14
; %bb.13:                               ;   in Loop: Header=BB110_4 Depth=1
	v_and_b32_e32 v1, 0x7fffff, v25
	v_or_b32_e32 v33, 0x800000, v1
	v_mad_u64_u32 v[26:27], s[0:1], v33, s27, 0
	v_mov_b32_e32 v1, v27
	v_mad_u64_u32 v[27:28], s[0:1], v33, s28, v[1:2]
	v_mov_b32_e32 v1, v28
	;; [unrolled: 2-line block ×3, first 2 shown]
	v_mad_u64_u32 v[29:30], s[0:1], v33, s30, v[1:2]
	v_lshrrev_b32_e32 v1, 23, v25
	v_add_u32_e32 v32, 0xffffff88, v1
	v_mov_b32_e32 v1, v30
	v_mad_u64_u32 v[30:31], s[0:1], v33, s31, v[1:2]
	v_cmp_lt_u32_e32 vcc, 63, v32
	v_cndmask_b32_e32 v1, 0, v13, vcc
	v_add_u32_e32 v34, v1, v32
	v_mov_b32_e32 v1, v31
	v_mad_u64_u32 v[31:32], s[0:1], v33, s33, v[1:2]
	v_cmp_lt_u32_e64 s[0:1], 31, v34
	v_cndmask_b32_e64 v1, 0, v14, s[0:1]
	v_add_u32_e32 v34, v1, v34
	v_mov_b32_e32 v1, v32
	v_mad_u64_u32 v[32:33], s[2:3], v33, s34, v[1:2]
	v_cmp_lt_u32_e64 s[2:3], 31, v34
	v_cndmask_b32_e64 v1, 0, v14, s[2:3]
	v_add_u32_e32 v1, v1, v34
	v_cndmask_b32_e32 v34, v31, v29, vcc
	v_cndmask_b32_e32 v32, v32, v30, vcc
	;; [unrolled: 1-line block ×4, first 2 shown]
	v_cndmask_b32_e64 v33, v32, v34, s[0:1]
	v_cndmask_b32_e64 v31, v31, v32, s[0:1]
	;; [unrolled: 1-line block ×3, first 2 shown]
	v_cndmask_b32_e32 v27, v29, v27, vcc
	v_cndmask_b32_e64 v31, v31, v33, s[2:3]
	v_cndmask_b32_e64 v33, v33, v32, s[2:3]
	v_sub_u32_e32 v34, 32, v1
	v_cndmask_b32_e64 v29, v30, v27, s[0:1]
	v_alignbit_b32 v35, v31, v33, v34
	v_cmp_eq_u32_e64 s[6:7], 0, v1
	v_cndmask_b32_e64 v30, v32, v29, s[2:3]
	v_cndmask_b32_e64 v1, v35, v31, s[6:7]
	v_alignbit_b32 v31, v33, v30, v34
	v_cndmask_b32_e32 v26, v28, v26, vcc
	v_cndmask_b32_e64 v31, v31, v33, s[6:7]
	v_bfe_u32 v35, v1, 29, 1
	v_cndmask_b32_e64 v26, v27, v26, s[0:1]
	v_alignbit_b32 v32, v1, v31, 30
	v_sub_u32_e32 v36, 0, v35
	v_cndmask_b32_e64 v26, v29, v26, s[2:3]
	v_xor_b32_e32 v32, v32, v36
	v_alignbit_b32 v27, v30, v26, v34
	v_cndmask_b32_e64 v27, v27, v30, s[6:7]
	v_ffbh_u32_e32 v29, v32
	v_alignbit_b32 v28, v31, v27, 30
	v_min_u32_e32 v29, 32, v29
	v_alignbit_b32 v26, v27, v26, 30
	v_xor_b32_e32 v28, v28, v36
	v_sub_u32_e32 v30, 31, v29
	v_xor_b32_e32 v26, v26, v36
	v_alignbit_b32 v31, v32, v28, v30
	v_alignbit_b32 v26, v28, v26, v30
	;; [unrolled: 1-line block ×3, first 2 shown]
	v_ffbh_u32_e32 v28, v27
	v_min_u32_e32 v28, 32, v28
	v_lshrrev_b32_e32 v33, 29, v1
	v_not_b32_e32 v30, v28
	v_alignbit_b32 v26, v27, v26, v30
	v_lshlrev_b32_e32 v27, 31, v33
	v_or_b32_e32 v30, 0x33000000, v27
	v_add_lshl_u32 v28, v28, v29, 23
	v_lshrrev_b32_e32 v26, 9, v26
	v_sub_u32_e32 v28, v30, v28
	v_or_b32_e32 v27, 0.5, v27
	v_lshlrev_b32_e32 v29, 23, v29
	v_or_b32_e32 v26, v28, v26
	v_lshrrev_b32_e32 v28, 9, v31
	v_sub_u32_e32 v27, v27, v29
	v_or_b32_e32 v27, v28, v27
	v_mul_f32_e32 v28, 0x3fc90fda, v27
	v_fma_f32 v29, v27, s35, -v28
	v_fmac_f32_e32 v29, 0x33a22168, v27
	v_fmac_f32_e32 v29, 0x3fc90fda, v26
	v_lshrrev_b32_e32 v1, 30, v1
	v_add_f32_e32 v28, v28, v29
	v_add_u32_e32 v27, v35, v1
.LBB110_14:                             ;   in Loop: Header=BB110_4 Depth=1
	s_andn2_saveexec_b64 s[0:1], s[22:23]
; %bb.15:                               ;   in Loop: Header=BB110_4 Depth=1
	v_mul_f32_e64 v1, |v5|, s36
	v_rndne_f32_e32 v1, v1
	v_cvt_i32_f32_e32 v27, v1
	v_fma_f32 v28, v1, s37, |v5|
	v_fmac_f32_e32 v28, 0xb3a22168, v1
	v_fmac_f32_e32 v28, 0xa7c234c4, v1
; %bb.16:                               ;   in Loop: Header=BB110_4 Depth=1
	s_or_b64 exec, exec, s[0:1]
	v_and_b32_e32 v6, 0xffff0000, v6
	v_and_b32_e32 v26, 0x7fffffff, v6
	v_cmp_nlt_f32_e64 s[0:1], |v6|, s26
                                        ; implicit-def: $vgpr1
                                        ; implicit-def: $vgpr29
	s_and_saveexec_b64 s[2:3], s[0:1]
	s_xor_b64 s[22:23], exec, s[2:3]
	s_cbranch_execz .LBB110_18
; %bb.17:                               ;   in Loop: Header=BB110_4 Depth=1
	v_and_b32_e32 v1, 0x7fffff, v26
	v_or_b32_e32 v36, 0x800000, v1
	v_mad_u64_u32 v[29:30], s[0:1], v36, s27, 0
	v_mov_b32_e32 v1, v30
	v_mad_u64_u32 v[30:31], s[0:1], v36, s28, v[1:2]
	v_mov_b32_e32 v1, v31
	;; [unrolled: 2-line block ×3, first 2 shown]
	v_mad_u64_u32 v[32:33], s[0:1], v36, s30, v[1:2]
	v_lshrrev_b32_e32 v1, 23, v26
	v_add_u32_e32 v35, 0xffffff88, v1
	v_mov_b32_e32 v1, v33
	v_mad_u64_u32 v[33:34], s[0:1], v36, s31, v[1:2]
	v_cmp_lt_u32_e32 vcc, 63, v35
	v_cndmask_b32_e32 v1, 0, v13, vcc
	v_add_u32_e32 v37, v1, v35
	v_mov_b32_e32 v1, v34
	v_mad_u64_u32 v[34:35], s[0:1], v36, s33, v[1:2]
	v_cmp_lt_u32_e64 s[0:1], 31, v37
	v_cndmask_b32_e64 v1, 0, v14, s[0:1]
	v_add_u32_e32 v37, v1, v37
	v_mov_b32_e32 v1, v35
	v_mad_u64_u32 v[35:36], s[2:3], v36, s34, v[1:2]
	v_cmp_lt_u32_e64 s[2:3], 31, v37
	v_cndmask_b32_e64 v1, 0, v14, s[2:3]
	v_add_u32_e32 v1, v1, v37
	v_cndmask_b32_e32 v37, v34, v32, vcc
	v_cndmask_b32_e32 v35, v35, v33, vcc
	;; [unrolled: 1-line block ×4, first 2 shown]
	v_cndmask_b32_e64 v36, v35, v37, s[0:1]
	v_cndmask_b32_e64 v34, v34, v35, s[0:1]
	;; [unrolled: 1-line block ×3, first 2 shown]
	v_cndmask_b32_e32 v30, v32, v30, vcc
	v_cndmask_b32_e64 v34, v34, v36, s[2:3]
	v_cndmask_b32_e64 v36, v36, v35, s[2:3]
	v_sub_u32_e32 v37, 32, v1
	v_cndmask_b32_e64 v32, v33, v30, s[0:1]
	v_alignbit_b32 v38, v34, v36, v37
	v_cmp_eq_u32_e64 s[6:7], 0, v1
	v_cndmask_b32_e64 v33, v35, v32, s[2:3]
	v_cndmask_b32_e64 v1, v38, v34, s[6:7]
	v_alignbit_b32 v34, v36, v33, v37
	v_cndmask_b32_e32 v29, v31, v29, vcc
	v_cndmask_b32_e64 v34, v34, v36, s[6:7]
	v_bfe_u32 v38, v1, 29, 1
	v_cndmask_b32_e64 v29, v30, v29, s[0:1]
	v_alignbit_b32 v35, v1, v34, 30
	v_sub_u32_e32 v39, 0, v38
	v_cndmask_b32_e64 v29, v32, v29, s[2:3]
	v_xor_b32_e32 v35, v35, v39
	v_alignbit_b32 v30, v33, v29, v37
	v_cndmask_b32_e64 v30, v30, v33, s[6:7]
	v_ffbh_u32_e32 v32, v35
	v_alignbit_b32 v31, v34, v30, 30
	v_min_u32_e32 v32, 32, v32
	v_alignbit_b32 v29, v30, v29, 30
	v_xor_b32_e32 v31, v31, v39
	v_sub_u32_e32 v33, 31, v32
	v_xor_b32_e32 v29, v29, v39
	v_alignbit_b32 v34, v35, v31, v33
	v_alignbit_b32 v29, v31, v29, v33
	;; [unrolled: 1-line block ×3, first 2 shown]
	v_ffbh_u32_e32 v31, v30
	v_min_u32_e32 v31, 32, v31
	v_lshrrev_b32_e32 v36, 29, v1
	v_not_b32_e32 v33, v31
	v_alignbit_b32 v29, v30, v29, v33
	v_lshlrev_b32_e32 v30, 31, v36
	v_or_b32_e32 v33, 0x33000000, v30
	v_add_lshl_u32 v31, v31, v32, 23
	v_lshrrev_b32_e32 v29, 9, v29
	v_sub_u32_e32 v31, v33, v31
	v_or_b32_e32 v30, 0.5, v30
	v_lshlrev_b32_e32 v32, 23, v32
	v_or_b32_e32 v29, v31, v29
	v_lshrrev_b32_e32 v31, 9, v34
	v_sub_u32_e32 v30, v30, v32
	v_or_b32_e32 v30, v31, v30
	v_mul_f32_e32 v31, 0x3fc90fda, v30
	v_fma_f32 v32, v30, s35, -v31
	v_fmac_f32_e32 v32, 0x33a22168, v30
	v_fmac_f32_e32 v32, 0x3fc90fda, v29
	v_lshrrev_b32_e32 v1, 30, v1
	v_add_f32_e32 v29, v31, v32
	v_add_u32_e32 v1, v38, v1
.LBB110_18:                             ;   in Loop: Header=BB110_4 Depth=1
	s_andn2_saveexec_b64 s[0:1], s[22:23]
	s_cbranch_execz .LBB110_3
; %bb.19:                               ;   in Loop: Header=BB110_4 Depth=1
	v_mul_f32_e64 v1, |v6|, s36
	v_rndne_f32_e32 v30, v1
	v_cvt_i32_f32_e32 v1, v30
	v_fma_f32 v29, v30, s37, |v6|
	v_fmac_f32_e32 v29, 0xb3a22168, v30
	v_fmac_f32_e32 v29, 0xa7c234c4, v30
	s_branch .LBB110_3
.LBB110_20:
	s_or_b64 exec, exec, s[18:19]
	s_mov_b64 s[0:1], 0
.LBB110_21:
	s_andn2_b64 vcc, exec, s[0:1]
	s_cbranch_vccnz .LBB110_57
; %bb.22:
	v_cmp_lt_i64_e64 s[0:1], s[12:13], 1
	s_and_b64 vcc, exec, s[0:1]
	s_cbranch_vccnz .LBB110_57
; %bb.23:
	v_mov_b32_e32 v3, 0x10000
	s_load_dword s2, s[4:5], 0xc5c
	v_mov_b32_e32 v4, 0
	v_cmp_lt_i64_e32 vcc, s[12:13], v[3:4]
	v_mov_b32_e32 v2, 0
	s_and_b64 s[0:1], vcc, exec
	v_cmp_lt_u64_e32 vcc, s[12:13], v[3:4]
	s_cselect_b32 s17, s13, 0
	s_cselect_b32 s16, s12, 0x10000
	s_waitcnt lgkmcnt(0)
	s_and_b32 s2, s2, 0xffff
	v_lshlrev_b32_e32 v1, 1, v0
	s_and_b64 s[0:1], vcc, exec
	v_mov_b32_e32 v4, s11
	v_add_co_u32_e32 v3, vcc, s10, v1
	v_mad_u64_u32 v[9:10], s[0:1], s2, 6, v[1:2]
	v_addc_co_u32_e32 v4, vcc, 0, v4, vcc
	v_mov_b32_e32 v6, s9
	v_add_co_u32_e32 v5, vcc, s8, v1
	v_addc_co_u32_e32 v6, vcc, 0, v6, vcc
	v_mov_b32_e32 v8, s11
	v_add_co_u32_e32 v7, vcc, s10, v9
	;; [unrolled: 3-line block ×3, first 2 shown]
	s_cselect_b32 s19, s13, 0
	s_cselect_b32 s18, s12, 0x10000
	s_lshl_b32 s24, s2, 2
	v_addc_co_u32_e32 v10, vcc, v11, v10, vcc
	v_add_co_u32_e32 v1, vcc, s24, v1
	v_addc_co_u32_e64 v14, s[0:1], 0, 0, vcc
	v_mov_b32_e32 v12, s11
	v_add_co_u32_e32 v11, vcc, s10, v1
	v_addc_co_u32_e32 v12, vcc, v12, v14, vcc
	v_mov_b32_e32 v15, s9
	v_add_co_u32_e32 v13, vcc, s8, v1
	v_addc_co_u32_e32 v14, vcc, v15, v14, vcc
	v_add_co_u32_e32 v15, vcc, s2, v0
	v_lshlrev_b32_e32 v1, 1, v15
	v_addc_co_u32_e64 v16, s[0:1], 0, 0, vcc
	v_mov_b32_e32 v18, s11
	v_add_co_u32_e32 v17, vcc, s10, v1
	v_addc_co_u32_e32 v18, vcc, 0, v18, vcc
	v_mov_b32_e32 v20, s9
	v_add_co_u32_e32 v19, vcc, s8, v1
	s_mul_i32 s4, s2, 3
	v_addc_co_u32_e32 v20, vcc, 0, v20, vcc
	s_lshl_b32 s3, s2, 1
	v_add_co_u32_e32 v21, vcc, s4, v0
	v_addc_co_u32_e64 v22, s[0:1], 0, 0, vcc
	v_add_co_u32_e32 v23, vcc, s3, v0
	s_lshl_b32 s25, s2, 3
	s_mov_b64 s[20:21], 0
	s_brev_b32 s26, 18
	s_mov_b32 s27, 0xfe5163ab
	s_mov_b32 s28, 0x3c439041
	;; [unrolled: 1-line block ×10, first 2 shown]
	s_movk_i32 s38, 0x1f8
	s_movk_i32 s39, 0x7fff
	v_addc_co_u32_e64 v24, s[0:1], 0, 0, vcc
	v_mov_b32_e32 v25, 0xbe2aaa9d
	v_mov_b32_e32 v26, 0x3d2aabf7
	;; [unrolled: 1-line block ×3, first 2 shown]
	v_not_b32_e32 v28, 63
	v_not_b32_e32 v29, 31
	v_mov_b32_e32 v30, 0x7fc00000
	v_mov_b32_e32 v31, 0x7fc0
	s_branch .LBB110_25
.LBB110_24:                             ;   in Loop: Header=BB110_25 Depth=1
	s_or_b64 exec, exec, s[2:3]
	v_add_co_u32_e32 v3, vcc, s25, v3
	v_addc_co_u32_e32 v4, vcc, 0, v4, vcc
	v_add_co_u32_e32 v5, vcc, s25, v5
	v_addc_co_u32_e32 v6, vcc, 0, v6, vcc
	;; [unrolled: 2-line block ×6, first 2 shown]
	s_add_u32 s20, s20, s24
	v_add_co_u32_e32 v17, vcc, s25, v17
	v_mov_b32_e32 v33, s17
	s_addc_u32 s21, s21, 0
	v_addc_co_u32_e32 v18, vcc, 0, v18, vcc
	v_mov_b32_e32 v32, s16
	v_cmp_ge_i64_e32 vcc, s[20:21], v[32:33]
	v_add_co_u32_e64 v19, s[0:1], s25, v19
	v_addc_co_u32_e64 v20, s[0:1], 0, v20, s[0:1]
	s_cbranch_vccnz .LBB110_57
.LBB110_25:                             ; =>This Inner Loop Header: Depth=1
	v_mov_b32_e32 v1, s21
	v_add_co_u32_e32 v32, vcc, s20, v0
	v_addc_co_u32_e32 v33, vcc, 0, v1, vcc
	v_cmp_gt_u64_e32 vcc, s[18:19], v[32:33]
	v_mov_b32_e32 v35, 0
	s_and_saveexec_b64 s[2:3], vcc
	s_cbranch_execz .LBB110_27
; %bb.26:                               ;   in Loop: Header=BB110_25 Depth=1
	v_mov_b32_e32 v1, s15
	v_add_co_u32_e64 v32, s[0:1], s14, v3
	v_addc_co_u32_e64 v33, s[0:1], v4, v1, s[0:1]
	global_load_ushort v1, v[32:33], off
	s_waitcnt vmcnt(0)
	v_lshlrev_b32_e32 v35, 16, v1
.LBB110_27:                             ;   in Loop: Header=BB110_25 Depth=1
	s_or_b64 exec, exec, s[2:3]
	v_mov_b32_e32 v1, s21
	v_add_co_u32_e64 v32, s[0:1], s20, v15
	v_addc_co_u32_e64 v33, s[0:1], v16, v1, s[0:1]
	v_cmp_gt_u64_e64 s[4:5], s[18:19], v[32:33]
	v_mov_b32_e32 v32, 0
	v_mov_b32_e32 v34, 0
	s_and_saveexec_b64 s[2:3], s[4:5]
	s_cbranch_execz .LBB110_29
; %bb.28:                               ;   in Loop: Header=BB110_25 Depth=1
	v_mov_b32_e32 v1, s15
	v_add_co_u32_e64 v33, s[0:1], s14, v17
	v_addc_co_u32_e64 v34, s[0:1], v18, v1, s[0:1]
	global_load_ushort v1, v[33:34], off
	s_waitcnt vmcnt(0)
	v_lshlrev_b32_e32 v34, 16, v1
.LBB110_29:                             ;   in Loop: Header=BB110_25 Depth=1
	s_or_b64 exec, exec, s[2:3]
	v_mov_b32_e32 v1, s21
	v_add_co_u32_e64 v36, s[0:1], s20, v23
	v_addc_co_u32_e64 v37, s[0:1], v24, v1, s[0:1]
	v_cmp_gt_u64_e64 s[2:3], s[18:19], v[36:37]
	s_and_saveexec_b64 s[6:7], s[2:3]
	s_cbranch_execz .LBB110_31
; %bb.30:                               ;   in Loop: Header=BB110_25 Depth=1
	v_mov_b32_e32 v1, s15
	v_add_co_u32_e64 v32, s[0:1], s14, v11
	v_addc_co_u32_e64 v33, s[0:1], v12, v1, s[0:1]
	global_load_ushort v1, v[32:33], off
	s_waitcnt vmcnt(0)
	v_lshlrev_b32_e32 v32, 16, v1
.LBB110_31:                             ;   in Loop: Header=BB110_25 Depth=1
	s_or_b64 exec, exec, s[6:7]
	v_mov_b32_e32 v1, s21
	v_add_co_u32_e64 v36, s[0:1], s20, v21
	v_addc_co_u32_e64 v37, s[0:1], v22, v1, s[0:1]
	v_cmp_gt_u64_e64 s[0:1], s[18:19], v[36:37]
	v_mov_b32_e32 v33, 0
	s_and_saveexec_b64 s[8:9], s[0:1]
	s_cbranch_execz .LBB110_33
; %bb.32:                               ;   in Loop: Header=BB110_25 Depth=1
	v_mov_b32_e32 v1, s15
	v_add_co_u32_e64 v36, s[6:7], s14, v7
	v_addc_co_u32_e64 v37, s[6:7], v8, v1, s[6:7]
	global_load_ushort v1, v[36:37], off
	s_waitcnt vmcnt(0)
	v_lshlrev_b32_e32 v33, 16, v1
.LBB110_33:                             ;   in Loop: Header=BB110_25 Depth=1
	s_or_b64 exec, exec, s[8:9]
	v_and_b32_e32 v36, 0x7fffffff, v35
	v_cmp_nlt_f32_e64 s[6:7], |v35|, s26
                                        ; implicit-def: $vgpr38
                                        ; implicit-def: $vgpr39
	s_and_saveexec_b64 s[8:9], s[6:7]
	s_xor_b64 s[22:23], exec, s[8:9]
	s_cbranch_execz .LBB110_35
; %bb.34:                               ;   in Loop: Header=BB110_25 Depth=1
	v_and_b32_e32 v1, 0x7fffff, v36
	v_or_b32_e32 v44, 0x800000, v1
	v_mad_u64_u32 v[37:38], s[6:7], v44, s27, 0
	v_mov_b32_e32 v1, v38
	v_mad_u64_u32 v[38:39], s[6:7], v44, s28, v[1:2]
	v_mov_b32_e32 v1, v39
	;; [unrolled: 2-line block ×3, first 2 shown]
	v_mad_u64_u32 v[40:41], s[6:7], v44, s30, v[1:2]
	v_lshrrev_b32_e32 v1, 23, v36
	v_add_u32_e32 v43, 0xffffff88, v1
	v_mov_b32_e32 v1, v41
	v_mad_u64_u32 v[41:42], s[6:7], v44, s31, v[1:2]
	v_cmp_lt_u32_e64 s[6:7], 63, v43
	v_cndmask_b32_e64 v1, 0, v28, s[6:7]
	v_add_u32_e32 v45, v1, v43
	v_mov_b32_e32 v1, v42
	v_mad_u64_u32 v[42:43], s[8:9], v44, s33, v[1:2]
	v_cmp_lt_u32_e64 s[8:9], 31, v45
	v_cndmask_b32_e64 v1, 0, v29, s[8:9]
	;; [unrolled: 5-line block ×3, first 2 shown]
	v_add_u32_e32 v1, v1, v45
	v_cndmask_b32_e64 v45, v42, v40, s[6:7]
	v_cndmask_b32_e64 v43, v43, v41, s[6:7]
	;; [unrolled: 1-line block ×10, first 2 shown]
	v_sub_u32_e32 v45, 32, v1
	v_cndmask_b32_e64 v40, v41, v38, s[8:9]
	v_alignbit_b32 v46, v42, v44, v45
	v_cmp_eq_u32_e64 s[12:13], 0, v1
	v_cndmask_b32_e64 v41, v43, v40, s[10:11]
	v_cndmask_b32_e64 v1, v46, v42, s[12:13]
	v_alignbit_b32 v42, v44, v41, v45
	v_cndmask_b32_e64 v37, v39, v37, s[6:7]
	v_cndmask_b32_e64 v42, v42, v44, s[12:13]
	v_bfe_u32 v46, v1, 29, 1
	v_cndmask_b32_e64 v37, v38, v37, s[8:9]
	v_alignbit_b32 v43, v1, v42, 30
	v_sub_u32_e32 v47, 0, v46
	v_cndmask_b32_e64 v37, v40, v37, s[10:11]
	v_xor_b32_e32 v43, v43, v47
	v_alignbit_b32 v38, v41, v37, v45
	v_cndmask_b32_e64 v38, v38, v41, s[12:13]
	v_ffbh_u32_e32 v40, v43
	v_alignbit_b32 v39, v42, v38, 30
	v_min_u32_e32 v40, 32, v40
	v_alignbit_b32 v37, v38, v37, 30
	v_xor_b32_e32 v39, v39, v47
	v_sub_u32_e32 v41, 31, v40
	v_xor_b32_e32 v37, v37, v47
	v_alignbit_b32 v42, v43, v39, v41
	v_alignbit_b32 v37, v39, v37, v41
	;; [unrolled: 1-line block ×3, first 2 shown]
	v_ffbh_u32_e32 v39, v38
	v_min_u32_e32 v39, 32, v39
	v_lshrrev_b32_e32 v44, 29, v1
	v_not_b32_e32 v41, v39
	v_alignbit_b32 v37, v38, v37, v41
	v_lshlrev_b32_e32 v38, 31, v44
	v_or_b32_e32 v41, 0x33000000, v38
	v_add_lshl_u32 v39, v39, v40, 23
	v_lshrrev_b32_e32 v37, 9, v37
	v_sub_u32_e32 v39, v41, v39
	v_or_b32_e32 v38, 0.5, v38
	v_lshlrev_b32_e32 v40, 23, v40
	v_or_b32_e32 v37, v39, v37
	v_lshrrev_b32_e32 v39, 9, v42
	v_sub_u32_e32 v38, v38, v40
	v_or_b32_e32 v38, v39, v38
	v_mul_f32_e32 v39, 0x3fc90fda, v38
	v_fma_f32 v40, v38, s35, -v39
	v_fmac_f32_e32 v40, 0x33a22168, v38
	v_fmac_f32_e32 v40, 0x3fc90fda, v37
	v_lshrrev_b32_e32 v1, 30, v1
	v_add_f32_e32 v39, v39, v40
	v_add_u32_e32 v38, v46, v1
.LBB110_35:                             ;   in Loop: Header=BB110_25 Depth=1
	s_andn2_saveexec_b64 s[6:7], s[22:23]
; %bb.36:                               ;   in Loop: Header=BB110_25 Depth=1
	v_mul_f32_e64 v1, |v35|, s36
	v_rndne_f32_e32 v1, v1
	v_cvt_i32_f32_e32 v38, v1
	v_fma_f32 v39, v1, s37, |v35|
	v_fmac_f32_e32 v39, 0xb3a22168, v1
	v_fmac_f32_e32 v39, 0xa7c234c4, v1
; %bb.37:                               ;   in Loop: Header=BB110_25 Depth=1
	s_or_b64 exec, exec, s[6:7]
	v_and_b32_e32 v37, 0x7fffffff, v34
	v_cmp_nlt_f32_e64 s[6:7], |v34|, s26
                                        ; implicit-def: $vgpr41
                                        ; implicit-def: $vgpr42
	s_and_saveexec_b64 s[8:9], s[6:7]
	s_xor_b64 s[22:23], exec, s[8:9]
	s_cbranch_execz .LBB110_39
; %bb.38:                               ;   in Loop: Header=BB110_25 Depth=1
	v_and_b32_e32 v1, 0x7fffff, v37
	v_or_b32_e32 v47, 0x800000, v1
	v_mad_u64_u32 v[40:41], s[6:7], v47, s27, 0
	v_mov_b32_e32 v1, v41
	v_mad_u64_u32 v[41:42], s[6:7], v47, s28, v[1:2]
	v_mov_b32_e32 v1, v42
	;; [unrolled: 2-line block ×3, first 2 shown]
	v_mad_u64_u32 v[43:44], s[6:7], v47, s30, v[1:2]
	v_lshrrev_b32_e32 v1, 23, v37
	v_add_u32_e32 v46, 0xffffff88, v1
	v_mov_b32_e32 v1, v44
	v_mad_u64_u32 v[44:45], s[6:7], v47, s31, v[1:2]
	v_cmp_lt_u32_e64 s[6:7], 63, v46
	v_cndmask_b32_e64 v1, 0, v28, s[6:7]
	v_add_u32_e32 v48, v1, v46
	v_mov_b32_e32 v1, v45
	v_mad_u64_u32 v[45:46], s[8:9], v47, s33, v[1:2]
	v_cmp_lt_u32_e64 s[8:9], 31, v48
	v_cndmask_b32_e64 v1, 0, v29, s[8:9]
	;; [unrolled: 5-line block ×3, first 2 shown]
	v_add_u32_e32 v1, v1, v48
	v_cndmask_b32_e64 v48, v45, v43, s[6:7]
	v_cndmask_b32_e64 v46, v46, v44, s[6:7]
	;; [unrolled: 1-line block ×10, first 2 shown]
	v_sub_u32_e32 v48, 32, v1
	v_cndmask_b32_e64 v43, v44, v41, s[8:9]
	v_alignbit_b32 v49, v45, v47, v48
	v_cmp_eq_u32_e64 s[12:13], 0, v1
	v_cndmask_b32_e64 v44, v46, v43, s[10:11]
	v_cndmask_b32_e64 v1, v49, v45, s[12:13]
	v_alignbit_b32 v45, v47, v44, v48
	v_cndmask_b32_e64 v40, v42, v40, s[6:7]
	v_cndmask_b32_e64 v45, v45, v47, s[12:13]
	v_bfe_u32 v49, v1, 29, 1
	v_cndmask_b32_e64 v40, v41, v40, s[8:9]
	v_alignbit_b32 v46, v1, v45, 30
	v_sub_u32_e32 v50, 0, v49
	v_cndmask_b32_e64 v40, v43, v40, s[10:11]
	v_xor_b32_e32 v46, v46, v50
	v_alignbit_b32 v41, v44, v40, v48
	v_cndmask_b32_e64 v41, v41, v44, s[12:13]
	v_ffbh_u32_e32 v43, v46
	v_alignbit_b32 v42, v45, v41, 30
	v_min_u32_e32 v43, 32, v43
	v_alignbit_b32 v40, v41, v40, 30
	v_xor_b32_e32 v42, v42, v50
	v_sub_u32_e32 v44, 31, v43
	v_xor_b32_e32 v40, v40, v50
	v_alignbit_b32 v45, v46, v42, v44
	v_alignbit_b32 v40, v42, v40, v44
	;; [unrolled: 1-line block ×3, first 2 shown]
	v_ffbh_u32_e32 v42, v41
	v_min_u32_e32 v42, 32, v42
	v_lshrrev_b32_e32 v47, 29, v1
	v_not_b32_e32 v44, v42
	v_alignbit_b32 v40, v41, v40, v44
	v_lshlrev_b32_e32 v41, 31, v47
	v_or_b32_e32 v44, 0x33000000, v41
	v_add_lshl_u32 v42, v42, v43, 23
	v_lshrrev_b32_e32 v40, 9, v40
	v_sub_u32_e32 v42, v44, v42
	v_or_b32_e32 v41, 0.5, v41
	v_lshlrev_b32_e32 v43, 23, v43
	v_or_b32_e32 v40, v42, v40
	v_lshrrev_b32_e32 v42, 9, v45
	v_sub_u32_e32 v41, v41, v43
	v_or_b32_e32 v41, v42, v41
	v_mul_f32_e32 v42, 0x3fc90fda, v41
	v_fma_f32 v43, v41, s35, -v42
	v_fmac_f32_e32 v43, 0x33a22168, v41
	v_fmac_f32_e32 v43, 0x3fc90fda, v40
	v_lshrrev_b32_e32 v1, 30, v1
	v_add_f32_e32 v42, v42, v43
	v_add_u32_e32 v41, v49, v1
.LBB110_39:                             ;   in Loop: Header=BB110_25 Depth=1
	s_andn2_saveexec_b64 s[6:7], s[22:23]
; %bb.40:                               ;   in Loop: Header=BB110_25 Depth=1
	v_mul_f32_e64 v1, |v34|, s36
	v_rndne_f32_e32 v1, v1
	v_cvt_i32_f32_e32 v41, v1
	v_fma_f32 v42, v1, s37, |v34|
	v_fmac_f32_e32 v42, 0xb3a22168, v1
	v_fmac_f32_e32 v42, 0xa7c234c4, v1
; %bb.41:                               ;   in Loop: Header=BB110_25 Depth=1
	s_or_b64 exec, exec, s[6:7]
	v_and_b32_e32 v40, 0x7fffffff, v32
	v_cmp_nlt_f32_e64 s[6:7], |v32|, s26
                                        ; implicit-def: $vgpr44
                                        ; implicit-def: $vgpr45
	s_and_saveexec_b64 s[8:9], s[6:7]
	s_xor_b64 s[22:23], exec, s[8:9]
	s_cbranch_execz .LBB110_43
; %bb.42:                               ;   in Loop: Header=BB110_25 Depth=1
	v_and_b32_e32 v1, 0x7fffff, v40
	v_or_b32_e32 v50, 0x800000, v1
	v_mad_u64_u32 v[43:44], s[6:7], v50, s27, 0
	v_mov_b32_e32 v1, v44
	v_mad_u64_u32 v[44:45], s[6:7], v50, s28, v[1:2]
	v_mov_b32_e32 v1, v45
	;; [unrolled: 2-line block ×3, first 2 shown]
	v_mad_u64_u32 v[46:47], s[6:7], v50, s30, v[1:2]
	v_lshrrev_b32_e32 v1, 23, v40
	v_add_u32_e32 v49, 0xffffff88, v1
	v_mov_b32_e32 v1, v47
	v_mad_u64_u32 v[47:48], s[6:7], v50, s31, v[1:2]
	v_cmp_lt_u32_e64 s[6:7], 63, v49
	v_cndmask_b32_e64 v1, 0, v28, s[6:7]
	v_add_u32_e32 v51, v1, v49
	v_mov_b32_e32 v1, v48
	v_mad_u64_u32 v[48:49], s[8:9], v50, s33, v[1:2]
	v_cmp_lt_u32_e64 s[8:9], 31, v51
	v_cndmask_b32_e64 v1, 0, v29, s[8:9]
	;; [unrolled: 5-line block ×3, first 2 shown]
	v_add_u32_e32 v1, v1, v51
	v_cndmask_b32_e64 v51, v48, v46, s[6:7]
	v_cndmask_b32_e64 v49, v49, v47, s[6:7]
	;; [unrolled: 1-line block ×10, first 2 shown]
	v_sub_u32_e32 v51, 32, v1
	v_cndmask_b32_e64 v46, v47, v44, s[8:9]
	v_alignbit_b32 v52, v48, v50, v51
	v_cmp_eq_u32_e64 s[12:13], 0, v1
	v_cndmask_b32_e64 v47, v49, v46, s[10:11]
	v_cndmask_b32_e64 v1, v52, v48, s[12:13]
	v_alignbit_b32 v48, v50, v47, v51
	v_cndmask_b32_e64 v43, v45, v43, s[6:7]
	v_cndmask_b32_e64 v48, v48, v50, s[12:13]
	v_bfe_u32 v52, v1, 29, 1
	v_cndmask_b32_e64 v43, v44, v43, s[8:9]
	v_alignbit_b32 v49, v1, v48, 30
	v_sub_u32_e32 v53, 0, v52
	v_cndmask_b32_e64 v43, v46, v43, s[10:11]
	v_xor_b32_e32 v49, v49, v53
	v_alignbit_b32 v44, v47, v43, v51
	v_cndmask_b32_e64 v44, v44, v47, s[12:13]
	v_ffbh_u32_e32 v46, v49
	v_alignbit_b32 v45, v48, v44, 30
	v_min_u32_e32 v46, 32, v46
	v_alignbit_b32 v43, v44, v43, 30
	v_xor_b32_e32 v45, v45, v53
	v_sub_u32_e32 v47, 31, v46
	v_xor_b32_e32 v43, v43, v53
	v_alignbit_b32 v48, v49, v45, v47
	v_alignbit_b32 v43, v45, v43, v47
	;; [unrolled: 1-line block ×3, first 2 shown]
	v_ffbh_u32_e32 v45, v44
	v_min_u32_e32 v45, 32, v45
	v_lshrrev_b32_e32 v50, 29, v1
	v_not_b32_e32 v47, v45
	v_alignbit_b32 v43, v44, v43, v47
	v_lshlrev_b32_e32 v44, 31, v50
	v_or_b32_e32 v47, 0x33000000, v44
	v_add_lshl_u32 v45, v45, v46, 23
	v_lshrrev_b32_e32 v43, 9, v43
	v_sub_u32_e32 v45, v47, v45
	v_or_b32_e32 v44, 0.5, v44
	v_lshlrev_b32_e32 v46, 23, v46
	v_or_b32_e32 v43, v45, v43
	v_lshrrev_b32_e32 v45, 9, v48
	v_sub_u32_e32 v44, v44, v46
	v_or_b32_e32 v44, v45, v44
	v_mul_f32_e32 v45, 0x3fc90fda, v44
	v_fma_f32 v46, v44, s35, -v45
	v_fmac_f32_e32 v46, 0x33a22168, v44
	v_fmac_f32_e32 v46, 0x3fc90fda, v43
	v_lshrrev_b32_e32 v1, 30, v1
	v_add_f32_e32 v45, v45, v46
	v_add_u32_e32 v44, v52, v1
.LBB110_43:                             ;   in Loop: Header=BB110_25 Depth=1
	s_andn2_saveexec_b64 s[6:7], s[22:23]
; %bb.44:                               ;   in Loop: Header=BB110_25 Depth=1
	v_mul_f32_e64 v1, |v32|, s36
	v_rndne_f32_e32 v1, v1
	v_cvt_i32_f32_e32 v44, v1
	v_fma_f32 v45, v1, s37, |v32|
	v_fmac_f32_e32 v45, 0xb3a22168, v1
	v_fmac_f32_e32 v45, 0xa7c234c4, v1
; %bb.45:                               ;   in Loop: Header=BB110_25 Depth=1
	s_or_b64 exec, exec, s[6:7]
	v_and_b32_e32 v43, 0x7fffffff, v33
	v_cmp_nlt_f32_e64 s[6:7], |v33|, s26
                                        ; implicit-def: $vgpr1
                                        ; implicit-def: $vgpr46
	s_and_saveexec_b64 s[8:9], s[6:7]
	s_xor_b64 s[22:23], exec, s[8:9]
	s_cbranch_execnz .LBB110_51
; %bb.46:                               ;   in Loop: Header=BB110_25 Depth=1
	s_andn2_saveexec_b64 s[6:7], s[22:23]
	s_cbranch_execnz .LBB110_52
.LBB110_47:                             ;   in Loop: Header=BB110_25 Depth=1
	s_or_b64 exec, exec, s[6:7]
	s_and_saveexec_b64 s[6:7], vcc
	s_xor_b64 s[6:7], exec, s[6:7]
	s_cbranch_execnz .LBB110_53
.LBB110_48:                             ;   in Loop: Header=BB110_25 Depth=1
	s_or_b64 exec, exec, s[6:7]
	s_and_saveexec_b64 s[6:7], s[4:5]
	s_cbranch_execnz .LBB110_54
.LBB110_49:                             ;   in Loop: Header=BB110_25 Depth=1
	s_or_b64 exec, exec, s[6:7]
	s_and_saveexec_b64 s[4:5], s[2:3]
	s_cbranch_execnz .LBB110_55
.LBB110_50:                             ;   in Loop: Header=BB110_25 Depth=1
	s_or_b64 exec, exec, s[4:5]
	s_and_saveexec_b64 s[2:3], s[0:1]
	s_cbranch_execz .LBB110_24
	s_branch .LBB110_56
.LBB110_51:                             ;   in Loop: Header=BB110_25 Depth=1
	v_and_b32_e32 v1, 0x7fffff, v43
	v_or_b32_e32 v53, 0x800000, v1
	v_mad_u64_u32 v[46:47], s[6:7], v53, s27, 0
	v_mov_b32_e32 v1, v47
	v_mad_u64_u32 v[47:48], s[6:7], v53, s28, v[1:2]
	v_mov_b32_e32 v1, v48
	;; [unrolled: 2-line block ×3, first 2 shown]
	v_mad_u64_u32 v[49:50], s[6:7], v53, s30, v[1:2]
	v_lshrrev_b32_e32 v1, 23, v43
	v_add_u32_e32 v52, 0xffffff88, v1
	v_mov_b32_e32 v1, v50
	v_mad_u64_u32 v[50:51], s[6:7], v53, s31, v[1:2]
	v_cmp_lt_u32_e64 s[6:7], 63, v52
	v_cndmask_b32_e64 v1, 0, v28, s[6:7]
	v_add_u32_e32 v54, v1, v52
	v_mov_b32_e32 v1, v51
	v_mad_u64_u32 v[51:52], s[8:9], v53, s33, v[1:2]
	v_cmp_lt_u32_e64 s[8:9], 31, v54
	v_cndmask_b32_e64 v1, 0, v29, s[8:9]
	;; [unrolled: 5-line block ×3, first 2 shown]
	v_add_u32_e32 v1, v1, v54
	v_cndmask_b32_e64 v54, v51, v49, s[6:7]
	v_cndmask_b32_e64 v52, v52, v50, s[6:7]
	v_cndmask_b32_e64 v51, v53, v51, s[6:7]
	v_cndmask_b32_e64 v50, v50, v48, s[6:7]
	v_cndmask_b32_e64 v53, v52, v54, s[8:9]
	v_cndmask_b32_e64 v51, v51, v52, s[8:9]
	v_cndmask_b32_e64 v52, v54, v50, s[8:9]
	v_cndmask_b32_e64 v47, v49, v47, s[6:7]
	v_cndmask_b32_e64 v51, v51, v53, s[10:11]
	v_cndmask_b32_e64 v53, v53, v52, s[10:11]
	v_sub_u32_e32 v54, 32, v1
	v_cndmask_b32_e64 v49, v50, v47, s[8:9]
	v_alignbit_b32 v55, v51, v53, v54
	v_cmp_eq_u32_e64 s[12:13], 0, v1
	v_cndmask_b32_e64 v50, v52, v49, s[10:11]
	v_cndmask_b32_e64 v1, v55, v51, s[12:13]
	v_alignbit_b32 v51, v53, v50, v54
	v_cndmask_b32_e64 v46, v48, v46, s[6:7]
	v_cndmask_b32_e64 v51, v51, v53, s[12:13]
	v_bfe_u32 v55, v1, 29, 1
	v_cndmask_b32_e64 v46, v47, v46, s[8:9]
	v_alignbit_b32 v52, v1, v51, 30
	v_sub_u32_e32 v56, 0, v55
	v_cndmask_b32_e64 v46, v49, v46, s[10:11]
	v_xor_b32_e32 v52, v52, v56
	v_alignbit_b32 v47, v50, v46, v54
	v_cndmask_b32_e64 v47, v47, v50, s[12:13]
	v_ffbh_u32_e32 v49, v52
	v_alignbit_b32 v48, v51, v47, 30
	v_min_u32_e32 v49, 32, v49
	v_alignbit_b32 v46, v47, v46, 30
	v_xor_b32_e32 v48, v48, v56
	v_sub_u32_e32 v50, 31, v49
	v_xor_b32_e32 v46, v46, v56
	v_alignbit_b32 v51, v52, v48, v50
	v_alignbit_b32 v46, v48, v46, v50
	;; [unrolled: 1-line block ×3, first 2 shown]
	v_ffbh_u32_e32 v48, v47
	v_min_u32_e32 v48, 32, v48
	v_lshrrev_b32_e32 v53, 29, v1
	v_not_b32_e32 v50, v48
	v_alignbit_b32 v46, v47, v46, v50
	v_lshlrev_b32_e32 v47, 31, v53
	v_or_b32_e32 v50, 0x33000000, v47
	v_add_lshl_u32 v48, v48, v49, 23
	v_lshrrev_b32_e32 v46, 9, v46
	v_sub_u32_e32 v48, v50, v48
	v_or_b32_e32 v47, 0.5, v47
	v_lshlrev_b32_e32 v49, 23, v49
	v_or_b32_e32 v46, v48, v46
	v_lshrrev_b32_e32 v48, 9, v51
	v_sub_u32_e32 v47, v47, v49
	v_or_b32_e32 v47, v48, v47
	v_mul_f32_e32 v48, 0x3fc90fda, v47
	v_fma_f32 v49, v47, s35, -v48
	v_fmac_f32_e32 v49, 0x33a22168, v47
	v_fmac_f32_e32 v49, 0x3fc90fda, v46
	v_lshrrev_b32_e32 v1, 30, v1
	v_add_f32_e32 v46, v48, v49
	v_add_u32_e32 v1, v55, v1
	s_andn2_saveexec_b64 s[6:7], s[22:23]
	s_cbranch_execz .LBB110_47
.LBB110_52:                             ;   in Loop: Header=BB110_25 Depth=1
	v_mul_f32_e64 v1, |v33|, s36
	v_rndne_f32_e32 v47, v1
	v_cvt_i32_f32_e32 v1, v47
	v_fma_f32 v46, v47, s37, |v33|
	v_fmac_f32_e32 v46, 0xb3a22168, v47
	v_fmac_f32_e32 v46, 0xa7c234c4, v47
	s_or_b64 exec, exec, s[6:7]
	s_and_saveexec_b64 s[6:7], vcc
	s_xor_b64 s[6:7], exec, s[6:7]
	s_cbranch_execz .LBB110_48
.LBB110_53:                             ;   in Loop: Header=BB110_25 Depth=1
	v_mul_f32_e32 v47, v39, v39
	v_mov_b32_e32 v48, 0x3c0881c4
	v_fmac_f32_e32 v48, 0xb94c1982, v47
	v_fma_f32 v48, v47, v48, v25
	v_mul_f32_e32 v48, v47, v48
	v_fmac_f32_e32 v39, v39, v48
	v_mov_b32_e32 v48, 0xbab64f3b
	v_fmac_f32_e32 v48, 0x37d75334, v47
	v_fma_f32 v48, v47, v48, v26
	v_fma_f32 v48, v47, v48, v27
	v_fma_f32 v47, v47, v48, 1.0
	v_and_b32_e32 v48, 1, v38
	v_lshlrev_b32_e32 v38, 30, v38
	v_cmp_eq_u32_e32 vcc, 0, v48
	v_and_b32_e32 v38, 0x80000000, v38
	v_cndmask_b32_e32 v39, v47, v39, vcc
	v_xor_b32_e32 v36, v36, v38
	v_xor_b32_e32 v36, v36, v39
	;; [unrolled: 1-line block ×3, first 2 shown]
	v_cmp_class_f32_e64 vcc, v35, s38
	v_cndmask_b32_e32 v35, v30, v36, vcc
	v_bfe_u32 v36, v35, 16, 1
	v_add3_u32 v36, v35, v36, s39
	v_cmp_o_f32_e32 vcc, v35, v35
	v_cndmask_b32_sdwa v38, v31, v36, vcc dst_sel:DWORD dst_unused:UNUSED_PAD src0_sel:DWORD src1_sel:WORD_1
	v_mov_b32_e32 v36, s15
	v_add_co_u32_e32 v35, vcc, s14, v5
	v_addc_co_u32_e32 v36, vcc, v6, v36, vcc
	global_store_short v[35:36], v38, off
	s_or_b64 exec, exec, s[6:7]
	s_and_saveexec_b64 s[6:7], s[4:5]
	s_cbranch_execz .LBB110_49
.LBB110_54:                             ;   in Loop: Header=BB110_25 Depth=1
	v_mul_f32_e32 v35, v42, v42
	v_mov_b32_e32 v36, 0x3c0881c4
	v_fmac_f32_e32 v36, 0xb94c1982, v35
	v_fma_f32 v36, v35, v36, v25
	v_mul_f32_e32 v36, v35, v36
	v_fmac_f32_e32 v42, v42, v36
	v_mov_b32_e32 v36, 0xbab64f3b
	v_fmac_f32_e32 v36, 0x37d75334, v35
	v_fma_f32 v36, v35, v36, v26
	v_fma_f32 v36, v35, v36, v27
	v_fma_f32 v35, v35, v36, 1.0
	v_and_b32_e32 v36, 1, v41
	v_cmp_eq_u32_e32 vcc, 0, v36
	v_lshlrev_b32_e32 v36, 30, v41
	v_and_b32_e32 v36, 0x80000000, v36
	v_cndmask_b32_e32 v35, v35, v42, vcc
	v_xor_b32_e32 v36, v37, v36
	v_xor_b32_e32 v35, v36, v35
	;; [unrolled: 1-line block ×3, first 2 shown]
	v_cmp_class_f32_e64 vcc, v34, s38
	v_cndmask_b32_e32 v34, v30, v35, vcc
	v_bfe_u32 v35, v34, 16, 1
	v_add3_u32 v35, v34, v35, s39
	v_cmp_o_f32_e32 vcc, v34, v34
	v_cndmask_b32_sdwa v36, v31, v35, vcc dst_sel:DWORD dst_unused:UNUSED_PAD src0_sel:DWORD src1_sel:WORD_1
	v_mov_b32_e32 v35, s15
	v_add_co_u32_e32 v34, vcc, s14, v19
	v_addc_co_u32_e32 v35, vcc, v20, v35, vcc
	global_store_short v[34:35], v36, off
	s_or_b64 exec, exec, s[6:7]
	s_and_saveexec_b64 s[4:5], s[2:3]
	s_cbranch_execz .LBB110_50
.LBB110_55:                             ;   in Loop: Header=BB110_25 Depth=1
	v_mul_f32_e32 v34, v45, v45
	v_mov_b32_e32 v35, 0x3c0881c4
	v_fmac_f32_e32 v35, 0xb94c1982, v34
	v_fma_f32 v35, v34, v35, v25
	v_mul_f32_e32 v35, v34, v35
	v_fmac_f32_e32 v45, v45, v35
	v_mov_b32_e32 v35, 0xbab64f3b
	v_fmac_f32_e32 v35, 0x37d75334, v34
	v_fma_f32 v35, v34, v35, v26
	v_fma_f32 v35, v34, v35, v27
	v_fma_f32 v34, v34, v35, 1.0
	v_and_b32_e32 v35, 1, v44
	v_cmp_eq_u32_e32 vcc, 0, v35
	v_lshlrev_b32_e32 v35, 30, v44
	v_and_b32_e32 v35, 0x80000000, v35
	v_cndmask_b32_e32 v34, v34, v45, vcc
	v_xor_b32_e32 v35, v40, v35
	v_xor_b32_e32 v34, v35, v34
	v_xor_b32_e32 v34, v34, v32
	v_cmp_class_f32_e64 vcc, v32, s38
	v_cndmask_b32_e32 v32, v30, v34, vcc
	v_bfe_u32 v34, v32, 16, 1
	v_add3_u32 v34, v32, v34, s39
	v_cmp_o_f32_e32 vcc, v32, v32
	v_cndmask_b32_sdwa v32, v31, v34, vcc dst_sel:DWORD dst_unused:UNUSED_PAD src0_sel:DWORD src1_sel:WORD_1
	v_mov_b32_e32 v35, s15
	v_add_co_u32_e32 v34, vcc, s14, v13
	v_addc_co_u32_e32 v35, vcc, v14, v35, vcc
	global_store_short v[34:35], v32, off
	s_or_b64 exec, exec, s[4:5]
	s_and_saveexec_b64 s[2:3], s[0:1]
	s_cbranch_execz .LBB110_24
.LBB110_56:                             ;   in Loop: Header=BB110_25 Depth=1
	v_mul_f32_e32 v32, v46, v46
	v_mov_b32_e32 v34, 0x3c0881c4
	v_fmac_f32_e32 v34, 0xb94c1982, v32
	v_fma_f32 v34, v32, v34, v25
	v_mul_f32_e32 v34, v32, v34
	v_fmac_f32_e32 v46, v46, v34
	v_mov_b32_e32 v34, 0xbab64f3b
	v_fmac_f32_e32 v34, 0x37d75334, v32
	v_fma_f32 v34, v32, v34, v26
	v_fma_f32 v34, v32, v34, v27
	v_fma_f32 v32, v32, v34, 1.0
	v_and_b32_e32 v34, 1, v1
	v_lshlrev_b32_e32 v1, 30, v1
	v_cmp_eq_u32_e32 vcc, 0, v34
	v_and_b32_e32 v1, 0x80000000, v1
	v_cndmask_b32_e32 v32, v32, v46, vcc
	v_xor_b32_e32 v1, v43, v1
	v_xor_b32_e32 v1, v1, v32
	;; [unrolled: 1-line block ×3, first 2 shown]
	v_cmp_class_f32_e64 vcc, v33, s38
	v_cndmask_b32_e32 v1, v30, v1, vcc
	v_bfe_u32 v32, v1, 16, 1
	v_add3_u32 v32, v1, v32, s39
	v_cmp_o_f32_e32 vcc, v1, v1
	v_cndmask_b32_sdwa v1, v31, v32, vcc dst_sel:DWORD dst_unused:UNUSED_PAD src0_sel:DWORD src1_sel:WORD_1
	v_mov_b32_e32 v33, s15
	v_add_co_u32_e32 v32, vcc, s14, v9
	v_addc_co_u32_e32 v33, vcc, v10, v33, vcc
	global_store_short v[32:33], v1, off
	s_branch .LBB110_24
.LBB110_57:
	s_endpgm
	.section	.rodata,"a",@progbits
	.p2align	6, 0x0
	.amdhsa_kernel _ZN2at6native12_GLOBAL__N_125multi_tensor_apply_kernelINS1_18TensorListMetadataILi2EEENS1_14UnaryOpFunctorIN3c108BFloat16ELi2ELi1ELi1EEEJNS0_3SinIfEEEEEvT_T0_DpT1_
		.amdhsa_group_segment_fixed_size 0
		.amdhsa_private_segment_fixed_size 0
		.amdhsa_kernarg_size 3408
		.amdhsa_user_sgpr_count 6
		.amdhsa_user_sgpr_private_segment_buffer 1
		.amdhsa_user_sgpr_dispatch_ptr 0
		.amdhsa_user_sgpr_queue_ptr 0
		.amdhsa_user_sgpr_kernarg_segment_ptr 1
		.amdhsa_user_sgpr_dispatch_id 0
		.amdhsa_user_sgpr_flat_scratch_init 0
		.amdhsa_user_sgpr_private_segment_size 0
		.amdhsa_uses_dynamic_stack 0
		.amdhsa_system_sgpr_private_segment_wavefront_offset 0
		.amdhsa_system_sgpr_workgroup_id_x 1
		.amdhsa_system_sgpr_workgroup_id_y 0
		.amdhsa_system_sgpr_workgroup_id_z 0
		.amdhsa_system_sgpr_workgroup_info 0
		.amdhsa_system_vgpr_workitem_id 0
		.amdhsa_next_free_vgpr 57
		.amdhsa_next_free_sgpr 40
		.amdhsa_reserve_vcc 1
		.amdhsa_reserve_flat_scratch 0
		.amdhsa_float_round_mode_32 0
		.amdhsa_float_round_mode_16_64 0
		.amdhsa_float_denorm_mode_32 3
		.amdhsa_float_denorm_mode_16_64 3
		.amdhsa_dx10_clamp 1
		.amdhsa_ieee_mode 1
		.amdhsa_fp16_overflow 0
		.amdhsa_exception_fp_ieee_invalid_op 0
		.amdhsa_exception_fp_denorm_src 0
		.amdhsa_exception_fp_ieee_div_zero 0
		.amdhsa_exception_fp_ieee_overflow 0
		.amdhsa_exception_fp_ieee_underflow 0
		.amdhsa_exception_fp_ieee_inexact 0
		.amdhsa_exception_int_div_zero 0
	.end_amdhsa_kernel
	.section	.text._ZN2at6native12_GLOBAL__N_125multi_tensor_apply_kernelINS1_18TensorListMetadataILi2EEENS1_14UnaryOpFunctorIN3c108BFloat16ELi2ELi1ELi1EEEJNS0_3SinIfEEEEEvT_T0_DpT1_,"axG",@progbits,_ZN2at6native12_GLOBAL__N_125multi_tensor_apply_kernelINS1_18TensorListMetadataILi2EEENS1_14UnaryOpFunctorIN3c108BFloat16ELi2ELi1ELi1EEEJNS0_3SinIfEEEEEvT_T0_DpT1_,comdat
.Lfunc_end110:
	.size	_ZN2at6native12_GLOBAL__N_125multi_tensor_apply_kernelINS1_18TensorListMetadataILi2EEENS1_14UnaryOpFunctorIN3c108BFloat16ELi2ELi1ELi1EEEJNS0_3SinIfEEEEEvT_T0_DpT1_, .Lfunc_end110-_ZN2at6native12_GLOBAL__N_125multi_tensor_apply_kernelINS1_18TensorListMetadataILi2EEENS1_14UnaryOpFunctorIN3c108BFloat16ELi2ELi1ELi1EEEJNS0_3SinIfEEEEEvT_T0_DpT1_
                                        ; -- End function
	.set _ZN2at6native12_GLOBAL__N_125multi_tensor_apply_kernelINS1_18TensorListMetadataILi2EEENS1_14UnaryOpFunctorIN3c108BFloat16ELi2ELi1ELi1EEEJNS0_3SinIfEEEEEvT_T0_DpT1_.num_vgpr, 57
	.set _ZN2at6native12_GLOBAL__N_125multi_tensor_apply_kernelINS1_18TensorListMetadataILi2EEENS1_14UnaryOpFunctorIN3c108BFloat16ELi2ELi1ELi1EEEJNS0_3SinIfEEEEEvT_T0_DpT1_.num_agpr, 0
	.set _ZN2at6native12_GLOBAL__N_125multi_tensor_apply_kernelINS1_18TensorListMetadataILi2EEENS1_14UnaryOpFunctorIN3c108BFloat16ELi2ELi1ELi1EEEJNS0_3SinIfEEEEEvT_T0_DpT1_.numbered_sgpr, 40
	.set _ZN2at6native12_GLOBAL__N_125multi_tensor_apply_kernelINS1_18TensorListMetadataILi2EEENS1_14UnaryOpFunctorIN3c108BFloat16ELi2ELi1ELi1EEEJNS0_3SinIfEEEEEvT_T0_DpT1_.num_named_barrier, 0
	.set _ZN2at6native12_GLOBAL__N_125multi_tensor_apply_kernelINS1_18TensorListMetadataILi2EEENS1_14UnaryOpFunctorIN3c108BFloat16ELi2ELi1ELi1EEEJNS0_3SinIfEEEEEvT_T0_DpT1_.private_seg_size, 0
	.set _ZN2at6native12_GLOBAL__N_125multi_tensor_apply_kernelINS1_18TensorListMetadataILi2EEENS1_14UnaryOpFunctorIN3c108BFloat16ELi2ELi1ELi1EEEJNS0_3SinIfEEEEEvT_T0_DpT1_.uses_vcc, 1
	.set _ZN2at6native12_GLOBAL__N_125multi_tensor_apply_kernelINS1_18TensorListMetadataILi2EEENS1_14UnaryOpFunctorIN3c108BFloat16ELi2ELi1ELi1EEEJNS0_3SinIfEEEEEvT_T0_DpT1_.uses_flat_scratch, 0
	.set _ZN2at6native12_GLOBAL__N_125multi_tensor_apply_kernelINS1_18TensorListMetadataILi2EEENS1_14UnaryOpFunctorIN3c108BFloat16ELi2ELi1ELi1EEEJNS0_3SinIfEEEEEvT_T0_DpT1_.has_dyn_sized_stack, 0
	.set _ZN2at6native12_GLOBAL__N_125multi_tensor_apply_kernelINS1_18TensorListMetadataILi2EEENS1_14UnaryOpFunctorIN3c108BFloat16ELi2ELi1ELi1EEEJNS0_3SinIfEEEEEvT_T0_DpT1_.has_recursion, 0
	.set _ZN2at6native12_GLOBAL__N_125multi_tensor_apply_kernelINS1_18TensorListMetadataILi2EEENS1_14UnaryOpFunctorIN3c108BFloat16ELi2ELi1ELi1EEEJNS0_3SinIfEEEEEvT_T0_DpT1_.has_indirect_call, 0
	.section	.AMDGPU.csdata,"",@progbits
; Kernel info:
; codeLenInByte = 7720
; TotalNumSgprs: 44
; NumVgprs: 57
; ScratchSize: 0
; MemoryBound: 0
; FloatMode: 240
; IeeeMode: 1
; LDSByteSize: 0 bytes/workgroup (compile time only)
; SGPRBlocks: 5
; VGPRBlocks: 14
; NumSGPRsForWavesPerEU: 44
; NumVGPRsForWavesPerEU: 57
; Occupancy: 4
; WaveLimiterHint : 0
; COMPUTE_PGM_RSRC2:SCRATCH_EN: 0
; COMPUTE_PGM_RSRC2:USER_SGPR: 6
; COMPUTE_PGM_RSRC2:TRAP_HANDLER: 0
; COMPUTE_PGM_RSRC2:TGID_X_EN: 1
; COMPUTE_PGM_RSRC2:TGID_Y_EN: 0
; COMPUTE_PGM_RSRC2:TGID_Z_EN: 0
; COMPUTE_PGM_RSRC2:TIDIG_COMP_CNT: 0
	.section	.text._ZN2at6native12_GLOBAL__N_125multi_tensor_apply_kernelINS1_18TensorListMetadataILi1EEENS1_14UnaryOpFunctorIdLi1ELi1ELi0EEEJNS0_3SinIdEEEEEvT_T0_DpT1_,"axG",@progbits,_ZN2at6native12_GLOBAL__N_125multi_tensor_apply_kernelINS1_18TensorListMetadataILi1EEENS1_14UnaryOpFunctorIdLi1ELi1ELi0EEEJNS0_3SinIdEEEEEvT_T0_DpT1_,comdat
	.globl	_ZN2at6native12_GLOBAL__N_125multi_tensor_apply_kernelINS1_18TensorListMetadataILi1EEENS1_14UnaryOpFunctorIdLi1ELi1ELi0EEEJNS0_3SinIdEEEEEvT_T0_DpT1_ ; -- Begin function _ZN2at6native12_GLOBAL__N_125multi_tensor_apply_kernelINS1_18TensorListMetadataILi1EEENS1_14UnaryOpFunctorIdLi1ELi1ELi0EEEJNS0_3SinIdEEEEEvT_T0_DpT1_
	.p2align	8
	.type	_ZN2at6native12_GLOBAL__N_125multi_tensor_apply_kernelINS1_18TensorListMetadataILi1EEENS1_14UnaryOpFunctorIdLi1ELi1ELi0EEEJNS0_3SinIdEEEEEvT_T0_DpT1_,@function
_ZN2at6native12_GLOBAL__N_125multi_tensor_apply_kernelINS1_18TensorListMetadataILi1EEENS1_14UnaryOpFunctorIdLi1ELi1ELi0EEEJNS0_3SinIdEEEEEvT_T0_DpT1_: ; @_ZN2at6native12_GLOBAL__N_125multi_tensor_apply_kernelINS1_18TensorListMetadataILi1EEENS1_14UnaryOpFunctorIdLi1ELi1ELi0EEEJNS0_3SinIdEEEEEvT_T0_DpT1_
; %bb.0:
	v_mov_b32_e32 v1, s6
	global_load_ubyte v1, v1, s[4:5] offset:1760
	s_add_u32 s0, s4, s6
	s_mul_hi_u32 s1, s6, 3
	s_mul_i32 s6, s6, 3
	s_addc_u32 s2, s5, 0
	s_add_u32 s0, s0, s6
	s_addc_u32 s1, s2, s1
	s_load_dword s0, s[0:1], 0x820
	s_mov_b32 s7, 0
	s_waitcnt vmcnt(0)
	v_readfirstlane_b32 s1, v1
	s_lshl_b32 s1, s1, 3
	s_load_dwordx2 s[2:3], s[4:5], s1 offset:0x370
	s_load_dwordx2 s[12:13], s[4:5], s1 offset:0x0
	s_waitcnt lgkmcnt(0)
	s_ashr_i32 s1, s0, 31
	s_lshl_b64 s[14:15], s[0:1], 19
	s_lshl_b64 s[0:1], s[0:1], 16
	s_and_b32 s6, s12, 31
	s_sub_u32 s16, s2, s0
	s_subb_u32 s17, s3, s1
	s_and_b32 s0, s2, 3
	s_mov_b32 s1, s7
	s_or_b64 s[0:1], s[6:7], s[0:1]
	s_cmp_eq_u64 s[0:1], 0
	s_cbranch_scc1 .LBB111_37
; %bb.1:
	v_cmp_lt_i64_e64 s[0:1], s[16:17], 1
	s_and_b64 vcc, exec, s[0:1]
	s_cbranch_vccnz .LBB111_36
; %bb.2:
	v_mov_b32_e32 v2, 0x10000
	s_load_dword s2, s[4:5], 0xd3c
	v_mov_b32_e32 v3, 0
	v_cmp_lt_i64_e32 vcc, s[16:17], v[2:3]
	s_mov_b32 s24, 0
	s_and_b64 s[0:1], vcc, exec
	v_cmp_lt_u64_e32 vcc, s[16:17], v[2:3]
	s_cselect_b32 s19, s17, 0
	s_cselect_b32 s18, s16, 0x10000
	s_waitcnt lgkmcnt(0)
	s_and_b32 s2, s2, 0xffff
	s_and_b64 s[0:1], vcc, exec
	s_cselect_b32 s21, s17, 0
	s_cselect_b32 s20, s16, 0x10000
	s_lshl_b32 s3, s2, 1
	s_lshl_b32 s33, s2, 2
	s_add_u32 s6, s12, s14
	v_lshlrev_b32_e32 v2, 3, v0
	s_addc_u32 s7, s13, s15
	v_mov_b32_e32 v4, s7
	v_add_co_u32_e32 v3, vcc, s6, v2
	s_mul_i32 s0, s2, 3
	v_addc_co_u32_e32 v4, vcc, 0, v4, vcc
	v_add_co_u32_e32 v35, vcc, s0, v0
	v_addc_co_u32_e64 v36, s[0:1], 0, 0, vcc
	v_add_co_u32_e32 v37, vcc, s3, v0
	v_addc_co_u32_e64 v38, s[0:1], 0, 0, vcc
	v_add_co_u32_e32 v39, vcc, s2, v0
	v_lshlrev_b32_e32 v2, 3, v39
	v_addc_co_u32_e64 v40, s[0:1], 0, 0, vcc
	v_mov_b32_e32 v6, s7
	v_add_co_u32_e32 v5, vcc, s6, v2
	s_mov_b32 s26, 0
	s_mov_b32 s28, 0
	;; [unrolled: 1-line block ×15, first 2 shown]
	v_mov_b32_e32 v1, 0
	s_lshl_b32 s68, s2, 5
	s_mul_i32 s69, s2, 24
	s_lshl_b32 s70, s2, 4
	v_addc_co_u32_e32 v6, vcc, 0, v6, vcc
	s_mov_b64 s[22:23], 0
	s_mov_b32 s25, 0x41d00000
	s_mov_b32 s27, 0x7b000000
	s_movk_i32 s71, 0xff80
	s_mov_b32 s29, 0x7ff00000
	s_mov_b32 s31, 0x3ff921fb
	;; [unrolled: 1-line block ×18, first 2 shown]
	s_movk_i32 s72, 0x1f8
	v_mov_b32_e32 v41, 0x40100000
	v_mov_b32_e32 v42, 0x3ff00000
	;; [unrolled: 1-line block ×7, first 2 shown]
	s_branch .LBB111_4
.LBB111_3:                              ;   in Loop: Header=BB111_4 Depth=1
	s_or_b64 exec, exec, s[2:3]
	s_add_u32 s22, s22, s33
	v_add_co_u32_e32 v3, vcc, s68, v3
	v_mov_b32_e32 v11, s18
	s_addc_u32 s23, s23, 0
	v_addc_co_u32_e32 v4, vcc, 0, v4, vcc
	v_mov_b32_e32 v12, s19
	v_cmp_ge_i64_e32 vcc, s[22:23], v[11:12]
	v_add_co_u32_e64 v5, s[0:1], s68, v5
	v_addc_co_u32_e64 v6, s[0:1], 0, v6, s[0:1]
	s_cbranch_vccnz .LBB111_36
.LBB111_4:                              ; =>This Inner Loop Header: Depth=1
	v_mov_b32_e32 v2, s23
	v_add_co_u32_e32 v11, vcc, s22, v0
	v_addc_co_u32_e32 v12, vcc, 0, v2, vcc
	v_cmp_gt_u64_e64 s[6:7], s[20:21], v[11:12]
	v_mov_b32_e32 v17, 0
	v_mov_b32_e32 v18, 0
	s_and_saveexec_b64 s[0:1], s[6:7]
	s_cbranch_execz .LBB111_6
; %bb.5:                                ;   in Loop: Header=BB111_4 Depth=1
	global_load_dwordx2 v[17:18], v[3:4], off
.LBB111_6:                              ;   in Loop: Header=BB111_4 Depth=1
	s_or_b64 exec, exec, s[0:1]
	v_mov_b32_e32 v2, s23
	v_add_co_u32_e32 v11, vcc, s22, v39
	v_addc_co_u32_e32 v12, vcc, v40, v2, vcc
	v_cmp_gt_u64_e64 s[2:3], s[20:21], v[11:12]
	v_mov_b32_e32 v13, 0
	v_mov_b32_e32 v15, 0
	v_mov_b32_e32 v16, 0
	s_and_saveexec_b64 s[0:1], s[2:3]
	s_cbranch_execz .LBB111_8
; %bb.7:                                ;   in Loop: Header=BB111_4 Depth=1
	global_load_dwordx2 v[15:16], v[5:6], off
.LBB111_8:                              ;   in Loop: Header=BB111_4 Depth=1
	s_or_b64 exec, exec, s[0:1]
	v_mov_b32_e32 v2, s23
	v_add_co_u32_e32 v11, vcc, s22, v37
	v_addc_co_u32_e32 v12, vcc, v38, v2, vcc
	v_cmp_gt_u64_e64 s[0:1], s[20:21], v[11:12]
	v_mov_b32_e32 v14, 0
	s_and_saveexec_b64 s[8:9], s[0:1]
	s_cbranch_execz .LBB111_10
; %bb.9:                                ;   in Loop: Header=BB111_4 Depth=1
	v_add_co_u32_e32 v11, vcc, s70, v3
	v_addc_co_u32_e32 v12, vcc, 0, v4, vcc
	global_load_dwordx2 v[13:14], v[11:12], off
.LBB111_10:                             ;   in Loop: Header=BB111_4 Depth=1
	s_or_b64 exec, exec, s[8:9]
	v_mov_b32_e32 v2, s23
	v_add_co_u32_e32 v11, vcc, s22, v35
	v_addc_co_u32_e32 v12, vcc, v36, v2, vcc
	v_cmp_gt_u64_e32 vcc, s[20:21], v[11:12]
	v_mov_b32_e32 v11, 0
	v_mov_b32_e32 v12, 0
	s_and_saveexec_b64 s[10:11], vcc
	s_cbranch_execz .LBB111_12
; %bb.11:                               ;   in Loop: Header=BB111_4 Depth=1
	v_add_co_u32_e64 v11, s[8:9], s69, v3
	v_addc_co_u32_e64 v12, s[8:9], 0, v4, s[8:9]
	global_load_dwordx2 v[11:12], v[11:12], off
.LBB111_12:                             ;   in Loop: Header=BB111_4 Depth=1
	s_or_b64 exec, exec, s[10:11]
	s_waitcnt vmcnt(0)
	v_cmp_nlt_f64_e64 s[8:9], |v[17:18]|, s[24:25]
                                        ; implicit-def: $vgpr44
                                        ; implicit-def: $vgpr19_vgpr20
                                        ; implicit-def: $vgpr21_vgpr22
	s_and_saveexec_b64 s[10:11], s[8:9]
	s_xor_b64 s[66:67], exec, s[10:11]
	s_cbranch_execz .LBB111_14
; %bb.13:                               ;   in Loop: Header=BB111_4 Depth=1
	v_trig_preop_f64 v[19:20], |v[17:18]|, 0
	v_ldexp_f64 v[23:24], |v[17:18]|, s71
	v_cmp_ge_f64_e64 s[8:9], |v[17:18]|, s[26:27]
	v_trig_preop_f64 v[21:22], |v[17:18]|, 1
	v_and_b32_e32 v2, 0x7fffffff, v18
	v_trig_preop_f64 v[31:32], |v[17:18]|, 2
	s_mov_b32 s30, s34
	s_mov_b32 s39, s37
	v_cndmask_b32_e64 v24, v2, v24, s[8:9]
	v_cndmask_b32_e64 v23, v17, v23, s[8:9]
	v_mul_f64 v[25:26], v[19:20], v[23:24]
	v_mul_f64 v[27:28], v[21:22], v[23:24]
	;; [unrolled: 1-line block ×3, first 2 shown]
	v_fma_f64 v[19:20], v[19:20], v[23:24], -v[25:26]
	v_fma_f64 v[21:22], v[21:22], v[23:24], -v[27:28]
	v_fma_f64 v[23:24], v[31:32], v[23:24], -v[46:47]
	v_add_f64 v[29:30], v[27:28], v[19:20]
	v_add_f64 v[33:34], v[29:30], -v[27:28]
	v_add_f64 v[48:49], v[25:26], v[29:30]
	v_add_f64 v[44:45], v[29:30], -v[33:34]
	v_add_f64 v[19:20], v[19:20], -v[33:34]
	v_add_f64 v[33:34], v[46:47], v[21:22]
	v_add_f64 v[25:26], v[48:49], -v[25:26]
	v_add_f64 v[27:28], v[27:28], -v[44:45]
	v_ldexp_f64 v[44:45], v[48:49], -2
	v_add_f64 v[50:51], v[33:34], -v[46:47]
	v_add_f64 v[25:26], v[29:30], -v[25:26]
	v_add_f64 v[19:20], v[19:20], v[27:28]
	v_fract_f64_e32 v[27:28], v[44:45]
	v_cmp_neq_f64_e64 s[8:9], |v[44:45]|, s[28:29]
	v_add_f64 v[21:22], v[21:22], -v[50:51]
	v_add_f64 v[29:30], v[33:34], v[19:20]
	v_ldexp_f64 v[27:28], v[27:28], 2
	v_add_f64 v[44:45], v[25:26], v[29:30]
	v_cndmask_b32_e64 v28, 0, v28, s[8:9]
	v_cndmask_b32_e64 v27, 0, v27, s[8:9]
	v_add_f64 v[52:53], v[29:30], -v[33:34]
	v_add_f64 v[48:49], v[44:45], v[27:28]
	v_add_f64 v[25:26], v[44:45], -v[25:26]
	v_add_f64 v[54:55], v[29:30], -v[52:53]
	;; [unrolled: 1-line block ×3, first 2 shown]
	v_cmp_gt_f64_e64 s[8:9], 0, v[48:49]
	v_add_f64 v[48:49], v[33:34], -v[50:51]
	v_add_f64 v[25:26], v[29:30], -v[25:26]
	;; [unrolled: 1-line block ×3, first 2 shown]
	v_cndmask_b32_e64 v2, 0, v41, s[8:9]
	v_add_f64 v[27:28], v[27:28], v[1:2]
	v_add_f64 v[48:49], v[46:47], -v[48:49]
	v_add_f64 v[19:20], v[19:20], v[33:34]
	v_add_f64 v[56:57], v[44:45], v[27:28]
	;; [unrolled: 1-line block ×3, first 2 shown]
	v_cvt_i32_f64_e32 v2, v[56:57]
	v_add_f64 v[19:20], v[21:22], v[19:20]
	v_cvt_f64_i32_e32 v[50:51], v2
	v_add_f64 v[27:28], v[27:28], -v[50:51]
	v_add_f64 v[19:20], v[23:24], v[19:20]
	v_add_f64 v[21:22], v[44:45], v[27:28]
	;; [unrolled: 1-line block ×3, first 2 shown]
	v_add_f64 v[23:24], v[21:22], -v[27:28]
	v_cmp_le_f64_e64 s[8:9], 0.5, v[21:22]
	v_add_f64 v[23:24], v[44:45], -v[23:24]
	v_addc_co_u32_e64 v44, s[10:11], 0, v2, s[8:9]
	v_cndmask_b32_e64 v2, 0, v42, s[8:9]
	v_add_f64 v[21:22], v[21:22], -v[1:2]
	v_add_f64 v[19:20], v[19:20], v[23:24]
	v_add_f64 v[23:24], v[21:22], v[19:20]
	v_mul_f64 v[25:26], v[23:24], s[30:31]
	v_add_f64 v[21:22], v[23:24], -v[21:22]
	v_fma_f64 v[27:28], v[23:24], s[30:31], -v[25:26]
	v_add_f64 v[19:20], v[19:20], -v[21:22]
	v_fma_f64 v[21:22], v[23:24], s[38:39], v[27:28]
	v_fma_f64 v[21:22], v[19:20], s[30:31], v[21:22]
	v_add_f64 v[19:20], v[25:26], v[21:22]
	v_add_f64 v[23:24], v[19:20], -v[25:26]
	v_add_f64 v[21:22], v[21:22], -v[23:24]
.LBB111_14:                             ;   in Loop: Header=BB111_4 Depth=1
	s_andn2_saveexec_b64 s[8:9], s[66:67]
	s_cbranch_execz .LBB111_16
; %bb.15:                               ;   in Loop: Header=BB111_4 Depth=1
	v_mul_f64 v[19:20], |v[17:18]|, s[40:41]
	s_mov_b32 s36, s42
	v_rndne_f64_e32 v[23:24], v[19:20]
	v_fma_f64 v[19:20], v[23:24], s[34:35], |v[17:18]|
	v_mul_f64 v[21:22], v[23:24], s[42:43]
	v_cvt_i32_f64_e32 v44, v[23:24]
	v_fma_f64 v[29:30], v[23:24], s[42:43], v[19:20]
	v_add_f64 v[25:26], v[19:20], v[21:22]
	v_add_f64 v[27:28], v[19:20], -v[25:26]
	v_add_f64 v[25:26], v[25:26], -v[29:30]
	v_add_f64 v[19:20], v[27:28], v[21:22]
	v_fma_f64 v[21:22], v[23:24], s[36:37], v[21:22]
	v_add_f64 v[19:20], v[25:26], v[19:20]
	v_add_f64 v[19:20], v[19:20], -v[21:22]
	v_fma_f64 v[21:22], v[23:24], s[44:45], v[19:20]
	v_add_f64 v[19:20], v[29:30], v[21:22]
	v_add_f64 v[25:26], v[19:20], -v[29:30]
	v_add_f64 v[21:22], v[21:22], -v[25:26]
.LBB111_16:                             ;   in Loop: Header=BB111_4 Depth=1
	s_or_b64 exec, exec, s[8:9]
	v_cmp_nlt_f64_e64 s[8:9], |v[15:16]|, s[24:25]
                                        ; implicit-def: $vgpr45
                                        ; implicit-def: $vgpr23_vgpr24
                                        ; implicit-def: $vgpr25_vgpr26
	s_and_saveexec_b64 s[10:11], s[8:9]
	s_xor_b64 s[66:67], exec, s[10:11]
	s_cbranch_execz .LBB111_18
; %bb.17:                               ;   in Loop: Header=BB111_4 Depth=1
	v_trig_preop_f64 v[23:24], |v[15:16]|, 0
	v_ldexp_f64 v[27:28], |v[15:16]|, s71
	v_cmp_ge_f64_e64 s[8:9], |v[15:16]|, s[26:27]
	v_trig_preop_f64 v[25:26], |v[15:16]|, 1
	v_and_b32_e32 v2, 0x7fffffff, v16
	v_trig_preop_f64 v[45:46], |v[15:16]|, 2
	s_mov_b32 s30, s34
	s_mov_b32 s39, s37
	v_cndmask_b32_e64 v28, v2, v28, s[8:9]
	v_cndmask_b32_e64 v27, v15, v27, s[8:9]
	v_mul_f64 v[29:30], v[23:24], v[27:28]
	v_mul_f64 v[31:32], v[25:26], v[27:28]
	;; [unrolled: 1-line block ×3, first 2 shown]
	v_fma_f64 v[23:24], v[23:24], v[27:28], -v[29:30]
	v_fma_f64 v[25:26], v[25:26], v[27:28], -v[31:32]
	;; [unrolled: 1-line block ×3, first 2 shown]
	v_add_f64 v[33:34], v[31:32], v[23:24]
	v_add_f64 v[47:48], v[33:34], -v[31:32]
	v_add_f64 v[53:54], v[29:30], v[33:34]
	v_add_f64 v[49:50], v[33:34], -v[47:48]
	v_add_f64 v[23:24], v[23:24], -v[47:48]
	v_add_f64 v[47:48], v[51:52], v[25:26]
	v_add_f64 v[29:30], v[53:54], -v[29:30]
	v_add_f64 v[31:32], v[31:32], -v[49:50]
	v_ldexp_f64 v[49:50], v[53:54], -2
	v_add_f64 v[55:56], v[47:48], -v[51:52]
	v_add_f64 v[29:30], v[33:34], -v[29:30]
	v_add_f64 v[23:24], v[23:24], v[31:32]
	v_fract_f64_e32 v[31:32], v[49:50]
	v_cmp_neq_f64_e64 s[8:9], |v[49:50]|, s[28:29]
	v_add_f64 v[25:26], v[25:26], -v[55:56]
	v_add_f64 v[33:34], v[47:48], v[23:24]
	v_ldexp_f64 v[31:32], v[31:32], 2
	v_add_f64 v[49:50], v[29:30], v[33:34]
	v_cndmask_b32_e64 v32, 0, v32, s[8:9]
	v_cndmask_b32_e64 v31, 0, v31, s[8:9]
	v_add_f64 v[57:58], v[33:34], -v[47:48]
	v_add_f64 v[53:54], v[49:50], v[31:32]
	v_add_f64 v[29:30], v[49:50], -v[29:30]
	v_add_f64 v[59:60], v[33:34], -v[57:58]
	;; [unrolled: 1-line block ×3, first 2 shown]
	v_cmp_gt_f64_e64 s[8:9], 0, v[53:54]
	v_add_f64 v[53:54], v[47:48], -v[55:56]
	v_add_f64 v[29:30], v[33:34], -v[29:30]
	;; [unrolled: 1-line block ×3, first 2 shown]
	v_cndmask_b32_e64 v2, 0, v41, s[8:9]
	v_add_f64 v[31:32], v[31:32], v[1:2]
	v_add_f64 v[53:54], v[51:52], -v[53:54]
	v_add_f64 v[23:24], v[23:24], v[47:48]
	v_add_f64 v[61:62], v[49:50], v[31:32]
	;; [unrolled: 1-line block ×3, first 2 shown]
	v_cvt_i32_f64_e32 v2, v[61:62]
	v_add_f64 v[23:24], v[25:26], v[23:24]
	v_cvt_f64_i32_e32 v[55:56], v2
	v_add_f64 v[31:32], v[31:32], -v[55:56]
	v_add_f64 v[23:24], v[27:28], v[23:24]
	v_add_f64 v[25:26], v[49:50], v[31:32]
	;; [unrolled: 1-line block ×3, first 2 shown]
	v_add_f64 v[27:28], v[25:26], -v[31:32]
	v_cmp_le_f64_e64 s[8:9], 0.5, v[25:26]
	v_add_f64 v[27:28], v[49:50], -v[27:28]
	v_addc_co_u32_e64 v45, s[10:11], 0, v2, s[8:9]
	v_cndmask_b32_e64 v2, 0, v42, s[8:9]
	v_add_f64 v[25:26], v[25:26], -v[1:2]
	v_add_f64 v[23:24], v[23:24], v[27:28]
	v_add_f64 v[27:28], v[25:26], v[23:24]
	v_mul_f64 v[29:30], v[27:28], s[30:31]
	v_add_f64 v[25:26], v[27:28], -v[25:26]
	v_fma_f64 v[31:32], v[27:28], s[30:31], -v[29:30]
	v_add_f64 v[23:24], v[23:24], -v[25:26]
	v_fma_f64 v[25:26], v[27:28], s[38:39], v[31:32]
	v_fma_f64 v[25:26], v[23:24], s[30:31], v[25:26]
	v_add_f64 v[23:24], v[29:30], v[25:26]
	v_add_f64 v[27:28], v[23:24], -v[29:30]
	v_add_f64 v[25:26], v[25:26], -v[27:28]
.LBB111_18:                             ;   in Loop: Header=BB111_4 Depth=1
	s_andn2_saveexec_b64 s[8:9], s[66:67]
	s_cbranch_execz .LBB111_20
; %bb.19:                               ;   in Loop: Header=BB111_4 Depth=1
	v_mul_f64 v[23:24], |v[15:16]|, s[40:41]
	s_mov_b32 s36, s42
	v_rndne_f64_e32 v[27:28], v[23:24]
	v_fma_f64 v[23:24], v[27:28], s[34:35], |v[15:16]|
	v_mul_f64 v[25:26], v[27:28], s[42:43]
	v_cvt_i32_f64_e32 v45, v[27:28]
	v_fma_f64 v[33:34], v[27:28], s[42:43], v[23:24]
	v_add_f64 v[29:30], v[23:24], v[25:26]
	v_add_f64 v[31:32], v[23:24], -v[29:30]
	v_add_f64 v[29:30], v[29:30], -v[33:34]
	v_add_f64 v[23:24], v[31:32], v[25:26]
	v_fma_f64 v[25:26], v[27:28], s[36:37], v[25:26]
	v_add_f64 v[23:24], v[29:30], v[23:24]
	v_add_f64 v[23:24], v[23:24], -v[25:26]
	v_fma_f64 v[25:26], v[27:28], s[44:45], v[23:24]
	v_add_f64 v[23:24], v[33:34], v[25:26]
	v_add_f64 v[29:30], v[23:24], -v[33:34]
	v_add_f64 v[25:26], v[25:26], -v[29:30]
.LBB111_20:                             ;   in Loop: Header=BB111_4 Depth=1
	s_or_b64 exec, exec, s[8:9]
	v_cmp_nlt_f64_e64 s[8:9], |v[13:14]|, s[24:25]
                                        ; implicit-def: $vgpr46
                                        ; implicit-def: $vgpr27_vgpr28
                                        ; implicit-def: $vgpr29_vgpr30
	s_and_saveexec_b64 s[10:11], s[8:9]
	s_xor_b64 s[66:67], exec, s[10:11]
	s_cbranch_execz .LBB111_22
; %bb.21:                               ;   in Loop: Header=BB111_4 Depth=1
	v_trig_preop_f64 v[27:28], |v[13:14]|, 0
	v_cmp_ge_f64_e64 s[8:9], |v[13:14]|, s[26:27]
	v_ldexp_f64 v[31:32], |v[13:14]|, s71
	v_trig_preop_f64 v[29:30], |v[13:14]|, 1
	v_and_b32_e32 v2, 0x7fffffff, v14
	s_mov_b32 s30, s34
	s_mov_b32 s39, s37
	v_cndmask_b32_e64 v32, v2, v32, s[8:9]
	v_cndmask_b32_e64 v31, v13, v31, s[8:9]
	v_mul_f64 v[46:47], v[27:28], v[31:32]
	v_mul_f64 v[33:34], v[29:30], v[31:32]
	v_fma_f64 v[27:28], v[27:28], v[31:32], -v[46:47]
	v_fma_f64 v[29:30], v[29:30], v[31:32], -v[33:34]
	v_add_f64 v[48:49], v[33:34], v[27:28]
	v_add_f64 v[56:57], v[48:49], -v[33:34]
	v_add_f64 v[50:51], v[46:47], v[48:49]
	v_add_f64 v[27:28], v[27:28], -v[56:57]
	v_add_f64 v[56:57], v[48:49], -v[56:57]
	v_ldexp_f64 v[52:53], v[50:51], -2
	v_add_f64 v[46:47], v[50:51], -v[46:47]
	v_add_f64 v[56:57], v[33:34], -v[56:57]
	v_trig_preop_f64 v[33:34], |v[13:14]|, 2
	v_fract_f64_e32 v[54:55], v[52:53]
	v_add_f64 v[46:47], v[48:49], -v[46:47]
	v_cmp_neq_f64_e64 s[8:9], |v[52:53]|, s[28:29]
	v_add_f64 v[27:28], v[27:28], v[56:57]
	v_mul_f64 v[56:57], v[33:34], v[31:32]
	v_add_f64 v[58:59], v[56:57], v[29:30]
	v_add_f64 v[60:61], v[58:59], v[27:28]
	v_add_f64 v[50:51], v[60:61], -v[58:59]
	v_add_f64 v[48:49], v[46:47], v[60:61]
	v_add_f64 v[27:28], v[27:28], -v[50:51]
	v_add_f64 v[50:51], v[60:61], -v[50:51]
	v_add_f64 v[46:47], v[48:49], -v[46:47]
	v_add_f64 v[50:51], v[58:59], -v[50:51]
	v_add_f64 v[46:47], v[60:61], -v[46:47]
	v_add_f64 v[27:28], v[27:28], v[50:51]
	v_add_f64 v[50:51], v[58:59], -v[56:57]
	v_add_f64 v[29:30], v[29:30], -v[50:51]
	;; [unrolled: 1-line block ×4, first 2 shown]
	v_add_f64 v[29:30], v[29:30], v[50:51]
	v_add_f64 v[27:28], v[29:30], v[27:28]
	v_fma_f64 v[29:30], v[33:34], v[31:32], -v[56:57]
	v_add_f64 v[27:28], v[29:30], v[27:28]
	v_ldexp_f64 v[29:30], v[54:55], 2
	v_add_f64 v[27:28], v[46:47], v[27:28]
	v_cndmask_b32_e64 v30, 0, v30, s[8:9]
	v_cndmask_b32_e64 v29, 0, v29, s[8:9]
	v_add_f64 v[31:32], v[48:49], v[29:30]
	v_cmp_gt_f64_e64 s[8:9], 0, v[31:32]
	v_cndmask_b32_e64 v2, 0, v41, s[8:9]
	v_add_f64 v[29:30], v[29:30], v[1:2]
	v_add_f64 v[31:32], v[48:49], v[29:30]
	v_cvt_i32_f64_e32 v2, v[31:32]
	v_cvt_f64_i32_e32 v[31:32], v2
	v_add_f64 v[29:30], v[29:30], -v[31:32]
	v_add_f64 v[31:32], v[48:49], v[29:30]
	v_add_f64 v[29:30], v[31:32], -v[29:30]
	v_cmp_le_f64_e64 s[8:9], 0.5, v[31:32]
	v_add_f64 v[29:30], v[48:49], -v[29:30]
	v_addc_co_u32_e64 v46, s[10:11], 0, v2, s[8:9]
	v_cndmask_b32_e64 v2, 0, v42, s[8:9]
	v_add_f64 v[27:28], v[27:28], v[29:30]
	v_add_f64 v[29:30], v[31:32], -v[1:2]
	v_add_f64 v[31:32], v[29:30], v[27:28]
	v_add_f64 v[29:30], v[31:32], -v[29:30]
	v_add_f64 v[27:28], v[27:28], -v[29:30]
	v_mul_f64 v[29:30], v[31:32], s[30:31]
	v_fma_f64 v[33:34], v[31:32], s[30:31], -v[29:30]
	v_fma_f64 v[31:32], v[31:32], s[38:39], v[33:34]
	v_fma_f64 v[31:32], v[27:28], s[30:31], v[31:32]
	v_add_f64 v[27:28], v[29:30], v[31:32]
	v_add_f64 v[29:30], v[27:28], -v[29:30]
	v_add_f64 v[29:30], v[31:32], -v[29:30]
.LBB111_22:                             ;   in Loop: Header=BB111_4 Depth=1
	s_andn2_saveexec_b64 s[8:9], s[66:67]
	s_cbranch_execz .LBB111_24
; %bb.23:                               ;   in Loop: Header=BB111_4 Depth=1
	v_mul_f64 v[27:28], |v[13:14]|, s[40:41]
	s_mov_b32 s36, s42
	v_rndne_f64_e32 v[31:32], v[27:28]
	v_fma_f64 v[27:28], v[31:32], s[34:35], |v[13:14]|
	v_mul_f64 v[29:30], v[31:32], s[42:43]
	v_fma_f64 v[48:49], v[31:32], s[42:43], v[27:28]
	v_add_f64 v[33:34], v[27:28], v[29:30]
	v_add_f64 v[46:47], v[27:28], -v[33:34]
	v_add_f64 v[33:34], v[33:34], -v[48:49]
	v_add_f64 v[27:28], v[46:47], v[29:30]
	v_fma_f64 v[29:30], v[31:32], s[36:37], v[29:30]
	v_cvt_i32_f64_e32 v46, v[31:32]
	v_add_f64 v[27:28], v[33:34], v[27:28]
	v_add_f64 v[27:28], v[27:28], -v[29:30]
	v_fma_f64 v[29:30], v[31:32], s[44:45], v[27:28]
	v_add_f64 v[27:28], v[48:49], v[29:30]
	v_add_f64 v[33:34], v[27:28], -v[48:49]
	v_add_f64 v[29:30], v[29:30], -v[33:34]
.LBB111_24:                             ;   in Loop: Header=BB111_4 Depth=1
	s_or_b64 exec, exec, s[8:9]
	v_cmp_nlt_f64_e64 s[8:9], |v[11:12]|, s[24:25]
                                        ; implicit-def: $vgpr2
                                        ; implicit-def: $vgpr31_vgpr32
                                        ; implicit-def: $vgpr33_vgpr34
	s_and_saveexec_b64 s[10:11], s[8:9]
	s_xor_b64 s[10:11], exec, s[10:11]
	s_cbranch_execnz .LBB111_30
; %bb.25:                               ;   in Loop: Header=BB111_4 Depth=1
	s_andn2_saveexec_b64 s[8:9], s[10:11]
	s_cbranch_execnz .LBB111_31
.LBB111_26:                             ;   in Loop: Header=BB111_4 Depth=1
	s_or_b64 exec, exec, s[8:9]
	s_and_saveexec_b64 s[8:9], s[6:7]
	s_xor_b64 s[8:9], exec, s[8:9]
	s_cbranch_execnz .LBB111_32
.LBB111_27:                             ;   in Loop: Header=BB111_4 Depth=1
	s_or_b64 exec, exec, s[8:9]
	s_and_saveexec_b64 s[8:9], s[2:3]
	s_cbranch_execnz .LBB111_33
.LBB111_28:                             ;   in Loop: Header=BB111_4 Depth=1
	s_or_b64 exec, exec, s[8:9]
	s_and_saveexec_b64 s[6:7], s[0:1]
	s_cbranch_execnz .LBB111_34
.LBB111_29:                             ;   in Loop: Header=BB111_4 Depth=1
	s_or_b64 exec, exec, s[6:7]
	s_and_saveexec_b64 s[2:3], vcc
	s_cbranch_execz .LBB111_3
	s_branch .LBB111_35
.LBB111_30:                             ;   in Loop: Header=BB111_4 Depth=1
	v_trig_preop_f64 v[31:32], |v[11:12]|, 0
	v_ldexp_f64 v[33:34], |v[11:12]|, s71
	v_cmp_ge_f64_e64 s[8:9], |v[11:12]|, s[26:27]
	v_trig_preop_f64 v[47:48], |v[11:12]|, 1
	v_and_b32_e32 v2, 0x7fffffff, v12
	v_trig_preop_f64 v[55:56], |v[11:12]|, 2
	s_mov_b32 s30, s34
	s_mov_b32 s39, s37
	v_cndmask_b32_e64 v34, v2, v34, s[8:9]
	v_cndmask_b32_e64 v33, v11, v33, s[8:9]
	v_mul_f64 v[49:50], v[31:32], v[33:34]
	v_mul_f64 v[51:52], v[47:48], v[33:34]
	;; [unrolled: 1-line block ×3, first 2 shown]
	v_fma_f64 v[31:32], v[31:32], v[33:34], -v[49:50]
	v_fma_f64 v[47:48], v[47:48], v[33:34], -v[51:52]
	;; [unrolled: 1-line block ×3, first 2 shown]
	v_add_f64 v[53:54], v[51:52], v[31:32]
	v_add_f64 v[57:58], v[53:54], -v[51:52]
	v_add_f64 v[63:64], v[49:50], v[53:54]
	v_add_f64 v[59:60], v[53:54], -v[57:58]
	v_add_f64 v[31:32], v[31:32], -v[57:58]
	v_add_f64 v[57:58], v[61:62], v[47:48]
	v_add_f64 v[49:50], v[63:64], -v[49:50]
	v_add_f64 v[51:52], v[51:52], -v[59:60]
	v_ldexp_f64 v[59:60], v[63:64], -2
	v_add_f64 v[49:50], v[53:54], -v[49:50]
	v_add_f64 v[31:32], v[31:32], v[51:52]
	v_fract_f64_e32 v[51:52], v[59:60]
	v_cmp_neq_f64_e64 s[8:9], |v[59:60]|, s[28:29]
	v_add_f64 v[53:54], v[57:58], v[31:32]
	v_ldexp_f64 v[51:52], v[51:52], 2
	v_add_f64 v[59:60], v[49:50], v[53:54]
	v_cndmask_b32_e64 v52, 0, v52, s[8:9]
	v_cndmask_b32_e64 v51, 0, v51, s[8:9]
	v_add_f64 v[65:66], v[53:54], -v[57:58]
	v_add_f64 v[63:64], v[59:60], v[51:52]
	v_add_f64 v[49:50], v[59:60], -v[49:50]
	v_add_f64 v[69:70], v[53:54], -v[65:66]
	;; [unrolled: 1-line block ×3, first 2 shown]
	v_cmp_gt_f64_e64 s[8:9], 0, v[63:64]
	v_add_f64 v[63:64], v[57:58], -v[61:62]
	v_add_f64 v[49:50], v[53:54], -v[49:50]
	v_cndmask_b32_e64 v2, 0, v41, s[8:9]
	v_add_f64 v[51:52], v[51:52], v[1:2]
	v_add_f64 v[67:68], v[57:58], -v[63:64]
	v_add_f64 v[47:48], v[47:48], -v[63:64]
	;; [unrolled: 1-line block ×3, first 2 shown]
	v_add_f64 v[71:72], v[59:60], v[51:52]
	v_add_f64 v[63:64], v[61:62], -v[67:68]
	v_add_f64 v[31:32], v[31:32], v[57:58]
	v_cvt_i32_f64_e32 v67, v[71:72]
	v_add_f64 v[47:48], v[47:48], v[63:64]
	v_cvt_f64_i32_e32 v[65:66], v67
	v_add_f64 v[51:52], v[51:52], -v[65:66]
	v_add_f64 v[31:32], v[47:48], v[31:32]
	v_add_f64 v[47:48], v[59:60], v[51:52]
	;; [unrolled: 1-line block ×3, first 2 shown]
	v_add_f64 v[33:34], v[47:48], -v[51:52]
	v_cmp_le_f64_e64 s[8:9], 0.5, v[47:48]
	v_add_f64 v[31:32], v[49:50], v[31:32]
	v_add_f64 v[33:34], v[59:60], -v[33:34]
	v_cndmask_b32_e64 v2, 0, v42, s[8:9]
	v_add_f64 v[31:32], v[31:32], v[33:34]
	v_add_f64 v[33:34], v[47:48], -v[1:2]
	v_addc_co_u32_e64 v2, s[8:9], 0, v67, s[8:9]
	v_add_f64 v[47:48], v[33:34], v[31:32]
	v_mul_f64 v[49:50], v[47:48], s[30:31]
	v_add_f64 v[33:34], v[47:48], -v[33:34]
	v_fma_f64 v[51:52], v[47:48], s[30:31], -v[49:50]
	v_add_f64 v[31:32], v[31:32], -v[33:34]
	v_fma_f64 v[33:34], v[47:48], s[38:39], v[51:52]
	v_fma_f64 v[33:34], v[31:32], s[30:31], v[33:34]
	v_add_f64 v[31:32], v[49:50], v[33:34]
	v_add_f64 v[47:48], v[31:32], -v[49:50]
	v_add_f64 v[33:34], v[33:34], -v[47:48]
	s_andn2_saveexec_b64 s[8:9], s[10:11]
	s_cbranch_execz .LBB111_26
.LBB111_31:                             ;   in Loop: Header=BB111_4 Depth=1
	v_mul_f64 v[31:32], |v[11:12]|, s[40:41]
	s_mov_b32 s36, s42
	v_rndne_f64_e32 v[47:48], v[31:32]
	v_fma_f64 v[31:32], v[47:48], s[34:35], |v[11:12]|
	v_mul_f64 v[33:34], v[47:48], s[42:43]
	v_cvt_i32_f64_e32 v2, v[47:48]
	v_fma_f64 v[53:54], v[47:48], s[42:43], v[31:32]
	v_add_f64 v[49:50], v[31:32], v[33:34]
	v_add_f64 v[51:52], v[31:32], -v[49:50]
	v_add_f64 v[49:50], v[49:50], -v[53:54]
	v_add_f64 v[31:32], v[51:52], v[33:34]
	v_fma_f64 v[33:34], v[47:48], s[36:37], v[33:34]
	v_add_f64 v[31:32], v[49:50], v[31:32]
	v_add_f64 v[31:32], v[31:32], -v[33:34]
	v_fma_f64 v[33:34], v[47:48], s[44:45], v[31:32]
	v_add_f64 v[31:32], v[53:54], v[33:34]
	v_add_f64 v[49:50], v[31:32], -v[53:54]
	v_add_f64 v[33:34], v[33:34], -v[49:50]
	s_or_b64 exec, exec, s[8:9]
	s_and_saveexec_b64 s[8:9], s[6:7]
	s_xor_b64 s[8:9], exec, s[8:9]
	s_cbranch_execz .LBB111_27
.LBB111_32:                             ;   in Loop: Header=BB111_4 Depth=1
	v_mul_f64 v[47:48], v[19:20], v[19:20]
	s_mov_b32 s64, s54
	v_mul_f64 v[49:50], v[47:48], 0.5
	v_fma_f64 v[55:56], v[47:48], s[46:47], v[7:8]
	v_add_f64 v[51:52], -v[49:50], 1.0
	v_fma_f64 v[55:56], v[47:48], v[55:56], s[48:49]
	v_add_f64 v[53:54], -v[51:52], 1.0
	v_fma_f64 v[55:56], v[47:48], v[55:56], s[50:51]
	v_add_f64 v[49:50], v[53:54], -v[49:50]
	v_fma_f64 v[55:56], v[47:48], v[55:56], s[52:53]
	v_mul_f64 v[53:54], v[47:48], v[47:48]
	v_fma_f64 v[49:50], v[19:20], -v[21:22], v[49:50]
	v_fma_f64 v[55:56], v[47:48], v[55:56], s[54:55]
	v_fma_f64 v[49:50], v[53:54], v[55:56], v[49:50]
	v_mul_f64 v[53:54], v[19:20], -v[47:48]
	v_mul_f64 v[55:56], v[21:22], 0.5
	v_add_f64 v[49:50], v[51:52], v[49:50]
	v_fma_f64 v[51:52], v[47:48], s[56:57], v[9:10]
	v_fma_f64 v[51:52], v[47:48], v[51:52], s[58:59]
	;; [unrolled: 1-line block ×5, first 2 shown]
	v_fma_f64 v[21:22], v[47:48], v[51:52], -v[21:22]
	v_fma_f64 v[21:22], v[53:54], s[64:65], v[21:22]
	v_add_f64 v[19:20], v[19:20], -v[21:22]
	v_and_b32_e32 v21, 1, v44
	v_cmp_eq_u32_e64 s[6:7], 0, v21
	v_lshlrev_b32_e32 v21, 30, v44
	v_xor_b32_e32 v21, v21, v18
	v_and_b32_e32 v21, 0x80000000, v21
	v_cndmask_b32_e64 v19, v49, v19, s[6:7]
	v_cndmask_b32_e64 v20, v50, v20, s[6:7]
	v_cmp_class_f64_e64 s[6:7], v[17:18], s72
	v_xor_b32_e32 v20, v20, v21
	v_cndmask_b32_e64 v17, 0, v19, s[6:7]
	v_cndmask_b32_e64 v18, v43, v20, s[6:7]
	global_store_dwordx2 v[3:4], v[17:18], off
	s_or_b64 exec, exec, s[8:9]
	s_and_saveexec_b64 s[8:9], s[2:3]
	s_cbranch_execz .LBB111_28
.LBB111_33:                             ;   in Loop: Header=BB111_4 Depth=1
	v_mul_f64 v[17:18], v[23:24], v[23:24]
	v_mul_f64 v[51:52], v[25:26], 0.5
	s_mov_b32 s64, s54
	v_cmp_class_f64_e64 s[6:7], v[15:16], s72
	v_fma_f64 v[19:20], v[17:18], s[56:57], v[9:10]
	v_fma_f64 v[21:22], v[17:18], s[46:47], v[7:8]
	v_mul_f64 v[47:48], v[17:18], 0.5
	v_mul_f64 v[53:54], v[23:24], -v[17:18]
	v_fma_f64 v[19:20], v[17:18], v[19:20], s[58:59]
	v_fma_f64 v[21:22], v[17:18], v[21:22], s[48:49]
	v_add_f64 v[49:50], -v[47:48], 1.0
	v_fma_f64 v[19:20], v[17:18], v[19:20], s[60:61]
	v_fma_f64 v[21:22], v[17:18], v[21:22], s[50:51]
	v_add_f64 v[55:56], -v[49:50], 1.0
	v_fma_f64 v[19:20], v[17:18], v[19:20], s[62:63]
	v_fma_f64 v[21:22], v[17:18], v[21:22], s[52:53]
	v_add_f64 v[47:48], v[55:56], -v[47:48]
	v_fma_f64 v[19:20], v[53:54], v[19:20], v[51:52]
	v_mul_f64 v[51:52], v[17:18], v[17:18]
	v_fma_f64 v[21:22], v[17:18], v[21:22], s[54:55]
	v_fma_f64 v[47:48], v[23:24], -v[25:26], v[47:48]
	v_fma_f64 v[17:18], v[17:18], v[19:20], -v[25:26]
	v_fma_f64 v[19:20], v[51:52], v[21:22], v[47:48]
	v_and_b32_e32 v21, 1, v45
	v_cmp_eq_u32_e64 s[2:3], 0, v21
	v_fma_f64 v[17:18], v[53:54], s[64:65], v[17:18]
	v_add_f64 v[19:20], v[49:50], v[19:20]
	v_add_f64 v[17:18], v[23:24], -v[17:18]
	v_cndmask_b32_e64 v15, v20, v18, s[2:3]
	v_lshlrev_b32_e32 v18, 30, v45
	v_xor_b32_e32 v16, v18, v16
	v_and_b32_e32 v16, 0x80000000, v16
	v_cndmask_b32_e64 v17, v19, v17, s[2:3]
	v_xor_b32_e32 v16, v15, v16
	v_cndmask_b32_e64 v15, 0, v17, s[6:7]
	v_cndmask_b32_e64 v16, v43, v16, s[6:7]
	global_store_dwordx2 v[5:6], v[15:16], off
	s_or_b64 exec, exec, s[8:9]
	s_and_saveexec_b64 s[6:7], s[0:1]
	s_cbranch_execz .LBB111_29
.LBB111_34:                             ;   in Loop: Header=BB111_4 Depth=1
	v_mul_f64 v[15:16], v[27:28], v[27:28]
	v_mul_f64 v[25:26], v[29:30], 0.5
	s_mov_b32 s64, s54
	v_cmp_class_f64_e64 s[2:3], v[13:14], s72
	v_lshlrev_b32_e32 v13, 30, v46
	v_xor_b32_e32 v13, v13, v14
	v_and_b32_e32 v13, 0x80000000, v13
	v_fma_f64 v[17:18], v[15:16], s[56:57], v[9:10]
	v_fma_f64 v[19:20], v[15:16], s[46:47], v[7:8]
	v_mul_f64 v[21:22], v[15:16], 0.5
	v_mul_f64 v[44:45], v[27:28], -v[15:16]
	v_fma_f64 v[17:18], v[15:16], v[17:18], s[58:59]
	v_fma_f64 v[19:20], v[15:16], v[19:20], s[48:49]
	v_add_f64 v[23:24], -v[21:22], 1.0
	v_fma_f64 v[17:18], v[15:16], v[17:18], s[60:61]
	v_fma_f64 v[19:20], v[15:16], v[19:20], s[50:51]
	v_add_f64 v[47:48], -v[23:24], 1.0
	v_fma_f64 v[17:18], v[15:16], v[17:18], s[62:63]
	v_fma_f64 v[19:20], v[15:16], v[19:20], s[52:53]
	v_add_f64 v[21:22], v[47:48], -v[21:22]
	v_fma_f64 v[17:18], v[44:45], v[17:18], v[25:26]
	v_mul_f64 v[25:26], v[15:16], v[15:16]
	v_fma_f64 v[19:20], v[15:16], v[19:20], s[54:55]
	v_fma_f64 v[21:22], v[27:28], -v[29:30], v[21:22]
	v_fma_f64 v[15:16], v[15:16], v[17:18], -v[29:30]
	v_fma_f64 v[17:18], v[25:26], v[19:20], v[21:22]
	v_and_b32_e32 v19, 1, v46
	v_cmp_eq_u32_e64 s[0:1], 0, v19
	v_fma_f64 v[15:16], v[44:45], s[64:65], v[15:16]
	v_add_f64 v[17:18], v[23:24], v[17:18]
	v_add_f64 v[15:16], v[27:28], -v[15:16]
	v_cndmask_b32_e64 v15, v17, v15, s[0:1]
	v_cndmask_b32_e64 v14, v18, v16, s[0:1]
	v_xor_b32_e32 v14, v14, v13
	v_cndmask_b32_e64 v13, 0, v15, s[2:3]
	v_add_co_u32_e64 v15, s[0:1], s70, v3
	v_cndmask_b32_e64 v14, v43, v14, s[2:3]
	v_addc_co_u32_e64 v16, s[0:1], 0, v4, s[0:1]
	global_store_dwordx2 v[15:16], v[13:14], off
	s_or_b64 exec, exec, s[6:7]
	s_and_saveexec_b64 s[2:3], vcc
	s_cbranch_execz .LBB111_3
.LBB111_35:                             ;   in Loop: Header=BB111_4 Depth=1
	v_mul_f64 v[13:14], v[31:32], v[31:32]
	v_mul_f64 v[23:24], v[33:34], 0.5
	s_mov_b32 s64, s54
	v_cmp_class_f64_e64 s[0:1], v[11:12], s72
	v_fma_f64 v[15:16], v[13:14], s[56:57], v[9:10]
	v_fma_f64 v[17:18], v[13:14], s[46:47], v[7:8]
	v_mul_f64 v[19:20], v[13:14], 0.5
	v_mul_f64 v[25:26], v[31:32], -v[13:14]
	v_fma_f64 v[15:16], v[13:14], v[15:16], s[58:59]
	v_fma_f64 v[17:18], v[13:14], v[17:18], s[48:49]
	v_add_f64 v[21:22], -v[19:20], 1.0
	v_fma_f64 v[15:16], v[13:14], v[15:16], s[60:61]
	v_fma_f64 v[17:18], v[13:14], v[17:18], s[50:51]
	v_add_f64 v[27:28], -v[21:22], 1.0
	v_fma_f64 v[15:16], v[13:14], v[15:16], s[62:63]
	v_fma_f64 v[17:18], v[13:14], v[17:18], s[52:53]
	v_add_f64 v[19:20], v[27:28], -v[19:20]
	v_fma_f64 v[15:16], v[25:26], v[15:16], v[23:24]
	v_mul_f64 v[23:24], v[13:14], v[13:14]
	v_fma_f64 v[17:18], v[13:14], v[17:18], s[54:55]
	v_fma_f64 v[19:20], v[31:32], -v[33:34], v[19:20]
	v_fma_f64 v[13:14], v[13:14], v[15:16], -v[33:34]
	v_fma_f64 v[15:16], v[23:24], v[17:18], v[19:20]
	v_and_b32_e32 v17, 1, v2
	v_lshlrev_b32_e32 v2, 30, v2
	v_cmp_eq_u32_e32 vcc, 0, v17
	v_xor_b32_e32 v2, v2, v12
	v_fma_f64 v[13:14], v[25:26], s[64:65], v[13:14]
	v_and_b32_e32 v2, 0x80000000, v2
	v_add_f64 v[15:16], v[21:22], v[15:16]
	v_add_f64 v[13:14], v[31:32], -v[13:14]
	v_cndmask_b32_e32 v13, v15, v13, vcc
	v_cndmask_b32_e32 v11, v16, v14, vcc
	v_xor_b32_e32 v2, v11, v2
	v_cndmask_b32_e64 v11, 0, v13, s[0:1]
	v_add_co_u32_e32 v13, vcc, s69, v3
	v_cndmask_b32_e64 v12, v43, v2, s[0:1]
	v_addc_co_u32_e32 v14, vcc, 0, v4, vcc
	global_store_dwordx2 v[13:14], v[11:12], off
	s_branch .LBB111_3
.LBB111_36:
	s_cbranch_execz .LBB111_38
	s_branch .LBB111_57
.LBB111_37:
.LBB111_38:
	v_mov_b32_e32 v1, 0x10000
	v_mov_b32_e32 v2, 0
	v_cmp_lt_i64_e32 vcc, s[16:17], v[1:2]
	v_mov_b32_e32 v10, 0
	s_and_b64 s[0:1], vcc, exec
	s_cselect_b32 s7, s17, 0
	s_cselect_b32 s6, s16, 0x10000
	v_lshlrev_b32_e32 v1, 2, v0
	v_mov_b32_e32 v2, v10
	v_cmp_gt_i64_e32 vcc, s[6:7], v[1:2]
	s_and_saveexec_b64 s[0:1], vcc
	s_cbranch_execz .LBB111_57
; %bb.39:
	s_load_dword s0, s[4:5], 0xd3c
	v_lshlrev_b32_e32 v2, 5, v0
	s_mov_b32 s8, 0
	s_mov_b32 s10, 0
	;; [unrolled: 1-line block ×3, first 2 shown]
	s_waitcnt lgkmcnt(0)
	s_and_b32 s33, s0, 0xffff
	s_add_u32 s0, s12, s14
	s_addc_u32 s1, s13, s15
	v_mov_b32_e32 v3, s1
	v_add_co_u32_e32 v2, vcc, s0, v2
	v_addc_co_u32_e32 v3, vcc, 0, v3, vcc
	v_add_co_u32_e32 v12, vcc, 16, v2
	s_mov_b32 s12, 0
	s_mov_b32 s22, 0x6dc9c883
	;; [unrolled: 1-line block ×15, first 2 shown]
	v_mov_b32_e32 v1, v10
	v_addc_co_u32_e32 v13, vcc, 0, v3, vcc
	s_lshl_b32 s54, s33, 5
	s_mov_b64 s[4:5], 0
	s_mov_b32 s9, 0x41d00000
	s_mov_b32 s11, 0x7b000000
	s_movk_i32 s55, 0xff80
	s_mov_b32 s13, 0x7ff00000
	s_mov_b32 s15, 0x3ff921fb
	;; [unrolled: 1-line block ×20, first 2 shown]
	s_movk_i32 s56, 0x1f8
	v_mov_b32_e32 v36, 0x40100000
	v_mov_b32_e32 v37, 0x3ff00000
	;; [unrolled: 1-line block ×3, first 2 shown]
	s_branch .LBB111_41
.LBB111_40:                             ;   in Loop: Header=BB111_41 Depth=1
	s_or_b64 exec, exec, s[0:1]
	v_mul_f64 v[32:33], v[22:23], v[22:23]
	v_mov_b32_e32 v30, s42
	v_mov_b32_e32 v31, s43
	v_mul_f64 v[47:48], v[18:19], v[18:19]
	v_mov_b32_e32 v35, s29
	v_mov_b32_e32 v34, s28
	v_mul_f64 v[43:44], v[24:25], 0.5
	v_and_b32_e32 v11, 1, v42
	v_fma_f64 v[45:46], v[32:33], s[44:45], v[30:31]
	v_fma_f64 v[51:52], v[32:33], s[30:31], v[34:35]
	v_mul_f64 v[55:56], v[32:33], 0.5
	v_fma_f64 v[61:62], v[47:48], s[44:45], v[30:31]
	v_mul_f64 v[67:68], v[47:48], 0.5
	v_mul_f64 v[65:66], v[22:23], -v[32:33]
	v_fma_f64 v[69:70], v[47:48], s[30:31], v[34:35]
	v_lshlrev_b32_e32 v42, 30, v42
	v_fma_f64 v[45:46], v[32:33], v[45:46], s[46:47]
	v_fma_f64 v[51:52], v[32:33], v[51:52], s[34:35]
	v_add_f64 v[63:64], -v[55:56], 1.0
	v_fma_f64 v[61:62], v[47:48], v[61:62], s[46:47]
	v_add_f64 v[77:78], -v[67:68], 1.0
	v_xor_b32_e32 v42, v42, v3
	v_mul_f64 v[53:54], v[14:15], v[14:15]
	v_and_b32_e32 v82, 0x80000000, v42
	v_fma_f64 v[45:46], v[32:33], v[45:46], s[48:49]
	v_fma_f64 v[51:52], v[32:33], v[51:52], s[36:37]
	v_add_f64 v[73:74], -v[63:64], 1.0
	v_fma_f64 v[61:62], v[47:48], v[61:62], s[48:49]
	v_fma_f64 v[69:70], v[47:48], v[69:70], s[34:35]
	v_mul_f64 v[49:50], v[20:21], 0.5
	v_add_f64 v[79:80], -v[77:78], 1.0
	v_mul_f64 v[71:72], v[32:33], v[32:33]
	v_fma_f64 v[45:46], v[32:33], v[45:46], s[50:51]
	v_fma_f64 v[51:52], v[32:33], v[51:52], s[38:39]
	v_add_f64 v[55:56], v[73:74], -v[55:56]
	v_fma_f64 v[61:62], v[47:48], v[61:62], s[50:51]
	v_fma_f64 v[69:70], v[47:48], v[69:70], s[36:37]
	v_mul_f64 v[59:60], v[26:27], v[26:27]
	v_add_f64 v[67:68], v[79:80], -v[67:68]
	s_mov_b32 s52, s40
	v_fma_f64 v[42:43], v[65:66], v[45:46], v[43:44]
	v_mul_f64 v[44:45], v[18:19], -v[47:48]
	v_fma_f64 v[51:52], v[32:33], v[51:52], s[40:41]
	v_mul_f64 v[73:74], v[53:54], 0.5
	v_fma_f64 v[69:70], v[47:48], v[69:70], s[38:39]
	v_mul_f64 v[75:76], v[47:48], v[47:48]
	v_mul_f64 v[57:58], v[16:17], 0.5
	v_mul_f64 v[79:80], v[14:15], -v[53:54]
	v_fma_f64 v[32:33], v[32:33], v[42:43], -v[24:25]
	v_fma_f64 v[24:25], v[22:23], -v[24:25], v[55:56]
	v_fma_f64 v[55:56], v[53:54], s[44:45], v[30:31]
	v_fma_f64 v[49:50], v[44:45], v[61:62], v[49:50]
	;; [unrolled: 1-line block ×4, first 2 shown]
	v_mul_f64 v[61:62], v[59:60], 0.5
	v_fma_f64 v[34:35], v[59:60], s[30:31], v[34:35]
	v_fma_f64 v[32:33], v[65:66], s[52:53], v[32:33]
	;; [unrolled: 1-line block ×4, first 2 shown]
	v_fma_f64 v[65:66], v[18:19], -v[20:21], v[67:68]
	v_fma_f64 v[20:21], v[47:48], v[49:50], -v[20:21]
	v_fma_f64 v[55:56], v[47:48], v[69:70], s[40:41]
	v_add_f64 v[46:47], -v[73:74], 1.0
	v_fma_f64 v[30:31], v[59:60], v[30:31], s[46:47]
	v_add_f64 v[22:23], v[22:23], -v[32:33]
	v_fma_f64 v[32:33], v[53:54], v[42:43], s[34:35]
	v_fma_f64 v[42:43], v[53:54], v[51:52], s[48:49]
	v_add_f64 v[24:25], v[63:64], v[24:25]
	v_fma_f64 v[20:21], v[44:45], s[52:53], v[20:21]
	v_cmp_eq_u32_e32 vcc, 0, v11
	v_add_f64 v[44:45], -v[46:47], 1.0
	v_fma_f64 v[48:49], v[75:76], v[55:56], v[65:66]
	v_cmp_class_f64_e64 s[0:1], v[2:3], s56
	v_fma_f64 v[32:33], v[53:54], v[32:33], s[36:37]
	v_fma_f64 v[42:43], v[53:54], v[42:43], s[50:51]
	v_cndmask_b32_e32 v11, v24, v22, vcc
	v_add_f64 v[18:19], v[18:19], -v[20:21]
	v_cndmask_b32_e32 v2, v25, v23, vcc
	v_add_f64 v[20:21], -v[61:62], 1.0
	v_fma_f64 v[22:23], v[59:60], v[34:35], s[34:35]
	v_fma_f64 v[24:25], v[59:60], v[30:31], s[48:49]
	v_add_f64 v[30:31], v[44:45], -v[73:74]
	v_fma_f64 v[32:33], v[53:54], v[32:33], s[38:39]
	v_fma_f64 v[34:35], v[79:80], v[42:43], v[57:58]
	v_add_f64 v[48:49], v[77:78], v[48:49]
	v_mul_f64 v[44:45], v[26:27], -v[59:60]
	v_add_f64 v[42:43], -v[20:21], 1.0
	v_fma_f64 v[22:23], v[59:60], v[22:23], s[36:37]
	v_fma_f64 v[24:25], v[59:60], v[24:25], s[50:51]
	v_mul_f64 v[50:51], v[28:29], 0.5
	v_and_b32_e32 v81, 1, v40
	v_mul_f64 v[55:56], v[53:54], v[53:54]
	v_fma_f64 v[32:33], v[53:54], v[32:33], s[40:41]
	v_fma_f64 v[30:31], v[14:15], -v[16:17], v[30:31]
	v_fma_f64 v[16:17], v[53:54], v[34:35], -v[16:17]
	v_cmp_eq_u32_e32 vcc, 0, v81
	v_xor_b32_e32 v3, v2, v82
	v_cndmask_b32_e64 v2, 0, v11, s[0:1]
	v_cndmask_b32_e32 v11, v48, v18, vcc
	v_cndmask_b32_e32 v34, v49, v19, vcc
	v_fma_f64 v[18:19], v[59:60], v[22:23], s[38:39]
	v_add_f64 v[22:23], v[42:43], -v[61:62]
	v_fma_f64 v[24:25], v[44:45], v[24:25], v[50:51]
	v_fma_f64 v[30:31], v[55:56], v[32:33], v[30:31]
	;; [unrolled: 1-line block ×3, first 2 shown]
	v_mul_f64 v[32:33], v[59:60], v[59:60]
	v_cmp_class_f64_e64 vcc, v[8:9], s56
	v_lshlrev_b32_e32 v35, 30, v40
	v_fma_f64 v[18:19], v[59:60], v[18:19], s[40:41]
	v_fma_f64 v[22:23], v[26:27], -v[28:29], v[22:23]
	v_fma_f64 v[24:25], v[59:60], v[24:25], -v[28:29]
	v_add_f64 v[28:29], v[46:47], v[30:31]
	v_add_f64 v[14:15], v[14:15], -v[16:17]
	v_xor_b32_e32 v35, v35, v9
	v_and_b32_e32 v8, 0x80000000, v35
	v_xor_b32_e32 v9, v34, v8
	v_cndmask_b32_e32 v8, 0, v11, vcc
	v_fma_f64 v[16:17], v[32:33], v[18:19], v[22:23]
	v_fma_f64 v[18:19], v[44:45], s[52:53], v[24:25]
	v_and_b32_e32 v11, 1, v39
	v_cndmask_b32_e32 v9, v38, v9, vcc
	v_cmp_eq_u32_e32 vcc, 0, v11
	v_cndmask_b32_e32 v11, v28, v14, vcc
	v_cndmask_b32_e32 v22, v29, v15, vcc
	v_cmp_class_f64_e64 vcc, v[6:7], s56
	v_add_f64 v[14:15], v[20:21], v[16:17]
	v_add_f64 v[16:17], v[26:27], -v[18:19]
	v_lshlrev_b32_e32 v23, 30, v39
	v_xor_b32_e32 v18, v23, v7
	v_cmp_class_f64_e64 s[2:3], v[4:5], s56
	v_and_b32_e32 v6, 0x80000000, v18
	v_xor_b32_e32 v7, v22, v6
	v_cndmask_b32_e32 v6, 0, v11, vcc
	v_and_b32_e32 v11, 1, v41
	v_cndmask_b32_e64 v3, v38, v3, s[0:1]
	v_cmp_eq_u32_e64 s[0:1], 0, v11
	v_cndmask_b32_e32 v7, v38, v7, vcc
	v_add_co_u32_e32 v0, vcc, s33, v0
	v_cndmask_b32_e64 v11, v14, v16, s[0:1]
	v_lshlrev_b32_e32 v14, 30, v41
	v_addc_co_u32_e32 v1, vcc, 0, v1, vcc
	v_cndmask_b32_e64 v4, v15, v17, s[0:1]
	v_xor_b32_e32 v5, v14, v5
	v_lshlrev_b64 v[14:15], 2, v[0:1]
	v_and_b32_e32 v5, 0x80000000, v5
	v_xor_b32_e32 v5, v4, v5
	v_cmp_le_i64_e32 vcc, s[6:7], v[14:15]
	v_cndmask_b32_e64 v4, 0, v11, s[2:3]
	v_cndmask_b32_e64 v5, v38, v5, s[2:3]
	global_store_dwordx4 v[12:13], v[6:9], off offset:-16
	global_store_dwordx4 v[12:13], v[2:5], off
	s_or_b64 s[4:5], vcc, s[4:5]
	v_add_co_u32_e32 v12, vcc, s54, v12
	v_addc_co_u32_e32 v13, vcc, 0, v13, vcc
	s_andn2_b64 exec, exec, s[4:5]
	s_cbranch_execz .LBB111_57
.LBB111_41:                             ; =>This Inner Loop Header: Depth=1
	global_load_dwordx4 v[6:9], v[12:13], off offset:-16
	global_load_dwordx4 v[2:5], v[12:13], off
                                        ; implicit-def: $vgpr39
                                        ; implicit-def: $vgpr14_vgpr15
                                        ; implicit-def: $vgpr16_vgpr17
	s_waitcnt vmcnt(1)
	v_cmp_nlt_f64_e64 s[0:1], |v[6:7]|, s[8:9]
	s_and_saveexec_b64 s[2:3], s[0:1]
	s_xor_b64 s[2:3], exec, s[2:3]
	s_cbranch_execz .LBB111_43
; %bb.42:                               ;   in Loop: Header=BB111_41 Depth=1
	v_trig_preop_f64 v[14:15], |v[6:7]|, 0
	v_ldexp_f64 v[18:19], |v[6:7]|, s55
	v_cmp_ge_f64_e64 vcc, |v[6:7]|, s[10:11]
	v_trig_preop_f64 v[16:17], |v[6:7]|, 1
	v_and_b32_e32 v11, 0x7fffffff, v7
	v_trig_preop_f64 v[26:27], |v[6:7]|, 2
	s_mov_b32 s14, s16
	s_mov_b32 s21, s19
	v_cndmask_b32_e32 v19, v11, v19, vcc
	v_cndmask_b32_e32 v18, v6, v18, vcc
	v_mul_f64 v[20:21], v[14:15], v[18:19]
	v_mul_f64 v[22:23], v[16:17], v[18:19]
	;; [unrolled: 1-line block ×3, first 2 shown]
	v_fma_f64 v[14:15], v[14:15], v[18:19], -v[20:21]
	v_fma_f64 v[16:17], v[16:17], v[18:19], -v[22:23]
	v_fma_f64 v[18:19], v[26:27], v[18:19], -v[32:33]
	v_add_f64 v[24:25], v[22:23], v[14:15]
	v_add_f64 v[28:29], v[24:25], -v[22:23]
	v_add_f64 v[34:35], v[20:21], v[24:25]
	v_add_f64 v[30:31], v[24:25], -v[28:29]
	v_add_f64 v[14:15], v[14:15], -v[28:29]
	v_add_f64 v[28:29], v[32:33], v[16:17]
	v_add_f64 v[20:21], v[34:35], -v[20:21]
	v_add_f64 v[22:23], v[22:23], -v[30:31]
	v_ldexp_f64 v[30:31], v[34:35], -2
	v_add_f64 v[39:40], v[28:29], -v[32:33]
	v_add_f64 v[20:21], v[24:25], -v[20:21]
	v_add_f64 v[14:15], v[14:15], v[22:23]
	v_fract_f64_e32 v[22:23], v[30:31]
	v_cmp_neq_f64_e64 vcc, |v[30:31]|, s[12:13]
	v_add_f64 v[16:17], v[16:17], -v[39:40]
	v_add_f64 v[24:25], v[28:29], v[14:15]
	v_ldexp_f64 v[22:23], v[22:23], 2
	v_add_f64 v[30:31], v[20:21], v[24:25]
	v_cndmask_b32_e32 v23, 0, v23, vcc
	v_cndmask_b32_e32 v22, 0, v22, vcc
	v_add_f64 v[41:42], v[24:25], -v[28:29]
	v_add_f64 v[34:35], v[30:31], v[22:23]
	v_add_f64 v[20:21], v[30:31], -v[20:21]
	v_add_f64 v[43:44], v[24:25], -v[41:42]
	;; [unrolled: 1-line block ×3, first 2 shown]
	v_cmp_gt_f64_e32 vcc, 0, v[34:35]
	v_add_f64 v[34:35], v[28:29], -v[39:40]
	v_add_f64 v[20:21], v[24:25], -v[20:21]
	;; [unrolled: 1-line block ×3, first 2 shown]
	v_cndmask_b32_e32 v11, 0, v36, vcc
	v_add_f64 v[22:23], v[22:23], v[10:11]
	v_add_f64 v[34:35], v[32:33], -v[34:35]
	v_add_f64 v[14:15], v[14:15], v[28:29]
	v_add_f64 v[45:46], v[30:31], v[22:23]
	v_add_f64 v[16:17], v[16:17], v[34:35]
	v_cvt_i32_f64_e32 v11, v[45:46]
	v_add_f64 v[14:15], v[16:17], v[14:15]
	v_cvt_f64_i32_e32 v[39:40], v11
	v_add_f64 v[22:23], v[22:23], -v[39:40]
	v_add_f64 v[14:15], v[18:19], v[14:15]
	v_add_f64 v[16:17], v[30:31], v[22:23]
	;; [unrolled: 1-line block ×3, first 2 shown]
	v_add_f64 v[18:19], v[16:17], -v[22:23]
	v_cmp_le_f64_e32 vcc, 0.5, v[16:17]
	v_add_f64 v[18:19], v[30:31], -v[18:19]
	v_addc_co_u32_e64 v39, s[0:1], 0, v11, vcc
	v_cndmask_b32_e32 v11, 0, v37, vcc
	v_add_f64 v[16:17], v[16:17], -v[10:11]
	v_add_f64 v[14:15], v[14:15], v[18:19]
	v_add_f64 v[18:19], v[16:17], v[14:15]
	v_mul_f64 v[20:21], v[18:19], s[14:15]
	v_add_f64 v[16:17], v[18:19], -v[16:17]
	v_fma_f64 v[22:23], v[18:19], s[14:15], -v[20:21]
	v_add_f64 v[14:15], v[14:15], -v[16:17]
	v_fma_f64 v[16:17], v[18:19], s[20:21], v[22:23]
	v_fma_f64 v[16:17], v[14:15], s[14:15], v[16:17]
	v_add_f64 v[14:15], v[20:21], v[16:17]
	v_add_f64 v[18:19], v[14:15], -v[20:21]
	v_add_f64 v[16:17], v[16:17], -v[18:19]
.LBB111_43:                             ;   in Loop: Header=BB111_41 Depth=1
	s_andn2_saveexec_b64 s[0:1], s[2:3]
	s_cbranch_execz .LBB111_45
; %bb.44:                               ;   in Loop: Header=BB111_41 Depth=1
	v_mul_f64 v[14:15], |v[6:7]|, s[22:23]
	s_mov_b32 s18, s24
	v_rndne_f64_e32 v[18:19], v[14:15]
	v_fma_f64 v[14:15], v[18:19], s[16:17], |v[6:7]|
	v_mul_f64 v[16:17], v[18:19], s[24:25]
	v_cvt_i32_f64_e32 v39, v[18:19]
	v_fma_f64 v[24:25], v[18:19], s[24:25], v[14:15]
	v_add_f64 v[20:21], v[14:15], v[16:17]
	v_add_f64 v[22:23], v[14:15], -v[20:21]
	v_add_f64 v[20:21], v[20:21], -v[24:25]
	v_add_f64 v[14:15], v[22:23], v[16:17]
	v_fma_f64 v[16:17], v[18:19], s[18:19], v[16:17]
	v_add_f64 v[14:15], v[20:21], v[14:15]
	v_add_f64 v[14:15], v[14:15], -v[16:17]
	v_fma_f64 v[16:17], v[18:19], s[26:27], v[14:15]
	v_add_f64 v[14:15], v[24:25], v[16:17]
	v_add_f64 v[20:21], v[14:15], -v[24:25]
	v_add_f64 v[16:17], v[16:17], -v[20:21]
.LBB111_45:                             ;   in Loop: Header=BB111_41 Depth=1
	s_or_b64 exec, exec, s[0:1]
	v_cmp_nlt_f64_e64 s[0:1], |v[8:9]|, s[8:9]
                                        ; implicit-def: $vgpr40
                                        ; implicit-def: $vgpr18_vgpr19
                                        ; implicit-def: $vgpr20_vgpr21
	s_and_saveexec_b64 s[2:3], s[0:1]
	s_xor_b64 s[2:3], exec, s[2:3]
	s_cbranch_execz .LBB111_47
; %bb.46:                               ;   in Loop: Header=BB111_41 Depth=1
	v_trig_preop_f64 v[18:19], |v[8:9]|, 0
	v_ldexp_f64 v[22:23], |v[8:9]|, s55
	v_cmp_ge_f64_e64 vcc, |v[8:9]|, s[10:11]
	v_trig_preop_f64 v[20:21], |v[8:9]|, 1
	v_and_b32_e32 v11, 0x7fffffff, v9
	v_trig_preop_f64 v[30:31], |v[8:9]|, 2
	s_mov_b32 s14, s16
	s_mov_b32 s21, s19
	v_cndmask_b32_e32 v23, v11, v23, vcc
	v_cndmask_b32_e32 v22, v8, v22, vcc
	v_mul_f64 v[24:25], v[18:19], v[22:23]
	v_mul_f64 v[26:27], v[20:21], v[22:23]
	;; [unrolled: 1-line block ×3, first 2 shown]
	v_fma_f64 v[18:19], v[18:19], v[22:23], -v[24:25]
	v_fma_f64 v[20:21], v[20:21], v[22:23], -v[26:27]
	;; [unrolled: 1-line block ×3, first 2 shown]
	v_add_f64 v[28:29], v[26:27], v[18:19]
	v_add_f64 v[32:33], v[28:29], -v[26:27]
	v_add_f64 v[42:43], v[24:25], v[28:29]
	v_add_f64 v[34:35], v[28:29], -v[32:33]
	v_add_f64 v[18:19], v[18:19], -v[32:33]
	v_add_f64 v[32:33], v[40:41], v[20:21]
	v_add_f64 v[24:25], v[42:43], -v[24:25]
	v_add_f64 v[26:27], v[26:27], -v[34:35]
	v_ldexp_f64 v[34:35], v[42:43], -2
	v_add_f64 v[44:45], v[32:33], -v[40:41]
	v_add_f64 v[24:25], v[28:29], -v[24:25]
	v_add_f64 v[18:19], v[18:19], v[26:27]
	v_fract_f64_e32 v[26:27], v[34:35]
	v_cmp_neq_f64_e64 vcc, |v[34:35]|, s[12:13]
	v_add_f64 v[20:21], v[20:21], -v[44:45]
	v_add_f64 v[28:29], v[32:33], v[18:19]
	v_ldexp_f64 v[26:27], v[26:27], 2
	v_add_f64 v[34:35], v[24:25], v[28:29]
	v_cndmask_b32_e32 v27, 0, v27, vcc
	v_cndmask_b32_e32 v26, 0, v26, vcc
	v_add_f64 v[46:47], v[28:29], -v[32:33]
	v_add_f64 v[42:43], v[34:35], v[26:27]
	v_add_f64 v[24:25], v[34:35], -v[24:25]
	v_add_f64 v[48:49], v[28:29], -v[46:47]
	;; [unrolled: 1-line block ×3, first 2 shown]
	v_cmp_gt_f64_e32 vcc, 0, v[42:43]
	v_add_f64 v[42:43], v[32:33], -v[44:45]
	v_add_f64 v[24:25], v[28:29], -v[24:25]
	;; [unrolled: 1-line block ×3, first 2 shown]
	v_cndmask_b32_e32 v11, 0, v36, vcc
	v_add_f64 v[26:27], v[26:27], v[10:11]
	v_add_f64 v[42:43], v[40:41], -v[42:43]
	v_add_f64 v[18:19], v[18:19], v[32:33]
	v_add_f64 v[50:51], v[34:35], v[26:27]
	;; [unrolled: 1-line block ×3, first 2 shown]
	v_cvt_i32_f64_e32 v11, v[50:51]
	v_add_f64 v[18:19], v[20:21], v[18:19]
	v_cvt_f64_i32_e32 v[44:45], v11
	v_add_f64 v[26:27], v[26:27], -v[44:45]
	v_add_f64 v[18:19], v[22:23], v[18:19]
	v_add_f64 v[20:21], v[34:35], v[26:27]
	;; [unrolled: 1-line block ×3, first 2 shown]
	v_add_f64 v[22:23], v[20:21], -v[26:27]
	v_cmp_le_f64_e32 vcc, 0.5, v[20:21]
	v_add_f64 v[22:23], v[34:35], -v[22:23]
	v_addc_co_u32_e64 v40, s[0:1], 0, v11, vcc
	v_cndmask_b32_e32 v11, 0, v37, vcc
	v_add_f64 v[20:21], v[20:21], -v[10:11]
	v_add_f64 v[18:19], v[18:19], v[22:23]
	v_add_f64 v[22:23], v[20:21], v[18:19]
	v_mul_f64 v[24:25], v[22:23], s[14:15]
	v_add_f64 v[20:21], v[22:23], -v[20:21]
	v_fma_f64 v[26:27], v[22:23], s[14:15], -v[24:25]
	v_add_f64 v[18:19], v[18:19], -v[20:21]
	v_fma_f64 v[20:21], v[22:23], s[20:21], v[26:27]
	v_fma_f64 v[20:21], v[18:19], s[14:15], v[20:21]
	v_add_f64 v[18:19], v[24:25], v[20:21]
	v_add_f64 v[22:23], v[18:19], -v[24:25]
	v_add_f64 v[20:21], v[20:21], -v[22:23]
.LBB111_47:                             ;   in Loop: Header=BB111_41 Depth=1
	s_andn2_saveexec_b64 s[0:1], s[2:3]
	s_cbranch_execz .LBB111_49
; %bb.48:                               ;   in Loop: Header=BB111_41 Depth=1
	v_mul_f64 v[18:19], |v[8:9]|, s[22:23]
	s_mov_b32 s18, s24
	v_rndne_f64_e32 v[22:23], v[18:19]
	v_fma_f64 v[18:19], v[22:23], s[16:17], |v[8:9]|
	v_mul_f64 v[20:21], v[22:23], s[24:25]
	v_cvt_i32_f64_e32 v40, v[22:23]
	v_fma_f64 v[28:29], v[22:23], s[24:25], v[18:19]
	v_add_f64 v[24:25], v[18:19], v[20:21]
	v_add_f64 v[26:27], v[18:19], -v[24:25]
	v_add_f64 v[24:25], v[24:25], -v[28:29]
	v_add_f64 v[18:19], v[26:27], v[20:21]
	v_fma_f64 v[20:21], v[22:23], s[18:19], v[20:21]
	v_add_f64 v[18:19], v[24:25], v[18:19]
	v_add_f64 v[18:19], v[18:19], -v[20:21]
	v_fma_f64 v[20:21], v[22:23], s[26:27], v[18:19]
	v_add_f64 v[18:19], v[28:29], v[20:21]
	v_add_f64 v[24:25], v[18:19], -v[28:29]
	v_add_f64 v[20:21], v[20:21], -v[24:25]
.LBB111_49:                             ;   in Loop: Header=BB111_41 Depth=1
	s_or_b64 exec, exec, s[0:1]
	s_waitcnt vmcnt(0)
	v_cmp_nlt_f64_e64 s[0:1], |v[2:3]|, s[8:9]
                                        ; implicit-def: $vgpr42
                                        ; implicit-def: $vgpr22_vgpr23
                                        ; implicit-def: $vgpr24_vgpr25
	s_and_saveexec_b64 s[2:3], s[0:1]
	s_xor_b64 s[2:3], exec, s[2:3]
	s_cbranch_execz .LBB111_51
; %bb.50:                               ;   in Loop: Header=BB111_41 Depth=1
	v_trig_preop_f64 v[22:23], |v[2:3]|, 0
	v_ldexp_f64 v[26:27], |v[2:3]|, s55
	v_cmp_ge_f64_e64 vcc, |v[2:3]|, s[10:11]
	v_trig_preop_f64 v[24:25], |v[2:3]|, 1
	v_and_b32_e32 v11, 0x7fffffff, v3
	v_trig_preop_f64 v[34:35], |v[2:3]|, 2
	s_mov_b32 s14, s16
	s_mov_b32 s21, s19
	v_cndmask_b32_e32 v27, v11, v27, vcc
	v_cndmask_b32_e32 v26, v2, v26, vcc
	v_mul_f64 v[28:29], v[22:23], v[26:27]
	v_mul_f64 v[30:31], v[24:25], v[26:27]
	;; [unrolled: 1-line block ×3, first 2 shown]
	v_fma_f64 v[22:23], v[22:23], v[26:27], -v[28:29]
	v_fma_f64 v[24:25], v[24:25], v[26:27], -v[30:31]
	;; [unrolled: 1-line block ×3, first 2 shown]
	v_add_f64 v[32:33], v[30:31], v[22:23]
	v_add_f64 v[41:42], v[32:33], -v[30:31]
	v_add_f64 v[47:48], v[28:29], v[32:33]
	v_add_f64 v[43:44], v[32:33], -v[41:42]
	v_add_f64 v[22:23], v[22:23], -v[41:42]
	v_add_f64 v[41:42], v[45:46], v[24:25]
	v_add_f64 v[28:29], v[47:48], -v[28:29]
	v_add_f64 v[30:31], v[30:31], -v[43:44]
	v_ldexp_f64 v[43:44], v[47:48], -2
	v_add_f64 v[49:50], v[41:42], -v[45:46]
	v_add_f64 v[28:29], v[32:33], -v[28:29]
	v_add_f64 v[22:23], v[22:23], v[30:31]
	v_fract_f64_e32 v[30:31], v[43:44]
	v_cmp_neq_f64_e64 vcc, |v[43:44]|, s[12:13]
	v_add_f64 v[24:25], v[24:25], -v[49:50]
	v_add_f64 v[32:33], v[41:42], v[22:23]
	v_ldexp_f64 v[30:31], v[30:31], 2
	v_add_f64 v[43:44], v[28:29], v[32:33]
	v_cndmask_b32_e32 v31, 0, v31, vcc
	v_cndmask_b32_e32 v30, 0, v30, vcc
	v_add_f64 v[51:52], v[32:33], -v[41:42]
	v_add_f64 v[47:48], v[43:44], v[30:31]
	v_add_f64 v[28:29], v[43:44], -v[28:29]
	v_add_f64 v[53:54], v[32:33], -v[51:52]
	;; [unrolled: 1-line block ×3, first 2 shown]
	v_cmp_gt_f64_e32 vcc, 0, v[47:48]
	v_add_f64 v[47:48], v[41:42], -v[49:50]
	v_add_f64 v[28:29], v[32:33], -v[28:29]
	;; [unrolled: 1-line block ×3, first 2 shown]
	v_cndmask_b32_e32 v11, 0, v36, vcc
	v_add_f64 v[30:31], v[30:31], v[10:11]
	v_add_f64 v[47:48], v[45:46], -v[47:48]
	v_add_f64 v[22:23], v[22:23], v[41:42]
	v_add_f64 v[55:56], v[43:44], v[30:31]
	;; [unrolled: 1-line block ×3, first 2 shown]
	v_cvt_i32_f64_e32 v11, v[55:56]
	v_add_f64 v[22:23], v[24:25], v[22:23]
	v_cvt_f64_i32_e32 v[49:50], v11
	v_add_f64 v[30:31], v[30:31], -v[49:50]
	v_add_f64 v[22:23], v[26:27], v[22:23]
	v_add_f64 v[24:25], v[43:44], v[30:31]
	;; [unrolled: 1-line block ×3, first 2 shown]
	v_add_f64 v[26:27], v[24:25], -v[30:31]
	v_cmp_le_f64_e32 vcc, 0.5, v[24:25]
	v_add_f64 v[26:27], v[43:44], -v[26:27]
	v_addc_co_u32_e64 v42, s[0:1], 0, v11, vcc
	v_cndmask_b32_e32 v11, 0, v37, vcc
	v_add_f64 v[24:25], v[24:25], -v[10:11]
	v_add_f64 v[22:23], v[22:23], v[26:27]
	v_add_f64 v[26:27], v[24:25], v[22:23]
	v_mul_f64 v[28:29], v[26:27], s[14:15]
	v_add_f64 v[24:25], v[26:27], -v[24:25]
	v_fma_f64 v[30:31], v[26:27], s[14:15], -v[28:29]
	v_add_f64 v[22:23], v[22:23], -v[24:25]
	v_fma_f64 v[24:25], v[26:27], s[20:21], v[30:31]
	v_fma_f64 v[24:25], v[22:23], s[14:15], v[24:25]
	v_add_f64 v[22:23], v[28:29], v[24:25]
	v_add_f64 v[26:27], v[22:23], -v[28:29]
	v_add_f64 v[24:25], v[24:25], -v[26:27]
.LBB111_51:                             ;   in Loop: Header=BB111_41 Depth=1
	s_andn2_saveexec_b64 s[0:1], s[2:3]
	s_cbranch_execz .LBB111_53
; %bb.52:                               ;   in Loop: Header=BB111_41 Depth=1
	v_mul_f64 v[22:23], |v[2:3]|, s[22:23]
	s_mov_b32 s18, s24
	v_rndne_f64_e32 v[26:27], v[22:23]
	v_fma_f64 v[22:23], v[26:27], s[16:17], |v[2:3]|
	v_mul_f64 v[24:25], v[26:27], s[24:25]
	v_cvt_i32_f64_e32 v42, v[26:27]
	v_fma_f64 v[32:33], v[26:27], s[24:25], v[22:23]
	v_add_f64 v[28:29], v[22:23], v[24:25]
	v_add_f64 v[30:31], v[22:23], -v[28:29]
	v_add_f64 v[28:29], v[28:29], -v[32:33]
	v_add_f64 v[22:23], v[30:31], v[24:25]
	v_fma_f64 v[24:25], v[26:27], s[18:19], v[24:25]
	v_add_f64 v[22:23], v[28:29], v[22:23]
	v_add_f64 v[22:23], v[22:23], -v[24:25]
	v_fma_f64 v[24:25], v[26:27], s[26:27], v[22:23]
	v_add_f64 v[22:23], v[32:33], v[24:25]
	v_add_f64 v[28:29], v[22:23], -v[32:33]
	v_add_f64 v[24:25], v[24:25], -v[28:29]
.LBB111_53:                             ;   in Loop: Header=BB111_41 Depth=1
	s_or_b64 exec, exec, s[0:1]
	v_cmp_nlt_f64_e64 s[0:1], |v[4:5]|, s[8:9]
                                        ; implicit-def: $vgpr41
                                        ; implicit-def: $vgpr26_vgpr27
                                        ; implicit-def: $vgpr28_vgpr29
	s_and_saveexec_b64 s[2:3], s[0:1]
	s_xor_b64 s[2:3], exec, s[2:3]
	s_cbranch_execz .LBB111_55
; %bb.54:                               ;   in Loop: Header=BB111_41 Depth=1
	v_trig_preop_f64 v[26:27], |v[4:5]|, 0
	v_ldexp_f64 v[30:31], |v[4:5]|, s55
	v_cmp_ge_f64_e64 vcc, |v[4:5]|, s[10:11]
	v_trig_preop_f64 v[28:29], |v[4:5]|, 1
	v_and_b32_e32 v11, 0x7fffffff, v5
	v_trig_preop_f64 v[45:46], |v[4:5]|, 2
	s_mov_b32 s14, s16
	s_mov_b32 s21, s19
	v_cndmask_b32_e32 v31, v11, v31, vcc
	v_cndmask_b32_e32 v30, v4, v30, vcc
	v_mul_f64 v[32:33], v[26:27], v[30:31]
	v_mul_f64 v[34:35], v[28:29], v[30:31]
	v_mul_f64 v[51:52], v[45:46], v[30:31]
	v_fma_f64 v[26:27], v[26:27], v[30:31], -v[32:33]
	v_fma_f64 v[28:29], v[28:29], v[30:31], -v[34:35]
	;; [unrolled: 1-line block ×3, first 2 shown]
	v_add_f64 v[43:44], v[34:35], v[26:27]
	v_add_f64 v[47:48], v[43:44], -v[34:35]
	v_add_f64 v[53:54], v[32:33], v[43:44]
	v_add_f64 v[49:50], v[43:44], -v[47:48]
	v_add_f64 v[26:27], v[26:27], -v[47:48]
	v_add_f64 v[47:48], v[51:52], v[28:29]
	v_add_f64 v[32:33], v[53:54], -v[32:33]
	v_add_f64 v[34:35], v[34:35], -v[49:50]
	v_ldexp_f64 v[49:50], v[53:54], -2
	v_add_f64 v[55:56], v[47:48], -v[51:52]
	v_add_f64 v[32:33], v[43:44], -v[32:33]
	v_add_f64 v[26:27], v[26:27], v[34:35]
	v_fract_f64_e32 v[34:35], v[49:50]
	v_cmp_neq_f64_e64 vcc, |v[49:50]|, s[12:13]
	v_add_f64 v[28:29], v[28:29], -v[55:56]
	v_add_f64 v[43:44], v[47:48], v[26:27]
	v_ldexp_f64 v[34:35], v[34:35], 2
	v_add_f64 v[49:50], v[32:33], v[43:44]
	v_cndmask_b32_e32 v35, 0, v35, vcc
	v_cndmask_b32_e32 v34, 0, v34, vcc
	v_add_f64 v[57:58], v[43:44], -v[47:48]
	v_add_f64 v[53:54], v[49:50], v[34:35]
	v_add_f64 v[32:33], v[49:50], -v[32:33]
	v_add_f64 v[59:60], v[43:44], -v[57:58]
	;; [unrolled: 1-line block ×3, first 2 shown]
	v_cmp_gt_f64_e32 vcc, 0, v[53:54]
	v_add_f64 v[53:54], v[47:48], -v[55:56]
	v_add_f64 v[32:33], v[43:44], -v[32:33]
	;; [unrolled: 1-line block ×3, first 2 shown]
	v_cndmask_b32_e32 v11, 0, v36, vcc
	v_add_f64 v[34:35], v[34:35], v[10:11]
	v_add_f64 v[53:54], v[51:52], -v[53:54]
	v_add_f64 v[26:27], v[26:27], v[47:48]
	v_add_f64 v[61:62], v[49:50], v[34:35]
	;; [unrolled: 1-line block ×3, first 2 shown]
	v_cvt_i32_f64_e32 v11, v[61:62]
	v_add_f64 v[26:27], v[28:29], v[26:27]
	v_cvt_f64_i32_e32 v[55:56], v11
	v_add_f64 v[34:35], v[34:35], -v[55:56]
	v_add_f64 v[26:27], v[30:31], v[26:27]
	v_add_f64 v[28:29], v[49:50], v[34:35]
	;; [unrolled: 1-line block ×3, first 2 shown]
	v_add_f64 v[30:31], v[28:29], -v[34:35]
	v_cmp_le_f64_e32 vcc, 0.5, v[28:29]
	v_add_f64 v[30:31], v[49:50], -v[30:31]
	v_addc_co_u32_e64 v41, s[0:1], 0, v11, vcc
	v_cndmask_b32_e32 v11, 0, v37, vcc
	v_add_f64 v[28:29], v[28:29], -v[10:11]
	v_add_f64 v[26:27], v[26:27], v[30:31]
	v_add_f64 v[30:31], v[28:29], v[26:27]
	v_mul_f64 v[32:33], v[30:31], s[14:15]
	v_add_f64 v[28:29], v[30:31], -v[28:29]
	v_fma_f64 v[34:35], v[30:31], s[14:15], -v[32:33]
	v_add_f64 v[26:27], v[26:27], -v[28:29]
	v_fma_f64 v[28:29], v[30:31], s[20:21], v[34:35]
	v_fma_f64 v[28:29], v[26:27], s[14:15], v[28:29]
	v_add_f64 v[26:27], v[32:33], v[28:29]
	v_add_f64 v[30:31], v[26:27], -v[32:33]
	v_add_f64 v[28:29], v[28:29], -v[30:31]
.LBB111_55:                             ;   in Loop: Header=BB111_41 Depth=1
	s_andn2_saveexec_b64 s[0:1], s[2:3]
	s_cbranch_execz .LBB111_40
; %bb.56:                               ;   in Loop: Header=BB111_41 Depth=1
	v_mul_f64 v[26:27], |v[4:5]|, s[22:23]
	s_mov_b32 s18, s24
	v_rndne_f64_e32 v[30:31], v[26:27]
	v_fma_f64 v[26:27], v[30:31], s[16:17], |v[4:5]|
	v_mul_f64 v[28:29], v[30:31], s[24:25]
	v_cvt_i32_f64_e32 v41, v[30:31]
	v_fma_f64 v[43:44], v[30:31], s[24:25], v[26:27]
	v_add_f64 v[32:33], v[26:27], v[28:29]
	v_add_f64 v[34:35], v[26:27], -v[32:33]
	v_add_f64 v[32:33], v[32:33], -v[43:44]
	v_add_f64 v[26:27], v[34:35], v[28:29]
	v_fma_f64 v[28:29], v[30:31], s[18:19], v[28:29]
	v_add_f64 v[26:27], v[32:33], v[26:27]
	v_add_f64 v[26:27], v[26:27], -v[28:29]
	v_fma_f64 v[28:29], v[30:31], s[26:27], v[26:27]
	v_add_f64 v[26:27], v[43:44], v[28:29]
	v_add_f64 v[32:33], v[26:27], -v[43:44]
	v_add_f64 v[28:29], v[28:29], -v[32:33]
	s_branch .LBB111_40
.LBB111_57:
	s_endpgm
	.section	.rodata,"a",@progbits
	.p2align	6, 0x0
	.amdhsa_kernel _ZN2at6native12_GLOBAL__N_125multi_tensor_apply_kernelINS1_18TensorListMetadataILi1EEENS1_14UnaryOpFunctorIdLi1ELi1ELi0EEEJNS0_3SinIdEEEEEvT_T0_DpT1_
		.amdhsa_group_segment_fixed_size 0
		.amdhsa_private_segment_fixed_size 0
		.amdhsa_kernarg_size 3632
		.amdhsa_user_sgpr_count 6
		.amdhsa_user_sgpr_private_segment_buffer 1
		.amdhsa_user_sgpr_dispatch_ptr 0
		.amdhsa_user_sgpr_queue_ptr 0
		.amdhsa_user_sgpr_kernarg_segment_ptr 1
		.amdhsa_user_sgpr_dispatch_id 0
		.amdhsa_user_sgpr_flat_scratch_init 0
		.amdhsa_user_sgpr_private_segment_size 0
		.amdhsa_uses_dynamic_stack 0
		.amdhsa_system_sgpr_private_segment_wavefront_offset 0
		.amdhsa_system_sgpr_workgroup_id_x 1
		.amdhsa_system_sgpr_workgroup_id_y 0
		.amdhsa_system_sgpr_workgroup_id_z 0
		.amdhsa_system_sgpr_workgroup_info 0
		.amdhsa_system_vgpr_workitem_id 0
		.amdhsa_next_free_vgpr 83
		.amdhsa_next_free_sgpr 73
		.amdhsa_reserve_vcc 1
		.amdhsa_reserve_flat_scratch 0
		.amdhsa_float_round_mode_32 0
		.amdhsa_float_round_mode_16_64 0
		.amdhsa_float_denorm_mode_32 3
		.amdhsa_float_denorm_mode_16_64 3
		.amdhsa_dx10_clamp 1
		.amdhsa_ieee_mode 1
		.amdhsa_fp16_overflow 0
		.amdhsa_exception_fp_ieee_invalid_op 0
		.amdhsa_exception_fp_denorm_src 0
		.amdhsa_exception_fp_ieee_div_zero 0
		.amdhsa_exception_fp_ieee_overflow 0
		.amdhsa_exception_fp_ieee_underflow 0
		.amdhsa_exception_fp_ieee_inexact 0
		.amdhsa_exception_int_div_zero 0
	.end_amdhsa_kernel
	.section	.text._ZN2at6native12_GLOBAL__N_125multi_tensor_apply_kernelINS1_18TensorListMetadataILi1EEENS1_14UnaryOpFunctorIdLi1ELi1ELi0EEEJNS0_3SinIdEEEEEvT_T0_DpT1_,"axG",@progbits,_ZN2at6native12_GLOBAL__N_125multi_tensor_apply_kernelINS1_18TensorListMetadataILi1EEENS1_14UnaryOpFunctorIdLi1ELi1ELi0EEEJNS0_3SinIdEEEEEvT_T0_DpT1_,comdat
.Lfunc_end111:
	.size	_ZN2at6native12_GLOBAL__N_125multi_tensor_apply_kernelINS1_18TensorListMetadataILi1EEENS1_14UnaryOpFunctorIdLi1ELi1ELi0EEEJNS0_3SinIdEEEEEvT_T0_DpT1_, .Lfunc_end111-_ZN2at6native12_GLOBAL__N_125multi_tensor_apply_kernelINS1_18TensorListMetadataILi1EEENS1_14UnaryOpFunctorIdLi1ELi1ELi0EEEJNS0_3SinIdEEEEEvT_T0_DpT1_
                                        ; -- End function
	.set _ZN2at6native12_GLOBAL__N_125multi_tensor_apply_kernelINS1_18TensorListMetadataILi1EEENS1_14UnaryOpFunctorIdLi1ELi1ELi0EEEJNS0_3SinIdEEEEEvT_T0_DpT1_.num_vgpr, 83
	.set _ZN2at6native12_GLOBAL__N_125multi_tensor_apply_kernelINS1_18TensorListMetadataILi1EEENS1_14UnaryOpFunctorIdLi1ELi1ELi0EEEJNS0_3SinIdEEEEEvT_T0_DpT1_.num_agpr, 0
	.set _ZN2at6native12_GLOBAL__N_125multi_tensor_apply_kernelINS1_18TensorListMetadataILi1EEENS1_14UnaryOpFunctorIdLi1ELi1ELi0EEEJNS0_3SinIdEEEEEvT_T0_DpT1_.numbered_sgpr, 73
	.set _ZN2at6native12_GLOBAL__N_125multi_tensor_apply_kernelINS1_18TensorListMetadataILi1EEENS1_14UnaryOpFunctorIdLi1ELi1ELi0EEEJNS0_3SinIdEEEEEvT_T0_DpT1_.num_named_barrier, 0
	.set _ZN2at6native12_GLOBAL__N_125multi_tensor_apply_kernelINS1_18TensorListMetadataILi1EEENS1_14UnaryOpFunctorIdLi1ELi1ELi0EEEJNS0_3SinIdEEEEEvT_T0_DpT1_.private_seg_size, 0
	.set _ZN2at6native12_GLOBAL__N_125multi_tensor_apply_kernelINS1_18TensorListMetadataILi1EEENS1_14UnaryOpFunctorIdLi1ELi1ELi0EEEJNS0_3SinIdEEEEEvT_T0_DpT1_.uses_vcc, 1
	.set _ZN2at6native12_GLOBAL__N_125multi_tensor_apply_kernelINS1_18TensorListMetadataILi1EEENS1_14UnaryOpFunctorIdLi1ELi1ELi0EEEJNS0_3SinIdEEEEEvT_T0_DpT1_.uses_flat_scratch, 0
	.set _ZN2at6native12_GLOBAL__N_125multi_tensor_apply_kernelINS1_18TensorListMetadataILi1EEENS1_14UnaryOpFunctorIdLi1ELi1ELi0EEEJNS0_3SinIdEEEEEvT_T0_DpT1_.has_dyn_sized_stack, 0
	.set _ZN2at6native12_GLOBAL__N_125multi_tensor_apply_kernelINS1_18TensorListMetadataILi1EEENS1_14UnaryOpFunctorIdLi1ELi1ELi0EEEJNS0_3SinIdEEEEEvT_T0_DpT1_.has_recursion, 0
	.set _ZN2at6native12_GLOBAL__N_125multi_tensor_apply_kernelINS1_18TensorListMetadataILi1EEENS1_14UnaryOpFunctorIdLi1ELi1ELi0EEEJNS0_3SinIdEEEEEvT_T0_DpT1_.has_indirect_call, 0
	.section	.AMDGPU.csdata,"",@progbits
; Kernel info:
; codeLenInByte = 9572
; TotalNumSgprs: 77
; NumVgprs: 83
; ScratchSize: 0
; MemoryBound: 0
; FloatMode: 240
; IeeeMode: 1
; LDSByteSize: 0 bytes/workgroup (compile time only)
; SGPRBlocks: 9
; VGPRBlocks: 20
; NumSGPRsForWavesPerEU: 77
; NumVGPRsForWavesPerEU: 83
; Occupancy: 3
; WaveLimiterHint : 0
; COMPUTE_PGM_RSRC2:SCRATCH_EN: 0
; COMPUTE_PGM_RSRC2:USER_SGPR: 6
; COMPUTE_PGM_RSRC2:TRAP_HANDLER: 0
; COMPUTE_PGM_RSRC2:TGID_X_EN: 1
; COMPUTE_PGM_RSRC2:TGID_Y_EN: 0
; COMPUTE_PGM_RSRC2:TGID_Z_EN: 0
; COMPUTE_PGM_RSRC2:TIDIG_COMP_CNT: 0
	.section	.text._ZN2at6native12_GLOBAL__N_125multi_tensor_apply_kernelINS1_18TensorListMetadataILi1EEENS1_14UnaryOpFunctorIfLi1ELi1ELi0EEEJNS0_3SinIfEEEEEvT_T0_DpT1_,"axG",@progbits,_ZN2at6native12_GLOBAL__N_125multi_tensor_apply_kernelINS1_18TensorListMetadataILi1EEENS1_14UnaryOpFunctorIfLi1ELi1ELi0EEEJNS0_3SinIfEEEEEvT_T0_DpT1_,comdat
	.globl	_ZN2at6native12_GLOBAL__N_125multi_tensor_apply_kernelINS1_18TensorListMetadataILi1EEENS1_14UnaryOpFunctorIfLi1ELi1ELi0EEEJNS0_3SinIfEEEEEvT_T0_DpT1_ ; -- Begin function _ZN2at6native12_GLOBAL__N_125multi_tensor_apply_kernelINS1_18TensorListMetadataILi1EEENS1_14UnaryOpFunctorIfLi1ELi1ELi0EEEJNS0_3SinIfEEEEEvT_T0_DpT1_
	.p2align	8
	.type	_ZN2at6native12_GLOBAL__N_125multi_tensor_apply_kernelINS1_18TensorListMetadataILi1EEENS1_14UnaryOpFunctorIfLi1ELi1ELi0EEEJNS0_3SinIfEEEEEvT_T0_DpT1_,@function
_ZN2at6native12_GLOBAL__N_125multi_tensor_apply_kernelINS1_18TensorListMetadataILi1EEENS1_14UnaryOpFunctorIfLi1ELi1ELi0EEEJNS0_3SinIfEEEEEvT_T0_DpT1_: ; @_ZN2at6native12_GLOBAL__N_125multi_tensor_apply_kernelINS1_18TensorListMetadataILi1EEENS1_14UnaryOpFunctorIfLi1ELi1ELi0EEEJNS0_3SinIfEEEEEvT_T0_DpT1_
; %bb.0:
	v_mov_b32_e32 v1, s6
	global_load_ubyte v1, v1, s[4:5] offset:1760
	s_add_u32 s0, s4, s6
	s_mul_hi_u32 s1, s6, 3
	s_mul_i32 s6, s6, 3
	s_addc_u32 s2, s5, 0
	s_add_u32 s0, s0, s6
	s_addc_u32 s1, s2, s1
	s_load_dword s0, s[0:1], 0x820
	s_mov_b32 s7, 0
	s_waitcnt vmcnt(0)
	v_readfirstlane_b32 s1, v1
	s_lshl_b32 s1, s1, 3
	s_load_dwordx2 s[2:3], s[4:5], s1 offset:0x370
	s_load_dwordx2 s[16:17], s[4:5], s1 offset:0x0
	s_waitcnt lgkmcnt(0)
	s_ashr_i32 s1, s0, 31
	s_lshl_b64 s[18:19], s[0:1], 18
	s_lshl_b64 s[0:1], s[0:1], 16
	s_and_b32 s6, s16, 15
	s_sub_u32 s20, s2, s0
	s_subb_u32 s21, s3, s1
	s_and_b32 s0, s2, 3
	s_mov_b32 s1, s7
	s_or_b64 s[0:1], s[6:7], s[0:1]
	s_cmp_eq_u64 s[0:1], 0
	s_cbranch_scc1 .LBB112_37
; %bb.1:
	v_cmp_lt_i64_e64 s[0:1], s[20:21], 1
	s_and_b64 vcc, exec, s[0:1]
	s_cbranch_vccnz .LBB112_36
; %bb.2:
	v_mov_b32_e32 v3, 0x10000
	s_load_dword s2, s[4:5], 0xd3c
	v_mov_b32_e32 v4, 0
	v_cmp_lt_i64_e32 vcc, s[20:21], v[3:4]
	v_lshlrev_b32_e32 v1, 2, v0
	s_and_b64 s[0:1], vcc, exec
	v_cmp_lt_u64_e32 vcc, s[20:21], v[3:4]
	s_cselect_b32 s23, s21, 0
	s_cselect_b32 s22, s20, 0x10000
	s_waitcnt lgkmcnt(0)
	s_and_b32 s2, s2, 0xffff
	s_and_b64 s[0:1], vcc, exec
	s_cselect_b32 s25, s21, 0
	s_cselect_b32 s24, s20, 0x10000
	s_lshl_b32 s3, s2, 1
	s_lshl_b32 s30, s2, 2
	s_add_u32 s6, s16, s18
	s_addc_u32 s7, s17, s19
	v_mov_b32_e32 v4, s7
	v_add_co_u32_e32 v3, vcc, s6, v1
	s_mul_i32 s0, s2, 3
	v_addc_co_u32_e32 v4, vcc, 0, v4, vcc
	v_add_co_u32_e32 v7, vcc, s0, v0
	v_addc_co_u32_e64 v8, s[0:1], 0, 0, vcc
	v_add_co_u32_e32 v9, vcc, s3, v0
	v_addc_co_u32_e64 v10, s[0:1], 0, 0, vcc
	v_add_co_u32_e32 v11, vcc, s2, v0
	v_lshlrev_b32_e32 v1, 2, v11
	v_addc_co_u32_e64 v12, s[0:1], 0, 0, vcc
	v_mov_b32_e32 v6, s7
	v_add_co_u32_e32 v5, vcc, s6, v1
	v_mov_b32_e32 v2, 0
	s_lshl_b32 s31, s2, 4
	s_mul_i32 s33, s2, 12
	s_lshl_b32 s34, s2, 3
	v_addc_co_u32_e32 v6, vcc, 0, v6, vcc
	s_mov_b64 s[26:27], 0
	s_brev_b32 s35, 18
	s_mov_b32 s36, 0xfe5163ab
	s_mov_b32 s37, 0x3c439041
	;; [unrolled: 1-line block ×10, first 2 shown]
	v_mov_b32_e32 v13, 0xbe2aaa9d
	v_mov_b32_e32 v14, 0x3d2aabf7
	;; [unrolled: 1-line block ×3, first 2 shown]
	s_movk_i32 s46, 0x1f8
	v_not_b32_e32 v16, 63
	v_not_b32_e32 v17, 31
	v_mov_b32_e32 v18, 0x7fc00000
	s_branch .LBB112_4
.LBB112_3:                              ;   in Loop: Header=BB112_4 Depth=1
	s_or_b64 exec, exec, s[0:1]
	s_add_u32 s26, s26, s30
	v_add_co_u32_e32 v3, vcc, s31, v3
	v_mov_b32_e32 v19, s22
	s_addc_u32 s27, s27, 0
	v_addc_co_u32_e32 v4, vcc, 0, v4, vcc
	v_mov_b32_e32 v20, s23
	v_cmp_ge_i64_e32 vcc, s[26:27], v[19:20]
	v_add_co_u32_e64 v5, s[0:1], s31, v5
	v_addc_co_u32_e64 v6, s[0:1], 0, v6, s[0:1]
	s_cbranch_vccnz .LBB112_36
.LBB112_4:                              ; =>This Inner Loop Header: Depth=1
	v_mov_b32_e32 v1, s27
	v_add_co_u32_e32 v19, vcc, s26, v0
	v_addc_co_u32_e32 v20, vcc, 0, v1, vcc
	v_cmp_gt_u64_e64 s[6:7], s[24:25], v[19:20]
	v_mov_b32_e32 v22, 0
	s_and_saveexec_b64 s[0:1], s[6:7]
	s_cbranch_execz .LBB112_6
; %bb.5:                                ;   in Loop: Header=BB112_4 Depth=1
	global_load_dword v22, v[3:4], off
.LBB112_6:                              ;   in Loop: Header=BB112_4 Depth=1
	s_or_b64 exec, exec, s[0:1]
	v_mov_b32_e32 v1, s27
	v_add_co_u32_e32 v19, vcc, s26, v11
	v_addc_co_u32_e32 v20, vcc, v12, v1, vcc
	v_cmp_gt_u64_e64 s[2:3], s[24:25], v[19:20]
	v_mov_b32_e32 v19, 0
	v_mov_b32_e32 v21, 0
	s_and_saveexec_b64 s[0:1], s[2:3]
	s_cbranch_execz .LBB112_8
; %bb.7:                                ;   in Loop: Header=BB112_4 Depth=1
	global_load_dword v21, v[5:6], off
.LBB112_8:                              ;   in Loop: Header=BB112_4 Depth=1
	s_or_b64 exec, exec, s[0:1]
	v_mov_b32_e32 v1, s27
	v_add_co_u32_e32 v23, vcc, s26, v9
	v_addc_co_u32_e32 v24, vcc, v10, v1, vcc
	v_cmp_gt_u64_e64 s[0:1], s[24:25], v[23:24]
	s_and_saveexec_b64 s[8:9], s[0:1]
	s_cbranch_execz .LBB112_10
; %bb.9:                                ;   in Loop: Header=BB112_4 Depth=1
	v_add_co_u32_e32 v19, vcc, s34, v3
	v_addc_co_u32_e32 v20, vcc, 0, v4, vcc
	global_load_dword v19, v[19:20], off
.LBB112_10:                             ;   in Loop: Header=BB112_4 Depth=1
	s_or_b64 exec, exec, s[8:9]
	v_mov_b32_e32 v1, s27
	v_add_co_u32_e32 v23, vcc, s26, v7
	v_addc_co_u32_e32 v24, vcc, v8, v1, vcc
	v_cmp_gt_u64_e32 vcc, s[24:25], v[23:24]
	v_mov_b32_e32 v20, 0
	s_and_saveexec_b64 s[10:11], vcc
	s_cbranch_execz .LBB112_12
; %bb.11:                               ;   in Loop: Header=BB112_4 Depth=1
	v_add_co_u32_e64 v23, s[8:9], s33, v3
	v_addc_co_u32_e64 v24, s[8:9], 0, v4, s[8:9]
	global_load_dword v20, v[23:24], off
.LBB112_12:                             ;   in Loop: Header=BB112_4 Depth=1
	s_or_b64 exec, exec, s[10:11]
	s_waitcnt vmcnt(0)
	v_and_b32_e32 v23, 0x7fffffff, v22
	v_cmp_nlt_f32_e64 s[8:9], |v22|, s35
                                        ; implicit-def: $vgpr24
                                        ; implicit-def: $vgpr25
	s_and_saveexec_b64 s[10:11], s[8:9]
	s_xor_b64 s[28:29], exec, s[10:11]
	s_cbranch_execz .LBB112_14
; %bb.13:                               ;   in Loop: Header=BB112_4 Depth=1
	v_and_b32_e32 v1, 0x7fffff, v23
	v_or_b32_e32 v31, 0x800000, v1
	v_mad_u64_u32 v[24:25], s[8:9], v31, s36, 0
	v_mov_b32_e32 v1, v25
	v_mad_u64_u32 v[25:26], s[8:9], v31, s37, v[1:2]
	v_mov_b32_e32 v1, v26
	v_mad_u64_u32 v[26:27], s[8:9], v31, s38, v[1:2]
	v_mov_b32_e32 v1, v27
	v_mad_u64_u32 v[27:28], s[8:9], v31, s39, v[1:2]
	v_lshrrev_b32_e32 v1, 23, v23
	v_add_u32_e32 v30, 0xffffff88, v1
	v_mov_b32_e32 v1, v28
	v_mad_u64_u32 v[28:29], s[8:9], v31, s40, v[1:2]
	v_cmp_lt_u32_e64 s[8:9], 63, v30
	v_cndmask_b32_e64 v1, 0, v16, s[8:9]
	v_add_u32_e32 v32, v1, v30
	v_mov_b32_e32 v1, v29
	v_mad_u64_u32 v[29:30], s[10:11], v31, s41, v[1:2]
	v_cmp_lt_u32_e64 s[10:11], 31, v32
	v_cndmask_b32_e64 v1, 0, v17, s[10:11]
	;; [unrolled: 5-line block ×3, first 2 shown]
	v_add_u32_e32 v1, v1, v32
	v_cndmask_b32_e64 v32, v29, v27, s[8:9]
	v_cndmask_b32_e64 v30, v30, v28, s[8:9]
	;; [unrolled: 1-line block ×10, first 2 shown]
	v_sub_u32_e32 v32, 32, v1
	v_cndmask_b32_e64 v27, v28, v25, s[10:11]
	v_alignbit_b32 v33, v29, v31, v32
	v_cmp_eq_u32_e64 s[14:15], 0, v1
	v_cndmask_b32_e64 v28, v30, v27, s[12:13]
	v_cndmask_b32_e64 v1, v33, v29, s[14:15]
	v_alignbit_b32 v29, v31, v28, v32
	v_cndmask_b32_e64 v24, v26, v24, s[8:9]
	v_cndmask_b32_e64 v29, v29, v31, s[14:15]
	v_bfe_u32 v33, v1, 29, 1
	v_cndmask_b32_e64 v24, v25, v24, s[10:11]
	v_alignbit_b32 v30, v1, v29, 30
	v_sub_u32_e32 v34, 0, v33
	v_cndmask_b32_e64 v24, v27, v24, s[12:13]
	v_xor_b32_e32 v30, v30, v34
	v_alignbit_b32 v25, v28, v24, v32
	v_cndmask_b32_e64 v25, v25, v28, s[14:15]
	v_ffbh_u32_e32 v27, v30
	v_alignbit_b32 v26, v29, v25, 30
	v_min_u32_e32 v27, 32, v27
	v_alignbit_b32 v24, v25, v24, 30
	v_xor_b32_e32 v26, v26, v34
	v_sub_u32_e32 v28, 31, v27
	v_xor_b32_e32 v24, v24, v34
	v_alignbit_b32 v29, v30, v26, v28
	v_alignbit_b32 v24, v26, v24, v28
	;; [unrolled: 1-line block ×3, first 2 shown]
	v_ffbh_u32_e32 v26, v25
	v_min_u32_e32 v26, 32, v26
	v_lshrrev_b32_e32 v31, 29, v1
	v_not_b32_e32 v28, v26
	v_alignbit_b32 v24, v25, v24, v28
	v_lshlrev_b32_e32 v25, 31, v31
	v_or_b32_e32 v28, 0x33000000, v25
	v_add_lshl_u32 v26, v26, v27, 23
	v_lshrrev_b32_e32 v24, 9, v24
	v_sub_u32_e32 v26, v28, v26
	v_or_b32_e32 v25, 0.5, v25
	v_lshlrev_b32_e32 v27, 23, v27
	v_or_b32_e32 v24, v26, v24
	v_lshrrev_b32_e32 v26, 9, v29
	v_sub_u32_e32 v25, v25, v27
	v_or_b32_e32 v25, v26, v25
	v_mul_f32_e32 v26, 0x3fc90fda, v25
	v_fma_f32 v27, v25, s43, -v26
	v_fmac_f32_e32 v27, 0x33a22168, v25
	v_fmac_f32_e32 v27, 0x3fc90fda, v24
	v_lshrrev_b32_e32 v1, 30, v1
	v_add_f32_e32 v25, v26, v27
	v_add_u32_e32 v24, v33, v1
.LBB112_14:                             ;   in Loop: Header=BB112_4 Depth=1
	s_andn2_saveexec_b64 s[8:9], s[28:29]
; %bb.15:                               ;   in Loop: Header=BB112_4 Depth=1
	v_mul_f32_e64 v1, |v22|, s44
	v_rndne_f32_e32 v1, v1
	v_cvt_i32_f32_e32 v24, v1
	v_fma_f32 v25, v1, s45, |v22|
	v_fmac_f32_e32 v25, 0xb3a22168, v1
	v_fmac_f32_e32 v25, 0xa7c234c4, v1
; %bb.16:                               ;   in Loop: Header=BB112_4 Depth=1
	s_or_b64 exec, exec, s[8:9]
	v_and_b32_e32 v26, 0x7fffffff, v21
	v_cmp_nlt_f32_e64 s[8:9], |v21|, s35
                                        ; implicit-def: $vgpr27
                                        ; implicit-def: $vgpr28
	s_and_saveexec_b64 s[10:11], s[8:9]
	s_xor_b64 s[28:29], exec, s[10:11]
	s_cbranch_execz .LBB112_18
; %bb.17:                               ;   in Loop: Header=BB112_4 Depth=1
	v_and_b32_e32 v1, 0x7fffff, v26
	v_or_b32_e32 v34, 0x800000, v1
	v_mad_u64_u32 v[27:28], s[8:9], v34, s36, 0
	v_mov_b32_e32 v1, v28
	v_mad_u64_u32 v[28:29], s[8:9], v34, s37, v[1:2]
	v_mov_b32_e32 v1, v29
	;; [unrolled: 2-line block ×3, first 2 shown]
	v_mad_u64_u32 v[30:31], s[8:9], v34, s39, v[1:2]
	v_lshrrev_b32_e32 v1, 23, v26
	v_add_u32_e32 v33, 0xffffff88, v1
	v_mov_b32_e32 v1, v31
	v_mad_u64_u32 v[31:32], s[8:9], v34, s40, v[1:2]
	v_cmp_lt_u32_e64 s[8:9], 63, v33
	v_cndmask_b32_e64 v1, 0, v16, s[8:9]
	v_add_u32_e32 v35, v1, v33
	v_mov_b32_e32 v1, v32
	v_mad_u64_u32 v[32:33], s[10:11], v34, s41, v[1:2]
	v_cmp_lt_u32_e64 s[10:11], 31, v35
	v_cndmask_b32_e64 v1, 0, v17, s[10:11]
	;; [unrolled: 5-line block ×3, first 2 shown]
	v_add_u32_e32 v1, v1, v35
	v_cndmask_b32_e64 v35, v32, v30, s[8:9]
	v_cndmask_b32_e64 v33, v33, v31, s[8:9]
	;; [unrolled: 1-line block ×10, first 2 shown]
	v_sub_u32_e32 v35, 32, v1
	v_cndmask_b32_e64 v30, v31, v28, s[10:11]
	v_alignbit_b32 v36, v32, v34, v35
	v_cmp_eq_u32_e64 s[14:15], 0, v1
	v_cndmask_b32_e64 v31, v33, v30, s[12:13]
	v_cndmask_b32_e64 v1, v36, v32, s[14:15]
	v_alignbit_b32 v32, v34, v31, v35
	v_cndmask_b32_e64 v27, v29, v27, s[8:9]
	v_cndmask_b32_e64 v32, v32, v34, s[14:15]
	v_bfe_u32 v36, v1, 29, 1
	v_cndmask_b32_e64 v27, v28, v27, s[10:11]
	v_alignbit_b32 v33, v1, v32, 30
	v_sub_u32_e32 v37, 0, v36
	v_cndmask_b32_e64 v27, v30, v27, s[12:13]
	v_xor_b32_e32 v33, v33, v37
	v_alignbit_b32 v28, v31, v27, v35
	v_cndmask_b32_e64 v28, v28, v31, s[14:15]
	v_ffbh_u32_e32 v30, v33
	v_alignbit_b32 v29, v32, v28, 30
	v_min_u32_e32 v30, 32, v30
	v_alignbit_b32 v27, v28, v27, 30
	v_xor_b32_e32 v29, v29, v37
	v_sub_u32_e32 v31, 31, v30
	v_xor_b32_e32 v27, v27, v37
	v_alignbit_b32 v32, v33, v29, v31
	v_alignbit_b32 v27, v29, v27, v31
	;; [unrolled: 1-line block ×3, first 2 shown]
	v_ffbh_u32_e32 v29, v28
	v_min_u32_e32 v29, 32, v29
	v_lshrrev_b32_e32 v34, 29, v1
	v_not_b32_e32 v31, v29
	v_alignbit_b32 v27, v28, v27, v31
	v_lshlrev_b32_e32 v28, 31, v34
	v_or_b32_e32 v31, 0x33000000, v28
	v_add_lshl_u32 v29, v29, v30, 23
	v_lshrrev_b32_e32 v27, 9, v27
	v_sub_u32_e32 v29, v31, v29
	v_or_b32_e32 v28, 0.5, v28
	v_lshlrev_b32_e32 v30, 23, v30
	v_or_b32_e32 v27, v29, v27
	v_lshrrev_b32_e32 v29, 9, v32
	v_sub_u32_e32 v28, v28, v30
	v_or_b32_e32 v28, v29, v28
	v_mul_f32_e32 v29, 0x3fc90fda, v28
	v_fma_f32 v30, v28, s43, -v29
	v_fmac_f32_e32 v30, 0x33a22168, v28
	v_fmac_f32_e32 v30, 0x3fc90fda, v27
	v_lshrrev_b32_e32 v1, 30, v1
	v_add_f32_e32 v28, v29, v30
	v_add_u32_e32 v27, v36, v1
.LBB112_18:                             ;   in Loop: Header=BB112_4 Depth=1
	s_andn2_saveexec_b64 s[8:9], s[28:29]
; %bb.19:                               ;   in Loop: Header=BB112_4 Depth=1
	v_mul_f32_e64 v1, |v21|, s44
	v_rndne_f32_e32 v1, v1
	v_cvt_i32_f32_e32 v27, v1
	v_fma_f32 v28, v1, s45, |v21|
	v_fmac_f32_e32 v28, 0xb3a22168, v1
	v_fmac_f32_e32 v28, 0xa7c234c4, v1
; %bb.20:                               ;   in Loop: Header=BB112_4 Depth=1
	s_or_b64 exec, exec, s[8:9]
	v_and_b32_e32 v29, 0x7fffffff, v19
	v_cmp_nlt_f32_e64 s[8:9], |v19|, s35
                                        ; implicit-def: $vgpr30
                                        ; implicit-def: $vgpr31
	s_and_saveexec_b64 s[10:11], s[8:9]
	s_xor_b64 s[28:29], exec, s[10:11]
	s_cbranch_execz .LBB112_22
; %bb.21:                               ;   in Loop: Header=BB112_4 Depth=1
	v_and_b32_e32 v1, 0x7fffff, v29
	v_or_b32_e32 v37, 0x800000, v1
	v_mad_u64_u32 v[30:31], s[8:9], v37, s36, 0
	v_mov_b32_e32 v1, v31
	v_mad_u64_u32 v[31:32], s[8:9], v37, s37, v[1:2]
	v_mov_b32_e32 v1, v32
	v_mad_u64_u32 v[32:33], s[8:9], v37, s38, v[1:2]
	v_mov_b32_e32 v1, v33
	v_mad_u64_u32 v[33:34], s[8:9], v37, s39, v[1:2]
	v_lshrrev_b32_e32 v1, 23, v29
	v_add_u32_e32 v36, 0xffffff88, v1
	v_mov_b32_e32 v1, v34
	v_mad_u64_u32 v[34:35], s[10:11], v37, s40, v[1:2]
	v_cmp_lt_u32_e64 s[8:9], 63, v36
	v_cndmask_b32_e64 v1, 0, v16, s[8:9]
	v_add_u32_e32 v38, v1, v36
	v_mov_b32_e32 v1, v35
	v_mad_u64_u32 v[35:36], s[12:13], v37, s41, v[1:2]
	v_cmp_lt_u32_e64 s[10:11], 31, v38
	v_cndmask_b32_e64 v1, 0, v17, s[10:11]
	;; [unrolled: 5-line block ×3, first 2 shown]
	v_add_u32_e32 v1, v1, v38
	v_cndmask_b32_e64 v38, v35, v33, s[8:9]
	v_cndmask_b32_e64 v36, v36, v34, s[8:9]
	;; [unrolled: 1-line block ×10, first 2 shown]
	v_sub_u32_e32 v38, 32, v1
	v_cndmask_b32_e64 v33, v34, v31, s[10:11]
	v_alignbit_b32 v39, v35, v37, v38
	v_cmp_eq_u32_e64 s[14:15], 0, v1
	v_cndmask_b32_e64 v34, v36, v33, s[12:13]
	v_cndmask_b32_e64 v1, v39, v35, s[14:15]
	v_alignbit_b32 v35, v37, v34, v38
	v_cndmask_b32_e64 v30, v32, v30, s[8:9]
	v_cndmask_b32_e64 v35, v35, v37, s[14:15]
	v_bfe_u32 v39, v1, 29, 1
	v_cndmask_b32_e64 v30, v31, v30, s[10:11]
	v_alignbit_b32 v36, v1, v35, 30
	v_sub_u32_e32 v40, 0, v39
	v_cndmask_b32_e64 v30, v33, v30, s[12:13]
	v_xor_b32_e32 v36, v36, v40
	v_alignbit_b32 v31, v34, v30, v38
	v_cndmask_b32_e64 v31, v31, v34, s[14:15]
	v_ffbh_u32_e32 v33, v36
	v_alignbit_b32 v32, v35, v31, 30
	v_min_u32_e32 v33, 32, v33
	v_alignbit_b32 v30, v31, v30, 30
	v_xor_b32_e32 v32, v32, v40
	v_sub_u32_e32 v34, 31, v33
	v_xor_b32_e32 v30, v30, v40
	v_alignbit_b32 v35, v36, v32, v34
	v_alignbit_b32 v30, v32, v30, v34
	v_alignbit_b32 v31, v35, v30, 9
	v_ffbh_u32_e32 v32, v31
	v_min_u32_e32 v32, 32, v32
	v_lshrrev_b32_e32 v37, 29, v1
	v_not_b32_e32 v34, v32
	v_alignbit_b32 v30, v31, v30, v34
	v_lshlrev_b32_e32 v31, 31, v37
	v_or_b32_e32 v34, 0x33000000, v31
	v_add_lshl_u32 v32, v32, v33, 23
	v_lshrrev_b32_e32 v30, 9, v30
	v_sub_u32_e32 v32, v34, v32
	v_or_b32_e32 v31, 0.5, v31
	v_lshlrev_b32_e32 v33, 23, v33
	v_or_b32_e32 v30, v32, v30
	v_lshrrev_b32_e32 v32, 9, v35
	v_sub_u32_e32 v31, v31, v33
	v_or_b32_e32 v31, v32, v31
	v_mul_f32_e32 v32, 0x3fc90fda, v31
	v_fma_f32 v33, v31, s43, -v32
	v_fmac_f32_e32 v33, 0x33a22168, v31
	v_fmac_f32_e32 v33, 0x3fc90fda, v30
	v_lshrrev_b32_e32 v1, 30, v1
	v_add_f32_e32 v31, v32, v33
	v_add_u32_e32 v30, v39, v1
.LBB112_22:                             ;   in Loop: Header=BB112_4 Depth=1
	s_andn2_saveexec_b64 s[8:9], s[28:29]
; %bb.23:                               ;   in Loop: Header=BB112_4 Depth=1
	v_mul_f32_e64 v1, |v19|, s44
	v_rndne_f32_e32 v1, v1
	v_cvt_i32_f32_e32 v30, v1
	v_fma_f32 v31, v1, s45, |v19|
	v_fmac_f32_e32 v31, 0xb3a22168, v1
	v_fmac_f32_e32 v31, 0xa7c234c4, v1
; %bb.24:                               ;   in Loop: Header=BB112_4 Depth=1
	s_or_b64 exec, exec, s[8:9]
	v_and_b32_e32 v32, 0x7fffffff, v20
	v_cmp_nlt_f32_e64 s[8:9], |v20|, s35
                                        ; implicit-def: $vgpr1
                                        ; implicit-def: $vgpr33
	s_and_saveexec_b64 s[10:11], s[8:9]
	s_xor_b64 s[28:29], exec, s[10:11]
	s_cbranch_execnz .LBB112_30
; %bb.25:                               ;   in Loop: Header=BB112_4 Depth=1
	s_andn2_saveexec_b64 s[8:9], s[28:29]
	s_cbranch_execnz .LBB112_31
.LBB112_26:                             ;   in Loop: Header=BB112_4 Depth=1
	s_or_b64 exec, exec, s[8:9]
	s_and_saveexec_b64 s[8:9], s[6:7]
	s_xor_b64 s[8:9], exec, s[8:9]
	s_cbranch_execnz .LBB112_32
.LBB112_27:                             ;   in Loop: Header=BB112_4 Depth=1
	s_or_b64 exec, exec, s[8:9]
	s_and_saveexec_b64 s[6:7], s[2:3]
	s_cbranch_execnz .LBB112_33
.LBB112_28:                             ;   in Loop: Header=BB112_4 Depth=1
	s_or_b64 exec, exec, s[6:7]
	s_and_saveexec_b64 s[2:3], s[0:1]
	s_cbranch_execnz .LBB112_34
.LBB112_29:                             ;   in Loop: Header=BB112_4 Depth=1
	s_or_b64 exec, exec, s[2:3]
	s_and_saveexec_b64 s[0:1], vcc
	s_cbranch_execz .LBB112_3
	s_branch .LBB112_35
.LBB112_30:                             ;   in Loop: Header=BB112_4 Depth=1
	v_and_b32_e32 v1, 0x7fffff, v32
	v_or_b32_e32 v40, 0x800000, v1
	v_mad_u64_u32 v[33:34], s[8:9], v40, s36, 0
	v_mov_b32_e32 v1, v34
	v_mad_u64_u32 v[34:35], s[8:9], v40, s37, v[1:2]
	v_mov_b32_e32 v1, v35
	;; [unrolled: 2-line block ×3, first 2 shown]
	v_mad_u64_u32 v[36:37], s[8:9], v40, s39, v[1:2]
	v_lshrrev_b32_e32 v1, 23, v32
	v_add_u32_e32 v39, 0xffffff88, v1
	v_mov_b32_e32 v1, v37
	v_mad_u64_u32 v[37:38], s[8:9], v40, s40, v[1:2]
	v_cmp_lt_u32_e64 s[8:9], 63, v39
	v_cndmask_b32_e64 v1, 0, v16, s[8:9]
	v_add_u32_e32 v41, v1, v39
	v_mov_b32_e32 v1, v38
	v_mad_u64_u32 v[38:39], s[10:11], v40, s41, v[1:2]
	v_cmp_lt_u32_e64 s[10:11], 31, v41
	v_cndmask_b32_e64 v1, 0, v17, s[10:11]
	;; [unrolled: 5-line block ×3, first 2 shown]
	v_add_u32_e32 v1, v1, v41
	v_cndmask_b32_e64 v41, v38, v36, s[8:9]
	v_cndmask_b32_e64 v39, v39, v37, s[8:9]
	v_cndmask_b32_e64 v38, v40, v38, s[8:9]
	v_cndmask_b32_e64 v37, v37, v35, s[8:9]
	v_cndmask_b32_e64 v40, v39, v41, s[10:11]
	v_cndmask_b32_e64 v38, v38, v39, s[10:11]
	v_cndmask_b32_e64 v39, v41, v37, s[10:11]
	v_cndmask_b32_e64 v34, v36, v34, s[8:9]
	v_cndmask_b32_e64 v38, v38, v40, s[12:13]
	v_cndmask_b32_e64 v40, v40, v39, s[12:13]
	v_sub_u32_e32 v41, 32, v1
	v_cndmask_b32_e64 v36, v37, v34, s[10:11]
	v_alignbit_b32 v42, v38, v40, v41
	v_cmp_eq_u32_e64 s[14:15], 0, v1
	v_cndmask_b32_e64 v37, v39, v36, s[12:13]
	v_cndmask_b32_e64 v1, v42, v38, s[14:15]
	v_alignbit_b32 v38, v40, v37, v41
	v_cndmask_b32_e64 v33, v35, v33, s[8:9]
	v_cndmask_b32_e64 v38, v38, v40, s[14:15]
	v_bfe_u32 v42, v1, 29, 1
	v_cndmask_b32_e64 v33, v34, v33, s[10:11]
	v_alignbit_b32 v39, v1, v38, 30
	v_sub_u32_e32 v43, 0, v42
	v_cndmask_b32_e64 v33, v36, v33, s[12:13]
	v_xor_b32_e32 v39, v39, v43
	v_alignbit_b32 v34, v37, v33, v41
	v_cndmask_b32_e64 v34, v34, v37, s[14:15]
	v_ffbh_u32_e32 v36, v39
	v_alignbit_b32 v35, v38, v34, 30
	v_min_u32_e32 v36, 32, v36
	v_alignbit_b32 v33, v34, v33, 30
	v_xor_b32_e32 v35, v35, v43
	v_sub_u32_e32 v37, 31, v36
	v_xor_b32_e32 v33, v33, v43
	v_alignbit_b32 v38, v39, v35, v37
	v_alignbit_b32 v33, v35, v33, v37
	;; [unrolled: 1-line block ×3, first 2 shown]
	v_ffbh_u32_e32 v35, v34
	v_min_u32_e32 v35, 32, v35
	v_lshrrev_b32_e32 v40, 29, v1
	v_not_b32_e32 v37, v35
	v_alignbit_b32 v33, v34, v33, v37
	v_lshlrev_b32_e32 v34, 31, v40
	v_or_b32_e32 v37, 0x33000000, v34
	v_add_lshl_u32 v35, v35, v36, 23
	v_lshrrev_b32_e32 v33, 9, v33
	v_sub_u32_e32 v35, v37, v35
	v_or_b32_e32 v34, 0.5, v34
	v_lshlrev_b32_e32 v36, 23, v36
	v_or_b32_e32 v33, v35, v33
	v_lshrrev_b32_e32 v35, 9, v38
	v_sub_u32_e32 v34, v34, v36
	v_or_b32_e32 v34, v35, v34
	v_mul_f32_e32 v35, 0x3fc90fda, v34
	v_fma_f32 v36, v34, s43, -v35
	v_fmac_f32_e32 v36, 0x33a22168, v34
	v_fmac_f32_e32 v36, 0x3fc90fda, v33
	v_lshrrev_b32_e32 v1, 30, v1
	v_add_f32_e32 v33, v35, v36
	v_add_u32_e32 v1, v42, v1
	s_andn2_saveexec_b64 s[8:9], s[28:29]
	s_cbranch_execz .LBB112_26
.LBB112_31:                             ;   in Loop: Header=BB112_4 Depth=1
	v_mul_f32_e64 v1, |v20|, s44
	v_rndne_f32_e32 v34, v1
	v_cvt_i32_f32_e32 v1, v34
	v_fma_f32 v33, v34, s45, |v20|
	v_fmac_f32_e32 v33, 0xb3a22168, v34
	v_fmac_f32_e32 v33, 0xa7c234c4, v34
	s_or_b64 exec, exec, s[8:9]
	s_and_saveexec_b64 s[8:9], s[6:7]
	s_xor_b64 s[8:9], exec, s[8:9]
	s_cbranch_execz .LBB112_27
.LBB112_32:                             ;   in Loop: Header=BB112_4 Depth=1
	v_mul_f32_e32 v34, v25, v25
	v_mov_b32_e32 v35, 0x3c0881c4
	v_fmac_f32_e32 v35, 0xb94c1982, v34
	v_fma_f32 v35, v34, v35, v13
	v_mul_f32_e32 v35, v34, v35
	v_fmac_f32_e32 v25, v25, v35
	v_mov_b32_e32 v35, 0xbab64f3b
	v_fmac_f32_e32 v35, 0x37d75334, v34
	v_fma_f32 v35, v34, v35, v14
	v_fma_f32 v35, v34, v35, v15
	v_fma_f32 v34, v34, v35, 1.0
	v_and_b32_e32 v35, 1, v24
	v_lshlrev_b32_e32 v24, 30, v24
	v_cmp_eq_u32_e64 s[6:7], 0, v35
	v_and_b32_e32 v24, 0x80000000, v24
	v_xor_b32_e32 v23, v23, v22
	v_cndmask_b32_e64 v25, v34, v25, s[6:7]
	v_xor_b32_e32 v23, v23, v24
	v_xor_b32_e32 v23, v23, v25
	v_cmp_class_f32_e64 s[6:7], v22, s46
	v_cndmask_b32_e64 v22, v18, v23, s[6:7]
	global_store_dword v[3:4], v22, off
	s_or_b64 exec, exec, s[8:9]
	s_and_saveexec_b64 s[6:7], s[2:3]
	s_cbranch_execz .LBB112_28
.LBB112_33:                             ;   in Loop: Header=BB112_4 Depth=1
	v_mul_f32_e32 v22, v28, v28
	v_mov_b32_e32 v23, 0x3c0881c4
	v_fmac_f32_e32 v23, 0xb94c1982, v22
	v_fma_f32 v23, v22, v23, v13
	v_mul_f32_e32 v23, v22, v23
	v_fmac_f32_e32 v28, v28, v23
	v_mov_b32_e32 v23, 0xbab64f3b
	v_fmac_f32_e32 v23, 0x37d75334, v22
	v_fma_f32 v23, v22, v23, v14
	v_fma_f32 v23, v22, v23, v15
	v_fma_f32 v22, v22, v23, 1.0
	v_and_b32_e32 v23, 1, v27
	v_cmp_eq_u32_e64 s[2:3], 0, v23
	v_lshlrev_b32_e32 v23, 30, v27
	v_and_b32_e32 v23, 0x80000000, v23
	v_xor_b32_e32 v24, v26, v21
	v_cndmask_b32_e64 v22, v22, v28, s[2:3]
	v_xor_b32_e32 v23, v24, v23
	v_xor_b32_e32 v22, v23, v22
	v_cmp_class_f32_e64 s[2:3], v21, s46
	v_cndmask_b32_e64 v21, v18, v22, s[2:3]
	global_store_dword v[5:6], v21, off
	s_or_b64 exec, exec, s[6:7]
	s_and_saveexec_b64 s[2:3], s[0:1]
	s_cbranch_execz .LBB112_29
.LBB112_34:                             ;   in Loop: Header=BB112_4 Depth=1
	v_mul_f32_e32 v21, v31, v31
	v_mov_b32_e32 v22, 0x3c0881c4
	v_fmac_f32_e32 v22, 0xb94c1982, v21
	v_fma_f32 v22, v21, v22, v13
	v_mul_f32_e32 v22, v21, v22
	v_fmac_f32_e32 v31, v31, v22
	v_mov_b32_e32 v22, 0xbab64f3b
	v_fmac_f32_e32 v22, 0x37d75334, v21
	v_fma_f32 v22, v21, v22, v14
	v_fma_f32 v22, v21, v22, v15
	v_fma_f32 v21, v21, v22, 1.0
	v_and_b32_e32 v22, 1, v30
	v_cmp_eq_u32_e64 s[0:1], 0, v22
	v_lshlrev_b32_e32 v22, 30, v30
	v_and_b32_e32 v22, 0x80000000, v22
	v_xor_b32_e32 v23, v29, v19
	v_cndmask_b32_e64 v21, v21, v31, s[0:1]
	v_xor_b32_e32 v22, v23, v22
	v_xor_b32_e32 v21, v22, v21
	v_cmp_class_f32_e64 s[0:1], v19, s46
	v_cndmask_b32_e64 v19, v18, v21, s[0:1]
	v_add_co_u32_e64 v21, s[0:1], s34, v3
	v_addc_co_u32_e64 v22, s[0:1], 0, v4, s[0:1]
	global_store_dword v[21:22], v19, off
	s_or_b64 exec, exec, s[2:3]
	s_and_saveexec_b64 s[0:1], vcc
	s_cbranch_execz .LBB112_3
.LBB112_35:                             ;   in Loop: Header=BB112_4 Depth=1
	v_mul_f32_e32 v19, v33, v33
	v_mov_b32_e32 v21, 0x3c0881c4
	v_fmac_f32_e32 v21, 0xb94c1982, v19
	v_fma_f32 v21, v19, v21, v13
	v_mul_f32_e32 v21, v19, v21
	v_fmac_f32_e32 v33, v33, v21
	v_mov_b32_e32 v21, 0xbab64f3b
	v_fmac_f32_e32 v21, 0x37d75334, v19
	v_fma_f32 v21, v19, v21, v14
	v_fma_f32 v21, v19, v21, v15
	v_fma_f32 v19, v19, v21, 1.0
	v_and_b32_e32 v21, 1, v1
	v_lshlrev_b32_e32 v1, 30, v1
	v_cmp_eq_u32_e32 vcc, 0, v21
	v_and_b32_e32 v1, 0x80000000, v1
	v_xor_b32_e32 v21, v32, v20
	v_cndmask_b32_e32 v19, v19, v33, vcc
	v_xor_b32_e32 v1, v21, v1
	v_xor_b32_e32 v1, v1, v19
	v_cmp_class_f32_e64 vcc, v20, s46
	v_cndmask_b32_e32 v1, v18, v1, vcc
	v_add_co_u32_e32 v19, vcc, s33, v3
	v_addc_co_u32_e32 v20, vcc, 0, v4, vcc
	global_store_dword v[19:20], v1, off
	s_branch .LBB112_3
.LBB112_36:
	s_cbranch_execz .LBB112_38
	s_branch .LBB112_57
.LBB112_37:
.LBB112_38:
	v_mov_b32_e32 v1, 0x10000
	v_mov_b32_e32 v2, 0
	v_cmp_lt_i64_e32 vcc, s[20:21], v[1:2]
	v_mov_b32_e32 v7, 0
	s_and_b64 s[0:1], vcc, exec
	s_cselect_b32 s7, s21, 0
	s_cselect_b32 s6, s20, 0x10000
	v_lshlrev_b32_e32 v6, 2, v0
	v_cmp_gt_i64_e32 vcc, s[6:7], v[6:7]
	s_and_saveexec_b64 s[0:1], vcc
	s_cbranch_execz .LBB112_57
; %bb.39:
	s_load_dword s0, s[4:5], 0xd3c
	v_lshlrev_b32_e32 v2, 4, v0
	v_mov_b32_e32 v1, v7
	s_mov_b64 s[8:9], 0
	s_brev_b32 s14, 18
	s_waitcnt lgkmcnt(0)
	s_and_b32 s12, s0, 0xffff
	s_add_u32 s0, s16, s18
	s_addc_u32 s1, s17, s19
	v_mov_b32_e32 v3, s1
	v_add_co_u32_e32 v2, vcc, s0, v2
	v_addc_co_u32_e32 v3, vcc, 0, v3, vcc
	v_add_co_u32_e32 v8, vcc, 8, v2
	v_addc_co_u32_e32 v9, vcc, 0, v3, vcc
	s_lshl_b32 s13, s12, 4
	s_mov_b32 s15, 0xfe5163ab
	s_mov_b32 s16, 0x3c439041
	;; [unrolled: 1-line block ×10, first 2 shown]
	v_mov_b32_e32 v10, 0xbe2aaa9d
	v_mov_b32_e32 v11, 0x3d2aabf7
	;; [unrolled: 1-line block ×3, first 2 shown]
	s_movk_i32 s25, 0x1f8
	v_not_b32_e32 v13, 63
	v_not_b32_e32 v14, 31
	v_mov_b32_e32 v15, 0x7fc00000
	s_branch .LBB112_41
.LBB112_40:                             ;   in Loop: Header=BB112_41 Depth=1
	s_or_b64 exec, exec, s[0:1]
	v_mul_f32_e32 v27, v25, v25
	v_mov_b32_e32 v28, 0x3c0881c4
	v_fmac_f32_e32 v28, 0xb94c1982, v27
	v_fma_f32 v28, v27, v28, v10
	v_mul_f32_e32 v28, v27, v28
	v_fmac_f32_e32 v25, v25, v28
	v_mov_b32_e32 v28, 0xbab64f3b
	v_fmac_f32_e32 v28, 0x37d75334, v27
	v_fma_f32 v28, v27, v28, v11
	v_fma_f32 v28, v27, v28, v12
	v_fma_f32 v27, v27, v28, 1.0
	v_and_b32_e32 v28, 1, v24
	v_lshlrev_b32_e32 v24, 30, v24
	v_cmp_eq_u32_e32 vcc, 0, v28
	v_and_b32_e32 v24, 0x80000000, v24
	v_xor_b32_e32 v22, v22, v4
	v_cndmask_b32_e32 v25, v27, v25, vcc
	v_xor_b32_e32 v22, v22, v24
	v_xor_b32_e32 v22, v22, v25
	v_cmp_class_f32_e64 vcc, v4, s25
	v_cndmask_b32_e32 v4, v15, v22, vcc
	v_mul_f32_e32 v22, v21, v21
	v_mov_b32_e32 v24, 0x3c0881c4
	v_fmac_f32_e32 v24, 0xb94c1982, v22
	v_fma_f32 v24, v22, v24, v10
	v_mul_f32_e32 v24, v22, v24
	v_fmac_f32_e32 v21, v21, v24
	v_mov_b32_e32 v24, 0xbab64f3b
	v_fmac_f32_e32 v24, 0x37d75334, v22
	v_fma_f32 v24, v22, v24, v11
	v_fma_f32 v24, v22, v24, v12
	v_fma_f32 v22, v22, v24, 1.0
	v_and_b32_e32 v24, 1, v20
	v_lshlrev_b32_e32 v20, 30, v20
	v_cmp_eq_u32_e32 vcc, 0, v24
	v_and_b32_e32 v20, 0x80000000, v20
	v_xor_b32_e32 v19, v19, v3
	v_cndmask_b32_e32 v21, v22, v21, vcc
	v_xor_b32_e32 v19, v19, v20
	v_xor_b32_e32 v19, v19, v21
	v_cmp_class_f32_e64 vcc, v3, s25
	v_cndmask_b32_e32 v3, v15, v19, vcc
	v_mul_f32_e32 v19, v18, v18
	v_mov_b32_e32 v20, 0x3c0881c4
	v_fmac_f32_e32 v20, 0xb94c1982, v19
	v_fma_f32 v20, v19, v20, v10
	v_mul_f32_e32 v20, v19, v20
	v_fmac_f32_e32 v18, v18, v20
	v_mov_b32_e32 v20, 0xbab64f3b
	v_fmac_f32_e32 v20, 0x37d75334, v19
	v_fma_f32 v20, v19, v20, v11
	v_fma_f32 v20, v19, v20, v12
	v_fma_f32 v19, v19, v20, 1.0
	v_and_b32_e32 v20, 1, v17
	v_lshlrev_b32_e32 v17, 30, v17
	v_cmp_eq_u32_e32 vcc, 0, v20
	v_and_b32_e32 v17, 0x80000000, v17
	v_xor_b32_e32 v16, v16, v2
	v_cndmask_b32_e32 v18, v19, v18, vcc
	v_xor_b32_e32 v16, v16, v17
	v_xor_b32_e32 v16, v16, v18
	v_cmp_class_f32_e64 vcc, v2, s25
	v_cndmask_b32_e32 v2, v15, v16, vcc
	v_mul_f32_e32 v16, v26, v26
	v_mov_b32_e32 v17, 0x3c0881c4
	v_fmac_f32_e32 v17, 0xb94c1982, v16
	v_fma_f32 v17, v16, v17, v10
	v_mul_f32_e32 v17, v16, v17
	v_fmac_f32_e32 v26, v26, v17
	v_mov_b32_e32 v17, 0xbab64f3b
	v_fmac_f32_e32 v17, 0x37d75334, v16
	v_fma_f32 v17, v16, v17, v11
	v_fma_f32 v17, v16, v17, v12
	v_fma_f32 v16, v16, v17, 1.0
	v_and_b32_e32 v17, 1, v6
	v_cmp_eq_u32_e32 vcc, 0, v17
	v_lshlrev_b32_e32 v6, 30, v6
	v_cndmask_b32_e32 v16, v16, v26, vcc
	v_and_b32_e32 v6, 0x80000000, v6
	v_xor_b32_e32 v17, v23, v5
	v_add_co_u32_e32 v0, vcc, s12, v0
	v_xor_b32_e32 v6, v17, v6
	v_addc_co_u32_e32 v1, vcc, 0, v1, vcc
	v_xor_b32_e32 v6, v6, v16
	v_lshlrev_b64 v[16:17], 2, v[0:1]
	v_cmp_class_f32_e64 vcc, v5, s25
	v_cndmask_b32_e32 v5, v15, v6, vcc
	v_cmp_le_i64_e32 vcc, s[6:7], v[16:17]
	global_store_dwordx4 v[8:9], v[2:5], off offset:-8
	s_or_b64 s[8:9], vcc, s[8:9]
	v_add_co_u32_e32 v8, vcc, s13, v8
	v_addc_co_u32_e32 v9, vcc, 0, v9, vcc
	s_andn2_b64 exec, exec, s[8:9]
	s_cbranch_execz .LBB112_57
.LBB112_41:                             ; =>This Inner Loop Header: Depth=1
	global_load_dwordx4 v[2:5], v[8:9], off offset:-8
                                        ; implicit-def: $vgpr17
                                        ; implicit-def: $vgpr18
	s_waitcnt vmcnt(0)
	v_and_b32_e32 v16, 0x7fffffff, v2
	v_cmp_nlt_f32_e64 s[0:1], |v2|, s14
	s_and_saveexec_b64 s[2:3], s[0:1]
	s_xor_b64 s[10:11], exec, s[2:3]
	s_cbranch_execz .LBB112_43
; %bb.42:                               ;   in Loop: Header=BB112_41 Depth=1
	v_and_b32_e32 v6, 0x7fffff, v16
	v_or_b32_e32 v24, 0x800000, v6
	v_mad_u64_u32 v[17:18], s[0:1], v24, s15, 0
	v_mov_b32_e32 v6, v18
	v_mad_u64_u32 v[18:19], s[0:1], v24, s16, v[6:7]
	v_mov_b32_e32 v6, v19
	;; [unrolled: 2-line block ×3, first 2 shown]
	v_mad_u64_u32 v[20:21], s[0:1], v24, s18, v[6:7]
	v_lshrrev_b32_e32 v6, 23, v16
	v_add_u32_e32 v23, 0xffffff88, v6
	v_mov_b32_e32 v6, v21
	v_mad_u64_u32 v[21:22], s[0:1], v24, s19, v[6:7]
	v_cmp_lt_u32_e32 vcc, 63, v23
	v_cndmask_b32_e32 v6, 0, v13, vcc
	v_add_u32_e32 v25, v6, v23
	v_mov_b32_e32 v6, v22
	v_mad_u64_u32 v[22:23], s[0:1], v24, s20, v[6:7]
	v_cmp_lt_u32_e64 s[0:1], 31, v25
	v_cndmask_b32_e64 v6, 0, v14, s[0:1]
	v_add_u32_e32 v25, v6, v25
	v_mov_b32_e32 v6, v23
	v_mad_u64_u32 v[23:24], s[2:3], v24, s21, v[6:7]
	v_cmp_lt_u32_e64 s[2:3], 31, v25
	v_cndmask_b32_e64 v6, 0, v14, s[2:3]
	v_add_u32_e32 v6, v6, v25
	v_cndmask_b32_e32 v25, v22, v20, vcc
	v_cndmask_b32_e32 v22, v24, v22, vcc
	v_cndmask_b32_e32 v23, v23, v21, vcc
	v_cndmask_b32_e32 v21, v21, v19, vcc
	v_cndmask_b32_e64 v24, v23, v25, s[0:1]
	v_cndmask_b32_e64 v22, v22, v23, s[0:1]
	;; [unrolled: 1-line block ×3, first 2 shown]
	v_cndmask_b32_e32 v18, v20, v18, vcc
	v_cndmask_b32_e64 v22, v22, v24, s[2:3]
	v_cndmask_b32_e64 v24, v24, v23, s[2:3]
	v_sub_u32_e32 v25, 32, v6
	v_cndmask_b32_e64 v20, v21, v18, s[0:1]
	v_alignbit_b32 v26, v22, v24, v25
	v_cmp_eq_u32_e64 s[4:5], 0, v6
	v_cndmask_b32_e64 v21, v23, v20, s[2:3]
	v_cndmask_b32_e64 v6, v26, v22, s[4:5]
	v_alignbit_b32 v22, v24, v21, v25
	v_cndmask_b32_e32 v17, v19, v17, vcc
	v_cndmask_b32_e64 v22, v22, v24, s[4:5]
	v_bfe_u32 v26, v6, 29, 1
	v_cndmask_b32_e64 v17, v18, v17, s[0:1]
	v_alignbit_b32 v23, v6, v22, 30
	v_sub_u32_e32 v27, 0, v26
	v_cndmask_b32_e64 v17, v20, v17, s[2:3]
	v_xor_b32_e32 v23, v23, v27
	v_alignbit_b32 v18, v21, v17, v25
	v_cndmask_b32_e64 v18, v18, v21, s[4:5]
	v_ffbh_u32_e32 v20, v23
	v_alignbit_b32 v19, v22, v18, 30
	v_min_u32_e32 v20, 32, v20
	v_alignbit_b32 v17, v18, v17, 30
	v_xor_b32_e32 v19, v19, v27
	v_sub_u32_e32 v21, 31, v20
	v_xor_b32_e32 v17, v17, v27
	v_alignbit_b32 v22, v23, v19, v21
	v_alignbit_b32 v17, v19, v17, v21
	;; [unrolled: 1-line block ×3, first 2 shown]
	v_ffbh_u32_e32 v19, v18
	v_min_u32_e32 v19, 32, v19
	v_lshrrev_b32_e32 v24, 29, v6
	v_not_b32_e32 v21, v19
	v_alignbit_b32 v17, v18, v17, v21
	v_lshlrev_b32_e32 v18, 31, v24
	v_or_b32_e32 v21, 0x33000000, v18
	v_add_lshl_u32 v19, v19, v20, 23
	v_lshrrev_b32_e32 v17, 9, v17
	v_sub_u32_e32 v19, v21, v19
	v_or_b32_e32 v18, 0.5, v18
	v_lshlrev_b32_e32 v20, 23, v20
	v_or_b32_e32 v17, v19, v17
	v_lshrrev_b32_e32 v19, 9, v22
	v_sub_u32_e32 v18, v18, v20
	v_or_b32_e32 v18, v19, v18
	v_mul_f32_e32 v19, 0x3fc90fda, v18
	v_fma_f32 v20, v18, s22, -v19
	v_fmac_f32_e32 v20, 0x33a22168, v18
	v_fmac_f32_e32 v20, 0x3fc90fda, v17
	v_lshrrev_b32_e32 v6, 30, v6
	v_add_f32_e32 v18, v19, v20
	v_add_u32_e32 v17, v26, v6
.LBB112_43:                             ;   in Loop: Header=BB112_41 Depth=1
	s_andn2_saveexec_b64 s[0:1], s[10:11]
; %bb.44:                               ;   in Loop: Header=BB112_41 Depth=1
	v_mul_f32_e64 v6, |v2|, s23
	v_rndne_f32_e32 v6, v6
	v_cvt_i32_f32_e32 v17, v6
	v_fma_f32 v18, v6, s24, |v2|
	v_fmac_f32_e32 v18, 0xb3a22168, v6
	v_fmac_f32_e32 v18, 0xa7c234c4, v6
; %bb.45:                               ;   in Loop: Header=BB112_41 Depth=1
	s_or_b64 exec, exec, s[0:1]
	v_and_b32_e32 v19, 0x7fffffff, v3
	v_cmp_nlt_f32_e64 s[0:1], |v3|, s14
                                        ; implicit-def: $vgpr20
                                        ; implicit-def: $vgpr21
	s_and_saveexec_b64 s[2:3], s[0:1]
	s_xor_b64 s[10:11], exec, s[2:3]
	s_cbranch_execz .LBB112_47
; %bb.46:                               ;   in Loop: Header=BB112_41 Depth=1
	v_and_b32_e32 v6, 0x7fffff, v19
	v_or_b32_e32 v27, 0x800000, v6
	v_mad_u64_u32 v[20:21], s[0:1], v27, s15, 0
	v_mov_b32_e32 v6, v21
	v_mad_u64_u32 v[21:22], s[0:1], v27, s16, v[6:7]
	v_mov_b32_e32 v6, v22
	;; [unrolled: 2-line block ×3, first 2 shown]
	v_mad_u64_u32 v[23:24], s[0:1], v27, s18, v[6:7]
	v_lshrrev_b32_e32 v6, 23, v19
	v_add_u32_e32 v26, 0xffffff88, v6
	v_mov_b32_e32 v6, v24
	v_mad_u64_u32 v[24:25], s[0:1], v27, s19, v[6:7]
	v_cmp_lt_u32_e32 vcc, 63, v26
	v_cndmask_b32_e32 v6, 0, v13, vcc
	v_add_u32_e32 v28, v6, v26
	v_mov_b32_e32 v6, v25
	v_mad_u64_u32 v[25:26], s[0:1], v27, s20, v[6:7]
	v_cmp_lt_u32_e64 s[0:1], 31, v28
	v_cndmask_b32_e64 v6, 0, v14, s[0:1]
	v_add_u32_e32 v28, v6, v28
	v_mov_b32_e32 v6, v26
	v_mad_u64_u32 v[26:27], s[2:3], v27, s21, v[6:7]
	v_cmp_lt_u32_e64 s[2:3], 31, v28
	v_cndmask_b32_e64 v6, 0, v14, s[2:3]
	v_add_u32_e32 v6, v6, v28
	v_cndmask_b32_e32 v28, v25, v23, vcc
	v_cndmask_b32_e32 v26, v26, v24, vcc
	;; [unrolled: 1-line block ×4, first 2 shown]
	v_cndmask_b32_e64 v27, v26, v28, s[0:1]
	v_cndmask_b32_e64 v25, v25, v26, s[0:1]
	;; [unrolled: 1-line block ×3, first 2 shown]
	v_cndmask_b32_e32 v21, v23, v21, vcc
	v_cndmask_b32_e64 v25, v25, v27, s[2:3]
	v_cndmask_b32_e64 v27, v27, v26, s[2:3]
	v_sub_u32_e32 v28, 32, v6
	v_cndmask_b32_e64 v23, v24, v21, s[0:1]
	v_alignbit_b32 v29, v25, v27, v28
	v_cmp_eq_u32_e64 s[4:5], 0, v6
	v_cndmask_b32_e64 v24, v26, v23, s[2:3]
	v_cndmask_b32_e64 v6, v29, v25, s[4:5]
	v_alignbit_b32 v25, v27, v24, v28
	v_cndmask_b32_e32 v20, v22, v20, vcc
	v_cndmask_b32_e64 v25, v25, v27, s[4:5]
	v_bfe_u32 v29, v6, 29, 1
	v_cndmask_b32_e64 v20, v21, v20, s[0:1]
	v_alignbit_b32 v26, v6, v25, 30
	v_sub_u32_e32 v30, 0, v29
	v_cndmask_b32_e64 v20, v23, v20, s[2:3]
	v_xor_b32_e32 v26, v26, v30
	v_alignbit_b32 v21, v24, v20, v28
	v_cndmask_b32_e64 v21, v21, v24, s[4:5]
	v_ffbh_u32_e32 v23, v26
	v_alignbit_b32 v22, v25, v21, 30
	v_min_u32_e32 v23, 32, v23
	v_alignbit_b32 v20, v21, v20, 30
	v_xor_b32_e32 v22, v22, v30
	v_sub_u32_e32 v24, 31, v23
	v_xor_b32_e32 v20, v20, v30
	v_alignbit_b32 v25, v26, v22, v24
	v_alignbit_b32 v20, v22, v20, v24
	;; [unrolled: 1-line block ×3, first 2 shown]
	v_ffbh_u32_e32 v22, v21
	v_min_u32_e32 v22, 32, v22
	v_lshrrev_b32_e32 v27, 29, v6
	v_not_b32_e32 v24, v22
	v_alignbit_b32 v20, v21, v20, v24
	v_lshlrev_b32_e32 v21, 31, v27
	v_or_b32_e32 v24, 0x33000000, v21
	v_add_lshl_u32 v22, v22, v23, 23
	v_lshrrev_b32_e32 v20, 9, v20
	v_sub_u32_e32 v22, v24, v22
	v_or_b32_e32 v21, 0.5, v21
	v_lshlrev_b32_e32 v23, 23, v23
	v_or_b32_e32 v20, v22, v20
	v_lshrrev_b32_e32 v22, 9, v25
	v_sub_u32_e32 v21, v21, v23
	v_or_b32_e32 v21, v22, v21
	v_mul_f32_e32 v22, 0x3fc90fda, v21
	v_fma_f32 v23, v21, s22, -v22
	v_fmac_f32_e32 v23, 0x33a22168, v21
	v_fmac_f32_e32 v23, 0x3fc90fda, v20
	v_lshrrev_b32_e32 v6, 30, v6
	v_add_f32_e32 v21, v22, v23
	v_add_u32_e32 v20, v29, v6
.LBB112_47:                             ;   in Loop: Header=BB112_41 Depth=1
	s_andn2_saveexec_b64 s[0:1], s[10:11]
; %bb.48:                               ;   in Loop: Header=BB112_41 Depth=1
	v_mul_f32_e64 v6, |v3|, s23
	v_rndne_f32_e32 v6, v6
	v_cvt_i32_f32_e32 v20, v6
	v_fma_f32 v21, v6, s24, |v3|
	v_fmac_f32_e32 v21, 0xb3a22168, v6
	v_fmac_f32_e32 v21, 0xa7c234c4, v6
; %bb.49:                               ;   in Loop: Header=BB112_41 Depth=1
	s_or_b64 exec, exec, s[0:1]
	v_and_b32_e32 v22, 0x7fffffff, v4
	v_cmp_nlt_f32_e64 s[0:1], |v4|, s14
                                        ; implicit-def: $vgpr24
                                        ; implicit-def: $vgpr25
	s_and_saveexec_b64 s[2:3], s[0:1]
	s_xor_b64 s[10:11], exec, s[2:3]
	s_cbranch_execz .LBB112_51
; %bb.50:                               ;   in Loop: Header=BB112_41 Depth=1
	v_and_b32_e32 v6, 0x7fffff, v22
	v_or_b32_e32 v30, 0x800000, v6
	v_mad_u64_u32 v[23:24], s[0:1], v30, s15, 0
	v_mov_b32_e32 v6, v24
	v_mad_u64_u32 v[24:25], s[0:1], v30, s16, v[6:7]
	v_mov_b32_e32 v6, v25
	;; [unrolled: 2-line block ×3, first 2 shown]
	v_mad_u64_u32 v[26:27], s[0:1], v30, s18, v[6:7]
	v_lshrrev_b32_e32 v6, 23, v22
	v_add_u32_e32 v29, 0xffffff88, v6
	v_mov_b32_e32 v6, v27
	v_mad_u64_u32 v[27:28], s[0:1], v30, s19, v[6:7]
	v_cmp_lt_u32_e32 vcc, 63, v29
	v_cndmask_b32_e32 v6, 0, v13, vcc
	v_add_u32_e32 v31, v6, v29
	v_mov_b32_e32 v6, v28
	v_mad_u64_u32 v[28:29], s[0:1], v30, s20, v[6:7]
	v_cmp_lt_u32_e64 s[0:1], 31, v31
	v_cndmask_b32_e64 v6, 0, v14, s[0:1]
	v_add_u32_e32 v31, v6, v31
	v_mov_b32_e32 v6, v29
	v_mad_u64_u32 v[29:30], s[2:3], v30, s21, v[6:7]
	v_cmp_lt_u32_e64 s[2:3], 31, v31
	v_cndmask_b32_e64 v6, 0, v14, s[2:3]
	v_add_u32_e32 v6, v6, v31
	v_cndmask_b32_e32 v31, v28, v26, vcc
	v_cndmask_b32_e32 v29, v29, v27, vcc
	v_cndmask_b32_e32 v28, v30, v28, vcc
	v_cndmask_b32_e32 v27, v27, v25, vcc
	v_cndmask_b32_e64 v30, v29, v31, s[0:1]
	v_cndmask_b32_e64 v28, v28, v29, s[0:1]
	;; [unrolled: 1-line block ×3, first 2 shown]
	v_cndmask_b32_e32 v24, v26, v24, vcc
	v_cndmask_b32_e64 v28, v28, v30, s[2:3]
	v_cndmask_b32_e64 v30, v30, v29, s[2:3]
	v_sub_u32_e32 v31, 32, v6
	v_cndmask_b32_e64 v26, v27, v24, s[0:1]
	v_alignbit_b32 v32, v28, v30, v31
	v_cmp_eq_u32_e64 s[4:5], 0, v6
	v_cndmask_b32_e64 v27, v29, v26, s[2:3]
	v_cndmask_b32_e64 v6, v32, v28, s[4:5]
	v_alignbit_b32 v28, v30, v27, v31
	v_cndmask_b32_e32 v23, v25, v23, vcc
	v_cndmask_b32_e64 v28, v28, v30, s[4:5]
	v_bfe_u32 v32, v6, 29, 1
	v_cndmask_b32_e64 v23, v24, v23, s[0:1]
	v_alignbit_b32 v29, v6, v28, 30
	v_sub_u32_e32 v33, 0, v32
	v_cndmask_b32_e64 v23, v26, v23, s[2:3]
	v_xor_b32_e32 v29, v29, v33
	v_alignbit_b32 v24, v27, v23, v31
	v_cndmask_b32_e64 v24, v24, v27, s[4:5]
	v_ffbh_u32_e32 v26, v29
	v_alignbit_b32 v25, v28, v24, 30
	v_min_u32_e32 v26, 32, v26
	v_alignbit_b32 v23, v24, v23, 30
	v_xor_b32_e32 v25, v25, v33
	v_sub_u32_e32 v27, 31, v26
	v_xor_b32_e32 v23, v23, v33
	v_alignbit_b32 v28, v29, v25, v27
	v_alignbit_b32 v23, v25, v23, v27
	;; [unrolled: 1-line block ×3, first 2 shown]
	v_ffbh_u32_e32 v25, v24
	v_min_u32_e32 v25, 32, v25
	v_lshrrev_b32_e32 v30, 29, v6
	v_not_b32_e32 v27, v25
	v_alignbit_b32 v23, v24, v23, v27
	v_lshlrev_b32_e32 v24, 31, v30
	v_or_b32_e32 v27, 0x33000000, v24
	v_add_lshl_u32 v25, v25, v26, 23
	v_lshrrev_b32_e32 v23, 9, v23
	v_sub_u32_e32 v25, v27, v25
	v_or_b32_e32 v24, 0.5, v24
	v_lshlrev_b32_e32 v26, 23, v26
	v_or_b32_e32 v23, v25, v23
	v_lshrrev_b32_e32 v25, 9, v28
	v_sub_u32_e32 v24, v24, v26
	v_or_b32_e32 v24, v25, v24
	v_mul_f32_e32 v25, 0x3fc90fda, v24
	v_fma_f32 v26, v24, s22, -v25
	v_fmac_f32_e32 v26, 0x33a22168, v24
	v_fmac_f32_e32 v26, 0x3fc90fda, v23
	v_lshrrev_b32_e32 v6, 30, v6
	v_add_f32_e32 v25, v25, v26
	v_add_u32_e32 v24, v32, v6
.LBB112_51:                             ;   in Loop: Header=BB112_41 Depth=1
	s_andn2_saveexec_b64 s[0:1], s[10:11]
; %bb.52:                               ;   in Loop: Header=BB112_41 Depth=1
	v_mul_f32_e64 v6, |v4|, s23
	v_rndne_f32_e32 v6, v6
	v_cvt_i32_f32_e32 v24, v6
	v_fma_f32 v25, v6, s24, |v4|
	v_fmac_f32_e32 v25, 0xb3a22168, v6
	v_fmac_f32_e32 v25, 0xa7c234c4, v6
; %bb.53:                               ;   in Loop: Header=BB112_41 Depth=1
	s_or_b64 exec, exec, s[0:1]
	v_and_b32_e32 v23, 0x7fffffff, v5
	v_cmp_nlt_f32_e64 s[0:1], |v5|, s14
                                        ; implicit-def: $vgpr6
                                        ; implicit-def: $vgpr26
	s_and_saveexec_b64 s[2:3], s[0:1]
	s_xor_b64 s[10:11], exec, s[2:3]
	s_cbranch_execz .LBB112_55
; %bb.54:                               ;   in Loop: Header=BB112_41 Depth=1
	v_and_b32_e32 v6, 0x7fffff, v23
	v_or_b32_e32 v33, 0x800000, v6
	v_mad_u64_u32 v[26:27], s[0:1], v33, s15, 0
	v_mov_b32_e32 v6, v27
	v_mad_u64_u32 v[27:28], s[0:1], v33, s16, v[6:7]
	v_mov_b32_e32 v6, v28
	v_mad_u64_u32 v[28:29], s[0:1], v33, s17, v[6:7]
	v_mov_b32_e32 v6, v29
	v_mad_u64_u32 v[29:30], s[0:1], v33, s18, v[6:7]
	v_lshrrev_b32_e32 v6, 23, v23
	v_add_u32_e32 v32, 0xffffff88, v6
	v_mov_b32_e32 v6, v30
	v_mad_u64_u32 v[30:31], s[0:1], v33, s19, v[6:7]
	v_cmp_lt_u32_e32 vcc, 63, v32
	v_cndmask_b32_e32 v6, 0, v13, vcc
	v_add_u32_e32 v34, v6, v32
	v_mov_b32_e32 v6, v31
	v_mad_u64_u32 v[31:32], s[0:1], v33, s20, v[6:7]
	v_cmp_lt_u32_e64 s[0:1], 31, v34
	v_cndmask_b32_e64 v6, 0, v14, s[0:1]
	v_add_u32_e32 v34, v6, v34
	v_mov_b32_e32 v6, v32
	v_mad_u64_u32 v[32:33], s[2:3], v33, s21, v[6:7]
	v_cmp_lt_u32_e64 s[2:3], 31, v34
	v_cndmask_b32_e64 v6, 0, v14, s[2:3]
	v_add_u32_e32 v6, v6, v34
	v_cndmask_b32_e32 v34, v31, v29, vcc
	v_cndmask_b32_e32 v32, v32, v30, vcc
	;; [unrolled: 1-line block ×4, first 2 shown]
	v_cndmask_b32_e64 v33, v32, v34, s[0:1]
	v_cndmask_b32_e64 v31, v31, v32, s[0:1]
	v_cndmask_b32_e64 v32, v34, v30, s[0:1]
	v_cndmask_b32_e32 v27, v29, v27, vcc
	v_cndmask_b32_e64 v31, v31, v33, s[2:3]
	v_cndmask_b32_e64 v33, v33, v32, s[2:3]
	v_sub_u32_e32 v34, 32, v6
	v_cndmask_b32_e64 v29, v30, v27, s[0:1]
	v_alignbit_b32 v35, v31, v33, v34
	v_cmp_eq_u32_e64 s[4:5], 0, v6
	v_cndmask_b32_e64 v30, v32, v29, s[2:3]
	v_cndmask_b32_e64 v6, v35, v31, s[4:5]
	v_alignbit_b32 v31, v33, v30, v34
	v_cndmask_b32_e32 v26, v28, v26, vcc
	v_cndmask_b32_e64 v31, v31, v33, s[4:5]
	v_bfe_u32 v35, v6, 29, 1
	v_cndmask_b32_e64 v26, v27, v26, s[0:1]
	v_alignbit_b32 v32, v6, v31, 30
	v_sub_u32_e32 v36, 0, v35
	v_cndmask_b32_e64 v26, v29, v26, s[2:3]
	v_xor_b32_e32 v32, v32, v36
	v_alignbit_b32 v27, v30, v26, v34
	v_cndmask_b32_e64 v27, v27, v30, s[4:5]
	v_ffbh_u32_e32 v29, v32
	v_alignbit_b32 v28, v31, v27, 30
	v_min_u32_e32 v29, 32, v29
	v_alignbit_b32 v26, v27, v26, 30
	v_xor_b32_e32 v28, v28, v36
	v_sub_u32_e32 v30, 31, v29
	v_xor_b32_e32 v26, v26, v36
	v_alignbit_b32 v31, v32, v28, v30
	v_alignbit_b32 v26, v28, v26, v30
	;; [unrolled: 1-line block ×3, first 2 shown]
	v_ffbh_u32_e32 v28, v27
	v_min_u32_e32 v28, 32, v28
	v_lshrrev_b32_e32 v33, 29, v6
	v_not_b32_e32 v30, v28
	v_alignbit_b32 v26, v27, v26, v30
	v_lshlrev_b32_e32 v27, 31, v33
	v_or_b32_e32 v30, 0x33000000, v27
	v_add_lshl_u32 v28, v28, v29, 23
	v_lshrrev_b32_e32 v26, 9, v26
	v_sub_u32_e32 v28, v30, v28
	v_or_b32_e32 v27, 0.5, v27
	v_lshlrev_b32_e32 v29, 23, v29
	v_or_b32_e32 v26, v28, v26
	v_lshrrev_b32_e32 v28, 9, v31
	v_sub_u32_e32 v27, v27, v29
	v_or_b32_e32 v27, v28, v27
	v_mul_f32_e32 v28, 0x3fc90fda, v27
	v_fma_f32 v29, v27, s22, -v28
	v_fmac_f32_e32 v29, 0x33a22168, v27
	v_fmac_f32_e32 v29, 0x3fc90fda, v26
	v_lshrrev_b32_e32 v6, 30, v6
	v_add_f32_e32 v26, v28, v29
	v_add_u32_e32 v6, v35, v6
.LBB112_55:                             ;   in Loop: Header=BB112_41 Depth=1
	s_andn2_saveexec_b64 s[0:1], s[10:11]
	s_cbranch_execz .LBB112_40
; %bb.56:                               ;   in Loop: Header=BB112_41 Depth=1
	v_mul_f32_e64 v6, |v5|, s23
	v_rndne_f32_e32 v27, v6
	v_cvt_i32_f32_e32 v6, v27
	v_fma_f32 v26, v27, s24, |v5|
	v_fmac_f32_e32 v26, 0xb3a22168, v27
	v_fmac_f32_e32 v26, 0xa7c234c4, v27
	s_branch .LBB112_40
.LBB112_57:
	s_endpgm
	.section	.rodata,"a",@progbits
	.p2align	6, 0x0
	.amdhsa_kernel _ZN2at6native12_GLOBAL__N_125multi_tensor_apply_kernelINS1_18TensorListMetadataILi1EEENS1_14UnaryOpFunctorIfLi1ELi1ELi0EEEJNS0_3SinIfEEEEEvT_T0_DpT1_
		.amdhsa_group_segment_fixed_size 0
		.amdhsa_private_segment_fixed_size 0
		.amdhsa_kernarg_size 3632
		.amdhsa_user_sgpr_count 6
		.amdhsa_user_sgpr_private_segment_buffer 1
		.amdhsa_user_sgpr_dispatch_ptr 0
		.amdhsa_user_sgpr_queue_ptr 0
		.amdhsa_user_sgpr_kernarg_segment_ptr 1
		.amdhsa_user_sgpr_dispatch_id 0
		.amdhsa_user_sgpr_flat_scratch_init 0
		.amdhsa_user_sgpr_private_segment_size 0
		.amdhsa_uses_dynamic_stack 0
		.amdhsa_system_sgpr_private_segment_wavefront_offset 0
		.amdhsa_system_sgpr_workgroup_id_x 1
		.amdhsa_system_sgpr_workgroup_id_y 0
		.amdhsa_system_sgpr_workgroup_id_z 0
		.amdhsa_system_sgpr_workgroup_info 0
		.amdhsa_system_vgpr_workitem_id 0
		.amdhsa_next_free_vgpr 44
		.amdhsa_next_free_sgpr 47
		.amdhsa_reserve_vcc 1
		.amdhsa_reserve_flat_scratch 0
		.amdhsa_float_round_mode_32 0
		.amdhsa_float_round_mode_16_64 0
		.amdhsa_float_denorm_mode_32 3
		.amdhsa_float_denorm_mode_16_64 3
		.amdhsa_dx10_clamp 1
		.amdhsa_ieee_mode 1
		.amdhsa_fp16_overflow 0
		.amdhsa_exception_fp_ieee_invalid_op 0
		.amdhsa_exception_fp_denorm_src 0
		.amdhsa_exception_fp_ieee_div_zero 0
		.amdhsa_exception_fp_ieee_overflow 0
		.amdhsa_exception_fp_ieee_underflow 0
		.amdhsa_exception_fp_ieee_inexact 0
		.amdhsa_exception_int_div_zero 0
	.end_amdhsa_kernel
	.section	.text._ZN2at6native12_GLOBAL__N_125multi_tensor_apply_kernelINS1_18TensorListMetadataILi1EEENS1_14UnaryOpFunctorIfLi1ELi1ELi0EEEJNS0_3SinIfEEEEEvT_T0_DpT1_,"axG",@progbits,_ZN2at6native12_GLOBAL__N_125multi_tensor_apply_kernelINS1_18TensorListMetadataILi1EEENS1_14UnaryOpFunctorIfLi1ELi1ELi0EEEJNS0_3SinIfEEEEEvT_T0_DpT1_,comdat
.Lfunc_end112:
	.size	_ZN2at6native12_GLOBAL__N_125multi_tensor_apply_kernelINS1_18TensorListMetadataILi1EEENS1_14UnaryOpFunctorIfLi1ELi1ELi0EEEJNS0_3SinIfEEEEEvT_T0_DpT1_, .Lfunc_end112-_ZN2at6native12_GLOBAL__N_125multi_tensor_apply_kernelINS1_18TensorListMetadataILi1EEENS1_14UnaryOpFunctorIfLi1ELi1ELi0EEEJNS0_3SinIfEEEEEvT_T0_DpT1_
                                        ; -- End function
	.set _ZN2at6native12_GLOBAL__N_125multi_tensor_apply_kernelINS1_18TensorListMetadataILi1EEENS1_14UnaryOpFunctorIfLi1ELi1ELi0EEEJNS0_3SinIfEEEEEvT_T0_DpT1_.num_vgpr, 44
	.set _ZN2at6native12_GLOBAL__N_125multi_tensor_apply_kernelINS1_18TensorListMetadataILi1EEENS1_14UnaryOpFunctorIfLi1ELi1ELi0EEEJNS0_3SinIfEEEEEvT_T0_DpT1_.num_agpr, 0
	.set _ZN2at6native12_GLOBAL__N_125multi_tensor_apply_kernelINS1_18TensorListMetadataILi1EEENS1_14UnaryOpFunctorIfLi1ELi1ELi0EEEJNS0_3SinIfEEEEEvT_T0_DpT1_.numbered_sgpr, 47
	.set _ZN2at6native12_GLOBAL__N_125multi_tensor_apply_kernelINS1_18TensorListMetadataILi1EEENS1_14UnaryOpFunctorIfLi1ELi1ELi0EEEJNS0_3SinIfEEEEEvT_T0_DpT1_.num_named_barrier, 0
	.set _ZN2at6native12_GLOBAL__N_125multi_tensor_apply_kernelINS1_18TensorListMetadataILi1EEENS1_14UnaryOpFunctorIfLi1ELi1ELi0EEEJNS0_3SinIfEEEEEvT_T0_DpT1_.private_seg_size, 0
	.set _ZN2at6native12_GLOBAL__N_125multi_tensor_apply_kernelINS1_18TensorListMetadataILi1EEENS1_14UnaryOpFunctorIfLi1ELi1ELi0EEEJNS0_3SinIfEEEEEvT_T0_DpT1_.uses_vcc, 1
	.set _ZN2at6native12_GLOBAL__N_125multi_tensor_apply_kernelINS1_18TensorListMetadataILi1EEENS1_14UnaryOpFunctorIfLi1ELi1ELi0EEEJNS0_3SinIfEEEEEvT_T0_DpT1_.uses_flat_scratch, 0
	.set _ZN2at6native12_GLOBAL__N_125multi_tensor_apply_kernelINS1_18TensorListMetadataILi1EEENS1_14UnaryOpFunctorIfLi1ELi1ELi0EEEJNS0_3SinIfEEEEEvT_T0_DpT1_.has_dyn_sized_stack, 0
	.set _ZN2at6native12_GLOBAL__N_125multi_tensor_apply_kernelINS1_18TensorListMetadataILi1EEENS1_14UnaryOpFunctorIfLi1ELi1ELi0EEEJNS0_3SinIfEEEEEvT_T0_DpT1_.has_recursion, 0
	.set _ZN2at6native12_GLOBAL__N_125multi_tensor_apply_kernelINS1_18TensorListMetadataILi1EEENS1_14UnaryOpFunctorIfLi1ELi1ELi0EEEJNS0_3SinIfEEEEEvT_T0_DpT1_.has_indirect_call, 0
	.section	.AMDGPU.csdata,"",@progbits
; Kernel info:
; codeLenInByte = 7132
; TotalNumSgprs: 51
; NumVgprs: 44
; ScratchSize: 0
; MemoryBound: 0
; FloatMode: 240
; IeeeMode: 1
; LDSByteSize: 0 bytes/workgroup (compile time only)
; SGPRBlocks: 6
; VGPRBlocks: 10
; NumSGPRsForWavesPerEU: 51
; NumVGPRsForWavesPerEU: 44
; Occupancy: 5
; WaveLimiterHint : 0
; COMPUTE_PGM_RSRC2:SCRATCH_EN: 0
; COMPUTE_PGM_RSRC2:USER_SGPR: 6
; COMPUTE_PGM_RSRC2:TRAP_HANDLER: 0
; COMPUTE_PGM_RSRC2:TGID_X_EN: 1
; COMPUTE_PGM_RSRC2:TGID_Y_EN: 0
; COMPUTE_PGM_RSRC2:TGID_Z_EN: 0
; COMPUTE_PGM_RSRC2:TIDIG_COMP_CNT: 0
	.section	.text._ZN2at6native12_GLOBAL__N_125multi_tensor_apply_kernelINS1_18TensorListMetadataILi1EEENS1_14UnaryOpFunctorIN3c107complexIdEELi1ELi1ELi0EEEJNS0_3SinIS8_EEEEEvT_T0_DpT1_,"axG",@progbits,_ZN2at6native12_GLOBAL__N_125multi_tensor_apply_kernelINS1_18TensorListMetadataILi1EEENS1_14UnaryOpFunctorIN3c107complexIdEELi1ELi1ELi0EEEJNS0_3SinIS8_EEEEEvT_T0_DpT1_,comdat
	.globl	_ZN2at6native12_GLOBAL__N_125multi_tensor_apply_kernelINS1_18TensorListMetadataILi1EEENS1_14UnaryOpFunctorIN3c107complexIdEELi1ELi1ELi0EEEJNS0_3SinIS8_EEEEEvT_T0_DpT1_ ; -- Begin function _ZN2at6native12_GLOBAL__N_125multi_tensor_apply_kernelINS1_18TensorListMetadataILi1EEENS1_14UnaryOpFunctorIN3c107complexIdEELi1ELi1ELi0EEEJNS0_3SinIS8_EEEEEvT_T0_DpT1_
	.p2align	8
	.type	_ZN2at6native12_GLOBAL__N_125multi_tensor_apply_kernelINS1_18TensorListMetadataILi1EEENS1_14UnaryOpFunctorIN3c107complexIdEELi1ELi1ELi0EEEJNS0_3SinIS8_EEEEEvT_T0_DpT1_,@function
_ZN2at6native12_GLOBAL__N_125multi_tensor_apply_kernelINS1_18TensorListMetadataILi1EEENS1_14UnaryOpFunctorIN3c107complexIdEELi1ELi1ELi0EEEJNS0_3SinIS8_EEEEEvT_T0_DpT1_: ; @_ZN2at6native12_GLOBAL__N_125multi_tensor_apply_kernelINS1_18TensorListMetadataILi1EEENS1_14UnaryOpFunctorIN3c107complexIdEELi1ELi1ELi0EEEJNS0_3SinIS8_EEEEEvT_T0_DpT1_
; %bb.0:
	v_mov_b32_e32 v50, v0
	v_mov_b32_e32 v0, s6
	global_load_ubyte v0, v0, s[4:5] offset:1760
	s_add_u32 s0, s0, s7
	s_addc_u32 s1, s1, 0
	s_mov_b64 s[34:35], s[4:5]
	s_add_u32 s4, s34, s6
	s_mul_hi_u32 s5, s6, 3
	s_mul_i32 s6, s6, 3
	s_addc_u32 s7, s35, 0
	s_add_u32 s4, s4, s6
	s_addc_u32 s5, s7, s5
	s_load_dword s4, s[4:5], 0x820
	s_mov_b32 s9, 0
	s_mov_b32 s32, 0
	s_waitcnt vmcnt(0)
	v_readfirstlane_b32 s5, v0
	s_lshl_b32 s5, s5, 3
	s_load_dwordx2 s[46:47], s[34:35], s5 offset:0x0
	s_load_dwordx2 s[6:7], s[34:35], s5 offset:0x370
	s_waitcnt lgkmcnt(0)
	s_ashr_i32 s5, s4, 31
	s_lshl_b64 s[48:49], s[4:5], 20
	s_add_u32 s33, s46, s48
	s_addc_u32 s43, s47, s49
	s_lshl_b64 s[4:5], s[4:5], 16
	s_and_b32 s8, s33, 63
	s_sub_u32 s50, s6, s4
	s_subb_u32 s51, s7, s5
	s_and_b32 s4, s6, 3
	s_mov_b32 s5, s9
	s_or_b64 s[4:5], s[8:9], s[4:5]
	s_cmp_eq_u64 s[4:5], 0
	s_cbranch_scc1 .LBB113_21
; %bb.1:
	v_cmp_lt_i64_e64 s[4:5], s[50:51], 1
	s_and_b64 vcc, exec, s[4:5]
	s_cbranch_vccnz .LBB113_20
; %bb.2:
	v_mov_b32_e32 v0, 0x10000
	s_load_dword s6, s[34:35], 0xd3c
	v_mov_b32_e32 v1, 0
	v_cmp_lt_i64_e32 vcc, s[50:51], v[0:1]
	v_mov_b32_e32 v52, 0
	s_and_b64 s[4:5], vcc, exec
	v_cmp_lt_u64_e32 vcc, s[50:51], v[0:1]
	s_cselect_b32 s53, s51, 0
	s_cselect_b32 s52, s50, 0x10000
	s_waitcnt lgkmcnt(0)
	s_and_b32 s6, s6, 0xffff
	s_and_b64 s[4:5], vcc, exec
	s_mul_i32 s8, s6, 3
	v_add_co_u32_e32 v54, vcc, s6, v50
	v_lshlrev_b32_e32 v51, 4, v50
	v_addc_co_u32_e64 v55, s[4:5], 0, 0, vcc
	v_add_co_u32_e32 v56, vcc, s8, v50
	v_mad_u64_u32 v[52:53], s[4:5], s6, 48, v[51:52]
	v_addc_co_u32_e64 v57, s[4:5], 0, 0, vcc
	s_cselect_b32 s55, s51, 0
	s_cselect_b32 s54, s50, 0x10000
	s_lshl_b32 s4, s6, 5
	s_lshl_b32 s7, s6, 1
	v_add_co_u32_e32 v0, vcc, s4, v51
	v_addc_co_u32_e64 v59, s[4:5], 0, 0, vcc
	v_add_co_u32_e32 v61, vcc, s7, v50
	s_lshl_b32 s60, s6, 2
	s_lshl_b32 s61, s6, 6
	v_or_b32_e32 v52, 8, v52
	v_lshlrev_b32_e32 v58, 4, v54
	v_or_b32_e32 v60, 8, v0
	v_addc_co_u32_e64 v62, s[4:5], 0, 0, vcc
	s_mov_b64 s[56:57], 0
	s_branch .LBB113_4
.LBB113_3:                              ;   in Loop: Header=BB113_4 Depth=1
	s_or_b64 exec, exec, s[38:39]
	s_add_u32 s56, s56, s60
	v_mov_b32_e32 v0, s52
	s_addc_u32 s57, s57, 0
	v_mov_b32_e32 v1, s53
	v_cmp_lt_i64_e32 vcc, s[56:57], v[0:1]
	s_add_u32 s33, s33, s61
	s_addc_u32 s43, s43, 0
	s_cbranch_vccz .LBB113_20
.LBB113_4:                              ; =>This Inner Loop Header: Depth=1
	v_mov_b32_e32 v1, s57
	v_add_co_u32_e32 v0, vcc, s56, v50
	v_addc_co_u32_e32 v1, vcc, 0, v1, vcc
	v_cmp_gt_u64_e32 vcc, s[54:55], v[0:1]
	s_waitcnt vmcnt(0)
	v_mov_b32_e32 v44, 0
	v_mov_b32_e32 v4, 0
	;; [unrolled: 1-line block ×6, first 2 shown]
	s_and_saveexec_b64 s[6:7], vcc
	s_cbranch_execz .LBB113_6
; %bb.5:                                ;   in Loop: Header=BB113_4 Depth=1
	v_mov_b32_e32 v1, s43
	v_add_co_u32_e64 v0, s[4:5], s33, v51
	v_addc_co_u32_e64 v1, s[4:5], 0, v1, s[4:5]
	global_load_dwordx4 v[2:5], v[0:1], off
.LBB113_6:                              ;   in Loop: Header=BB113_4 Depth=1
	s_or_b64 exec, exec, s[6:7]
	v_mov_b32_e32 v1, s57
	v_add_co_u32_e64 v0, s[4:5], s56, v54
	v_addc_co_u32_e64 v1, s[4:5], v55, v1, s[4:5]
	v_cmp_gt_u64_e64 s[44:45], s[54:55], v[0:1]
	v_mov_b32_e32 v42, 0
	v_mov_b32_e32 v43, 0
	s_and_saveexec_b64 s[6:7], s[44:45]
	s_cbranch_execz .LBB113_8
; %bb.7:                                ;   in Loop: Header=BB113_4 Depth=1
	v_mov_b32_e32 v1, s43
	v_add_co_u32_e64 v0, s[4:5], s33, v58
	v_addc_co_u32_e64 v1, s[4:5], 0, v1, s[4:5]
	global_load_dwordx4 v[42:45], v[0:1], off
.LBB113_8:                              ;   in Loop: Header=BB113_4 Depth=1
	s_or_b64 exec, exec, s[6:7]
	v_mov_b32_e32 v1, s57
	v_add_co_u32_e64 v0, s[4:5], s56, v61
	v_addc_co_u32_e64 v1, s[4:5], v62, v1, s[4:5]
	v_cmp_gt_u64_e64 s[38:39], s[54:55], v[0:1]
	v_mov_b32_e32 v40, 0
	v_mov_b32_e32 v48, 0
	;; [unrolled: 1-line block ×6, first 2 shown]
	s_and_saveexec_b64 s[6:7], s[38:39]
	s_cbranch_execz .LBB113_10
; %bb.9:                                ;   in Loop: Header=BB113_4 Depth=1
	v_mov_b32_e32 v1, s43
	v_add_co_u32_e64 v0, s[4:5], s33, v60
	v_addc_co_u32_e64 v1, s[4:5], v1, v59, s[4:5]
	global_load_dwordx4 v[46:49], v[0:1], off offset:-8
.LBB113_10:                             ;   in Loop: Header=BB113_4 Depth=1
	s_or_b64 exec, exec, s[6:7]
	v_mov_b32_e32 v1, s57
	v_add_co_u32_e64 v0, s[4:5], s56, v56
	v_addc_co_u32_e64 v1, s[4:5], v57, v1, s[4:5]
	v_cmp_gt_u64_e64 s[36:37], s[54:55], v[0:1]
	v_mov_b32_e32 v38, 0
	v_mov_b32_e32 v39, 0
	s_and_saveexec_b64 s[6:7], s[36:37]
	s_cbranch_execnz .LBB113_15
; %bb.11:                               ;   in Loop: Header=BB113_4 Depth=1
	s_or_b64 exec, exec, s[6:7]
	s_and_saveexec_b64 s[58:59], vcc
	s_cbranch_execnz .LBB113_16
.LBB113_12:                             ;   in Loop: Header=BB113_4 Depth=1
	s_or_b64 exec, exec, s[58:59]
	s_and_saveexec_b64 s[58:59], s[44:45]
	s_cbranch_execnz .LBB113_17
.LBB113_13:                             ;   in Loop: Header=BB113_4 Depth=1
	s_or_b64 exec, exec, s[58:59]
	s_and_saveexec_b64 s[44:45], s[38:39]
	s_cbranch_execnz .LBB113_18
.LBB113_14:                             ;   in Loop: Header=BB113_4 Depth=1
	s_or_b64 exec, exec, s[44:45]
	s_and_saveexec_b64 s[38:39], s[36:37]
	s_cbranch_execz .LBB113_3
	s_branch .LBB113_19
.LBB113_15:                             ;   in Loop: Header=BB113_4 Depth=1
	v_mov_b32_e32 v1, s43
	v_add_co_u32_e64 v0, s[4:5], s33, v52
	v_addc_co_u32_e64 v1, s[4:5], v1, v53, s[4:5]
	global_load_dwordx4 v[38:41], v[0:1], off offset:-8
	s_or_b64 exec, exec, s[6:7]
	s_and_saveexec_b64 s[58:59], vcc
	s_cbranch_execz .LBB113_12
.LBB113_16:                             ;   in Loop: Header=BB113_4 Depth=1
	s_waitcnt vmcnt(0)
	v_xor_b32_e32 v1, 0x80000000, v5
	s_getpc_b64 s[4:5]
	s_add_u32 s4, s4, _ZN6thrust23THRUST_200600_302600_NS6detail7complex5csinhERKNS0_7complexIdEE@rel32@lo+4
	s_addc_u32 s5, s5, _ZN6thrust23THRUST_200600_302600_NS6detail7complex5csinhERKNS0_7complexIdEE@rel32@hi+12
	v_mov_b32_e32 v0, v4
	s_swappc_b64 s[30:31], s[4:5]
	v_mov_b32_e32 v4, v0
	v_xor_b32_e32 v5, 0x80000000, v1
	v_mov_b32_e32 v1, s43
	v_add_co_u32_e32 v0, vcc, s33, v51
	v_addc_co_u32_e32 v1, vcc, 0, v1, vcc
	global_store_dwordx4 v[0:1], v[2:5], off
	s_or_b64 exec, exec, s[58:59]
	s_and_saveexec_b64 s[58:59], s[44:45]
	s_cbranch_execz .LBB113_13
.LBB113_17:                             ;   in Loop: Header=BB113_4 Depth=1
	s_waitcnt vmcnt(0)
	v_xor_b32_e32 v1, 0x80000000, v45
	s_getpc_b64 s[4:5]
	s_add_u32 s4, s4, _ZN6thrust23THRUST_200600_302600_NS6detail7complex5csinhERKNS0_7complexIdEE@rel32@lo+4
	s_addc_u32 s5, s5, _ZN6thrust23THRUST_200600_302600_NS6detail7complex5csinhERKNS0_7complexIdEE@rel32@hi+12
	v_mov_b32_e32 v0, v44
	v_mov_b32_e32 v2, v42
	;; [unrolled: 1-line block ×3, first 2 shown]
	s_swappc_b64 s[30:31], s[4:5]
	v_mov_b32_e32 v4, v0
	v_xor_b32_e32 v5, 0x80000000, v1
	v_mov_b32_e32 v1, s43
	v_add_co_u32_e32 v0, vcc, s33, v58
	v_addc_co_u32_e32 v1, vcc, 0, v1, vcc
	global_store_dwordx4 v[0:1], v[2:5], off
	s_or_b64 exec, exec, s[58:59]
	s_and_saveexec_b64 s[44:45], s[38:39]
	s_cbranch_execz .LBB113_14
.LBB113_18:                             ;   in Loop: Header=BB113_4 Depth=1
	s_waitcnt vmcnt(0)
	v_xor_b32_e32 v1, 0x80000000, v49
	s_getpc_b64 s[4:5]
	s_add_u32 s4, s4, _ZN6thrust23THRUST_200600_302600_NS6detail7complex5csinhERKNS0_7complexIdEE@rel32@lo+4
	s_addc_u32 s5, s5, _ZN6thrust23THRUST_200600_302600_NS6detail7complex5csinhERKNS0_7complexIdEE@rel32@hi+12
	v_mov_b32_e32 v0, v48
	v_mov_b32_e32 v2, v46
	;; [unrolled: 1-line block ×3, first 2 shown]
	s_swappc_b64 s[30:31], s[4:5]
	v_mov_b32_e32 v4, v0
	v_xor_b32_e32 v5, 0x80000000, v1
	v_mov_b32_e32 v1, s43
	v_add_co_u32_e32 v0, vcc, s33, v60
	v_addc_co_u32_e32 v1, vcc, v1, v59, vcc
	global_store_dwordx4 v[0:1], v[2:5], off offset:-8
	s_or_b64 exec, exec, s[44:45]
	s_and_saveexec_b64 s[38:39], s[36:37]
	s_cbranch_execz .LBB113_3
.LBB113_19:                             ;   in Loop: Header=BB113_4 Depth=1
	s_waitcnt vmcnt(0)
	v_xor_b32_e32 v1, 0x80000000, v41
	s_getpc_b64 s[4:5]
	s_add_u32 s4, s4, _ZN6thrust23THRUST_200600_302600_NS6detail7complex5csinhERKNS0_7complexIdEE@rel32@lo+4
	s_addc_u32 s5, s5, _ZN6thrust23THRUST_200600_302600_NS6detail7complex5csinhERKNS0_7complexIdEE@rel32@hi+12
	v_mov_b32_e32 v0, v40
	v_mov_b32_e32 v2, v38
	;; [unrolled: 1-line block ×3, first 2 shown]
	s_swappc_b64 s[30:31], s[4:5]
	v_mov_b32_e32 v4, v0
	v_xor_b32_e32 v5, 0x80000000, v1
	v_mov_b32_e32 v1, s43
	v_add_co_u32_e32 v0, vcc, s33, v52
	v_addc_co_u32_e32 v1, vcc, v1, v53, vcc
	global_store_dwordx4 v[0:1], v[2:5], off offset:-8
	s_branch .LBB113_3
.LBB113_20:
	s_cbranch_execz .LBB113_22
	s_branch .LBB113_25
.LBB113_21:
.LBB113_22:
	v_mov_b32_e32 v0, 0x10000
	v_mov_b32_e32 v1, 0
	v_cmp_lt_i64_e32 vcc, s[50:51], v[0:1]
	v_mov_b32_e32 v1, 0
	s_and_b64 s[4:5], vcc, exec
	s_cselect_b32 s37, s51, 0
	s_cselect_b32 s36, s50, 0x10000
	v_lshlrev_b32_e32 v0, 2, v50
	v_cmp_gt_i64_e32 vcc, s[36:37], v[0:1]
	s_and_saveexec_b64 s[4:5], vcc
	s_cbranch_execz .LBB113_25
; %bb.23:
	s_load_dword s4, s[34:35], 0xd3c
	v_lshlrev_b32_e32 v0, 6, v50
	v_mov_b32_e32 v51, v1
	s_mov_b64 s[34:35], 0
	s_waitcnt lgkmcnt(0)
	s_and_b32 s33, s4, 0xffff
	s_add_u32 s4, s46, s48
	s_addc_u32 s5, s47, s49
	v_mov_b32_e32 v1, s5
	v_add_co_u32_e32 v56, vcc, s4, v0
	v_addc_co_u32_e32 v57, vcc, 0, v1, vcc
	s_lshl_b32 s38, s33, 6
.LBB113_24:                             ; =>This Inner Loop Header: Depth=1
	global_load_dwordx4 v[2:5], v[56:57], off
	global_load_dwordx4 v[38:41], v[56:57], off offset:16
	global_load_dwordx4 v[42:45], v[56:57], off offset:48
	;; [unrolled: 1-line block ×3, first 2 shown]
	s_getpc_b64 s[44:45]
	s_add_u32 s44, s44, _ZN6thrust23THRUST_200600_302600_NS6detail7complex5csinhERKNS0_7complexIdEE@rel32@lo+4
	s_addc_u32 s45, s45, _ZN6thrust23THRUST_200600_302600_NS6detail7complex5csinhERKNS0_7complexIdEE@rel32@hi+12
	s_waitcnt vmcnt(3)
	v_xor_b32_e32 v1, 0x80000000, v5
	v_mov_b32_e32 v0, v4
	s_swappc_b64 s[30:31], s[44:45]
	v_mov_b32_e32 v54, v0
	v_mov_b32_e32 v52, v2
	v_mov_b32_e32 v53, v3
	v_xor_b32_e32 v55, 0x80000000, v1
	v_xor_b32_e32 v1, 0x80000000, v41
	v_mov_b32_e32 v0, v40
	v_mov_b32_e32 v2, v38
	v_mov_b32_e32 v3, v39
	s_swappc_b64 s[30:31], s[44:45]
	v_mov_b32_e32 v40, v0
	v_mov_b32_e32 v38, v2
	v_mov_b32_e32 v39, v3
	v_xor_b32_e32 v41, 0x80000000, v1
	v_xor_b32_e32 v1, 0x80000000, v49
	v_mov_b32_e32 v0, v48
	v_mov_b32_e32 v2, v46
	;; [unrolled: 9-line block ×3, first 2 shown]
	v_mov_b32_e32 v3, v43
	s_swappc_b64 s[30:31], s[44:45]
	v_add_co_u32_e32 v50, vcc, s33, v50
	v_addc_co_u32_e32 v51, vcc, 0, v51, vcc
	v_mov_b32_e32 v4, v0
	v_xor_b32_e32 v5, 0x80000000, v1
	v_lshlrev_b64 v[0:1], 2, v[50:51]
	global_store_dwordx4 v[56:57], v[52:55], off
	global_store_dwordx4 v[56:57], v[38:41], off offset:16
	global_store_dwordx4 v[56:57], v[46:49], off offset:32
	v_cmp_le_i64_e64 s[4:5], s[36:37], v[0:1]
	global_store_dwordx4 v[56:57], v[2:5], off offset:48
	v_add_co_u32_e32 v56, vcc, s38, v56
	s_or_b64 s[34:35], s[4:5], s[34:35]
	v_addc_co_u32_e32 v57, vcc, 0, v57, vcc
	s_andn2_b64 exec, exec, s[34:35]
	s_cbranch_execnz .LBB113_24
.LBB113_25:
	s_endpgm
	.section	.rodata,"a",@progbits
	.p2align	6, 0x0
	.amdhsa_kernel _ZN2at6native12_GLOBAL__N_125multi_tensor_apply_kernelINS1_18TensorListMetadataILi1EEENS1_14UnaryOpFunctorIN3c107complexIdEELi1ELi1ELi0EEEJNS0_3SinIS8_EEEEEvT_T0_DpT1_
		.amdhsa_group_segment_fixed_size 0
		.amdhsa_private_segment_fixed_size 0
		.amdhsa_kernarg_size 3632
		.amdhsa_user_sgpr_count 6
		.amdhsa_user_sgpr_private_segment_buffer 1
		.amdhsa_user_sgpr_dispatch_ptr 0
		.amdhsa_user_sgpr_queue_ptr 0
		.amdhsa_user_sgpr_kernarg_segment_ptr 1
		.amdhsa_user_sgpr_dispatch_id 0
		.amdhsa_user_sgpr_flat_scratch_init 0
		.amdhsa_user_sgpr_private_segment_size 0
		.amdhsa_uses_dynamic_stack 0
		.amdhsa_system_sgpr_private_segment_wavefront_offset 0
		.amdhsa_system_sgpr_workgroup_id_x 1
		.amdhsa_system_sgpr_workgroup_id_y 0
		.amdhsa_system_sgpr_workgroup_id_z 0
		.amdhsa_system_sgpr_workgroup_info 0
		.amdhsa_system_vgpr_workitem_id 0
		.amdhsa_next_free_vgpr 63
		.amdhsa_next_free_sgpr 62
		.amdhsa_reserve_vcc 1
		.amdhsa_reserve_flat_scratch 0
		.amdhsa_float_round_mode_32 0
		.amdhsa_float_round_mode_16_64 0
		.amdhsa_float_denorm_mode_32 3
		.amdhsa_float_denorm_mode_16_64 3
		.amdhsa_dx10_clamp 1
		.amdhsa_ieee_mode 1
		.amdhsa_fp16_overflow 0
		.amdhsa_exception_fp_ieee_invalid_op 0
		.amdhsa_exception_fp_denorm_src 0
		.amdhsa_exception_fp_ieee_div_zero 0
		.amdhsa_exception_fp_ieee_overflow 0
		.amdhsa_exception_fp_ieee_underflow 0
		.amdhsa_exception_fp_ieee_inexact 0
		.amdhsa_exception_int_div_zero 0
	.end_amdhsa_kernel
	.section	.text._ZN2at6native12_GLOBAL__N_125multi_tensor_apply_kernelINS1_18TensorListMetadataILi1EEENS1_14UnaryOpFunctorIN3c107complexIdEELi1ELi1ELi0EEEJNS0_3SinIS8_EEEEEvT_T0_DpT1_,"axG",@progbits,_ZN2at6native12_GLOBAL__N_125multi_tensor_apply_kernelINS1_18TensorListMetadataILi1EEENS1_14UnaryOpFunctorIN3c107complexIdEELi1ELi1ELi0EEEJNS0_3SinIS8_EEEEEvT_T0_DpT1_,comdat
.Lfunc_end113:
	.size	_ZN2at6native12_GLOBAL__N_125multi_tensor_apply_kernelINS1_18TensorListMetadataILi1EEENS1_14UnaryOpFunctorIN3c107complexIdEELi1ELi1ELi0EEEJNS0_3SinIS8_EEEEEvT_T0_DpT1_, .Lfunc_end113-_ZN2at6native12_GLOBAL__N_125multi_tensor_apply_kernelINS1_18TensorListMetadataILi1EEENS1_14UnaryOpFunctorIN3c107complexIdEELi1ELi1ELi0EEEJNS0_3SinIS8_EEEEEvT_T0_DpT1_
                                        ; -- End function
	.set _ZN2at6native12_GLOBAL__N_125multi_tensor_apply_kernelINS1_18TensorListMetadataILi1EEENS1_14UnaryOpFunctorIN3c107complexIdEELi1ELi1ELi0EEEJNS0_3SinIS8_EEEEEvT_T0_DpT1_.num_vgpr, max(63, .L_ZN6thrust23THRUST_200600_302600_NS6detail7complex5csinhERKNS0_7complexIdEE.num_vgpr)
	.set _ZN2at6native12_GLOBAL__N_125multi_tensor_apply_kernelINS1_18TensorListMetadataILi1EEENS1_14UnaryOpFunctorIN3c107complexIdEELi1ELi1ELi0EEEJNS0_3SinIS8_EEEEEvT_T0_DpT1_.num_agpr, max(0, .L_ZN6thrust23THRUST_200600_302600_NS6detail7complex5csinhERKNS0_7complexIdEE.num_agpr)
	.set _ZN2at6native12_GLOBAL__N_125multi_tensor_apply_kernelINS1_18TensorListMetadataILi1EEENS1_14UnaryOpFunctorIN3c107complexIdEELi1ELi1ELi0EEEJNS0_3SinIS8_EEEEEvT_T0_DpT1_.numbered_sgpr, max(62, .L_ZN6thrust23THRUST_200600_302600_NS6detail7complex5csinhERKNS0_7complexIdEE.numbered_sgpr)
	.set _ZN2at6native12_GLOBAL__N_125multi_tensor_apply_kernelINS1_18TensorListMetadataILi1EEENS1_14UnaryOpFunctorIN3c107complexIdEELi1ELi1ELi0EEEJNS0_3SinIS8_EEEEEvT_T0_DpT1_.num_named_barrier, max(0, .L_ZN6thrust23THRUST_200600_302600_NS6detail7complex5csinhERKNS0_7complexIdEE.num_named_barrier)
	.set _ZN2at6native12_GLOBAL__N_125multi_tensor_apply_kernelINS1_18TensorListMetadataILi1EEENS1_14UnaryOpFunctorIN3c107complexIdEELi1ELi1ELi0EEEJNS0_3SinIS8_EEEEEvT_T0_DpT1_.private_seg_size, 0+max(.L_ZN6thrust23THRUST_200600_302600_NS6detail7complex5csinhERKNS0_7complexIdEE.private_seg_size)
	.set _ZN2at6native12_GLOBAL__N_125multi_tensor_apply_kernelINS1_18TensorListMetadataILi1EEENS1_14UnaryOpFunctorIN3c107complexIdEELi1ELi1ELi0EEEJNS0_3SinIS8_EEEEEvT_T0_DpT1_.uses_vcc, or(1, .L_ZN6thrust23THRUST_200600_302600_NS6detail7complex5csinhERKNS0_7complexIdEE.uses_vcc)
	.set _ZN2at6native12_GLOBAL__N_125multi_tensor_apply_kernelINS1_18TensorListMetadataILi1EEENS1_14UnaryOpFunctorIN3c107complexIdEELi1ELi1ELi0EEEJNS0_3SinIS8_EEEEEvT_T0_DpT1_.uses_flat_scratch, or(0, .L_ZN6thrust23THRUST_200600_302600_NS6detail7complex5csinhERKNS0_7complexIdEE.uses_flat_scratch)
	.set _ZN2at6native12_GLOBAL__N_125multi_tensor_apply_kernelINS1_18TensorListMetadataILi1EEENS1_14UnaryOpFunctorIN3c107complexIdEELi1ELi1ELi0EEEJNS0_3SinIS8_EEEEEvT_T0_DpT1_.has_dyn_sized_stack, or(0, .L_ZN6thrust23THRUST_200600_302600_NS6detail7complex5csinhERKNS0_7complexIdEE.has_dyn_sized_stack)
	.set _ZN2at6native12_GLOBAL__N_125multi_tensor_apply_kernelINS1_18TensorListMetadataILi1EEENS1_14UnaryOpFunctorIN3c107complexIdEELi1ELi1ELi0EEEJNS0_3SinIS8_EEEEEvT_T0_DpT1_.has_recursion, or(0, .L_ZN6thrust23THRUST_200600_302600_NS6detail7complex5csinhERKNS0_7complexIdEE.has_recursion)
	.set _ZN2at6native12_GLOBAL__N_125multi_tensor_apply_kernelINS1_18TensorListMetadataILi1EEENS1_14UnaryOpFunctorIN3c107complexIdEELi1ELi1ELi0EEEJNS0_3SinIS8_EEEEEvT_T0_DpT1_.has_indirect_call, or(0, .L_ZN6thrust23THRUST_200600_302600_NS6detail7complex5csinhERKNS0_7complexIdEE.has_indirect_call)
	.section	.AMDGPU.csdata,"",@progbits
; Kernel info:
; codeLenInByte = 1532
; TotalNumSgprs: 66
; NumVgprs: 63
; ScratchSize: 0
; MemoryBound: 1
; FloatMode: 240
; IeeeMode: 1
; LDSByteSize: 0 bytes/workgroup (compile time only)
; SGPRBlocks: 8
; VGPRBlocks: 15
; NumSGPRsForWavesPerEU: 66
; NumVGPRsForWavesPerEU: 63
; Occupancy: 4
; WaveLimiterHint : 0
; COMPUTE_PGM_RSRC2:SCRATCH_EN: 0
; COMPUTE_PGM_RSRC2:USER_SGPR: 6
; COMPUTE_PGM_RSRC2:TRAP_HANDLER: 0
; COMPUTE_PGM_RSRC2:TGID_X_EN: 1
; COMPUTE_PGM_RSRC2:TGID_Y_EN: 0
; COMPUTE_PGM_RSRC2:TGID_Z_EN: 0
; COMPUTE_PGM_RSRC2:TIDIG_COMP_CNT: 0
	.section	.text._ZN2at6native12_GLOBAL__N_125multi_tensor_apply_kernelINS1_18TensorListMetadataILi1EEENS1_14UnaryOpFunctorIN3c107complexIfEELi1ELi1ELi0EEEJNS0_3SinIS8_EEEEEvT_T0_DpT1_,"axG",@progbits,_ZN2at6native12_GLOBAL__N_125multi_tensor_apply_kernelINS1_18TensorListMetadataILi1EEENS1_14UnaryOpFunctorIN3c107complexIfEELi1ELi1ELi0EEEJNS0_3SinIS8_EEEEEvT_T0_DpT1_,comdat
	.globl	_ZN2at6native12_GLOBAL__N_125multi_tensor_apply_kernelINS1_18TensorListMetadataILi1EEENS1_14UnaryOpFunctorIN3c107complexIfEELi1ELi1ELi0EEEJNS0_3SinIS8_EEEEEvT_T0_DpT1_ ; -- Begin function _ZN2at6native12_GLOBAL__N_125multi_tensor_apply_kernelINS1_18TensorListMetadataILi1EEENS1_14UnaryOpFunctorIN3c107complexIfEELi1ELi1ELi0EEEJNS0_3SinIS8_EEEEEvT_T0_DpT1_
	.p2align	8
	.type	_ZN2at6native12_GLOBAL__N_125multi_tensor_apply_kernelINS1_18TensorListMetadataILi1EEENS1_14UnaryOpFunctorIN3c107complexIfEELi1ELi1ELi0EEEJNS0_3SinIS8_EEEEEvT_T0_DpT1_,@function
_ZN2at6native12_GLOBAL__N_125multi_tensor_apply_kernelINS1_18TensorListMetadataILi1EEENS1_14UnaryOpFunctorIN3c107complexIfEELi1ELi1ELi0EEEJNS0_3SinIS8_EEEEEvT_T0_DpT1_: ; @_ZN2at6native12_GLOBAL__N_125multi_tensor_apply_kernelINS1_18TensorListMetadataILi1EEENS1_14UnaryOpFunctorIN3c107complexIfEELi1ELi1ELi0EEEJNS0_3SinIS8_EEEEEvT_T0_DpT1_
; %bb.0:
	v_mov_b32_e32 v19, v0
	v_mov_b32_e32 v0, s6
	global_load_ubyte v0, v0, s[4:5] offset:1760
	s_add_u32 s0, s0, s7
	s_addc_u32 s1, s1, 0
	s_mov_b64 s[26:27], s[4:5]
	s_add_u32 s4, s26, s6
	s_mul_hi_u32 s5, s6, 3
	s_mul_i32 s6, s6, 3
	s_addc_u32 s7, s27, 0
	s_add_u32 s4, s4, s6
	s_addc_u32 s5, s7, s5
	s_load_dword s4, s[4:5], 0x820
	s_mov_b32 s9, 0
	s_mov_b32 s32, 0
	s_waitcnt vmcnt(0)
	v_readfirstlane_b32 s5, v0
	s_lshl_b32 s5, s5, 3
	s_load_dwordx2 s[38:39], s[26:27], s5 offset:0x0
	s_load_dwordx2 s[6:7], s[26:27], s5 offset:0x370
	s_waitcnt lgkmcnt(0)
	s_ashr_i32 s5, s4, 31
	s_lshl_b64 s[40:41], s[4:5], 19
	s_add_u32 s33, s38, s40
	s_addc_u32 s52, s39, s41
	s_lshl_b64 s[4:5], s[4:5], 16
	s_and_b32 s8, s33, 31
	s_sub_u32 s42, s6, s4
	s_subb_u32 s43, s7, s5
	s_and_b32 s4, s6, 3
	s_mov_b32 s5, s9
	s_or_b64 s[4:5], s[8:9], s[4:5]
	s_cmp_eq_u64 s[4:5], 0
	s_cbranch_scc1 .LBB114_21
; %bb.1:
	v_cmp_lt_i64_e64 s[4:5], s[42:43], 1
	s_and_b64 vcc, exec, s[4:5]
	s_cbranch_vccnz .LBB114_20
; %bb.2:
	v_mov_b32_e32 v0, 0x10000
	s_load_dword s6, s[26:27], 0xd3c
	v_mov_b32_e32 v1, 0
	v_cmp_lt_i64_e32 vcc, s[42:43], v[0:1]
	v_mov_b32_e32 v27, 0
	s_and_b64 s[4:5], vcc, exec
	s_cselect_b32 s45, s43, 0
	s_cselect_b32 s44, s42, 0x10000
	v_cmp_lt_u64_e32 vcc, s[42:43], v[0:1]
	s_waitcnt lgkmcnt(0)
	s_and_b32 s6, s6, 0xffff
	s_mul_i32 s8, s6, 3
	s_and_b64 s[4:5], vcc, exec
	v_lshlrev_b32_e32 v26, 3, v19
	v_add_co_u32_e32 v29, vcc, s8, v19
	v_mad_u64_u32 v[27:28], s[4:5], s6, 24, v[26:27]
	v_addc_co_u32_e64 v30, s[4:5], 0, 0, vcc
	s_cselect_b32 s47, s43, 0
	s_cselect_b32 s46, s42, 0x10000
	s_lshl_b32 s4, s6, 4
	s_lshl_b32 s7, s6, 1
	v_add_co_u32_e32 v31, vcc, s4, v26
	v_addc_co_u32_e64 v32, s[4:5], 0, 0, vcc
	v_add_co_u32_e32 v33, vcc, s7, v19
	v_addc_co_u32_e64 v34, s[4:5], 0, 0, vcc
	v_add_co_u32_e32 v35, vcc, s6, v19
	s_lshl_b32 s53, s6, 2
	s_lshl_b32 s54, s6, 5
	v_addc_co_u32_e64 v36, s[4:5], 0, 0, vcc
	v_lshlrev_b32_e32 v37, 3, v35
	s_mov_b64 s[48:49], 0
	s_branch .LBB114_4
.LBB114_3:                              ;   in Loop: Header=BB114_4 Depth=1
	s_or_b64 exec, exec, s[28:29]
	s_add_u32 s48, s48, s53
	s_waitcnt vmcnt(0)
	v_mov_b32_e32 v0, s44
	s_addc_u32 s49, s49, 0
	v_mov_b32_e32 v1, s45
	v_cmp_lt_i64_e32 vcc, s[48:49], v[0:1]
	s_add_u32 s33, s33, s54
	s_addc_u32 s52, s52, 0
	s_cbranch_vccz .LBB114_20
.LBB114_4:                              ; =>This Inner Loop Header: Depth=1
	v_mov_b32_e32 v1, s49
	v_add_co_u32_e32 v0, vcc, s48, v19
	v_addc_co_u32_e32 v1, vcc, 0, v1, vcc
	v_cmp_gt_u64_e32 vcc, s[46:47], v[0:1]
	v_mov_b32_e32 v2, 0
	v_mov_b32_e32 v1, 0
	s_and_saveexec_b64 s[6:7], vcc
	s_cbranch_execz .LBB114_6
; %bb.5:                                ;   in Loop: Header=BB114_4 Depth=1
	v_mov_b32_e32 v1, s52
	v_add_co_u32_e64 v0, s[4:5], s33, v26
	v_addc_co_u32_e64 v1, s[4:5], 0, v1, s[4:5]
	global_load_dwordx2 v[1:2], v[0:1], off
.LBB114_6:                              ;   in Loop: Header=BB114_4 Depth=1
	s_or_b64 exec, exec, s[6:7]
	v_mov_b32_e32 v0, s49
	v_add_co_u32_e64 v3, s[4:5], s48, v35
	v_addc_co_u32_e64 v4, s[4:5], v36, v0, s[4:5]
	v_cmp_gt_u64_e64 s[28:29], s[46:47], v[3:4]
	v_mov_b32_e32 v21, 0
	v_mov_b32_e32 v23, 0
	;; [unrolled: 1-line block ×3, first 2 shown]
	s_and_saveexec_b64 s[6:7], s[28:29]
	s_cbranch_execz .LBB114_8
; %bb.7:                                ;   in Loop: Header=BB114_4 Depth=1
	v_mov_b32_e32 v0, s52
	v_add_co_u32_e64 v3, s[4:5], s33, v37
	v_addc_co_u32_e64 v4, s[4:5], 0, v0, s[4:5]
	global_load_dwordx2 v[22:23], v[3:4], off
.LBB114_8:                              ;   in Loop: Header=BB114_4 Depth=1
	s_or_b64 exec, exec, s[6:7]
	v_mov_b32_e32 v0, s49
	v_add_co_u32_e64 v3, s[4:5], s48, v33
	v_addc_co_u32_e64 v4, s[4:5], v34, v0, s[4:5]
	v_cmp_gt_u64_e64 s[34:35], s[46:47], v[3:4]
	v_mov_b32_e32 v20, 0
	s_and_saveexec_b64 s[6:7], s[34:35]
	s_cbranch_execz .LBB114_10
; %bb.9:                                ;   in Loop: Header=BB114_4 Depth=1
	v_mov_b32_e32 v0, s52
	v_add_co_u32_e64 v3, s[4:5], s33, v31
	v_addc_co_u32_e64 v4, s[4:5], v0, v32, s[4:5]
	global_load_dwordx2 v[20:21], v[3:4], off
.LBB114_10:                             ;   in Loop: Header=BB114_4 Depth=1
	s_or_b64 exec, exec, s[6:7]
	v_mov_b32_e32 v0, s49
	v_add_co_u32_e64 v3, s[4:5], s48, v29
	v_addc_co_u32_e64 v4, s[4:5], v30, v0, s[4:5]
	v_cmp_gt_u64_e64 s[36:37], s[46:47], v[3:4]
	v_mov_b32_e32 v25, 0
	v_mov_b32_e32 v24, 0
	s_and_saveexec_b64 s[6:7], s[36:37]
	s_cbranch_execnz .LBB114_15
; %bb.11:                               ;   in Loop: Header=BB114_4 Depth=1
	s_or_b64 exec, exec, s[6:7]
	s_and_saveexec_b64 s[50:51], vcc
	s_cbranch_execnz .LBB114_16
.LBB114_12:                             ;   in Loop: Header=BB114_4 Depth=1
	s_or_b64 exec, exec, s[50:51]
	s_and_saveexec_b64 s[50:51], s[28:29]
	s_cbranch_execnz .LBB114_17
.LBB114_13:                             ;   in Loop: Header=BB114_4 Depth=1
	s_or_b64 exec, exec, s[50:51]
	s_and_saveexec_b64 s[28:29], s[34:35]
	s_cbranch_execnz .LBB114_18
.LBB114_14:                             ;   in Loop: Header=BB114_4 Depth=1
	s_or_b64 exec, exec, s[28:29]
	s_and_saveexec_b64 s[28:29], s[36:37]
	s_cbranch_execz .LBB114_3
	s_branch .LBB114_19
.LBB114_15:                             ;   in Loop: Header=BB114_4 Depth=1
	v_mov_b32_e32 v0, s52
	v_add_co_u32_e64 v3, s[4:5], s33, v27
	v_addc_co_u32_e64 v4, s[4:5], v0, v28, s[4:5]
	global_load_dwordx2 v[24:25], v[3:4], off
	s_or_b64 exec, exec, s[6:7]
	s_and_saveexec_b64 s[50:51], vcc
	s_cbranch_execz .LBB114_12
.LBB114_16:                             ;   in Loop: Header=BB114_4 Depth=1
	s_waitcnt vmcnt(0)
	v_xor_b32_e32 v0, 0x80000000, v2
	s_getpc_b64 s[4:5]
	s_add_u32 s4, s4, _ZN6thrust23THRUST_200600_302600_NS6detail7complex6csinhfERKNS0_7complexIfEE@rel32@lo+4
	s_addc_u32 s5, s5, _ZN6thrust23THRUST_200600_302600_NS6detail7complex6csinhfERKNS0_7complexIfEE@rel32@hi+12
	s_swappc_b64 s[30:31], s[4:5]
	v_xor_b32_e32 v2, 0x80000000, v0
	v_mov_b32_e32 v0, s52
	v_add_co_u32_e32 v3, vcc, s33, v26
	v_addc_co_u32_e32 v4, vcc, 0, v0, vcc
	global_store_dwordx2 v[3:4], v[1:2], off
	s_or_b64 exec, exec, s[50:51]
	s_and_saveexec_b64 s[50:51], s[28:29]
	s_cbranch_execz .LBB114_13
.LBB114_17:                             ;   in Loop: Header=BB114_4 Depth=1
	s_waitcnt vmcnt(0)
	v_xor_b32_e32 v0, 0x80000000, v23
	s_getpc_b64 s[4:5]
	s_add_u32 s4, s4, _ZN6thrust23THRUST_200600_302600_NS6detail7complex6csinhfERKNS0_7complexIfEE@rel32@lo+4
	s_addc_u32 s5, s5, _ZN6thrust23THRUST_200600_302600_NS6detail7complex6csinhfERKNS0_7complexIfEE@rel32@hi+12
	v_mov_b32_e32 v1, v22
	s_swappc_b64 s[30:31], s[4:5]
	v_xor_b32_e32 v2, 0x80000000, v0
	v_mov_b32_e32 v0, s52
	v_add_co_u32_e32 v3, vcc, s33, v37
	v_addc_co_u32_e32 v4, vcc, 0, v0, vcc
	global_store_dwordx2 v[3:4], v[1:2], off
	s_or_b64 exec, exec, s[50:51]
	s_and_saveexec_b64 s[28:29], s[34:35]
	s_cbranch_execz .LBB114_14
.LBB114_18:                             ;   in Loop: Header=BB114_4 Depth=1
	s_waitcnt vmcnt(0)
	v_xor_b32_e32 v0, 0x80000000, v21
	s_getpc_b64 s[4:5]
	s_add_u32 s4, s4, _ZN6thrust23THRUST_200600_302600_NS6detail7complex6csinhfERKNS0_7complexIfEE@rel32@lo+4
	s_addc_u32 s5, s5, _ZN6thrust23THRUST_200600_302600_NS6detail7complex6csinhfERKNS0_7complexIfEE@rel32@hi+12
	v_mov_b32_e32 v1, v20
	s_swappc_b64 s[30:31], s[4:5]
	v_xor_b32_e32 v2, 0x80000000, v0
	v_mov_b32_e32 v0, s52
	v_add_co_u32_e32 v3, vcc, s33, v31
	v_addc_co_u32_e32 v4, vcc, v0, v32, vcc
	global_store_dwordx2 v[3:4], v[1:2], off
	s_or_b64 exec, exec, s[28:29]
	s_and_saveexec_b64 s[28:29], s[36:37]
	s_cbranch_execz .LBB114_3
.LBB114_19:                             ;   in Loop: Header=BB114_4 Depth=1
	s_waitcnt vmcnt(0)
	v_xor_b32_e32 v0, 0x80000000, v25
	s_getpc_b64 s[4:5]
	s_add_u32 s4, s4, _ZN6thrust23THRUST_200600_302600_NS6detail7complex6csinhfERKNS0_7complexIfEE@rel32@lo+4
	s_addc_u32 s5, s5, _ZN6thrust23THRUST_200600_302600_NS6detail7complex6csinhfERKNS0_7complexIfEE@rel32@hi+12
	v_mov_b32_e32 v1, v24
	s_swappc_b64 s[30:31], s[4:5]
	v_xor_b32_e32 v2, 0x80000000, v0
	v_mov_b32_e32 v0, s52
	v_add_co_u32_e32 v3, vcc, s33, v27
	v_addc_co_u32_e32 v4, vcc, v0, v28, vcc
	global_store_dwordx2 v[3:4], v[1:2], off
	s_branch .LBB114_3
.LBB114_20:
	s_cbranch_execz .LBB114_22
	s_branch .LBB114_25
.LBB114_21:
.LBB114_22:
	v_mov_b32_e32 v0, 0x10000
	v_mov_b32_e32 v1, 0
	v_cmp_lt_i64_e32 vcc, s[42:43], v[0:1]
	v_mov_b32_e32 v1, 0
	s_and_b64 s[4:5], vcc, exec
	s_cselect_b32 s29, s43, 0
	s_cselect_b32 s28, s42, 0x10000
	v_lshlrev_b32_e32 v0, 2, v19
	v_cmp_gt_i64_e32 vcc, s[28:29], v[0:1]
	s_and_saveexec_b64 s[4:5], vcc
	s_cbranch_execz .LBB114_25
; %bb.23:
	s_load_dword s4, s[26:27], 0xd3c
	v_lshlrev_b32_e32 v0, 5, v19
	v_mov_b32_e32 v20, v1
	s_mov_b64 s[26:27], 0
	s_waitcnt lgkmcnt(0)
	s_and_b32 s33, s4, 0xffff
	s_add_u32 s4, s38, s40
	s_addc_u32 s5, s39, s41
	v_mov_b32_e32 v1, s5
	v_add_co_u32_e32 v29, vcc, s4, v0
	v_addc_co_u32_e32 v30, vcc, 0, v1, vcc
	s_lshl_b32 s34, s33, 5
.LBB114_24:                             ; =>This Inner Loop Header: Depth=1
	global_load_dwordx4 v[21:24], v[29:30], off
	global_load_dwordx4 v[25:28], v[29:30], off offset:16
	s_getpc_b64 s[36:37]
	s_add_u32 s36, s36, _ZN6thrust23THRUST_200600_302600_NS6detail7complex6csinhfERKNS0_7complexIfEE@rel32@lo+4
	s_addc_u32 s37, s37, _ZN6thrust23THRUST_200600_302600_NS6detail7complex6csinhfERKNS0_7complexIfEE@rel32@hi+12
	s_waitcnt vmcnt(1)
	v_xor_b32_e32 v0, 0x80000000, v22
	v_mov_b32_e32 v1, v21
	s_swappc_b64 s[30:31], s[36:37]
	v_mov_b32_e32 v21, v1
	v_xor_b32_e32 v22, 0x80000000, v0
	v_xor_b32_e32 v0, 0x80000000, v24
	v_mov_b32_e32 v1, v23
	s_swappc_b64 s[30:31], s[36:37]
	v_mov_b32_e32 v23, v1
	v_xor_b32_e32 v24, 0x80000000, v0
	;; [unrolled: 5-line block ×3, first 2 shown]
	v_xor_b32_e32 v0, 0x80000000, v28
	v_mov_b32_e32 v1, v27
	s_swappc_b64 s[30:31], s[36:37]
	v_add_co_u32_e32 v19, vcc, s33, v19
	v_addc_co_u32_e32 v20, vcc, 0, v20, vcc
	v_mov_b32_e32 v27, v1
	v_xor_b32_e32 v28, 0x80000000, v0
	v_lshlrev_b64 v[0:1], 2, v[19:20]
	global_store_dwordx4 v[29:30], v[21:24], off
	v_cmp_le_i64_e64 s[4:5], s[28:29], v[0:1]
	global_store_dwordx4 v[29:30], v[25:28], off offset:16
	v_add_co_u32_e32 v29, vcc, s34, v29
	s_or_b64 s[26:27], s[4:5], s[26:27]
	v_addc_co_u32_e32 v30, vcc, 0, v30, vcc
	s_andn2_b64 exec, exec, s[26:27]
	s_cbranch_execnz .LBB114_24
.LBB114_25:
	s_endpgm
	.section	.rodata,"a",@progbits
	.p2align	6, 0x0
	.amdhsa_kernel _ZN2at6native12_GLOBAL__N_125multi_tensor_apply_kernelINS1_18TensorListMetadataILi1EEENS1_14UnaryOpFunctorIN3c107complexIfEELi1ELi1ELi0EEEJNS0_3SinIS8_EEEEEvT_T0_DpT1_
		.amdhsa_group_segment_fixed_size 0
		.amdhsa_private_segment_fixed_size 0
		.amdhsa_kernarg_size 3632
		.amdhsa_user_sgpr_count 6
		.amdhsa_user_sgpr_private_segment_buffer 1
		.amdhsa_user_sgpr_dispatch_ptr 0
		.amdhsa_user_sgpr_queue_ptr 0
		.amdhsa_user_sgpr_kernarg_segment_ptr 1
		.amdhsa_user_sgpr_dispatch_id 0
		.amdhsa_user_sgpr_flat_scratch_init 0
		.amdhsa_user_sgpr_private_segment_size 0
		.amdhsa_uses_dynamic_stack 0
		.amdhsa_system_sgpr_private_segment_wavefront_offset 0
		.amdhsa_system_sgpr_workgroup_id_x 1
		.amdhsa_system_sgpr_workgroup_id_y 0
		.amdhsa_system_sgpr_workgroup_id_z 0
		.amdhsa_system_sgpr_workgroup_info 0
		.amdhsa_system_vgpr_workitem_id 0
		.amdhsa_next_free_vgpr 38
		.amdhsa_next_free_sgpr 55
		.amdhsa_reserve_vcc 1
		.amdhsa_reserve_flat_scratch 0
		.amdhsa_float_round_mode_32 0
		.amdhsa_float_round_mode_16_64 0
		.amdhsa_float_denorm_mode_32 3
		.amdhsa_float_denorm_mode_16_64 3
		.amdhsa_dx10_clamp 1
		.amdhsa_ieee_mode 1
		.amdhsa_fp16_overflow 0
		.amdhsa_exception_fp_ieee_invalid_op 0
		.amdhsa_exception_fp_denorm_src 0
		.amdhsa_exception_fp_ieee_div_zero 0
		.amdhsa_exception_fp_ieee_overflow 0
		.amdhsa_exception_fp_ieee_underflow 0
		.amdhsa_exception_fp_ieee_inexact 0
		.amdhsa_exception_int_div_zero 0
	.end_amdhsa_kernel
	.section	.text._ZN2at6native12_GLOBAL__N_125multi_tensor_apply_kernelINS1_18TensorListMetadataILi1EEENS1_14UnaryOpFunctorIN3c107complexIfEELi1ELi1ELi0EEEJNS0_3SinIS8_EEEEEvT_T0_DpT1_,"axG",@progbits,_ZN2at6native12_GLOBAL__N_125multi_tensor_apply_kernelINS1_18TensorListMetadataILi1EEENS1_14UnaryOpFunctorIN3c107complexIfEELi1ELi1ELi0EEEJNS0_3SinIS8_EEEEEvT_T0_DpT1_,comdat
.Lfunc_end114:
	.size	_ZN2at6native12_GLOBAL__N_125multi_tensor_apply_kernelINS1_18TensorListMetadataILi1EEENS1_14UnaryOpFunctorIN3c107complexIfEELi1ELi1ELi0EEEJNS0_3SinIS8_EEEEEvT_T0_DpT1_, .Lfunc_end114-_ZN2at6native12_GLOBAL__N_125multi_tensor_apply_kernelINS1_18TensorListMetadataILi1EEENS1_14UnaryOpFunctorIN3c107complexIfEELi1ELi1ELi0EEEJNS0_3SinIS8_EEEEEvT_T0_DpT1_
                                        ; -- End function
	.set _ZN2at6native12_GLOBAL__N_125multi_tensor_apply_kernelINS1_18TensorListMetadataILi1EEENS1_14UnaryOpFunctorIN3c107complexIfEELi1ELi1ELi0EEEJNS0_3SinIS8_EEEEEvT_T0_DpT1_.num_vgpr, max(38, .L_ZN6thrust23THRUST_200600_302600_NS6detail7complex6csinhfERKNS0_7complexIfEE.num_vgpr)
	.set _ZN2at6native12_GLOBAL__N_125multi_tensor_apply_kernelINS1_18TensorListMetadataILi1EEENS1_14UnaryOpFunctorIN3c107complexIfEELi1ELi1ELi0EEEJNS0_3SinIS8_EEEEEvT_T0_DpT1_.num_agpr, max(0, .L_ZN6thrust23THRUST_200600_302600_NS6detail7complex6csinhfERKNS0_7complexIfEE.num_agpr)
	.set _ZN2at6native12_GLOBAL__N_125multi_tensor_apply_kernelINS1_18TensorListMetadataILi1EEENS1_14UnaryOpFunctorIN3c107complexIfEELi1ELi1ELi0EEEJNS0_3SinIS8_EEEEEvT_T0_DpT1_.numbered_sgpr, max(55, .L_ZN6thrust23THRUST_200600_302600_NS6detail7complex6csinhfERKNS0_7complexIfEE.numbered_sgpr)
	.set _ZN2at6native12_GLOBAL__N_125multi_tensor_apply_kernelINS1_18TensorListMetadataILi1EEENS1_14UnaryOpFunctorIN3c107complexIfEELi1ELi1ELi0EEEJNS0_3SinIS8_EEEEEvT_T0_DpT1_.num_named_barrier, max(0, .L_ZN6thrust23THRUST_200600_302600_NS6detail7complex6csinhfERKNS0_7complexIfEE.num_named_barrier)
	.set _ZN2at6native12_GLOBAL__N_125multi_tensor_apply_kernelINS1_18TensorListMetadataILi1EEENS1_14UnaryOpFunctorIN3c107complexIfEELi1ELi1ELi0EEEJNS0_3SinIS8_EEEEEvT_T0_DpT1_.private_seg_size, 0+max(.L_ZN6thrust23THRUST_200600_302600_NS6detail7complex6csinhfERKNS0_7complexIfEE.private_seg_size)
	.set _ZN2at6native12_GLOBAL__N_125multi_tensor_apply_kernelINS1_18TensorListMetadataILi1EEENS1_14UnaryOpFunctorIN3c107complexIfEELi1ELi1ELi0EEEJNS0_3SinIS8_EEEEEvT_T0_DpT1_.uses_vcc, or(1, .L_ZN6thrust23THRUST_200600_302600_NS6detail7complex6csinhfERKNS0_7complexIfEE.uses_vcc)
	.set _ZN2at6native12_GLOBAL__N_125multi_tensor_apply_kernelINS1_18TensorListMetadataILi1EEENS1_14UnaryOpFunctorIN3c107complexIfEELi1ELi1ELi0EEEJNS0_3SinIS8_EEEEEvT_T0_DpT1_.uses_flat_scratch, or(0, .L_ZN6thrust23THRUST_200600_302600_NS6detail7complex6csinhfERKNS0_7complexIfEE.uses_flat_scratch)
	.set _ZN2at6native12_GLOBAL__N_125multi_tensor_apply_kernelINS1_18TensorListMetadataILi1EEENS1_14UnaryOpFunctorIN3c107complexIfEELi1ELi1ELi0EEEJNS0_3SinIS8_EEEEEvT_T0_DpT1_.has_dyn_sized_stack, or(0, .L_ZN6thrust23THRUST_200600_302600_NS6detail7complex6csinhfERKNS0_7complexIfEE.has_dyn_sized_stack)
	.set _ZN2at6native12_GLOBAL__N_125multi_tensor_apply_kernelINS1_18TensorListMetadataILi1EEENS1_14UnaryOpFunctorIN3c107complexIfEELi1ELi1ELi0EEEJNS0_3SinIS8_EEEEEvT_T0_DpT1_.has_recursion, or(0, .L_ZN6thrust23THRUST_200600_302600_NS6detail7complex6csinhfERKNS0_7complexIfEE.has_recursion)
	.set _ZN2at6native12_GLOBAL__N_125multi_tensor_apply_kernelINS1_18TensorListMetadataILi1EEENS1_14UnaryOpFunctorIN3c107complexIfEELi1ELi1ELi0EEEJNS0_3SinIS8_EEEEEvT_T0_DpT1_.has_indirect_call, or(0, .L_ZN6thrust23THRUST_200600_302600_NS6detail7complex6csinhfERKNS0_7complexIfEE.has_indirect_call)
	.section	.AMDGPU.csdata,"",@progbits
; Kernel info:
; codeLenInByte = 1368
; TotalNumSgprs: 59
; NumVgprs: 38
; ScratchSize: 0
; MemoryBound: 0
; FloatMode: 240
; IeeeMode: 1
; LDSByteSize: 0 bytes/workgroup (compile time only)
; SGPRBlocks: 7
; VGPRBlocks: 9
; NumSGPRsForWavesPerEU: 59
; NumVGPRsForWavesPerEU: 38
; Occupancy: 6
; WaveLimiterHint : 0
; COMPUTE_PGM_RSRC2:SCRATCH_EN: 0
; COMPUTE_PGM_RSRC2:USER_SGPR: 6
; COMPUTE_PGM_RSRC2:TRAP_HANDLER: 0
; COMPUTE_PGM_RSRC2:TGID_X_EN: 1
; COMPUTE_PGM_RSRC2:TGID_Y_EN: 0
; COMPUTE_PGM_RSRC2:TGID_Z_EN: 0
; COMPUTE_PGM_RSRC2:TIDIG_COMP_CNT: 0
	.section	.text._ZN2at6native12_GLOBAL__N_125multi_tensor_apply_kernelINS1_18TensorListMetadataILi1EEENS1_14UnaryOpFunctorIN3c104HalfELi1ELi1ELi0EEEJNS0_3SinIfEEEEEvT_T0_DpT1_,"axG",@progbits,_ZN2at6native12_GLOBAL__N_125multi_tensor_apply_kernelINS1_18TensorListMetadataILi1EEENS1_14UnaryOpFunctorIN3c104HalfELi1ELi1ELi0EEEJNS0_3SinIfEEEEEvT_T0_DpT1_,comdat
	.globl	_ZN2at6native12_GLOBAL__N_125multi_tensor_apply_kernelINS1_18TensorListMetadataILi1EEENS1_14UnaryOpFunctorIN3c104HalfELi1ELi1ELi0EEEJNS0_3SinIfEEEEEvT_T0_DpT1_ ; -- Begin function _ZN2at6native12_GLOBAL__N_125multi_tensor_apply_kernelINS1_18TensorListMetadataILi1EEENS1_14UnaryOpFunctorIN3c104HalfELi1ELi1ELi0EEEJNS0_3SinIfEEEEEvT_T0_DpT1_
	.p2align	8
	.type	_ZN2at6native12_GLOBAL__N_125multi_tensor_apply_kernelINS1_18TensorListMetadataILi1EEENS1_14UnaryOpFunctorIN3c104HalfELi1ELi1ELi0EEEJNS0_3SinIfEEEEEvT_T0_DpT1_,@function
_ZN2at6native12_GLOBAL__N_125multi_tensor_apply_kernelINS1_18TensorListMetadataILi1EEENS1_14UnaryOpFunctorIN3c104HalfELi1ELi1ELi0EEEJNS0_3SinIfEEEEEvT_T0_DpT1_: ; @_ZN2at6native12_GLOBAL__N_125multi_tensor_apply_kernelINS1_18TensorListMetadataILi1EEENS1_14UnaryOpFunctorIN3c104HalfELi1ELi1ELi0EEEJNS0_3SinIfEEEEEvT_T0_DpT1_
; %bb.0:
	v_mov_b32_e32 v1, s6
	global_load_ubyte v1, v1, s[4:5] offset:1760
	s_add_u32 s0, s4, s6
	s_mul_hi_u32 s1, s6, 3
	s_mul_i32 s6, s6, 3
	s_addc_u32 s2, s5, 0
	s_add_u32 s0, s0, s6
	s_addc_u32 s1, s2, s1
	s_load_dword s0, s[0:1], 0x820
	s_mov_b32 s7, 0
	s_waitcnt vmcnt(0)
	v_readfirstlane_b32 s1, v1
	s_lshl_b32 s1, s1, 3
	s_load_dwordx2 s[2:3], s[4:5], s1 offset:0x370
	s_load_dwordx2 s[16:17], s[4:5], s1 offset:0x0
	s_waitcnt lgkmcnt(0)
	s_ashr_i32 s1, s0, 31
	s_lshl_b64 s[18:19], s[0:1], 17
	s_lshl_b64 s[0:1], s[0:1], 16
	s_and_b32 s6, s16, 7
	s_sub_u32 s20, s2, s0
	s_subb_u32 s21, s3, s1
	s_and_b32 s0, s2, 3
	s_mov_b32 s1, s7
	s_or_b64 s[0:1], s[6:7], s[0:1]
	s_cmp_eq_u64 s[0:1], 0
	s_cbranch_scc1 .LBB115_37
; %bb.1:
	v_cmp_lt_i64_e64 s[0:1], s[20:21], 1
	s_and_b64 vcc, exec, s[0:1]
	s_cbranch_vccnz .LBB115_36
; %bb.2:
	v_mov_b32_e32 v3, 0x10000
	s_load_dword s2, s[4:5], 0xd3c
	v_mov_b32_e32 v4, 0
	v_cmp_lt_i64_e32 vcc, s[20:21], v[3:4]
	v_lshlrev_b32_e32 v1, 1, v0
	s_and_b64 s[0:1], vcc, exec
	v_cmp_lt_u64_e32 vcc, s[20:21], v[3:4]
	s_cselect_b32 s23, s21, 0
	s_cselect_b32 s22, s20, 0x10000
	s_waitcnt lgkmcnt(0)
	s_and_b32 s2, s2, 0xffff
	s_and_b64 s[0:1], vcc, exec
	s_cselect_b32 s25, s21, 0
	s_cselect_b32 s24, s20, 0x10000
	s_lshl_b32 s3, s2, 1
	s_lshl_b32 s30, s2, 2
	s_add_u32 s6, s16, s18
	s_addc_u32 s7, s17, s19
	v_mov_b32_e32 v4, s7
	v_add_co_u32_e32 v3, vcc, s6, v1
	s_mul_i32 s0, s2, 3
	v_addc_co_u32_e32 v4, vcc, 0, v4, vcc
	v_add_co_u32_e32 v7, vcc, s0, v0
	v_addc_co_u32_e64 v8, s[0:1], 0, 0, vcc
	v_add_co_u32_e32 v9, vcc, s3, v0
	v_addc_co_u32_e64 v10, s[0:1], 0, 0, vcc
	v_add_co_u32_e32 v11, vcc, s2, v0
	v_lshlrev_b32_e32 v1, 1, v11
	v_addc_co_u32_e64 v12, s[0:1], 0, 0, vcc
	v_mov_b32_e32 v6, s7
	v_add_co_u32_e32 v5, vcc, s6, v1
	v_mov_b32_e32 v2, 0
	s_lshl_b32 s31, s2, 3
	s_mul_i32 s33, s2, 6
	v_addc_co_u32_e32 v6, vcc, 0, v6, vcc
	s_mov_b64 s[26:27], 0
	s_brev_b32 s34, 18
	s_mov_b32 s35, 0xfe5163ab
	s_mov_b32 s36, 0x3c439041
	;; [unrolled: 1-line block ×10, first 2 shown]
	v_mov_b32_e32 v13, 0xbe2aaa9d
	v_mov_b32_e32 v14, 0x3d2aabf7
	;; [unrolled: 1-line block ×3, first 2 shown]
	s_movk_i32 s45, 0x1f8
	v_not_b32_e32 v16, 63
	v_not_b32_e32 v17, 31
	v_mov_b32_e32 v18, 0x7fc00000
	s_branch .LBB115_4
.LBB115_3:                              ;   in Loop: Header=BB115_4 Depth=1
	s_or_b64 exec, exec, s[0:1]
	s_add_u32 s26, s26, s30
	v_add_co_u32_e32 v3, vcc, s31, v3
	v_mov_b32_e32 v19, s22
	s_addc_u32 s27, s27, 0
	v_addc_co_u32_e32 v4, vcc, 0, v4, vcc
	v_mov_b32_e32 v20, s23
	v_cmp_ge_i64_e32 vcc, s[26:27], v[19:20]
	v_add_co_u32_e64 v5, s[0:1], s31, v5
	v_addc_co_u32_e64 v6, s[0:1], 0, v6, s[0:1]
	s_cbranch_vccnz .LBB115_36
.LBB115_4:                              ; =>This Inner Loop Header: Depth=1
	v_mov_b32_e32 v1, s27
	v_add_co_u32_e32 v19, vcc, s26, v0
	v_addc_co_u32_e32 v20, vcc, 0, v1, vcc
	v_cmp_gt_u64_e64 s[6:7], s[24:25], v[19:20]
	v_mov_b32_e32 v22, 0
	s_and_saveexec_b64 s[0:1], s[6:7]
	s_cbranch_execz .LBB115_6
; %bb.5:                                ;   in Loop: Header=BB115_4 Depth=1
	global_load_ushort v1, v[3:4], off
	s_waitcnt vmcnt(0)
	v_cvt_f32_f16_e32 v22, v1
.LBB115_6:                              ;   in Loop: Header=BB115_4 Depth=1
	s_or_b64 exec, exec, s[0:1]
	v_mov_b32_e32 v1, s27
	v_add_co_u32_e32 v19, vcc, s26, v11
	v_addc_co_u32_e32 v20, vcc, v12, v1, vcc
	v_cmp_gt_u64_e64 s[2:3], s[24:25], v[19:20]
	v_mov_b32_e32 v19, 0
	v_mov_b32_e32 v21, 0
	s_and_saveexec_b64 s[0:1], s[2:3]
	s_cbranch_execz .LBB115_8
; %bb.7:                                ;   in Loop: Header=BB115_4 Depth=1
	global_load_ushort v1, v[5:6], off
	s_waitcnt vmcnt(0)
	v_cvt_f32_f16_e32 v21, v1
.LBB115_8:                              ;   in Loop: Header=BB115_4 Depth=1
	s_or_b64 exec, exec, s[0:1]
	v_mov_b32_e32 v1, s27
	v_add_co_u32_e32 v23, vcc, s26, v9
	v_addc_co_u32_e32 v24, vcc, v10, v1, vcc
	v_cmp_gt_u64_e64 s[0:1], s[24:25], v[23:24]
	s_and_saveexec_b64 s[8:9], s[0:1]
	s_cbranch_execz .LBB115_10
; %bb.9:                                ;   in Loop: Header=BB115_4 Depth=1
	v_add_co_u32_e32 v19, vcc, s30, v3
	v_addc_co_u32_e32 v20, vcc, 0, v4, vcc
	global_load_ushort v1, v[19:20], off
	s_waitcnt vmcnt(0)
	v_cvt_f32_f16_e32 v19, v1
.LBB115_10:                             ;   in Loop: Header=BB115_4 Depth=1
	s_or_b64 exec, exec, s[8:9]
	v_mov_b32_e32 v1, s27
	v_add_co_u32_e32 v23, vcc, s26, v7
	v_addc_co_u32_e32 v24, vcc, v8, v1, vcc
	v_cmp_gt_u64_e32 vcc, s[24:25], v[23:24]
	v_mov_b32_e32 v20, 0
	s_and_saveexec_b64 s[10:11], vcc
	s_cbranch_execz .LBB115_12
; %bb.11:                               ;   in Loop: Header=BB115_4 Depth=1
	v_add_co_u32_e64 v23, s[8:9], s33, v3
	v_addc_co_u32_e64 v24, s[8:9], 0, v4, s[8:9]
	global_load_ushort v1, v[23:24], off
	s_waitcnt vmcnt(0)
	v_cvt_f32_f16_e32 v20, v1
.LBB115_12:                             ;   in Loop: Header=BB115_4 Depth=1
	s_or_b64 exec, exec, s[10:11]
	v_and_b32_e32 v23, 0x7fffffff, v22
	v_cmp_nlt_f32_e64 s[8:9], |v22|, s34
                                        ; implicit-def: $vgpr24
                                        ; implicit-def: $vgpr25
	s_and_saveexec_b64 s[10:11], s[8:9]
	s_xor_b64 s[28:29], exec, s[10:11]
	s_cbranch_execz .LBB115_14
; %bb.13:                               ;   in Loop: Header=BB115_4 Depth=1
	v_and_b32_e32 v1, 0x7fffff, v23
	v_or_b32_e32 v31, 0x800000, v1
	v_mad_u64_u32 v[24:25], s[8:9], v31, s35, 0
	v_mov_b32_e32 v1, v25
	v_mad_u64_u32 v[25:26], s[8:9], v31, s36, v[1:2]
	v_mov_b32_e32 v1, v26
	;; [unrolled: 2-line block ×3, first 2 shown]
	v_mad_u64_u32 v[27:28], s[8:9], v31, s38, v[1:2]
	v_lshrrev_b32_e32 v1, 23, v23
	v_add_u32_e32 v30, 0xffffff88, v1
	v_mov_b32_e32 v1, v28
	v_mad_u64_u32 v[28:29], s[8:9], v31, s39, v[1:2]
	v_cmp_lt_u32_e64 s[8:9], 63, v30
	v_cndmask_b32_e64 v1, 0, v16, s[8:9]
	v_add_u32_e32 v32, v1, v30
	v_mov_b32_e32 v1, v29
	v_mad_u64_u32 v[29:30], s[10:11], v31, s40, v[1:2]
	v_cmp_lt_u32_e64 s[10:11], 31, v32
	v_cndmask_b32_e64 v1, 0, v17, s[10:11]
	;; [unrolled: 5-line block ×3, first 2 shown]
	v_add_u32_e32 v1, v1, v32
	v_cndmask_b32_e64 v32, v29, v27, s[8:9]
	v_cndmask_b32_e64 v30, v30, v28, s[8:9]
	;; [unrolled: 1-line block ×10, first 2 shown]
	v_sub_u32_e32 v32, 32, v1
	v_cndmask_b32_e64 v27, v28, v25, s[10:11]
	v_alignbit_b32 v33, v29, v31, v32
	v_cmp_eq_u32_e64 s[14:15], 0, v1
	v_cndmask_b32_e64 v28, v30, v27, s[12:13]
	v_cndmask_b32_e64 v1, v33, v29, s[14:15]
	v_alignbit_b32 v29, v31, v28, v32
	v_cndmask_b32_e64 v24, v26, v24, s[8:9]
	v_cndmask_b32_e64 v29, v29, v31, s[14:15]
	v_bfe_u32 v33, v1, 29, 1
	v_cndmask_b32_e64 v24, v25, v24, s[10:11]
	v_alignbit_b32 v30, v1, v29, 30
	v_sub_u32_e32 v34, 0, v33
	v_cndmask_b32_e64 v24, v27, v24, s[12:13]
	v_xor_b32_e32 v30, v30, v34
	v_alignbit_b32 v25, v28, v24, v32
	v_cndmask_b32_e64 v25, v25, v28, s[14:15]
	v_ffbh_u32_e32 v27, v30
	v_alignbit_b32 v26, v29, v25, 30
	v_min_u32_e32 v27, 32, v27
	v_alignbit_b32 v24, v25, v24, 30
	v_xor_b32_e32 v26, v26, v34
	v_sub_u32_e32 v28, 31, v27
	v_xor_b32_e32 v24, v24, v34
	v_alignbit_b32 v29, v30, v26, v28
	v_alignbit_b32 v24, v26, v24, v28
	;; [unrolled: 1-line block ×3, first 2 shown]
	v_ffbh_u32_e32 v26, v25
	v_min_u32_e32 v26, 32, v26
	v_lshrrev_b32_e32 v31, 29, v1
	v_not_b32_e32 v28, v26
	v_alignbit_b32 v24, v25, v24, v28
	v_lshlrev_b32_e32 v25, 31, v31
	v_or_b32_e32 v28, 0x33000000, v25
	v_add_lshl_u32 v26, v26, v27, 23
	v_lshrrev_b32_e32 v24, 9, v24
	v_sub_u32_e32 v26, v28, v26
	v_or_b32_e32 v25, 0.5, v25
	v_lshlrev_b32_e32 v27, 23, v27
	v_or_b32_e32 v24, v26, v24
	v_lshrrev_b32_e32 v26, 9, v29
	v_sub_u32_e32 v25, v25, v27
	v_or_b32_e32 v25, v26, v25
	v_mul_f32_e32 v26, 0x3fc90fda, v25
	v_fma_f32 v27, v25, s42, -v26
	v_fmac_f32_e32 v27, 0x33a22168, v25
	v_fmac_f32_e32 v27, 0x3fc90fda, v24
	v_lshrrev_b32_e32 v1, 30, v1
	v_add_f32_e32 v25, v26, v27
	v_add_u32_e32 v24, v33, v1
.LBB115_14:                             ;   in Loop: Header=BB115_4 Depth=1
	s_andn2_saveexec_b64 s[8:9], s[28:29]
; %bb.15:                               ;   in Loop: Header=BB115_4 Depth=1
	v_mul_f32_e64 v1, |v22|, s43
	v_rndne_f32_e32 v1, v1
	v_cvt_i32_f32_e32 v24, v1
	v_fma_f32 v25, v1, s44, |v22|
	v_fmac_f32_e32 v25, 0xb3a22168, v1
	v_fmac_f32_e32 v25, 0xa7c234c4, v1
; %bb.16:                               ;   in Loop: Header=BB115_4 Depth=1
	s_or_b64 exec, exec, s[8:9]
	v_and_b32_e32 v26, 0x7fffffff, v21
	v_cmp_nlt_f32_e64 s[8:9], |v21|, s34
                                        ; implicit-def: $vgpr27
                                        ; implicit-def: $vgpr28
	s_and_saveexec_b64 s[10:11], s[8:9]
	s_xor_b64 s[28:29], exec, s[10:11]
	s_cbranch_execz .LBB115_18
; %bb.17:                               ;   in Loop: Header=BB115_4 Depth=1
	v_and_b32_e32 v1, 0x7fffff, v26
	v_or_b32_e32 v34, 0x800000, v1
	v_mad_u64_u32 v[27:28], s[8:9], v34, s35, 0
	v_mov_b32_e32 v1, v28
	v_mad_u64_u32 v[28:29], s[8:9], v34, s36, v[1:2]
	v_mov_b32_e32 v1, v29
	;; [unrolled: 2-line block ×3, first 2 shown]
	v_mad_u64_u32 v[30:31], s[8:9], v34, s38, v[1:2]
	v_lshrrev_b32_e32 v1, 23, v26
	v_add_u32_e32 v33, 0xffffff88, v1
	v_mov_b32_e32 v1, v31
	v_mad_u64_u32 v[31:32], s[8:9], v34, s39, v[1:2]
	v_cmp_lt_u32_e64 s[8:9], 63, v33
	v_cndmask_b32_e64 v1, 0, v16, s[8:9]
	v_add_u32_e32 v35, v1, v33
	v_mov_b32_e32 v1, v32
	v_mad_u64_u32 v[32:33], s[10:11], v34, s40, v[1:2]
	v_cmp_lt_u32_e64 s[10:11], 31, v35
	v_cndmask_b32_e64 v1, 0, v17, s[10:11]
	;; [unrolled: 5-line block ×3, first 2 shown]
	v_add_u32_e32 v1, v1, v35
	v_cndmask_b32_e64 v35, v32, v30, s[8:9]
	v_cndmask_b32_e64 v33, v33, v31, s[8:9]
	v_cndmask_b32_e64 v32, v34, v32, s[8:9]
	v_cndmask_b32_e64 v31, v31, v29, s[8:9]
	v_cndmask_b32_e64 v34, v33, v35, s[10:11]
	v_cndmask_b32_e64 v32, v32, v33, s[10:11]
	v_cndmask_b32_e64 v33, v35, v31, s[10:11]
	v_cndmask_b32_e64 v28, v30, v28, s[8:9]
	v_cndmask_b32_e64 v32, v32, v34, s[12:13]
	v_cndmask_b32_e64 v34, v34, v33, s[12:13]
	v_sub_u32_e32 v35, 32, v1
	v_cndmask_b32_e64 v30, v31, v28, s[10:11]
	v_alignbit_b32 v36, v32, v34, v35
	v_cmp_eq_u32_e64 s[14:15], 0, v1
	v_cndmask_b32_e64 v31, v33, v30, s[12:13]
	v_cndmask_b32_e64 v1, v36, v32, s[14:15]
	v_alignbit_b32 v32, v34, v31, v35
	v_cndmask_b32_e64 v27, v29, v27, s[8:9]
	v_cndmask_b32_e64 v32, v32, v34, s[14:15]
	v_bfe_u32 v36, v1, 29, 1
	v_cndmask_b32_e64 v27, v28, v27, s[10:11]
	v_alignbit_b32 v33, v1, v32, 30
	v_sub_u32_e32 v37, 0, v36
	v_cndmask_b32_e64 v27, v30, v27, s[12:13]
	v_xor_b32_e32 v33, v33, v37
	v_alignbit_b32 v28, v31, v27, v35
	v_cndmask_b32_e64 v28, v28, v31, s[14:15]
	v_ffbh_u32_e32 v30, v33
	v_alignbit_b32 v29, v32, v28, 30
	v_min_u32_e32 v30, 32, v30
	v_alignbit_b32 v27, v28, v27, 30
	v_xor_b32_e32 v29, v29, v37
	v_sub_u32_e32 v31, 31, v30
	v_xor_b32_e32 v27, v27, v37
	v_alignbit_b32 v32, v33, v29, v31
	v_alignbit_b32 v27, v29, v27, v31
	;; [unrolled: 1-line block ×3, first 2 shown]
	v_ffbh_u32_e32 v29, v28
	v_min_u32_e32 v29, 32, v29
	v_lshrrev_b32_e32 v34, 29, v1
	v_not_b32_e32 v31, v29
	v_alignbit_b32 v27, v28, v27, v31
	v_lshlrev_b32_e32 v28, 31, v34
	v_or_b32_e32 v31, 0x33000000, v28
	v_add_lshl_u32 v29, v29, v30, 23
	v_lshrrev_b32_e32 v27, 9, v27
	v_sub_u32_e32 v29, v31, v29
	v_or_b32_e32 v28, 0.5, v28
	v_lshlrev_b32_e32 v30, 23, v30
	v_or_b32_e32 v27, v29, v27
	v_lshrrev_b32_e32 v29, 9, v32
	v_sub_u32_e32 v28, v28, v30
	v_or_b32_e32 v28, v29, v28
	v_mul_f32_e32 v29, 0x3fc90fda, v28
	v_fma_f32 v30, v28, s42, -v29
	v_fmac_f32_e32 v30, 0x33a22168, v28
	v_fmac_f32_e32 v30, 0x3fc90fda, v27
	v_lshrrev_b32_e32 v1, 30, v1
	v_add_f32_e32 v28, v29, v30
	v_add_u32_e32 v27, v36, v1
.LBB115_18:                             ;   in Loop: Header=BB115_4 Depth=1
	s_andn2_saveexec_b64 s[8:9], s[28:29]
; %bb.19:                               ;   in Loop: Header=BB115_4 Depth=1
	v_mul_f32_e64 v1, |v21|, s43
	v_rndne_f32_e32 v1, v1
	v_cvt_i32_f32_e32 v27, v1
	v_fma_f32 v28, v1, s44, |v21|
	v_fmac_f32_e32 v28, 0xb3a22168, v1
	v_fmac_f32_e32 v28, 0xa7c234c4, v1
; %bb.20:                               ;   in Loop: Header=BB115_4 Depth=1
	s_or_b64 exec, exec, s[8:9]
	v_and_b32_e32 v29, 0x7fffffff, v19
	v_cmp_nlt_f32_e64 s[8:9], |v19|, s34
                                        ; implicit-def: $vgpr30
                                        ; implicit-def: $vgpr31
	s_and_saveexec_b64 s[10:11], s[8:9]
	s_xor_b64 s[28:29], exec, s[10:11]
	s_cbranch_execz .LBB115_22
; %bb.21:                               ;   in Loop: Header=BB115_4 Depth=1
	v_and_b32_e32 v1, 0x7fffff, v29
	v_or_b32_e32 v37, 0x800000, v1
	v_mad_u64_u32 v[30:31], s[8:9], v37, s35, 0
	v_mov_b32_e32 v1, v31
	v_mad_u64_u32 v[31:32], s[8:9], v37, s36, v[1:2]
	v_mov_b32_e32 v1, v32
	;; [unrolled: 2-line block ×3, first 2 shown]
	v_mad_u64_u32 v[33:34], s[8:9], v37, s38, v[1:2]
	v_lshrrev_b32_e32 v1, 23, v29
	v_add_u32_e32 v36, 0xffffff88, v1
	v_mov_b32_e32 v1, v34
	v_mad_u64_u32 v[34:35], s[10:11], v37, s39, v[1:2]
	v_cmp_lt_u32_e64 s[8:9], 63, v36
	v_cndmask_b32_e64 v1, 0, v16, s[8:9]
	v_add_u32_e32 v38, v1, v36
	v_mov_b32_e32 v1, v35
	v_mad_u64_u32 v[35:36], s[12:13], v37, s40, v[1:2]
	v_cmp_lt_u32_e64 s[10:11], 31, v38
	v_cndmask_b32_e64 v1, 0, v17, s[10:11]
	;; [unrolled: 5-line block ×3, first 2 shown]
	v_add_u32_e32 v1, v1, v38
	v_cndmask_b32_e64 v38, v35, v33, s[8:9]
	v_cndmask_b32_e64 v36, v36, v34, s[8:9]
	;; [unrolled: 1-line block ×10, first 2 shown]
	v_sub_u32_e32 v38, 32, v1
	v_cndmask_b32_e64 v33, v34, v31, s[10:11]
	v_alignbit_b32 v39, v35, v37, v38
	v_cmp_eq_u32_e64 s[14:15], 0, v1
	v_cndmask_b32_e64 v34, v36, v33, s[12:13]
	v_cndmask_b32_e64 v1, v39, v35, s[14:15]
	v_alignbit_b32 v35, v37, v34, v38
	v_cndmask_b32_e64 v30, v32, v30, s[8:9]
	v_cndmask_b32_e64 v35, v35, v37, s[14:15]
	v_bfe_u32 v39, v1, 29, 1
	v_cndmask_b32_e64 v30, v31, v30, s[10:11]
	v_alignbit_b32 v36, v1, v35, 30
	v_sub_u32_e32 v40, 0, v39
	v_cndmask_b32_e64 v30, v33, v30, s[12:13]
	v_xor_b32_e32 v36, v36, v40
	v_alignbit_b32 v31, v34, v30, v38
	v_cndmask_b32_e64 v31, v31, v34, s[14:15]
	v_ffbh_u32_e32 v33, v36
	v_alignbit_b32 v32, v35, v31, 30
	v_min_u32_e32 v33, 32, v33
	v_alignbit_b32 v30, v31, v30, 30
	v_xor_b32_e32 v32, v32, v40
	v_sub_u32_e32 v34, 31, v33
	v_xor_b32_e32 v30, v30, v40
	v_alignbit_b32 v35, v36, v32, v34
	v_alignbit_b32 v30, v32, v30, v34
	;; [unrolled: 1-line block ×3, first 2 shown]
	v_ffbh_u32_e32 v32, v31
	v_min_u32_e32 v32, 32, v32
	v_lshrrev_b32_e32 v37, 29, v1
	v_not_b32_e32 v34, v32
	v_alignbit_b32 v30, v31, v30, v34
	v_lshlrev_b32_e32 v31, 31, v37
	v_or_b32_e32 v34, 0x33000000, v31
	v_add_lshl_u32 v32, v32, v33, 23
	v_lshrrev_b32_e32 v30, 9, v30
	v_sub_u32_e32 v32, v34, v32
	v_or_b32_e32 v31, 0.5, v31
	v_lshlrev_b32_e32 v33, 23, v33
	v_or_b32_e32 v30, v32, v30
	v_lshrrev_b32_e32 v32, 9, v35
	v_sub_u32_e32 v31, v31, v33
	v_or_b32_e32 v31, v32, v31
	v_mul_f32_e32 v32, 0x3fc90fda, v31
	v_fma_f32 v33, v31, s42, -v32
	v_fmac_f32_e32 v33, 0x33a22168, v31
	v_fmac_f32_e32 v33, 0x3fc90fda, v30
	v_lshrrev_b32_e32 v1, 30, v1
	v_add_f32_e32 v31, v32, v33
	v_add_u32_e32 v30, v39, v1
.LBB115_22:                             ;   in Loop: Header=BB115_4 Depth=1
	s_andn2_saveexec_b64 s[8:9], s[28:29]
; %bb.23:                               ;   in Loop: Header=BB115_4 Depth=1
	v_mul_f32_e64 v1, |v19|, s43
	v_rndne_f32_e32 v1, v1
	v_cvt_i32_f32_e32 v30, v1
	v_fma_f32 v31, v1, s44, |v19|
	v_fmac_f32_e32 v31, 0xb3a22168, v1
	v_fmac_f32_e32 v31, 0xa7c234c4, v1
; %bb.24:                               ;   in Loop: Header=BB115_4 Depth=1
	s_or_b64 exec, exec, s[8:9]
	v_and_b32_e32 v32, 0x7fffffff, v20
	v_cmp_nlt_f32_e64 s[8:9], |v20|, s34
                                        ; implicit-def: $vgpr1
                                        ; implicit-def: $vgpr33
	s_and_saveexec_b64 s[10:11], s[8:9]
	s_xor_b64 s[28:29], exec, s[10:11]
	s_cbranch_execnz .LBB115_30
; %bb.25:                               ;   in Loop: Header=BB115_4 Depth=1
	s_andn2_saveexec_b64 s[8:9], s[28:29]
	s_cbranch_execnz .LBB115_31
.LBB115_26:                             ;   in Loop: Header=BB115_4 Depth=1
	s_or_b64 exec, exec, s[8:9]
	s_and_saveexec_b64 s[8:9], s[6:7]
	s_xor_b64 s[8:9], exec, s[8:9]
	s_cbranch_execnz .LBB115_32
.LBB115_27:                             ;   in Loop: Header=BB115_4 Depth=1
	s_or_b64 exec, exec, s[8:9]
	s_and_saveexec_b64 s[6:7], s[2:3]
	s_cbranch_execnz .LBB115_33
.LBB115_28:                             ;   in Loop: Header=BB115_4 Depth=1
	s_or_b64 exec, exec, s[6:7]
	s_and_saveexec_b64 s[2:3], s[0:1]
	s_cbranch_execnz .LBB115_34
.LBB115_29:                             ;   in Loop: Header=BB115_4 Depth=1
	s_or_b64 exec, exec, s[2:3]
	s_and_saveexec_b64 s[0:1], vcc
	s_cbranch_execz .LBB115_3
	s_branch .LBB115_35
.LBB115_30:                             ;   in Loop: Header=BB115_4 Depth=1
	v_and_b32_e32 v1, 0x7fffff, v32
	v_or_b32_e32 v40, 0x800000, v1
	v_mad_u64_u32 v[33:34], s[8:9], v40, s35, 0
	v_mov_b32_e32 v1, v34
	v_mad_u64_u32 v[34:35], s[8:9], v40, s36, v[1:2]
	v_mov_b32_e32 v1, v35
	;; [unrolled: 2-line block ×3, first 2 shown]
	v_mad_u64_u32 v[36:37], s[8:9], v40, s38, v[1:2]
	v_lshrrev_b32_e32 v1, 23, v32
	v_add_u32_e32 v39, 0xffffff88, v1
	v_mov_b32_e32 v1, v37
	v_mad_u64_u32 v[37:38], s[8:9], v40, s39, v[1:2]
	v_cmp_lt_u32_e64 s[8:9], 63, v39
	v_cndmask_b32_e64 v1, 0, v16, s[8:9]
	v_add_u32_e32 v41, v1, v39
	v_mov_b32_e32 v1, v38
	v_mad_u64_u32 v[38:39], s[10:11], v40, s40, v[1:2]
	v_cmp_lt_u32_e64 s[10:11], 31, v41
	v_cndmask_b32_e64 v1, 0, v17, s[10:11]
	;; [unrolled: 5-line block ×3, first 2 shown]
	v_add_u32_e32 v1, v1, v41
	v_cndmask_b32_e64 v41, v38, v36, s[8:9]
	v_cndmask_b32_e64 v39, v39, v37, s[8:9]
	;; [unrolled: 1-line block ×10, first 2 shown]
	v_sub_u32_e32 v41, 32, v1
	v_cndmask_b32_e64 v36, v37, v34, s[10:11]
	v_alignbit_b32 v42, v38, v40, v41
	v_cmp_eq_u32_e64 s[14:15], 0, v1
	v_cndmask_b32_e64 v37, v39, v36, s[12:13]
	v_cndmask_b32_e64 v1, v42, v38, s[14:15]
	v_alignbit_b32 v38, v40, v37, v41
	v_cndmask_b32_e64 v33, v35, v33, s[8:9]
	v_cndmask_b32_e64 v38, v38, v40, s[14:15]
	v_bfe_u32 v42, v1, 29, 1
	v_cndmask_b32_e64 v33, v34, v33, s[10:11]
	v_alignbit_b32 v39, v1, v38, 30
	v_sub_u32_e32 v43, 0, v42
	v_cndmask_b32_e64 v33, v36, v33, s[12:13]
	v_xor_b32_e32 v39, v39, v43
	v_alignbit_b32 v34, v37, v33, v41
	v_cndmask_b32_e64 v34, v34, v37, s[14:15]
	v_ffbh_u32_e32 v36, v39
	v_alignbit_b32 v35, v38, v34, 30
	v_min_u32_e32 v36, 32, v36
	v_alignbit_b32 v33, v34, v33, 30
	v_xor_b32_e32 v35, v35, v43
	v_sub_u32_e32 v37, 31, v36
	v_xor_b32_e32 v33, v33, v43
	v_alignbit_b32 v38, v39, v35, v37
	v_alignbit_b32 v33, v35, v33, v37
	;; [unrolled: 1-line block ×3, first 2 shown]
	v_ffbh_u32_e32 v35, v34
	v_min_u32_e32 v35, 32, v35
	v_lshrrev_b32_e32 v40, 29, v1
	v_not_b32_e32 v37, v35
	v_alignbit_b32 v33, v34, v33, v37
	v_lshlrev_b32_e32 v34, 31, v40
	v_or_b32_e32 v37, 0x33000000, v34
	v_add_lshl_u32 v35, v35, v36, 23
	v_lshrrev_b32_e32 v33, 9, v33
	v_sub_u32_e32 v35, v37, v35
	v_or_b32_e32 v34, 0.5, v34
	v_lshlrev_b32_e32 v36, 23, v36
	v_or_b32_e32 v33, v35, v33
	v_lshrrev_b32_e32 v35, 9, v38
	v_sub_u32_e32 v34, v34, v36
	v_or_b32_e32 v34, v35, v34
	v_mul_f32_e32 v35, 0x3fc90fda, v34
	v_fma_f32 v36, v34, s42, -v35
	v_fmac_f32_e32 v36, 0x33a22168, v34
	v_fmac_f32_e32 v36, 0x3fc90fda, v33
	v_lshrrev_b32_e32 v1, 30, v1
	v_add_f32_e32 v33, v35, v36
	v_add_u32_e32 v1, v42, v1
	s_andn2_saveexec_b64 s[8:9], s[28:29]
	s_cbranch_execz .LBB115_26
.LBB115_31:                             ;   in Loop: Header=BB115_4 Depth=1
	v_mul_f32_e64 v1, |v20|, s43
	v_rndne_f32_e32 v34, v1
	v_cvt_i32_f32_e32 v1, v34
	v_fma_f32 v33, v34, s44, |v20|
	v_fmac_f32_e32 v33, 0xb3a22168, v34
	v_fmac_f32_e32 v33, 0xa7c234c4, v34
	s_or_b64 exec, exec, s[8:9]
	s_and_saveexec_b64 s[8:9], s[6:7]
	s_xor_b64 s[8:9], exec, s[8:9]
	s_cbranch_execz .LBB115_27
.LBB115_32:                             ;   in Loop: Header=BB115_4 Depth=1
	v_mul_f32_e32 v34, v25, v25
	v_mov_b32_e32 v35, 0x3c0881c4
	v_fmac_f32_e32 v35, 0xb94c1982, v34
	v_fma_f32 v35, v34, v35, v13
	v_mul_f32_e32 v35, v34, v35
	v_fmac_f32_e32 v25, v25, v35
	v_mov_b32_e32 v35, 0xbab64f3b
	v_fmac_f32_e32 v35, 0x37d75334, v34
	v_fma_f32 v35, v34, v35, v14
	v_fma_f32 v35, v34, v35, v15
	v_fma_f32 v34, v34, v35, 1.0
	v_and_b32_e32 v35, 1, v24
	v_lshlrev_b32_e32 v24, 30, v24
	v_cmp_eq_u32_e64 s[6:7], 0, v35
	v_and_b32_e32 v24, 0x80000000, v24
	v_xor_b32_e32 v23, v23, v22
	v_cndmask_b32_e64 v25, v34, v25, s[6:7]
	v_xor_b32_e32 v23, v23, v24
	v_xor_b32_e32 v23, v23, v25
	v_cmp_class_f32_e64 s[6:7], v22, s45
	v_cndmask_b32_e64 v22, v18, v23, s[6:7]
	v_cvt_f16_f32_e32 v22, v22
	global_store_short v[3:4], v22, off
	s_or_b64 exec, exec, s[8:9]
	s_and_saveexec_b64 s[6:7], s[2:3]
	s_cbranch_execz .LBB115_28
.LBB115_33:                             ;   in Loop: Header=BB115_4 Depth=1
	v_mul_f32_e32 v22, v28, v28
	v_mov_b32_e32 v23, 0x3c0881c4
	v_fmac_f32_e32 v23, 0xb94c1982, v22
	v_fma_f32 v23, v22, v23, v13
	v_mul_f32_e32 v23, v22, v23
	v_fmac_f32_e32 v28, v28, v23
	v_mov_b32_e32 v23, 0xbab64f3b
	v_fmac_f32_e32 v23, 0x37d75334, v22
	v_fma_f32 v23, v22, v23, v14
	v_fma_f32 v23, v22, v23, v15
	v_fma_f32 v22, v22, v23, 1.0
	v_and_b32_e32 v23, 1, v27
	v_cmp_eq_u32_e64 s[2:3], 0, v23
	v_lshlrev_b32_e32 v23, 30, v27
	v_and_b32_e32 v23, 0x80000000, v23
	v_xor_b32_e32 v24, v26, v21
	v_cndmask_b32_e64 v22, v22, v28, s[2:3]
	v_xor_b32_e32 v23, v24, v23
	v_xor_b32_e32 v22, v23, v22
	v_cmp_class_f32_e64 s[2:3], v21, s45
	v_cndmask_b32_e64 v21, v18, v22, s[2:3]
	v_cvt_f16_f32_e32 v21, v21
	global_store_short v[5:6], v21, off
	s_or_b64 exec, exec, s[6:7]
	s_and_saveexec_b64 s[2:3], s[0:1]
	s_cbranch_execz .LBB115_29
.LBB115_34:                             ;   in Loop: Header=BB115_4 Depth=1
	v_mul_f32_e32 v21, v31, v31
	v_mov_b32_e32 v22, 0x3c0881c4
	v_fmac_f32_e32 v22, 0xb94c1982, v21
	v_fma_f32 v22, v21, v22, v13
	v_mul_f32_e32 v22, v21, v22
	v_fmac_f32_e32 v31, v31, v22
	v_mov_b32_e32 v22, 0xbab64f3b
	v_fmac_f32_e32 v22, 0x37d75334, v21
	v_fma_f32 v22, v21, v22, v14
	v_fma_f32 v22, v21, v22, v15
	v_fma_f32 v21, v21, v22, 1.0
	v_and_b32_e32 v22, 1, v30
	v_cmp_eq_u32_e64 s[0:1], 0, v22
	v_lshlrev_b32_e32 v22, 30, v30
	v_and_b32_e32 v22, 0x80000000, v22
	v_xor_b32_e32 v23, v29, v19
	v_cndmask_b32_e64 v21, v21, v31, s[0:1]
	v_xor_b32_e32 v22, v23, v22
	v_xor_b32_e32 v21, v22, v21
	v_cmp_class_f32_e64 s[0:1], v19, s45
	v_cndmask_b32_e64 v19, v18, v21, s[0:1]
	v_cvt_f16_f32_e32 v19, v19
	v_add_co_u32_e64 v21, s[0:1], s30, v3
	v_addc_co_u32_e64 v22, s[0:1], 0, v4, s[0:1]
	global_store_short v[21:22], v19, off
	s_or_b64 exec, exec, s[2:3]
	s_and_saveexec_b64 s[0:1], vcc
	s_cbranch_execz .LBB115_3
.LBB115_35:                             ;   in Loop: Header=BB115_4 Depth=1
	v_mul_f32_e32 v19, v33, v33
	v_mov_b32_e32 v21, 0x3c0881c4
	v_fmac_f32_e32 v21, 0xb94c1982, v19
	v_fma_f32 v21, v19, v21, v13
	v_mul_f32_e32 v21, v19, v21
	v_fmac_f32_e32 v33, v33, v21
	v_mov_b32_e32 v21, 0xbab64f3b
	v_fmac_f32_e32 v21, 0x37d75334, v19
	v_fma_f32 v21, v19, v21, v14
	v_fma_f32 v21, v19, v21, v15
	v_fma_f32 v19, v19, v21, 1.0
	v_and_b32_e32 v21, 1, v1
	v_lshlrev_b32_e32 v1, 30, v1
	v_cmp_eq_u32_e32 vcc, 0, v21
	v_and_b32_e32 v1, 0x80000000, v1
	v_xor_b32_e32 v21, v32, v20
	v_cndmask_b32_e32 v19, v19, v33, vcc
	v_xor_b32_e32 v1, v21, v1
	v_xor_b32_e32 v1, v1, v19
	v_cmp_class_f32_e64 vcc, v20, s45
	v_cndmask_b32_e32 v1, v18, v1, vcc
	v_cvt_f16_f32_e32 v1, v1
	v_add_co_u32_e32 v19, vcc, s33, v3
	v_addc_co_u32_e32 v20, vcc, 0, v4, vcc
	global_store_short v[19:20], v1, off
	s_branch .LBB115_3
.LBB115_36:
	s_cbranch_execz .LBB115_38
	s_branch .LBB115_57
.LBB115_37:
.LBB115_38:
	v_mov_b32_e32 v1, 0x10000
	v_mov_b32_e32 v2, 0
	v_cmp_lt_i64_e32 vcc, s[20:21], v[1:2]
	v_mov_b32_e32 v3, 0
	s_and_b64 s[0:1], vcc, exec
	s_cselect_b32 s7, s21, 0
	s_cselect_b32 s6, s20, 0x10000
	v_lshlrev_b32_e32 v2, 2, v0
	v_cmp_gt_i64_e32 vcc, s[6:7], v[2:3]
	s_and_saveexec_b64 s[0:1], vcc
	s_cbranch_execz .LBB115_57
; %bb.39:
	s_load_dword s0, s[4:5], 0xd3c
	v_lshlrev_b32_e32 v2, 3, v0
	v_mov_b32_e32 v1, v3
	s_mov_b64 s[8:9], 0
	s_brev_b32 s14, 18
	s_waitcnt lgkmcnt(0)
	s_and_b32 s12, s0, 0xffff
	s_add_u32 s0, s16, s18
	s_addc_u32 s1, s17, s19
	v_mov_b32_e32 v4, s1
	v_add_co_u32_e32 v2, vcc, s0, v2
	v_addc_co_u32_e32 v5, vcc, 0, v4, vcc
	v_add_co_u32_e32 v4, vcc, 4, v2
	v_addc_co_u32_e32 v5, vcc, 0, v5, vcc
	s_lshl_b32 s13, s12, 3
	s_mov_b32 s15, 0xfe5163ab
	s_mov_b32 s16, 0x3c439041
	;; [unrolled: 1-line block ×10, first 2 shown]
	v_mov_b32_e32 v8, 0xbe2aaa9d
	v_mov_b32_e32 v9, 0x3d2aabf7
	;; [unrolled: 1-line block ×3, first 2 shown]
	s_movk_i32 s25, 0x1f8
	v_not_b32_e32 v11, 63
	v_not_b32_e32 v12, 31
	v_mov_b32_e32 v13, 0x7fc00000
	s_branch .LBB115_41
.LBB115_40:                             ;   in Loop: Header=BB115_41 Depth=1
	s_or_b64 exec, exec, s[0:1]
	v_mul_f32_e32 v27, v25, v25
	v_mov_b32_e32 v28, 0x3c0881c4
	v_fmac_f32_e32 v28, 0xb94c1982, v27
	v_fma_f32 v28, v27, v28, v8
	v_mul_f32_e32 v28, v27, v28
	v_fmac_f32_e32 v25, v25, v28
	v_mov_b32_e32 v28, 0xbab64f3b
	v_fmac_f32_e32 v28, 0x37d75334, v27
	v_fma_f32 v28, v27, v28, v9
	v_fma_f32 v28, v27, v28, v10
	v_fma_f32 v27, v27, v28, 1.0
	v_and_b32_e32 v28, 1, v24
	v_lshlrev_b32_e32 v24, 30, v24
	v_cmp_eq_u32_e32 vcc, 0, v28
	v_and_b32_e32 v24, 0x80000000, v24
	v_xor_b32_e32 v22, v22, v21
	v_cndmask_b32_e32 v25, v27, v25, vcc
	v_xor_b32_e32 v22, v22, v24
	v_xor_b32_e32 v22, v22, v25
	v_cmp_class_f32_e64 vcc, v21, s25
	v_cndmask_b32_e32 v21, v13, v22, vcc
	v_mul_f32_e32 v22, v20, v20
	v_mov_b32_e32 v24, 0x3c0881c4
	v_fmac_f32_e32 v24, 0xb94c1982, v22
	v_fma_f32 v24, v22, v24, v8
	v_mul_f32_e32 v24, v22, v24
	v_fmac_f32_e32 v20, v20, v24
	v_mov_b32_e32 v24, 0xbab64f3b
	v_fmac_f32_e32 v24, 0x37d75334, v22
	v_fma_f32 v24, v22, v24, v9
	v_fma_f32 v24, v22, v24, v10
	v_fma_f32 v22, v22, v24, 1.0
	v_and_b32_e32 v24, 1, v19
	v_lshlrev_b32_e32 v19, 30, v19
	v_cmp_eq_u32_e32 vcc, 0, v24
	v_and_b32_e32 v19, 0x80000000, v19
	v_xor_b32_e32 v18, v18, v6
	v_cndmask_b32_e32 v20, v22, v20, vcc
	v_xor_b32_e32 v18, v18, v19
	v_xor_b32_e32 v18, v18, v20
	v_cmp_class_f32_e64 vcc, v6, s25
	v_cndmask_b32_e32 v6, v13, v18, vcc
	v_mul_f32_e32 v18, v17, v17
	v_mov_b32_e32 v19, 0x3c0881c4
	v_fmac_f32_e32 v19, 0xb94c1982, v18
	v_fma_f32 v19, v18, v19, v8
	v_mul_f32_e32 v19, v18, v19
	v_fmac_f32_e32 v17, v17, v19
	v_mov_b32_e32 v19, 0xbab64f3b
	v_fmac_f32_e32 v19, 0x37d75334, v18
	v_fma_f32 v19, v18, v19, v9
	v_fma_f32 v19, v18, v19, v10
	v_fma_f32 v18, v18, v19, 1.0
	v_and_b32_e32 v19, 1, v16
	v_lshlrev_b32_e32 v16, 30, v16
	v_cmp_eq_u32_e32 vcc, 0, v19
	v_and_b32_e32 v16, 0x80000000, v16
	v_xor_b32_e32 v15, v15, v14
	v_cndmask_b32_e32 v17, v18, v17, vcc
	v_xor_b32_e32 v15, v15, v16
	v_xor_b32_e32 v15, v15, v17
	v_mul_f32_e32 v16, v26, v26
	v_mov_b32_e32 v17, 0x3c0881c4
	v_fmac_f32_e32 v17, 0xb94c1982, v16
	v_fma_f32 v17, v16, v17, v8
	v_mul_f32_e32 v17, v16, v17
	v_fmac_f32_e32 v26, v26, v17
	v_mov_b32_e32 v17, 0xbab64f3b
	v_fmac_f32_e32 v17, 0x37d75334, v16
	v_fma_f32 v17, v16, v17, v9
	v_fma_f32 v17, v16, v17, v10
	v_fma_f32 v16, v16, v17, 1.0
	v_and_b32_e32 v17, 1, v2
	v_lshlrev_b32_e32 v2, 30, v2
	v_cmp_eq_u32_e32 vcc, 0, v17
	v_and_b32_e32 v2, 0x80000000, v2
	v_xor_b32_e32 v17, v23, v7
	v_cndmask_b32_e32 v16, v16, v26, vcc
	v_xor_b32_e32 v2, v17, v2
	v_xor_b32_e32 v2, v2, v16
	v_cmp_class_f32_e64 vcc, v7, s25
	v_cndmask_b32_e32 v2, v13, v2, vcc
	v_cmp_class_f32_e64 vcc, v14, s25
	v_cndmask_b32_e32 v7, v13, v15, vcc
	v_add_co_u32_e32 v0, vcc, s12, v0
	v_cvt_f16_f32_e32 v21, v21
	v_cvt_f16_f32_e32 v6, v6
	;; [unrolled: 1-line block ×4, first 2 shown]
	v_addc_co_u32_e32 v1, vcc, 0, v1, vcc
	v_lshlrev_b64 v[14:15], 2, v[0:1]
	v_pack_b32_f16 v7, v21, v2
	v_cmp_le_i64_e32 vcc, s[6:7], v[14:15]
	v_pack_b32_f16 v6, v16, v6
	global_store_dwordx2 v[4:5], v[6:7], off offset:-4
	s_or_b64 s[8:9], vcc, s[8:9]
	v_add_co_u32_e32 v4, vcc, s13, v4
	v_addc_co_u32_e32 v5, vcc, 0, v5, vcc
	s_andn2_b64 exec, exec, s[8:9]
	s_cbranch_execz .LBB115_57
.LBB115_41:                             ; =>This Inner Loop Header: Depth=1
	global_load_dwordx2 v[6:7], v[4:5], off offset:-4
                                        ; implicit-def: $vgpr16
                                        ; implicit-def: $vgpr17
	s_waitcnt vmcnt(0)
	v_cvt_f32_f16_e32 v14, v6
	v_and_b32_e32 v15, 0x7fffffff, v14
	v_cmp_nlt_f32_e64 s[0:1], |v14|, s14
	s_and_saveexec_b64 s[2:3], s[0:1]
	s_xor_b64 s[10:11], exec, s[2:3]
	s_cbranch_execz .LBB115_43
; %bb.42:                               ;   in Loop: Header=BB115_41 Depth=1
	v_and_b32_e32 v2, 0x7fffff, v15
	v_or_b32_e32 v23, 0x800000, v2
	v_mad_u64_u32 v[16:17], s[0:1], v23, s15, 0
	v_mov_b32_e32 v2, v17
	v_mad_u64_u32 v[17:18], s[0:1], v23, s16, v[2:3]
	v_mov_b32_e32 v2, v18
	;; [unrolled: 2-line block ×3, first 2 shown]
	v_mad_u64_u32 v[19:20], s[0:1], v23, s18, v[2:3]
	v_lshrrev_b32_e32 v2, 23, v15
	v_add_u32_e32 v22, 0xffffff88, v2
	v_mov_b32_e32 v2, v20
	v_mad_u64_u32 v[20:21], s[0:1], v23, s19, v[2:3]
	v_cmp_lt_u32_e32 vcc, 63, v22
	v_cndmask_b32_e32 v2, 0, v11, vcc
	v_add_u32_e32 v24, v2, v22
	v_mov_b32_e32 v2, v21
	v_mad_u64_u32 v[21:22], s[0:1], v23, s20, v[2:3]
	v_cmp_lt_u32_e64 s[0:1], 31, v24
	v_cndmask_b32_e64 v2, 0, v12, s[0:1]
	v_add_u32_e32 v24, v2, v24
	v_mov_b32_e32 v2, v22
	v_mad_u64_u32 v[22:23], s[2:3], v23, s21, v[2:3]
	v_cmp_lt_u32_e64 s[2:3], 31, v24
	v_cndmask_b32_e64 v2, 0, v12, s[2:3]
	v_add_u32_e32 v2, v2, v24
	v_cndmask_b32_e32 v24, v21, v19, vcc
	v_cndmask_b32_e32 v21, v23, v21, vcc
	;; [unrolled: 1-line block ×4, first 2 shown]
	v_cndmask_b32_e64 v23, v22, v24, s[0:1]
	v_cndmask_b32_e64 v21, v21, v22, s[0:1]
	;; [unrolled: 1-line block ×3, first 2 shown]
	v_cndmask_b32_e32 v17, v19, v17, vcc
	v_cndmask_b32_e64 v21, v21, v23, s[2:3]
	v_cndmask_b32_e64 v23, v23, v22, s[2:3]
	v_sub_u32_e32 v24, 32, v2
	v_cndmask_b32_e64 v19, v20, v17, s[0:1]
	v_alignbit_b32 v25, v21, v23, v24
	v_cmp_eq_u32_e64 s[4:5], 0, v2
	v_cndmask_b32_e64 v20, v22, v19, s[2:3]
	v_cndmask_b32_e64 v2, v25, v21, s[4:5]
	v_alignbit_b32 v21, v23, v20, v24
	v_cndmask_b32_e32 v16, v18, v16, vcc
	v_cndmask_b32_e64 v21, v21, v23, s[4:5]
	v_bfe_u32 v25, v2, 29, 1
	v_cndmask_b32_e64 v16, v17, v16, s[0:1]
	v_alignbit_b32 v22, v2, v21, 30
	v_sub_u32_e32 v26, 0, v25
	v_cndmask_b32_e64 v16, v19, v16, s[2:3]
	v_xor_b32_e32 v22, v22, v26
	v_alignbit_b32 v17, v20, v16, v24
	v_cndmask_b32_e64 v17, v17, v20, s[4:5]
	v_ffbh_u32_e32 v19, v22
	v_alignbit_b32 v18, v21, v17, 30
	v_min_u32_e32 v19, 32, v19
	v_alignbit_b32 v16, v17, v16, 30
	v_xor_b32_e32 v18, v18, v26
	v_sub_u32_e32 v20, 31, v19
	v_xor_b32_e32 v16, v16, v26
	v_alignbit_b32 v21, v22, v18, v20
	v_alignbit_b32 v16, v18, v16, v20
	;; [unrolled: 1-line block ×3, first 2 shown]
	v_ffbh_u32_e32 v18, v17
	v_min_u32_e32 v18, 32, v18
	v_lshrrev_b32_e32 v23, 29, v2
	v_not_b32_e32 v20, v18
	v_alignbit_b32 v16, v17, v16, v20
	v_lshlrev_b32_e32 v17, 31, v23
	v_or_b32_e32 v20, 0x33000000, v17
	v_add_lshl_u32 v18, v18, v19, 23
	v_lshrrev_b32_e32 v16, 9, v16
	v_sub_u32_e32 v18, v20, v18
	v_or_b32_e32 v17, 0.5, v17
	v_lshlrev_b32_e32 v19, 23, v19
	v_or_b32_e32 v16, v18, v16
	v_lshrrev_b32_e32 v18, 9, v21
	v_sub_u32_e32 v17, v17, v19
	v_or_b32_e32 v17, v18, v17
	v_mul_f32_e32 v18, 0x3fc90fda, v17
	v_fma_f32 v19, v17, s22, -v18
	v_fmac_f32_e32 v19, 0x33a22168, v17
	v_fmac_f32_e32 v19, 0x3fc90fda, v16
	v_lshrrev_b32_e32 v2, 30, v2
	v_add_f32_e32 v17, v18, v19
	v_add_u32_e32 v16, v25, v2
.LBB115_43:                             ;   in Loop: Header=BB115_41 Depth=1
	s_andn2_saveexec_b64 s[0:1], s[10:11]
; %bb.44:                               ;   in Loop: Header=BB115_41 Depth=1
	v_mul_f32_e64 v2, |v14|, s23
	v_rndne_f32_e32 v2, v2
	v_cvt_i32_f32_e32 v16, v2
	v_fma_f32 v17, v2, s24, |v14|
	v_fmac_f32_e32 v17, 0xb3a22168, v2
	v_fmac_f32_e32 v17, 0xa7c234c4, v2
; %bb.45:                               ;   in Loop: Header=BB115_41 Depth=1
	s_or_b64 exec, exec, s[0:1]
	v_cvt_f32_f16_sdwa v6, v6 dst_sel:DWORD dst_unused:UNUSED_PAD src0_sel:WORD_1
                                        ; implicit-def: $vgpr19
                                        ; implicit-def: $vgpr20
	v_and_b32_e32 v18, 0x7fffffff, v6
	v_cmp_nlt_f32_e64 s[0:1], |v6|, s14
	s_and_saveexec_b64 s[2:3], s[0:1]
	s_xor_b64 s[10:11], exec, s[2:3]
	s_cbranch_execz .LBB115_47
; %bb.46:                               ;   in Loop: Header=BB115_41 Depth=1
	v_and_b32_e32 v2, 0x7fffff, v18
	v_or_b32_e32 v26, 0x800000, v2
	v_mad_u64_u32 v[19:20], s[0:1], v26, s15, 0
	v_mov_b32_e32 v2, v20
	v_mad_u64_u32 v[20:21], s[0:1], v26, s16, v[2:3]
	v_mov_b32_e32 v2, v21
	;; [unrolled: 2-line block ×3, first 2 shown]
	v_mad_u64_u32 v[22:23], s[0:1], v26, s18, v[2:3]
	v_lshrrev_b32_e32 v2, 23, v18
	v_add_u32_e32 v25, 0xffffff88, v2
	v_mov_b32_e32 v2, v23
	v_mad_u64_u32 v[23:24], s[0:1], v26, s19, v[2:3]
	v_cmp_lt_u32_e32 vcc, 63, v25
	v_cndmask_b32_e32 v2, 0, v11, vcc
	v_add_u32_e32 v27, v2, v25
	v_mov_b32_e32 v2, v24
	v_mad_u64_u32 v[24:25], s[0:1], v26, s20, v[2:3]
	v_cmp_lt_u32_e64 s[0:1], 31, v27
	v_cndmask_b32_e64 v2, 0, v12, s[0:1]
	v_add_u32_e32 v27, v2, v27
	v_mov_b32_e32 v2, v25
	v_mad_u64_u32 v[25:26], s[2:3], v26, s21, v[2:3]
	v_cmp_lt_u32_e64 s[2:3], 31, v27
	v_cndmask_b32_e64 v2, 0, v12, s[2:3]
	v_add_u32_e32 v2, v2, v27
	v_cndmask_b32_e32 v27, v24, v22, vcc
	v_cndmask_b32_e32 v25, v25, v23, vcc
	;; [unrolled: 1-line block ×4, first 2 shown]
	v_cndmask_b32_e64 v26, v25, v27, s[0:1]
	v_cndmask_b32_e64 v24, v24, v25, s[0:1]
	;; [unrolled: 1-line block ×3, first 2 shown]
	v_cndmask_b32_e32 v20, v22, v20, vcc
	v_cndmask_b32_e64 v24, v24, v26, s[2:3]
	v_cndmask_b32_e64 v26, v26, v25, s[2:3]
	v_sub_u32_e32 v27, 32, v2
	v_cndmask_b32_e64 v22, v23, v20, s[0:1]
	v_alignbit_b32 v28, v24, v26, v27
	v_cmp_eq_u32_e64 s[4:5], 0, v2
	v_cndmask_b32_e64 v23, v25, v22, s[2:3]
	v_cndmask_b32_e64 v2, v28, v24, s[4:5]
	v_alignbit_b32 v24, v26, v23, v27
	v_cndmask_b32_e32 v19, v21, v19, vcc
	v_cndmask_b32_e64 v24, v24, v26, s[4:5]
	v_bfe_u32 v28, v2, 29, 1
	v_cndmask_b32_e64 v19, v20, v19, s[0:1]
	v_alignbit_b32 v25, v2, v24, 30
	v_sub_u32_e32 v29, 0, v28
	v_cndmask_b32_e64 v19, v22, v19, s[2:3]
	v_xor_b32_e32 v25, v25, v29
	v_alignbit_b32 v20, v23, v19, v27
	v_cndmask_b32_e64 v20, v20, v23, s[4:5]
	v_ffbh_u32_e32 v22, v25
	v_alignbit_b32 v21, v24, v20, 30
	v_min_u32_e32 v22, 32, v22
	v_alignbit_b32 v19, v20, v19, 30
	v_xor_b32_e32 v21, v21, v29
	v_sub_u32_e32 v23, 31, v22
	v_xor_b32_e32 v19, v19, v29
	v_alignbit_b32 v24, v25, v21, v23
	v_alignbit_b32 v19, v21, v19, v23
	;; [unrolled: 1-line block ×3, first 2 shown]
	v_ffbh_u32_e32 v21, v20
	v_min_u32_e32 v21, 32, v21
	v_lshrrev_b32_e32 v26, 29, v2
	v_not_b32_e32 v23, v21
	v_alignbit_b32 v19, v20, v19, v23
	v_lshlrev_b32_e32 v20, 31, v26
	v_or_b32_e32 v23, 0x33000000, v20
	v_add_lshl_u32 v21, v21, v22, 23
	v_lshrrev_b32_e32 v19, 9, v19
	v_sub_u32_e32 v21, v23, v21
	v_or_b32_e32 v20, 0.5, v20
	v_lshlrev_b32_e32 v22, 23, v22
	v_or_b32_e32 v19, v21, v19
	v_lshrrev_b32_e32 v21, 9, v24
	v_sub_u32_e32 v20, v20, v22
	v_or_b32_e32 v20, v21, v20
	v_mul_f32_e32 v21, 0x3fc90fda, v20
	v_fma_f32 v22, v20, s22, -v21
	v_fmac_f32_e32 v22, 0x33a22168, v20
	v_fmac_f32_e32 v22, 0x3fc90fda, v19
	v_lshrrev_b32_e32 v2, 30, v2
	v_add_f32_e32 v20, v21, v22
	v_add_u32_e32 v19, v28, v2
.LBB115_47:                             ;   in Loop: Header=BB115_41 Depth=1
	s_andn2_saveexec_b64 s[0:1], s[10:11]
; %bb.48:                               ;   in Loop: Header=BB115_41 Depth=1
	v_mul_f32_e64 v2, |v6|, s23
	v_rndne_f32_e32 v2, v2
	v_cvt_i32_f32_e32 v19, v2
	v_fma_f32 v20, v2, s24, |v6|
	v_fmac_f32_e32 v20, 0xb3a22168, v2
	v_fmac_f32_e32 v20, 0xa7c234c4, v2
; %bb.49:                               ;   in Loop: Header=BB115_41 Depth=1
	s_or_b64 exec, exec, s[0:1]
	v_cvt_f32_f16_e32 v21, v7
                                        ; implicit-def: $vgpr24
                                        ; implicit-def: $vgpr25
	v_and_b32_e32 v22, 0x7fffffff, v21
	v_cmp_nlt_f32_e64 s[0:1], |v21|, s14
	s_and_saveexec_b64 s[2:3], s[0:1]
	s_xor_b64 s[10:11], exec, s[2:3]
	s_cbranch_execz .LBB115_51
; %bb.50:                               ;   in Loop: Header=BB115_41 Depth=1
	v_and_b32_e32 v2, 0x7fffff, v22
	v_or_b32_e32 v30, 0x800000, v2
	v_mad_u64_u32 v[23:24], s[0:1], v30, s15, 0
	v_mov_b32_e32 v2, v24
	v_mad_u64_u32 v[24:25], s[0:1], v30, s16, v[2:3]
	v_mov_b32_e32 v2, v25
	;; [unrolled: 2-line block ×3, first 2 shown]
	v_mad_u64_u32 v[26:27], s[0:1], v30, s18, v[2:3]
	v_lshrrev_b32_e32 v2, 23, v22
	v_add_u32_e32 v29, 0xffffff88, v2
	v_mov_b32_e32 v2, v27
	v_mad_u64_u32 v[27:28], s[0:1], v30, s19, v[2:3]
	v_cmp_lt_u32_e32 vcc, 63, v29
	v_cndmask_b32_e32 v2, 0, v11, vcc
	v_add_u32_e32 v31, v2, v29
	v_mov_b32_e32 v2, v28
	v_mad_u64_u32 v[28:29], s[0:1], v30, s20, v[2:3]
	v_cmp_lt_u32_e64 s[0:1], 31, v31
	v_cndmask_b32_e64 v2, 0, v12, s[0:1]
	v_add_u32_e32 v31, v2, v31
	v_mov_b32_e32 v2, v29
	v_mad_u64_u32 v[29:30], s[2:3], v30, s21, v[2:3]
	v_cmp_lt_u32_e64 s[2:3], 31, v31
	v_cndmask_b32_e64 v2, 0, v12, s[2:3]
	v_add_u32_e32 v2, v2, v31
	v_cndmask_b32_e32 v31, v28, v26, vcc
	v_cndmask_b32_e32 v29, v29, v27, vcc
	;; [unrolled: 1-line block ×4, first 2 shown]
	v_cndmask_b32_e64 v30, v29, v31, s[0:1]
	v_cndmask_b32_e64 v28, v28, v29, s[0:1]
	;; [unrolled: 1-line block ×3, first 2 shown]
	v_cndmask_b32_e32 v24, v26, v24, vcc
	v_cndmask_b32_e64 v28, v28, v30, s[2:3]
	v_cndmask_b32_e64 v30, v30, v29, s[2:3]
	v_sub_u32_e32 v31, 32, v2
	v_cndmask_b32_e64 v26, v27, v24, s[0:1]
	v_alignbit_b32 v32, v28, v30, v31
	v_cmp_eq_u32_e64 s[4:5], 0, v2
	v_cndmask_b32_e64 v27, v29, v26, s[2:3]
	v_cndmask_b32_e64 v2, v32, v28, s[4:5]
	v_alignbit_b32 v28, v30, v27, v31
	v_cndmask_b32_e32 v23, v25, v23, vcc
	v_cndmask_b32_e64 v28, v28, v30, s[4:5]
	v_bfe_u32 v32, v2, 29, 1
	v_cndmask_b32_e64 v23, v24, v23, s[0:1]
	v_alignbit_b32 v29, v2, v28, 30
	v_sub_u32_e32 v33, 0, v32
	v_cndmask_b32_e64 v23, v26, v23, s[2:3]
	v_xor_b32_e32 v29, v29, v33
	v_alignbit_b32 v24, v27, v23, v31
	v_cndmask_b32_e64 v24, v24, v27, s[4:5]
	v_ffbh_u32_e32 v26, v29
	v_alignbit_b32 v25, v28, v24, 30
	v_min_u32_e32 v26, 32, v26
	v_alignbit_b32 v23, v24, v23, 30
	v_xor_b32_e32 v25, v25, v33
	v_sub_u32_e32 v27, 31, v26
	v_xor_b32_e32 v23, v23, v33
	v_alignbit_b32 v28, v29, v25, v27
	v_alignbit_b32 v23, v25, v23, v27
	;; [unrolled: 1-line block ×3, first 2 shown]
	v_ffbh_u32_e32 v25, v24
	v_min_u32_e32 v25, 32, v25
	v_lshrrev_b32_e32 v30, 29, v2
	v_not_b32_e32 v27, v25
	v_alignbit_b32 v23, v24, v23, v27
	v_lshlrev_b32_e32 v24, 31, v30
	v_or_b32_e32 v27, 0x33000000, v24
	v_add_lshl_u32 v25, v25, v26, 23
	v_lshrrev_b32_e32 v23, 9, v23
	v_sub_u32_e32 v25, v27, v25
	v_or_b32_e32 v24, 0.5, v24
	v_lshlrev_b32_e32 v26, 23, v26
	v_or_b32_e32 v23, v25, v23
	v_lshrrev_b32_e32 v25, 9, v28
	v_sub_u32_e32 v24, v24, v26
	v_or_b32_e32 v24, v25, v24
	v_mul_f32_e32 v25, 0x3fc90fda, v24
	v_fma_f32 v26, v24, s22, -v25
	v_fmac_f32_e32 v26, 0x33a22168, v24
	v_fmac_f32_e32 v26, 0x3fc90fda, v23
	v_lshrrev_b32_e32 v2, 30, v2
	v_add_f32_e32 v25, v25, v26
	v_add_u32_e32 v24, v32, v2
.LBB115_51:                             ;   in Loop: Header=BB115_41 Depth=1
	s_andn2_saveexec_b64 s[0:1], s[10:11]
; %bb.52:                               ;   in Loop: Header=BB115_41 Depth=1
	v_mul_f32_e64 v2, |v21|, s23
	v_rndne_f32_e32 v2, v2
	v_cvt_i32_f32_e32 v24, v2
	v_fma_f32 v25, v2, s24, |v21|
	v_fmac_f32_e32 v25, 0xb3a22168, v2
	v_fmac_f32_e32 v25, 0xa7c234c4, v2
; %bb.53:                               ;   in Loop: Header=BB115_41 Depth=1
	s_or_b64 exec, exec, s[0:1]
	v_cvt_f32_f16_sdwa v7, v7 dst_sel:DWORD dst_unused:UNUSED_PAD src0_sel:WORD_1
                                        ; implicit-def: $vgpr2
                                        ; implicit-def: $vgpr26
	v_and_b32_e32 v23, 0x7fffffff, v7
	v_cmp_nlt_f32_e64 s[0:1], |v7|, s14
	s_and_saveexec_b64 s[2:3], s[0:1]
	s_xor_b64 s[10:11], exec, s[2:3]
	s_cbranch_execz .LBB115_55
; %bb.54:                               ;   in Loop: Header=BB115_41 Depth=1
	v_and_b32_e32 v2, 0x7fffff, v23
	v_or_b32_e32 v33, 0x800000, v2
	v_mad_u64_u32 v[26:27], s[0:1], v33, s15, 0
	v_mov_b32_e32 v2, v27
	v_mad_u64_u32 v[27:28], s[0:1], v33, s16, v[2:3]
	v_mov_b32_e32 v2, v28
	;; [unrolled: 2-line block ×3, first 2 shown]
	v_mad_u64_u32 v[29:30], s[0:1], v33, s18, v[2:3]
	v_lshrrev_b32_e32 v2, 23, v23
	v_add_u32_e32 v32, 0xffffff88, v2
	v_mov_b32_e32 v2, v30
	v_mad_u64_u32 v[30:31], s[0:1], v33, s19, v[2:3]
	v_cmp_lt_u32_e32 vcc, 63, v32
	v_cndmask_b32_e32 v2, 0, v11, vcc
	v_add_u32_e32 v34, v2, v32
	v_mov_b32_e32 v2, v31
	v_mad_u64_u32 v[31:32], s[0:1], v33, s20, v[2:3]
	v_cmp_lt_u32_e64 s[0:1], 31, v34
	v_cndmask_b32_e64 v2, 0, v12, s[0:1]
	v_add_u32_e32 v34, v2, v34
	v_mov_b32_e32 v2, v32
	v_mad_u64_u32 v[32:33], s[2:3], v33, s21, v[2:3]
	v_cmp_lt_u32_e64 s[2:3], 31, v34
	v_cndmask_b32_e64 v2, 0, v12, s[2:3]
	v_add_u32_e32 v2, v2, v34
	v_cndmask_b32_e32 v34, v31, v29, vcc
	v_cndmask_b32_e32 v32, v32, v30, vcc
	v_cndmask_b32_e32 v31, v33, v31, vcc
	v_cndmask_b32_e32 v30, v30, v28, vcc
	v_cndmask_b32_e64 v33, v32, v34, s[0:1]
	v_cndmask_b32_e64 v31, v31, v32, s[0:1]
	;; [unrolled: 1-line block ×3, first 2 shown]
	v_cndmask_b32_e32 v27, v29, v27, vcc
	v_cndmask_b32_e64 v31, v31, v33, s[2:3]
	v_cndmask_b32_e64 v33, v33, v32, s[2:3]
	v_sub_u32_e32 v34, 32, v2
	v_cndmask_b32_e64 v29, v30, v27, s[0:1]
	v_alignbit_b32 v35, v31, v33, v34
	v_cmp_eq_u32_e64 s[4:5], 0, v2
	v_cndmask_b32_e64 v30, v32, v29, s[2:3]
	v_cndmask_b32_e64 v2, v35, v31, s[4:5]
	v_alignbit_b32 v31, v33, v30, v34
	v_cndmask_b32_e32 v26, v28, v26, vcc
	v_cndmask_b32_e64 v31, v31, v33, s[4:5]
	v_bfe_u32 v35, v2, 29, 1
	v_cndmask_b32_e64 v26, v27, v26, s[0:1]
	v_alignbit_b32 v32, v2, v31, 30
	v_sub_u32_e32 v36, 0, v35
	v_cndmask_b32_e64 v26, v29, v26, s[2:3]
	v_xor_b32_e32 v32, v32, v36
	v_alignbit_b32 v27, v30, v26, v34
	v_cndmask_b32_e64 v27, v27, v30, s[4:5]
	v_ffbh_u32_e32 v29, v32
	v_alignbit_b32 v28, v31, v27, 30
	v_min_u32_e32 v29, 32, v29
	v_alignbit_b32 v26, v27, v26, 30
	v_xor_b32_e32 v28, v28, v36
	v_sub_u32_e32 v30, 31, v29
	v_xor_b32_e32 v26, v26, v36
	v_alignbit_b32 v31, v32, v28, v30
	v_alignbit_b32 v26, v28, v26, v30
	;; [unrolled: 1-line block ×3, first 2 shown]
	v_ffbh_u32_e32 v28, v27
	v_min_u32_e32 v28, 32, v28
	v_lshrrev_b32_e32 v33, 29, v2
	v_not_b32_e32 v30, v28
	v_alignbit_b32 v26, v27, v26, v30
	v_lshlrev_b32_e32 v27, 31, v33
	v_or_b32_e32 v30, 0x33000000, v27
	v_add_lshl_u32 v28, v28, v29, 23
	v_lshrrev_b32_e32 v26, 9, v26
	v_sub_u32_e32 v28, v30, v28
	v_or_b32_e32 v27, 0.5, v27
	v_lshlrev_b32_e32 v29, 23, v29
	v_or_b32_e32 v26, v28, v26
	v_lshrrev_b32_e32 v28, 9, v31
	v_sub_u32_e32 v27, v27, v29
	v_or_b32_e32 v27, v28, v27
	v_mul_f32_e32 v28, 0x3fc90fda, v27
	v_fma_f32 v29, v27, s22, -v28
	v_fmac_f32_e32 v29, 0x33a22168, v27
	v_fmac_f32_e32 v29, 0x3fc90fda, v26
	v_lshrrev_b32_e32 v2, 30, v2
	v_add_f32_e32 v26, v28, v29
	v_add_u32_e32 v2, v35, v2
.LBB115_55:                             ;   in Loop: Header=BB115_41 Depth=1
	s_andn2_saveexec_b64 s[0:1], s[10:11]
	s_cbranch_execz .LBB115_40
; %bb.56:                               ;   in Loop: Header=BB115_41 Depth=1
	v_mul_f32_e64 v2, |v7|, s23
	v_rndne_f32_e32 v27, v2
	v_cvt_i32_f32_e32 v2, v27
	v_fma_f32 v26, v27, s24, |v7|
	v_fmac_f32_e32 v26, 0xb3a22168, v27
	v_fmac_f32_e32 v26, 0xa7c234c4, v27
	s_branch .LBB115_40
.LBB115_57:
	s_endpgm
	.section	.rodata,"a",@progbits
	.p2align	6, 0x0
	.amdhsa_kernel _ZN2at6native12_GLOBAL__N_125multi_tensor_apply_kernelINS1_18TensorListMetadataILi1EEENS1_14UnaryOpFunctorIN3c104HalfELi1ELi1ELi0EEEJNS0_3SinIfEEEEEvT_T0_DpT1_
		.amdhsa_group_segment_fixed_size 0
		.amdhsa_private_segment_fixed_size 0
		.amdhsa_kernarg_size 3632
		.amdhsa_user_sgpr_count 6
		.amdhsa_user_sgpr_private_segment_buffer 1
		.amdhsa_user_sgpr_dispatch_ptr 0
		.amdhsa_user_sgpr_queue_ptr 0
		.amdhsa_user_sgpr_kernarg_segment_ptr 1
		.amdhsa_user_sgpr_dispatch_id 0
		.amdhsa_user_sgpr_flat_scratch_init 0
		.amdhsa_user_sgpr_private_segment_size 0
		.amdhsa_uses_dynamic_stack 0
		.amdhsa_system_sgpr_private_segment_wavefront_offset 0
		.amdhsa_system_sgpr_workgroup_id_x 1
		.amdhsa_system_sgpr_workgroup_id_y 0
		.amdhsa_system_sgpr_workgroup_id_z 0
		.amdhsa_system_sgpr_workgroup_info 0
		.amdhsa_system_vgpr_workitem_id 0
		.amdhsa_next_free_vgpr 44
		.amdhsa_next_free_sgpr 46
		.amdhsa_reserve_vcc 1
		.amdhsa_reserve_flat_scratch 0
		.amdhsa_float_round_mode_32 0
		.amdhsa_float_round_mode_16_64 0
		.amdhsa_float_denorm_mode_32 3
		.amdhsa_float_denorm_mode_16_64 3
		.amdhsa_dx10_clamp 1
		.amdhsa_ieee_mode 1
		.amdhsa_fp16_overflow 0
		.amdhsa_exception_fp_ieee_invalid_op 0
		.amdhsa_exception_fp_denorm_src 0
		.amdhsa_exception_fp_ieee_div_zero 0
		.amdhsa_exception_fp_ieee_overflow 0
		.amdhsa_exception_fp_ieee_underflow 0
		.amdhsa_exception_fp_ieee_inexact 0
		.amdhsa_exception_int_div_zero 0
	.end_amdhsa_kernel
	.section	.text._ZN2at6native12_GLOBAL__N_125multi_tensor_apply_kernelINS1_18TensorListMetadataILi1EEENS1_14UnaryOpFunctorIN3c104HalfELi1ELi1ELi0EEEJNS0_3SinIfEEEEEvT_T0_DpT1_,"axG",@progbits,_ZN2at6native12_GLOBAL__N_125multi_tensor_apply_kernelINS1_18TensorListMetadataILi1EEENS1_14UnaryOpFunctorIN3c104HalfELi1ELi1ELi0EEEJNS0_3SinIfEEEEEvT_T0_DpT1_,comdat
.Lfunc_end115:
	.size	_ZN2at6native12_GLOBAL__N_125multi_tensor_apply_kernelINS1_18TensorListMetadataILi1EEENS1_14UnaryOpFunctorIN3c104HalfELi1ELi1ELi0EEEJNS0_3SinIfEEEEEvT_T0_DpT1_, .Lfunc_end115-_ZN2at6native12_GLOBAL__N_125multi_tensor_apply_kernelINS1_18TensorListMetadataILi1EEENS1_14UnaryOpFunctorIN3c104HalfELi1ELi1ELi0EEEJNS0_3SinIfEEEEEvT_T0_DpT1_
                                        ; -- End function
	.set _ZN2at6native12_GLOBAL__N_125multi_tensor_apply_kernelINS1_18TensorListMetadataILi1EEENS1_14UnaryOpFunctorIN3c104HalfELi1ELi1ELi0EEEJNS0_3SinIfEEEEEvT_T0_DpT1_.num_vgpr, 44
	.set _ZN2at6native12_GLOBAL__N_125multi_tensor_apply_kernelINS1_18TensorListMetadataILi1EEENS1_14UnaryOpFunctorIN3c104HalfELi1ELi1ELi0EEEJNS0_3SinIfEEEEEvT_T0_DpT1_.num_agpr, 0
	.set _ZN2at6native12_GLOBAL__N_125multi_tensor_apply_kernelINS1_18TensorListMetadataILi1EEENS1_14UnaryOpFunctorIN3c104HalfELi1ELi1ELi0EEEJNS0_3SinIfEEEEEvT_T0_DpT1_.numbered_sgpr, 46
	.set _ZN2at6native12_GLOBAL__N_125multi_tensor_apply_kernelINS1_18TensorListMetadataILi1EEENS1_14UnaryOpFunctorIN3c104HalfELi1ELi1ELi0EEEJNS0_3SinIfEEEEEvT_T0_DpT1_.num_named_barrier, 0
	.set _ZN2at6native12_GLOBAL__N_125multi_tensor_apply_kernelINS1_18TensorListMetadataILi1EEENS1_14UnaryOpFunctorIN3c104HalfELi1ELi1ELi0EEEJNS0_3SinIfEEEEEvT_T0_DpT1_.private_seg_size, 0
	.set _ZN2at6native12_GLOBAL__N_125multi_tensor_apply_kernelINS1_18TensorListMetadataILi1EEENS1_14UnaryOpFunctorIN3c104HalfELi1ELi1ELi0EEEJNS0_3SinIfEEEEEvT_T0_DpT1_.uses_vcc, 1
	.set _ZN2at6native12_GLOBAL__N_125multi_tensor_apply_kernelINS1_18TensorListMetadataILi1EEENS1_14UnaryOpFunctorIN3c104HalfELi1ELi1ELi0EEEJNS0_3SinIfEEEEEvT_T0_DpT1_.uses_flat_scratch, 0
	.set _ZN2at6native12_GLOBAL__N_125multi_tensor_apply_kernelINS1_18TensorListMetadataILi1EEENS1_14UnaryOpFunctorIN3c104HalfELi1ELi1ELi0EEEJNS0_3SinIfEEEEEvT_T0_DpT1_.has_dyn_sized_stack, 0
	.set _ZN2at6native12_GLOBAL__N_125multi_tensor_apply_kernelINS1_18TensorListMetadataILi1EEENS1_14UnaryOpFunctorIN3c104HalfELi1ELi1ELi0EEEJNS0_3SinIfEEEEEvT_T0_DpT1_.has_recursion, 0
	.set _ZN2at6native12_GLOBAL__N_125multi_tensor_apply_kernelINS1_18TensorListMetadataILi1EEENS1_14UnaryOpFunctorIN3c104HalfELi1ELi1ELi0EEEJNS0_3SinIfEEEEEvT_T0_DpT1_.has_indirect_call, 0
	.section	.AMDGPU.csdata,"",@progbits
; Kernel info:
; codeLenInByte = 7228
; TotalNumSgprs: 50
; NumVgprs: 44
; ScratchSize: 0
; MemoryBound: 0
; FloatMode: 240
; IeeeMode: 1
; LDSByteSize: 0 bytes/workgroup (compile time only)
; SGPRBlocks: 6
; VGPRBlocks: 10
; NumSGPRsForWavesPerEU: 50
; NumVGPRsForWavesPerEU: 44
; Occupancy: 5
; WaveLimiterHint : 0
; COMPUTE_PGM_RSRC2:SCRATCH_EN: 0
; COMPUTE_PGM_RSRC2:USER_SGPR: 6
; COMPUTE_PGM_RSRC2:TRAP_HANDLER: 0
; COMPUTE_PGM_RSRC2:TGID_X_EN: 1
; COMPUTE_PGM_RSRC2:TGID_Y_EN: 0
; COMPUTE_PGM_RSRC2:TGID_Z_EN: 0
; COMPUTE_PGM_RSRC2:TIDIG_COMP_CNT: 0
	.section	.text._ZN2at6native12_GLOBAL__N_125multi_tensor_apply_kernelINS1_18TensorListMetadataILi1EEENS1_14UnaryOpFunctorIN3c108BFloat16ELi1ELi1ELi0EEEJNS0_3SinIfEEEEEvT_T0_DpT1_,"axG",@progbits,_ZN2at6native12_GLOBAL__N_125multi_tensor_apply_kernelINS1_18TensorListMetadataILi1EEENS1_14UnaryOpFunctorIN3c108BFloat16ELi1ELi1ELi0EEEJNS0_3SinIfEEEEEvT_T0_DpT1_,comdat
	.globl	_ZN2at6native12_GLOBAL__N_125multi_tensor_apply_kernelINS1_18TensorListMetadataILi1EEENS1_14UnaryOpFunctorIN3c108BFloat16ELi1ELi1ELi0EEEJNS0_3SinIfEEEEEvT_T0_DpT1_ ; -- Begin function _ZN2at6native12_GLOBAL__N_125multi_tensor_apply_kernelINS1_18TensorListMetadataILi1EEENS1_14UnaryOpFunctorIN3c108BFloat16ELi1ELi1ELi0EEEJNS0_3SinIfEEEEEvT_T0_DpT1_
	.p2align	8
	.type	_ZN2at6native12_GLOBAL__N_125multi_tensor_apply_kernelINS1_18TensorListMetadataILi1EEENS1_14UnaryOpFunctorIN3c108BFloat16ELi1ELi1ELi0EEEJNS0_3SinIfEEEEEvT_T0_DpT1_,@function
_ZN2at6native12_GLOBAL__N_125multi_tensor_apply_kernelINS1_18TensorListMetadataILi1EEENS1_14UnaryOpFunctorIN3c108BFloat16ELi1ELi1ELi0EEEJNS0_3SinIfEEEEEvT_T0_DpT1_: ; @_ZN2at6native12_GLOBAL__N_125multi_tensor_apply_kernelINS1_18TensorListMetadataILi1EEENS1_14UnaryOpFunctorIN3c108BFloat16ELi1ELi1ELi0EEEJNS0_3SinIfEEEEEvT_T0_DpT1_
; %bb.0:
	v_mov_b32_e32 v1, s6
	global_load_ubyte v1, v1, s[4:5] offset:1760
	s_add_u32 s0, s4, s6
	s_mul_hi_u32 s1, s6, 3
	s_mul_i32 s6, s6, 3
	s_addc_u32 s2, s5, 0
	s_add_u32 s0, s0, s6
	s_addc_u32 s1, s2, s1
	s_load_dword s0, s[0:1], 0x820
	s_mov_b32 s7, 0
	s_waitcnt vmcnt(0)
	v_readfirstlane_b32 s1, v1
	s_lshl_b32 s1, s1, 3
	s_load_dwordx2 s[2:3], s[4:5], s1 offset:0x370
	s_load_dwordx2 s[16:17], s[4:5], s1 offset:0x0
	s_waitcnt lgkmcnt(0)
	s_ashr_i32 s1, s0, 31
	s_lshl_b64 s[18:19], s[0:1], 17
	s_lshl_b64 s[0:1], s[0:1], 16
	s_and_b32 s6, s16, 7
	s_sub_u32 s20, s2, s0
	s_subb_u32 s21, s3, s1
	s_and_b32 s0, s2, 3
	s_mov_b32 s1, s7
	s_or_b64 s[0:1], s[6:7], s[0:1]
	s_cmp_eq_u64 s[0:1], 0
	s_cbranch_scc1 .LBB116_37
; %bb.1:
	v_cmp_lt_i64_e64 s[0:1], s[20:21], 1
	s_and_b64 vcc, exec, s[0:1]
	s_cbranch_vccnz .LBB116_36
; %bb.2:
	v_mov_b32_e32 v3, 0x10000
	s_load_dword s2, s[4:5], 0xd3c
	v_mov_b32_e32 v4, 0
	v_cmp_lt_i64_e32 vcc, s[20:21], v[3:4]
	v_lshlrev_b32_e32 v1, 1, v0
	s_and_b64 s[0:1], vcc, exec
	v_cmp_lt_u64_e32 vcc, s[20:21], v[3:4]
	s_cselect_b32 s23, s21, 0
	s_cselect_b32 s22, s20, 0x10000
	s_waitcnt lgkmcnt(0)
	s_and_b32 s2, s2, 0xffff
	s_and_b64 s[0:1], vcc, exec
	s_cselect_b32 s25, s21, 0
	s_cselect_b32 s24, s20, 0x10000
	s_lshl_b32 s3, s2, 1
	s_lshl_b32 s30, s2, 2
	s_add_u32 s6, s16, s18
	s_addc_u32 s7, s17, s19
	v_mov_b32_e32 v4, s7
	v_add_co_u32_e32 v3, vcc, s6, v1
	s_mul_i32 s0, s2, 3
	v_addc_co_u32_e32 v4, vcc, 0, v4, vcc
	v_add_co_u32_e32 v7, vcc, s0, v0
	v_addc_co_u32_e64 v8, s[0:1], 0, 0, vcc
	v_add_co_u32_e32 v9, vcc, s3, v0
	v_addc_co_u32_e64 v10, s[0:1], 0, 0, vcc
	v_add_co_u32_e32 v11, vcc, s2, v0
	v_lshlrev_b32_e32 v1, 1, v11
	v_addc_co_u32_e64 v12, s[0:1], 0, 0, vcc
	v_mov_b32_e32 v6, s7
	v_add_co_u32_e32 v5, vcc, s6, v1
	v_mov_b32_e32 v2, 0
	s_lshl_b32 s31, s2, 3
	s_mul_i32 s33, s2, 6
	v_addc_co_u32_e32 v6, vcc, 0, v6, vcc
	s_mov_b64 s[26:27], 0
	s_brev_b32 s34, 18
	s_mov_b32 s35, 0xfe5163ab
	s_mov_b32 s36, 0x3c439041
	;; [unrolled: 1-line block ×10, first 2 shown]
	v_mov_b32_e32 v13, 0xbe2aaa9d
	v_mov_b32_e32 v14, 0x3d2aabf7
	;; [unrolled: 1-line block ×3, first 2 shown]
	s_movk_i32 s45, 0x1f8
	s_movk_i32 s46, 0x7fff
	v_not_b32_e32 v16, 63
	v_not_b32_e32 v17, 31
	v_mov_b32_e32 v18, 0x7fc00000
	v_mov_b32_e32 v19, 0x7fc0
	s_branch .LBB116_4
.LBB116_3:                              ;   in Loop: Header=BB116_4 Depth=1
	s_or_b64 exec, exec, s[2:3]
	s_add_u32 s26, s26, s30
	v_add_co_u32_e32 v3, vcc, s31, v3
	v_mov_b32_e32 v20, s22
	s_addc_u32 s27, s27, 0
	v_addc_co_u32_e32 v4, vcc, 0, v4, vcc
	v_mov_b32_e32 v21, s23
	v_cmp_ge_i64_e32 vcc, s[26:27], v[20:21]
	v_add_co_u32_e64 v5, s[0:1], s31, v5
	v_addc_co_u32_e64 v6, s[0:1], 0, v6, s[0:1]
	s_cbranch_vccnz .LBB116_36
.LBB116_4:                              ; =>This Inner Loop Header: Depth=1
	v_mov_b32_e32 v1, s27
	v_add_co_u32_e32 v20, vcc, s26, v0
	v_addc_co_u32_e32 v21, vcc, 0, v1, vcc
	v_cmp_gt_u64_e32 vcc, s[24:25], v[20:21]
	v_mov_b32_e32 v23, 0
	s_and_saveexec_b64 s[0:1], vcc
	s_cbranch_execz .LBB116_6
; %bb.5:                                ;   in Loop: Header=BB116_4 Depth=1
	global_load_ushort v1, v[3:4], off
	s_waitcnt vmcnt(0)
	v_lshlrev_b32_e32 v23, 16, v1
.LBB116_6:                              ;   in Loop: Header=BB116_4 Depth=1
	s_or_b64 exec, exec, s[0:1]
	v_mov_b32_e32 v1, s27
	v_add_co_u32_e64 v20, s[0:1], s26, v11
	v_addc_co_u32_e64 v21, s[0:1], v12, v1, s[0:1]
	v_cmp_gt_u64_e64 s[6:7], s[24:25], v[20:21]
	v_mov_b32_e32 v20, 0
	v_mov_b32_e32 v22, 0
	s_and_saveexec_b64 s[0:1], s[6:7]
	s_cbranch_execz .LBB116_8
; %bb.7:                                ;   in Loop: Header=BB116_4 Depth=1
	global_load_ushort v1, v[5:6], off
	s_waitcnt vmcnt(0)
	v_lshlrev_b32_e32 v22, 16, v1
.LBB116_8:                              ;   in Loop: Header=BB116_4 Depth=1
	s_or_b64 exec, exec, s[0:1]
	v_mov_b32_e32 v1, s27
	v_add_co_u32_e64 v24, s[0:1], s26, v9
	v_addc_co_u32_e64 v25, s[0:1], v10, v1, s[0:1]
	v_cmp_gt_u64_e64 s[2:3], s[24:25], v[24:25]
	s_and_saveexec_b64 s[8:9], s[2:3]
	s_cbranch_execz .LBB116_10
; %bb.9:                                ;   in Loop: Header=BB116_4 Depth=1
	v_add_co_u32_e64 v20, s[0:1], s30, v3
	v_addc_co_u32_e64 v21, s[0:1], 0, v4, s[0:1]
	global_load_ushort v1, v[20:21], off
	s_waitcnt vmcnt(0)
	v_lshlrev_b32_e32 v20, 16, v1
.LBB116_10:                             ;   in Loop: Header=BB116_4 Depth=1
	s_or_b64 exec, exec, s[8:9]
	v_mov_b32_e32 v1, s27
	v_add_co_u32_e64 v24, s[0:1], s26, v7
	v_addc_co_u32_e64 v25, s[0:1], v8, v1, s[0:1]
	v_cmp_gt_u64_e64 s[0:1], s[24:25], v[24:25]
	v_mov_b32_e32 v21, 0
	s_and_saveexec_b64 s[10:11], s[0:1]
	s_cbranch_execz .LBB116_12
; %bb.11:                               ;   in Loop: Header=BB116_4 Depth=1
	v_add_co_u32_e64 v24, s[8:9], s33, v3
	v_addc_co_u32_e64 v25, s[8:9], 0, v4, s[8:9]
	global_load_ushort v1, v[24:25], off
	s_waitcnt vmcnt(0)
	v_lshlrev_b32_e32 v21, 16, v1
.LBB116_12:                             ;   in Loop: Header=BB116_4 Depth=1
	s_or_b64 exec, exec, s[10:11]
	v_and_b32_e32 v24, 0x7fffffff, v23
	v_cmp_nlt_f32_e64 s[8:9], |v23|, s34
                                        ; implicit-def: $vgpr25
                                        ; implicit-def: $vgpr26
	s_and_saveexec_b64 s[10:11], s[8:9]
	s_xor_b64 s[28:29], exec, s[10:11]
	s_cbranch_execz .LBB116_14
; %bb.13:                               ;   in Loop: Header=BB116_4 Depth=1
	v_and_b32_e32 v1, 0x7fffff, v24
	v_or_b32_e32 v32, 0x800000, v1
	v_mad_u64_u32 v[25:26], s[8:9], v32, s35, 0
	v_mov_b32_e32 v1, v26
	v_mad_u64_u32 v[26:27], s[8:9], v32, s36, v[1:2]
	v_mov_b32_e32 v1, v27
	v_mad_u64_u32 v[27:28], s[8:9], v32, s37, v[1:2]
	v_mov_b32_e32 v1, v28
	v_mad_u64_u32 v[28:29], s[8:9], v32, s38, v[1:2]
	v_lshrrev_b32_e32 v1, 23, v24
	v_add_u32_e32 v31, 0xffffff88, v1
	v_mov_b32_e32 v1, v29
	v_mad_u64_u32 v[29:30], s[8:9], v32, s39, v[1:2]
	v_cmp_lt_u32_e64 s[8:9], 63, v31
	v_cndmask_b32_e64 v1, 0, v16, s[8:9]
	v_add_u32_e32 v33, v1, v31
	v_mov_b32_e32 v1, v30
	v_mad_u64_u32 v[30:31], s[10:11], v32, s40, v[1:2]
	v_cmp_lt_u32_e64 s[10:11], 31, v33
	v_cndmask_b32_e64 v1, 0, v17, s[10:11]
	;; [unrolled: 5-line block ×3, first 2 shown]
	v_add_u32_e32 v1, v1, v33
	v_cndmask_b32_e64 v33, v30, v28, s[8:9]
	v_cndmask_b32_e64 v31, v31, v29, s[8:9]
	;; [unrolled: 1-line block ×10, first 2 shown]
	v_sub_u32_e32 v33, 32, v1
	v_cndmask_b32_e64 v28, v29, v26, s[10:11]
	v_alignbit_b32 v34, v30, v32, v33
	v_cmp_eq_u32_e64 s[14:15], 0, v1
	v_cndmask_b32_e64 v29, v31, v28, s[12:13]
	v_cndmask_b32_e64 v1, v34, v30, s[14:15]
	v_alignbit_b32 v30, v32, v29, v33
	v_cndmask_b32_e64 v25, v27, v25, s[8:9]
	v_cndmask_b32_e64 v30, v30, v32, s[14:15]
	v_bfe_u32 v34, v1, 29, 1
	v_cndmask_b32_e64 v25, v26, v25, s[10:11]
	v_alignbit_b32 v31, v1, v30, 30
	v_sub_u32_e32 v35, 0, v34
	v_cndmask_b32_e64 v25, v28, v25, s[12:13]
	v_xor_b32_e32 v31, v31, v35
	v_alignbit_b32 v26, v29, v25, v33
	v_cndmask_b32_e64 v26, v26, v29, s[14:15]
	v_ffbh_u32_e32 v28, v31
	v_alignbit_b32 v27, v30, v26, 30
	v_min_u32_e32 v28, 32, v28
	v_alignbit_b32 v25, v26, v25, 30
	v_xor_b32_e32 v27, v27, v35
	v_sub_u32_e32 v29, 31, v28
	v_xor_b32_e32 v25, v25, v35
	v_alignbit_b32 v30, v31, v27, v29
	v_alignbit_b32 v25, v27, v25, v29
	;; [unrolled: 1-line block ×3, first 2 shown]
	v_ffbh_u32_e32 v27, v26
	v_min_u32_e32 v27, 32, v27
	v_lshrrev_b32_e32 v32, 29, v1
	v_not_b32_e32 v29, v27
	v_alignbit_b32 v25, v26, v25, v29
	v_lshlrev_b32_e32 v26, 31, v32
	v_or_b32_e32 v29, 0x33000000, v26
	v_add_lshl_u32 v27, v27, v28, 23
	v_lshrrev_b32_e32 v25, 9, v25
	v_sub_u32_e32 v27, v29, v27
	v_or_b32_e32 v26, 0.5, v26
	v_lshlrev_b32_e32 v28, 23, v28
	v_or_b32_e32 v25, v27, v25
	v_lshrrev_b32_e32 v27, 9, v30
	v_sub_u32_e32 v26, v26, v28
	v_or_b32_e32 v26, v27, v26
	v_mul_f32_e32 v27, 0x3fc90fda, v26
	v_fma_f32 v28, v26, s42, -v27
	v_fmac_f32_e32 v28, 0x33a22168, v26
	v_fmac_f32_e32 v28, 0x3fc90fda, v25
	v_lshrrev_b32_e32 v1, 30, v1
	v_add_f32_e32 v26, v27, v28
	v_add_u32_e32 v25, v34, v1
.LBB116_14:                             ;   in Loop: Header=BB116_4 Depth=1
	s_andn2_saveexec_b64 s[8:9], s[28:29]
; %bb.15:                               ;   in Loop: Header=BB116_4 Depth=1
	v_mul_f32_e64 v1, |v23|, s43
	v_rndne_f32_e32 v1, v1
	v_cvt_i32_f32_e32 v25, v1
	v_fma_f32 v26, v1, s44, |v23|
	v_fmac_f32_e32 v26, 0xb3a22168, v1
	v_fmac_f32_e32 v26, 0xa7c234c4, v1
; %bb.16:                               ;   in Loop: Header=BB116_4 Depth=1
	s_or_b64 exec, exec, s[8:9]
	v_and_b32_e32 v27, 0x7fffffff, v22
	v_cmp_nlt_f32_e64 s[8:9], |v22|, s34
                                        ; implicit-def: $vgpr28
                                        ; implicit-def: $vgpr29
	s_and_saveexec_b64 s[10:11], s[8:9]
	s_xor_b64 s[28:29], exec, s[10:11]
	s_cbranch_execz .LBB116_18
; %bb.17:                               ;   in Loop: Header=BB116_4 Depth=1
	v_and_b32_e32 v1, 0x7fffff, v27
	v_or_b32_e32 v35, 0x800000, v1
	v_mad_u64_u32 v[28:29], s[8:9], v35, s35, 0
	v_mov_b32_e32 v1, v29
	v_mad_u64_u32 v[29:30], s[8:9], v35, s36, v[1:2]
	v_mov_b32_e32 v1, v30
	;; [unrolled: 2-line block ×3, first 2 shown]
	v_mad_u64_u32 v[31:32], s[8:9], v35, s38, v[1:2]
	v_lshrrev_b32_e32 v1, 23, v27
	v_add_u32_e32 v34, 0xffffff88, v1
	v_mov_b32_e32 v1, v32
	v_mad_u64_u32 v[32:33], s[8:9], v35, s39, v[1:2]
	v_cmp_lt_u32_e64 s[8:9], 63, v34
	v_cndmask_b32_e64 v1, 0, v16, s[8:9]
	v_add_u32_e32 v36, v1, v34
	v_mov_b32_e32 v1, v33
	v_mad_u64_u32 v[33:34], s[10:11], v35, s40, v[1:2]
	v_cmp_lt_u32_e64 s[10:11], 31, v36
	v_cndmask_b32_e64 v1, 0, v17, s[10:11]
	;; [unrolled: 5-line block ×3, first 2 shown]
	v_add_u32_e32 v1, v1, v36
	v_cndmask_b32_e64 v36, v33, v31, s[8:9]
	v_cndmask_b32_e64 v34, v34, v32, s[8:9]
	v_cndmask_b32_e64 v33, v35, v33, s[8:9]
	v_cndmask_b32_e64 v32, v32, v30, s[8:9]
	v_cndmask_b32_e64 v35, v34, v36, s[10:11]
	v_cndmask_b32_e64 v33, v33, v34, s[10:11]
	v_cndmask_b32_e64 v34, v36, v32, s[10:11]
	v_cndmask_b32_e64 v29, v31, v29, s[8:9]
	v_cndmask_b32_e64 v33, v33, v35, s[12:13]
	v_cndmask_b32_e64 v35, v35, v34, s[12:13]
	v_sub_u32_e32 v36, 32, v1
	v_cndmask_b32_e64 v31, v32, v29, s[10:11]
	v_alignbit_b32 v37, v33, v35, v36
	v_cmp_eq_u32_e64 s[14:15], 0, v1
	v_cndmask_b32_e64 v32, v34, v31, s[12:13]
	v_cndmask_b32_e64 v1, v37, v33, s[14:15]
	v_alignbit_b32 v33, v35, v32, v36
	v_cndmask_b32_e64 v28, v30, v28, s[8:9]
	v_cndmask_b32_e64 v33, v33, v35, s[14:15]
	v_bfe_u32 v37, v1, 29, 1
	v_cndmask_b32_e64 v28, v29, v28, s[10:11]
	v_alignbit_b32 v34, v1, v33, 30
	v_sub_u32_e32 v38, 0, v37
	v_cndmask_b32_e64 v28, v31, v28, s[12:13]
	v_xor_b32_e32 v34, v34, v38
	v_alignbit_b32 v29, v32, v28, v36
	v_cndmask_b32_e64 v29, v29, v32, s[14:15]
	v_ffbh_u32_e32 v31, v34
	v_alignbit_b32 v30, v33, v29, 30
	v_min_u32_e32 v31, 32, v31
	v_alignbit_b32 v28, v29, v28, 30
	v_xor_b32_e32 v30, v30, v38
	v_sub_u32_e32 v32, 31, v31
	v_xor_b32_e32 v28, v28, v38
	v_alignbit_b32 v33, v34, v30, v32
	v_alignbit_b32 v28, v30, v28, v32
	;; [unrolled: 1-line block ×3, first 2 shown]
	v_ffbh_u32_e32 v30, v29
	v_min_u32_e32 v30, 32, v30
	v_lshrrev_b32_e32 v35, 29, v1
	v_not_b32_e32 v32, v30
	v_alignbit_b32 v28, v29, v28, v32
	v_lshlrev_b32_e32 v29, 31, v35
	v_or_b32_e32 v32, 0x33000000, v29
	v_add_lshl_u32 v30, v30, v31, 23
	v_lshrrev_b32_e32 v28, 9, v28
	v_sub_u32_e32 v30, v32, v30
	v_or_b32_e32 v29, 0.5, v29
	v_lshlrev_b32_e32 v31, 23, v31
	v_or_b32_e32 v28, v30, v28
	v_lshrrev_b32_e32 v30, 9, v33
	v_sub_u32_e32 v29, v29, v31
	v_or_b32_e32 v29, v30, v29
	v_mul_f32_e32 v30, 0x3fc90fda, v29
	v_fma_f32 v31, v29, s42, -v30
	v_fmac_f32_e32 v31, 0x33a22168, v29
	v_fmac_f32_e32 v31, 0x3fc90fda, v28
	v_lshrrev_b32_e32 v1, 30, v1
	v_add_f32_e32 v29, v30, v31
	v_add_u32_e32 v28, v37, v1
.LBB116_18:                             ;   in Loop: Header=BB116_4 Depth=1
	s_andn2_saveexec_b64 s[8:9], s[28:29]
; %bb.19:                               ;   in Loop: Header=BB116_4 Depth=1
	v_mul_f32_e64 v1, |v22|, s43
	v_rndne_f32_e32 v1, v1
	v_cvt_i32_f32_e32 v28, v1
	v_fma_f32 v29, v1, s44, |v22|
	v_fmac_f32_e32 v29, 0xb3a22168, v1
	v_fmac_f32_e32 v29, 0xa7c234c4, v1
; %bb.20:                               ;   in Loop: Header=BB116_4 Depth=1
	s_or_b64 exec, exec, s[8:9]
	v_and_b32_e32 v30, 0x7fffffff, v20
	v_cmp_nlt_f32_e64 s[8:9], |v20|, s34
                                        ; implicit-def: $vgpr32
                                        ; implicit-def: $vgpr33
	s_and_saveexec_b64 s[10:11], s[8:9]
	s_xor_b64 s[28:29], exec, s[10:11]
	s_cbranch_execz .LBB116_22
; %bb.21:                               ;   in Loop: Header=BB116_4 Depth=1
	v_and_b32_e32 v1, 0x7fffff, v30
	v_or_b32_e32 v38, 0x800000, v1
	v_mad_u64_u32 v[31:32], s[8:9], v38, s35, 0
	v_mov_b32_e32 v1, v32
	v_mad_u64_u32 v[32:33], s[8:9], v38, s36, v[1:2]
	v_mov_b32_e32 v1, v33
	;; [unrolled: 2-line block ×3, first 2 shown]
	v_mad_u64_u32 v[34:35], s[8:9], v38, s38, v[1:2]
	v_lshrrev_b32_e32 v1, 23, v30
	v_add_u32_e32 v37, 0xffffff88, v1
	v_mov_b32_e32 v1, v35
	v_mad_u64_u32 v[35:36], s[10:11], v38, s39, v[1:2]
	v_cmp_lt_u32_e64 s[8:9], 63, v37
	v_cndmask_b32_e64 v1, 0, v16, s[8:9]
	v_add_u32_e32 v39, v1, v37
	v_mov_b32_e32 v1, v36
	v_mad_u64_u32 v[36:37], s[12:13], v38, s40, v[1:2]
	v_cmp_lt_u32_e64 s[10:11], 31, v39
	v_cndmask_b32_e64 v1, 0, v17, s[10:11]
	;; [unrolled: 5-line block ×3, first 2 shown]
	v_add_u32_e32 v1, v1, v39
	v_cndmask_b32_e64 v39, v36, v34, s[8:9]
	v_cndmask_b32_e64 v37, v37, v35, s[8:9]
	;; [unrolled: 1-line block ×10, first 2 shown]
	v_sub_u32_e32 v39, 32, v1
	v_cndmask_b32_e64 v34, v35, v32, s[10:11]
	v_alignbit_b32 v40, v36, v38, v39
	v_cmp_eq_u32_e64 s[14:15], 0, v1
	v_cndmask_b32_e64 v35, v37, v34, s[12:13]
	v_cndmask_b32_e64 v1, v40, v36, s[14:15]
	v_alignbit_b32 v36, v38, v35, v39
	v_cndmask_b32_e64 v31, v33, v31, s[8:9]
	v_cndmask_b32_e64 v36, v36, v38, s[14:15]
	v_bfe_u32 v40, v1, 29, 1
	v_cndmask_b32_e64 v31, v32, v31, s[10:11]
	v_alignbit_b32 v37, v1, v36, 30
	v_sub_u32_e32 v41, 0, v40
	v_cndmask_b32_e64 v31, v34, v31, s[12:13]
	v_xor_b32_e32 v37, v37, v41
	v_alignbit_b32 v32, v35, v31, v39
	v_cndmask_b32_e64 v32, v32, v35, s[14:15]
	v_ffbh_u32_e32 v34, v37
	v_alignbit_b32 v33, v36, v32, 30
	v_min_u32_e32 v34, 32, v34
	v_alignbit_b32 v31, v32, v31, 30
	v_xor_b32_e32 v33, v33, v41
	v_sub_u32_e32 v35, 31, v34
	v_xor_b32_e32 v31, v31, v41
	v_alignbit_b32 v36, v37, v33, v35
	v_alignbit_b32 v31, v33, v31, v35
	;; [unrolled: 1-line block ×3, first 2 shown]
	v_ffbh_u32_e32 v33, v32
	v_min_u32_e32 v33, 32, v33
	v_lshrrev_b32_e32 v38, 29, v1
	v_not_b32_e32 v35, v33
	v_alignbit_b32 v31, v32, v31, v35
	v_lshlrev_b32_e32 v32, 31, v38
	v_or_b32_e32 v35, 0x33000000, v32
	v_add_lshl_u32 v33, v33, v34, 23
	v_lshrrev_b32_e32 v31, 9, v31
	v_sub_u32_e32 v33, v35, v33
	v_or_b32_e32 v32, 0.5, v32
	v_lshlrev_b32_e32 v34, 23, v34
	v_or_b32_e32 v31, v33, v31
	v_lshrrev_b32_e32 v33, 9, v36
	v_sub_u32_e32 v32, v32, v34
	v_or_b32_e32 v32, v33, v32
	v_mul_f32_e32 v33, 0x3fc90fda, v32
	v_fma_f32 v34, v32, s42, -v33
	v_fmac_f32_e32 v34, 0x33a22168, v32
	v_fmac_f32_e32 v34, 0x3fc90fda, v31
	v_lshrrev_b32_e32 v1, 30, v1
	v_add_f32_e32 v33, v33, v34
	v_add_u32_e32 v32, v40, v1
.LBB116_22:                             ;   in Loop: Header=BB116_4 Depth=1
	s_andn2_saveexec_b64 s[8:9], s[28:29]
; %bb.23:                               ;   in Loop: Header=BB116_4 Depth=1
	v_mul_f32_e64 v1, |v20|, s43
	v_rndne_f32_e32 v1, v1
	v_cvt_i32_f32_e32 v32, v1
	v_fma_f32 v33, v1, s44, |v20|
	v_fmac_f32_e32 v33, 0xb3a22168, v1
	v_fmac_f32_e32 v33, 0xa7c234c4, v1
; %bb.24:                               ;   in Loop: Header=BB116_4 Depth=1
	s_or_b64 exec, exec, s[8:9]
	v_and_b32_e32 v31, 0x7fffffff, v21
	v_cmp_nlt_f32_e64 s[8:9], |v21|, s34
                                        ; implicit-def: $vgpr1
                                        ; implicit-def: $vgpr34
	s_and_saveexec_b64 s[10:11], s[8:9]
	s_xor_b64 s[28:29], exec, s[10:11]
	s_cbranch_execnz .LBB116_30
; %bb.25:                               ;   in Loop: Header=BB116_4 Depth=1
	s_andn2_saveexec_b64 s[8:9], s[28:29]
	s_cbranch_execnz .LBB116_31
.LBB116_26:                             ;   in Loop: Header=BB116_4 Depth=1
	s_or_b64 exec, exec, s[8:9]
	s_and_saveexec_b64 s[8:9], vcc
	s_xor_b64 s[8:9], exec, s[8:9]
	s_cbranch_execnz .LBB116_32
.LBB116_27:                             ;   in Loop: Header=BB116_4 Depth=1
	s_or_b64 exec, exec, s[8:9]
	s_and_saveexec_b64 s[8:9], s[6:7]
	s_cbranch_execnz .LBB116_33
.LBB116_28:                             ;   in Loop: Header=BB116_4 Depth=1
	s_or_b64 exec, exec, s[8:9]
	s_and_saveexec_b64 s[6:7], s[2:3]
	s_cbranch_execnz .LBB116_34
.LBB116_29:                             ;   in Loop: Header=BB116_4 Depth=1
	s_or_b64 exec, exec, s[6:7]
	s_and_saveexec_b64 s[2:3], s[0:1]
	s_cbranch_execz .LBB116_3
	s_branch .LBB116_35
.LBB116_30:                             ;   in Loop: Header=BB116_4 Depth=1
	v_and_b32_e32 v1, 0x7fffff, v31
	v_or_b32_e32 v41, 0x800000, v1
	v_mad_u64_u32 v[34:35], s[8:9], v41, s35, 0
	v_mov_b32_e32 v1, v35
	v_mad_u64_u32 v[35:36], s[8:9], v41, s36, v[1:2]
	v_mov_b32_e32 v1, v36
	;; [unrolled: 2-line block ×3, first 2 shown]
	v_mad_u64_u32 v[37:38], s[8:9], v41, s38, v[1:2]
	v_lshrrev_b32_e32 v1, 23, v31
	v_add_u32_e32 v40, 0xffffff88, v1
	v_mov_b32_e32 v1, v38
	v_mad_u64_u32 v[38:39], s[8:9], v41, s39, v[1:2]
	v_cmp_lt_u32_e64 s[8:9], 63, v40
	v_cndmask_b32_e64 v1, 0, v16, s[8:9]
	v_add_u32_e32 v42, v1, v40
	v_mov_b32_e32 v1, v39
	v_mad_u64_u32 v[39:40], s[10:11], v41, s40, v[1:2]
	v_cmp_lt_u32_e64 s[10:11], 31, v42
	v_cndmask_b32_e64 v1, 0, v17, s[10:11]
	;; [unrolled: 5-line block ×3, first 2 shown]
	v_add_u32_e32 v1, v1, v42
	v_cndmask_b32_e64 v42, v39, v37, s[8:9]
	v_cndmask_b32_e64 v40, v40, v38, s[8:9]
	;; [unrolled: 1-line block ×10, first 2 shown]
	v_sub_u32_e32 v42, 32, v1
	v_cndmask_b32_e64 v37, v38, v35, s[10:11]
	v_alignbit_b32 v43, v39, v41, v42
	v_cmp_eq_u32_e64 s[14:15], 0, v1
	v_cndmask_b32_e64 v38, v40, v37, s[12:13]
	v_cndmask_b32_e64 v1, v43, v39, s[14:15]
	v_alignbit_b32 v39, v41, v38, v42
	v_cndmask_b32_e64 v34, v36, v34, s[8:9]
	v_cndmask_b32_e64 v39, v39, v41, s[14:15]
	v_bfe_u32 v43, v1, 29, 1
	v_cndmask_b32_e64 v34, v35, v34, s[10:11]
	v_alignbit_b32 v40, v1, v39, 30
	v_sub_u32_e32 v44, 0, v43
	v_cndmask_b32_e64 v34, v37, v34, s[12:13]
	v_xor_b32_e32 v40, v40, v44
	v_alignbit_b32 v35, v38, v34, v42
	v_cndmask_b32_e64 v35, v35, v38, s[14:15]
	v_ffbh_u32_e32 v37, v40
	v_alignbit_b32 v36, v39, v35, 30
	v_min_u32_e32 v37, 32, v37
	v_alignbit_b32 v34, v35, v34, 30
	v_xor_b32_e32 v36, v36, v44
	v_sub_u32_e32 v38, 31, v37
	v_xor_b32_e32 v34, v34, v44
	v_alignbit_b32 v39, v40, v36, v38
	v_alignbit_b32 v34, v36, v34, v38
	;; [unrolled: 1-line block ×3, first 2 shown]
	v_ffbh_u32_e32 v36, v35
	v_min_u32_e32 v36, 32, v36
	v_lshrrev_b32_e32 v41, 29, v1
	v_not_b32_e32 v38, v36
	v_alignbit_b32 v34, v35, v34, v38
	v_lshlrev_b32_e32 v35, 31, v41
	v_or_b32_e32 v38, 0x33000000, v35
	v_add_lshl_u32 v36, v36, v37, 23
	v_lshrrev_b32_e32 v34, 9, v34
	v_sub_u32_e32 v36, v38, v36
	v_or_b32_e32 v35, 0.5, v35
	v_lshlrev_b32_e32 v37, 23, v37
	v_or_b32_e32 v34, v36, v34
	v_lshrrev_b32_e32 v36, 9, v39
	v_sub_u32_e32 v35, v35, v37
	v_or_b32_e32 v35, v36, v35
	v_mul_f32_e32 v36, 0x3fc90fda, v35
	v_fma_f32 v37, v35, s42, -v36
	v_fmac_f32_e32 v37, 0x33a22168, v35
	v_fmac_f32_e32 v37, 0x3fc90fda, v34
	v_lshrrev_b32_e32 v1, 30, v1
	v_add_f32_e32 v34, v36, v37
	v_add_u32_e32 v1, v43, v1
	s_andn2_saveexec_b64 s[8:9], s[28:29]
	s_cbranch_execz .LBB116_26
.LBB116_31:                             ;   in Loop: Header=BB116_4 Depth=1
	v_mul_f32_e64 v1, |v21|, s43
	v_rndne_f32_e32 v35, v1
	v_cvt_i32_f32_e32 v1, v35
	v_fma_f32 v34, v35, s44, |v21|
	v_fmac_f32_e32 v34, 0xb3a22168, v35
	v_fmac_f32_e32 v34, 0xa7c234c4, v35
	s_or_b64 exec, exec, s[8:9]
	s_and_saveexec_b64 s[8:9], vcc
	s_xor_b64 s[8:9], exec, s[8:9]
	s_cbranch_execz .LBB116_27
.LBB116_32:                             ;   in Loop: Header=BB116_4 Depth=1
	v_mul_f32_e32 v35, v26, v26
	v_mov_b32_e32 v36, 0x3c0881c4
	v_fmac_f32_e32 v36, 0xb94c1982, v35
	v_fma_f32 v36, v35, v36, v13
	v_mul_f32_e32 v36, v35, v36
	v_fmac_f32_e32 v26, v26, v36
	v_mov_b32_e32 v36, 0xbab64f3b
	v_fmac_f32_e32 v36, 0x37d75334, v35
	v_fma_f32 v36, v35, v36, v14
	v_fma_f32 v36, v35, v36, v15
	v_fma_f32 v35, v35, v36, 1.0
	v_and_b32_e32 v36, 1, v25
	v_lshlrev_b32_e32 v25, 30, v25
	v_cmp_eq_u32_e32 vcc, 0, v36
	v_and_b32_e32 v25, 0x80000000, v25
	v_cndmask_b32_e32 v26, v35, v26, vcc
	v_xor_b32_e32 v24, v24, v25
	v_xor_b32_e32 v24, v24, v26
	v_xor_b32_e32 v24, v24, v23
	v_cmp_class_f32_e64 vcc, v23, s45
	v_cndmask_b32_e32 v23, v18, v24, vcc
	v_bfe_u32 v24, v23, 16, 1
	v_add3_u32 v24, v23, v24, s46
	v_cmp_o_f32_e32 vcc, v23, v23
	v_cndmask_b32_sdwa v23, v19, v24, vcc dst_sel:DWORD dst_unused:UNUSED_PAD src0_sel:DWORD src1_sel:WORD_1
	global_store_short v[3:4], v23, off
	s_or_b64 exec, exec, s[8:9]
	s_and_saveexec_b64 s[8:9], s[6:7]
	s_cbranch_execz .LBB116_28
.LBB116_33:                             ;   in Loop: Header=BB116_4 Depth=1
	v_mul_f32_e32 v23, v29, v29
	v_mov_b32_e32 v24, 0x3c0881c4
	v_fmac_f32_e32 v24, 0xb94c1982, v23
	v_fma_f32 v24, v23, v24, v13
	v_mul_f32_e32 v24, v23, v24
	v_fmac_f32_e32 v29, v29, v24
	v_mov_b32_e32 v24, 0xbab64f3b
	v_fmac_f32_e32 v24, 0x37d75334, v23
	v_fma_f32 v24, v23, v24, v14
	v_fma_f32 v24, v23, v24, v15
	v_fma_f32 v23, v23, v24, 1.0
	v_and_b32_e32 v24, 1, v28
	v_cmp_eq_u32_e32 vcc, 0, v24
	v_lshlrev_b32_e32 v24, 30, v28
	v_and_b32_e32 v24, 0x80000000, v24
	v_cndmask_b32_e32 v23, v23, v29, vcc
	v_xor_b32_e32 v24, v27, v24
	v_xor_b32_e32 v23, v24, v23
	;; [unrolled: 1-line block ×3, first 2 shown]
	v_cmp_class_f32_e64 vcc, v22, s45
	v_cndmask_b32_e32 v22, v18, v23, vcc
	v_bfe_u32 v23, v22, 16, 1
	v_add3_u32 v23, v22, v23, s46
	v_cmp_o_f32_e32 vcc, v22, v22
	v_cndmask_b32_sdwa v22, v19, v23, vcc dst_sel:DWORD dst_unused:UNUSED_PAD src0_sel:DWORD src1_sel:WORD_1
	global_store_short v[5:6], v22, off
	s_or_b64 exec, exec, s[8:9]
	s_and_saveexec_b64 s[6:7], s[2:3]
	s_cbranch_execz .LBB116_29
.LBB116_34:                             ;   in Loop: Header=BB116_4 Depth=1
	v_mul_f32_e32 v22, v33, v33
	v_mov_b32_e32 v23, 0x3c0881c4
	v_fmac_f32_e32 v23, 0xb94c1982, v22
	v_fma_f32 v23, v22, v23, v13
	v_mul_f32_e32 v23, v22, v23
	v_fmac_f32_e32 v33, v33, v23
	v_mov_b32_e32 v23, 0xbab64f3b
	v_fmac_f32_e32 v23, 0x37d75334, v22
	v_fma_f32 v23, v22, v23, v14
	v_fma_f32 v23, v22, v23, v15
	v_fma_f32 v22, v22, v23, 1.0
	v_and_b32_e32 v23, 1, v32
	v_cmp_eq_u32_e32 vcc, 0, v23
	v_lshlrev_b32_e32 v23, 30, v32
	v_and_b32_e32 v23, 0x80000000, v23
	v_cndmask_b32_e32 v22, v22, v33, vcc
	v_xor_b32_e32 v23, v30, v23
	v_xor_b32_e32 v22, v23, v22
	v_xor_b32_e32 v22, v22, v20
	v_cmp_class_f32_e64 vcc, v20, s45
	v_cndmask_b32_e32 v20, v18, v22, vcc
	v_bfe_u32 v22, v20, 16, 1
	v_add3_u32 v22, v20, v22, s46
	v_cmp_o_f32_e32 vcc, v20, v20
	v_cndmask_b32_sdwa v20, v19, v22, vcc dst_sel:DWORD dst_unused:UNUSED_PAD src0_sel:DWORD src1_sel:WORD_1
	v_add_co_u32_e32 v22, vcc, s30, v3
	v_addc_co_u32_e32 v23, vcc, 0, v4, vcc
	global_store_short v[22:23], v20, off
	s_or_b64 exec, exec, s[6:7]
	s_and_saveexec_b64 s[2:3], s[0:1]
	s_cbranch_execz .LBB116_3
.LBB116_35:                             ;   in Loop: Header=BB116_4 Depth=1
	v_mul_f32_e32 v20, v34, v34
	v_mov_b32_e32 v22, 0x3c0881c4
	v_fmac_f32_e32 v22, 0xb94c1982, v20
	v_fma_f32 v22, v20, v22, v13
	v_mul_f32_e32 v22, v20, v22
	v_fmac_f32_e32 v34, v34, v22
	v_mov_b32_e32 v22, 0xbab64f3b
	v_fmac_f32_e32 v22, 0x37d75334, v20
	v_fma_f32 v22, v20, v22, v14
	v_fma_f32 v22, v20, v22, v15
	v_fma_f32 v20, v20, v22, 1.0
	v_and_b32_e32 v22, 1, v1
	v_lshlrev_b32_e32 v1, 30, v1
	v_cmp_eq_u32_e32 vcc, 0, v22
	v_and_b32_e32 v1, 0x80000000, v1
	v_cndmask_b32_e32 v20, v20, v34, vcc
	v_xor_b32_e32 v1, v31, v1
	v_xor_b32_e32 v1, v1, v20
	;; [unrolled: 1-line block ×3, first 2 shown]
	v_cmp_class_f32_e64 vcc, v21, s45
	v_cndmask_b32_e32 v1, v18, v1, vcc
	v_bfe_u32 v20, v1, 16, 1
	v_add3_u32 v20, v1, v20, s46
	v_cmp_o_f32_e32 vcc, v1, v1
	v_cndmask_b32_sdwa v1, v19, v20, vcc dst_sel:DWORD dst_unused:UNUSED_PAD src0_sel:DWORD src1_sel:WORD_1
	v_add_co_u32_e32 v20, vcc, s33, v3
	v_addc_co_u32_e32 v21, vcc, 0, v4, vcc
	global_store_short v[20:21], v1, off
	s_branch .LBB116_3
.LBB116_36:
	s_cbranch_execz .LBB116_38
	s_branch .LBB116_57
.LBB116_37:
.LBB116_38:
	v_mov_b32_e32 v1, 0x10000
	v_mov_b32_e32 v2, 0
	v_cmp_lt_i64_e32 vcc, s[20:21], v[1:2]
	v_mov_b32_e32 v3, 0
	s_and_b64 s[0:1], vcc, exec
	s_cselect_b32 s7, s21, 0
	s_cselect_b32 s6, s20, 0x10000
	v_lshlrev_b32_e32 v2, 2, v0
	v_cmp_gt_i64_e32 vcc, s[6:7], v[2:3]
	s_and_saveexec_b64 s[0:1], vcc
	s_cbranch_execz .LBB116_57
; %bb.39:
	s_load_dword s0, s[4:5], 0xd3c
	v_lshlrev_b32_e32 v2, 3, v0
	v_mov_b32_e32 v1, v3
	s_mov_b64 s[8:9], 0
	s_brev_b32 s14, 18
	s_waitcnt lgkmcnt(0)
	s_and_b32 s12, s0, 0xffff
	s_add_u32 s0, s16, s18
	s_addc_u32 s1, s17, s19
	v_mov_b32_e32 v5, s1
	v_add_co_u32_e32 v4, vcc, s0, v2
	v_addc_co_u32_e32 v5, vcc, 0, v5, vcc
	s_lshl_b32 s13, s12, 3
	s_mov_b32 s15, 0xfe5163ab
	s_mov_b32 s16, 0x3c439041
	;; [unrolled: 1-line block ×10, first 2 shown]
	v_mov_b32_e32 v8, 0xbe2aaa9d
	v_mov_b32_e32 v9, 0x3d2aabf7
	;; [unrolled: 1-line block ×3, first 2 shown]
	s_movk_i32 s25, 0x1f8
	s_movk_i32 s26, 0x7fff
	v_not_b32_e32 v11, 63
	v_not_b32_e32 v12, 31
	v_mov_b32_e32 v13, 0x7fc00000
	v_mov_b32_e32 v14, 0x7fc0
	s_branch .LBB116_41
.LBB116_40:                             ;   in Loop: Header=BB116_41 Depth=1
	s_or_b64 exec, exec, s[0:1]
	v_mul_f32_e32 v28, v26, v26
	v_mov_b32_e32 v29, 0x3c0881c4
	v_fmac_f32_e32 v29, 0xb94c1982, v28
	v_fma_f32 v29, v28, v29, v8
	v_mul_f32_e32 v29, v28, v29
	v_fmac_f32_e32 v26, v26, v29
	v_mov_b32_e32 v29, 0xbab64f3b
	v_fmac_f32_e32 v29, 0x37d75334, v28
	v_fma_f32 v29, v28, v29, v9
	v_fma_f32 v29, v28, v29, v10
	v_fma_f32 v28, v28, v29, 1.0
	v_and_b32_e32 v29, 1, v25
	v_lshlrev_b32_e32 v25, 30, v25
	v_cmp_eq_u32_e32 vcc, 0, v29
	v_and_b32_e32 v25, 0x80000000, v25
	v_cndmask_b32_e32 v26, v28, v26, vcc
	v_xor_b32_e32 v23, v23, v25
	v_xor_b32_e32 v23, v23, v26
	v_mul_f32_e32 v25, v22, v22
	v_mov_b32_e32 v26, 0x3c0881c4
	v_fmac_f32_e32 v26, 0xb94c1982, v25
	v_fma_f32 v26, v25, v26, v8
	v_mul_f32_e32 v26, v25, v26
	v_fmac_f32_e32 v22, v22, v26
	v_mov_b32_e32 v26, 0xbab64f3b
	v_fmac_f32_e32 v26, 0x37d75334, v25
	v_fma_f32 v26, v25, v26, v9
	v_fma_f32 v26, v25, v26, v10
	v_xor_b32_e32 v23, v23, v6
	v_cmp_class_f32_e64 vcc, v6, s25
	v_fma_f32 v25, v25, v26, 1.0
	v_and_b32_e32 v26, 1, v21
	v_lshlrev_b32_e32 v21, 30, v21
	v_cndmask_b32_e32 v6, v13, v23, vcc
	v_cmp_eq_u32_e32 vcc, 0, v26
	v_and_b32_e32 v21, 0x80000000, v21
	v_cndmask_b32_e32 v22, v25, v22, vcc
	v_xor_b32_e32 v20, v20, v21
	v_xor_b32_e32 v20, v20, v22
	v_mul_f32_e32 v21, v18, v18
	v_mov_b32_e32 v22, 0x3c0881c4
	v_fmac_f32_e32 v22, 0xb94c1982, v21
	v_fma_f32 v22, v21, v22, v8
	v_mul_f32_e32 v22, v21, v22
	v_fmac_f32_e32 v18, v18, v22
	v_mov_b32_e32 v22, 0xbab64f3b
	v_fmac_f32_e32 v22, 0x37d75334, v21
	v_fma_f32 v22, v21, v22, v9
	v_fma_f32 v22, v21, v22, v10
	v_xor_b32_e32 v20, v20, v19
	v_cmp_class_f32_e64 vcc, v19, s25
	v_fma_f32 v21, v21, v22, 1.0
	v_and_b32_e32 v22, 1, v17
	v_lshlrev_b32_e32 v17, 30, v17
	v_cndmask_b32_e32 v19, v13, v20, vcc
	;; [unrolled: 21-line block ×3, first 2 shown]
	v_cmp_eq_u32_e32 vcc, 0, v18
	v_and_b32_e32 v2, 0x80000000, v2
	v_cndmask_b32_e32 v17, v17, v27, vcc
	v_xor_b32_e32 v2, v24, v2
	v_xor_b32_e32 v2, v2, v17
	;; [unrolled: 1-line block ×3, first 2 shown]
	v_cmp_class_f32_e64 vcc, v7, s25
	v_cndmask_b32_e32 v2, v13, v2, vcc
	v_bfe_u32 v7, v2, 16, 1
	v_bfe_u32 v23, v6, 16, 1
	v_add3_u32 v7, v2, v7, s26
	v_add3_u32 v23, v6, v23, s26
	v_bfe_u32 v20, v19, 16, 1
	v_and_b32_e32 v7, 0xffff0000, v7
	v_cmp_o_f32_e32 vcc, v2, v2
	v_lshrrev_b32_e32 v23, 16, v23
	v_add3_u32 v20, v19, v20, s26
	v_bfe_u32 v16, v15, 16, 1
	v_cndmask_b32_e32 v2, v13, v7, vcc
	v_cmp_o_f32_e32 vcc, v6, v6
	v_and_b32_e32 v20, 0xffff0000, v20
	v_add3_u32 v16, v15, v16, s26
	v_cndmask_b32_e32 v6, v14, v23, vcc
	v_cmp_o_f32_e32 vcc, v19, v19
	v_lshrrev_b32_e32 v16, 16, v16
	v_cndmask_b32_e32 v7, v13, v20, vcc
	v_cmp_o_f32_e32 vcc, v15, v15
	v_cndmask_b32_e32 v15, v14, v16, vcc
	v_add_co_u32_e32 v0, vcc, s12, v0
	v_addc_co_u32_e32 v1, vcc, 0, v1, vcc
	v_or_b32_e32 v17, v7, v15
	v_lshlrev_b64 v[15:16], 2, v[0:1]
	v_or3_b32 v7, 0, v6, v2
	v_cmp_le_i64_e32 vcc, s[6:7], v[15:16]
	v_or3_b32 v6, v17, 0, 0
	global_store_dwordx2 v[4:5], v[6:7], off
	s_or_b64 s[8:9], vcc, s[8:9]
	v_add_co_u32_e32 v4, vcc, s13, v4
	v_addc_co_u32_e32 v5, vcc, 0, v5, vcc
	s_andn2_b64 exec, exec, s[8:9]
	s_cbranch_execz .LBB116_57
.LBB116_41:                             ; =>This Inner Loop Header: Depth=1
	global_load_dwordx2 v[6:7], v[4:5], off
                                        ; implicit-def: $vgpr17
                                        ; implicit-def: $vgpr18
	s_waitcnt vmcnt(0)
	v_lshlrev_b32_e32 v15, 16, v6
	v_and_b32_e32 v16, 0x7fffffff, v15
	v_cmp_nlt_f32_e64 s[0:1], |v15|, s14
	s_and_saveexec_b64 s[2:3], s[0:1]
	s_xor_b64 s[10:11], exec, s[2:3]
	s_cbranch_execz .LBB116_43
; %bb.42:                               ;   in Loop: Header=BB116_41 Depth=1
	v_and_b32_e32 v2, 0x7fffff, v16
	v_or_b32_e32 v24, 0x800000, v2
	v_mad_u64_u32 v[17:18], s[0:1], v24, s15, 0
	v_mov_b32_e32 v2, v18
	v_mad_u64_u32 v[18:19], s[0:1], v24, s16, v[2:3]
	v_mov_b32_e32 v2, v19
	;; [unrolled: 2-line block ×3, first 2 shown]
	v_mad_u64_u32 v[20:21], s[0:1], v24, s18, v[2:3]
	v_lshrrev_b32_e32 v2, 23, v16
	v_add_u32_e32 v23, 0xffffff88, v2
	v_mov_b32_e32 v2, v21
	v_mad_u64_u32 v[21:22], s[0:1], v24, s19, v[2:3]
	v_cmp_lt_u32_e32 vcc, 63, v23
	v_cndmask_b32_e32 v2, 0, v11, vcc
	v_add_u32_e32 v25, v2, v23
	v_mov_b32_e32 v2, v22
	v_mad_u64_u32 v[22:23], s[0:1], v24, s20, v[2:3]
	v_cmp_lt_u32_e64 s[0:1], 31, v25
	v_cndmask_b32_e64 v2, 0, v12, s[0:1]
	v_add_u32_e32 v25, v2, v25
	v_mov_b32_e32 v2, v23
	v_mad_u64_u32 v[23:24], s[2:3], v24, s21, v[2:3]
	v_cmp_lt_u32_e64 s[2:3], 31, v25
	v_cndmask_b32_e64 v2, 0, v12, s[2:3]
	v_add_u32_e32 v2, v2, v25
	v_cndmask_b32_e32 v25, v22, v20, vcc
	v_cndmask_b32_e32 v22, v24, v22, vcc
	;; [unrolled: 1-line block ×4, first 2 shown]
	v_cndmask_b32_e64 v24, v23, v25, s[0:1]
	v_cndmask_b32_e64 v22, v22, v23, s[0:1]
	;; [unrolled: 1-line block ×3, first 2 shown]
	v_cndmask_b32_e32 v18, v20, v18, vcc
	v_cndmask_b32_e64 v22, v22, v24, s[2:3]
	v_cndmask_b32_e64 v24, v24, v23, s[2:3]
	v_sub_u32_e32 v25, 32, v2
	v_cndmask_b32_e64 v20, v21, v18, s[0:1]
	v_alignbit_b32 v26, v22, v24, v25
	v_cmp_eq_u32_e64 s[4:5], 0, v2
	v_cndmask_b32_e64 v21, v23, v20, s[2:3]
	v_cndmask_b32_e64 v2, v26, v22, s[4:5]
	v_alignbit_b32 v22, v24, v21, v25
	v_cndmask_b32_e32 v17, v19, v17, vcc
	v_cndmask_b32_e64 v22, v22, v24, s[4:5]
	v_bfe_u32 v26, v2, 29, 1
	v_cndmask_b32_e64 v17, v18, v17, s[0:1]
	v_alignbit_b32 v23, v2, v22, 30
	v_sub_u32_e32 v27, 0, v26
	v_cndmask_b32_e64 v17, v20, v17, s[2:3]
	v_xor_b32_e32 v23, v23, v27
	v_alignbit_b32 v18, v21, v17, v25
	v_cndmask_b32_e64 v18, v18, v21, s[4:5]
	v_ffbh_u32_e32 v20, v23
	v_alignbit_b32 v19, v22, v18, 30
	v_min_u32_e32 v20, 32, v20
	v_alignbit_b32 v17, v18, v17, 30
	v_xor_b32_e32 v19, v19, v27
	v_sub_u32_e32 v21, 31, v20
	v_xor_b32_e32 v17, v17, v27
	v_alignbit_b32 v22, v23, v19, v21
	v_alignbit_b32 v17, v19, v17, v21
	;; [unrolled: 1-line block ×3, first 2 shown]
	v_ffbh_u32_e32 v19, v18
	v_min_u32_e32 v19, 32, v19
	v_lshrrev_b32_e32 v24, 29, v2
	v_not_b32_e32 v21, v19
	v_alignbit_b32 v17, v18, v17, v21
	v_lshlrev_b32_e32 v18, 31, v24
	v_or_b32_e32 v21, 0x33000000, v18
	v_add_lshl_u32 v19, v19, v20, 23
	v_lshrrev_b32_e32 v17, 9, v17
	v_sub_u32_e32 v19, v21, v19
	v_or_b32_e32 v18, 0.5, v18
	v_lshlrev_b32_e32 v20, 23, v20
	v_or_b32_e32 v17, v19, v17
	v_lshrrev_b32_e32 v19, 9, v22
	v_sub_u32_e32 v18, v18, v20
	v_or_b32_e32 v18, v19, v18
	v_mul_f32_e32 v19, 0x3fc90fda, v18
	v_fma_f32 v20, v18, s22, -v19
	v_fmac_f32_e32 v20, 0x33a22168, v18
	v_fmac_f32_e32 v20, 0x3fc90fda, v17
	v_lshrrev_b32_e32 v2, 30, v2
	v_add_f32_e32 v18, v19, v20
	v_add_u32_e32 v17, v26, v2
.LBB116_43:                             ;   in Loop: Header=BB116_41 Depth=1
	s_andn2_saveexec_b64 s[0:1], s[10:11]
; %bb.44:                               ;   in Loop: Header=BB116_41 Depth=1
	v_mul_f32_e64 v2, |v15|, s23
	v_rndne_f32_e32 v2, v2
	v_cvt_i32_f32_e32 v17, v2
	v_fma_f32 v18, v2, s24, |v15|
	v_fmac_f32_e32 v18, 0xb3a22168, v2
	v_fmac_f32_e32 v18, 0xa7c234c4, v2
; %bb.45:                               ;   in Loop: Header=BB116_41 Depth=1
	s_or_b64 exec, exec, s[0:1]
	v_and_b32_e32 v19, 0xffff0000, v6
	v_and_b32_e32 v20, 0x7fffffff, v19
	v_cmp_nlt_f32_e64 s[0:1], |v19|, s14
                                        ; implicit-def: $vgpr21
                                        ; implicit-def: $vgpr22
	s_and_saveexec_b64 s[2:3], s[0:1]
	s_xor_b64 s[10:11], exec, s[2:3]
	s_cbranch_execz .LBB116_47
; %bb.46:                               ;   in Loop: Header=BB116_41 Depth=1
	v_and_b32_e32 v2, 0x7fffff, v20
	v_or_b32_e32 v28, 0x800000, v2
	v_mad_u64_u32 v[21:22], s[0:1], v28, s15, 0
	v_mov_b32_e32 v2, v22
	v_mad_u64_u32 v[22:23], s[0:1], v28, s16, v[2:3]
	v_mov_b32_e32 v2, v23
	v_mad_u64_u32 v[23:24], s[0:1], v28, s17, v[2:3]
	v_mov_b32_e32 v2, v24
	v_mad_u64_u32 v[24:25], s[0:1], v28, s18, v[2:3]
	v_lshrrev_b32_e32 v2, 23, v20
	v_add_u32_e32 v27, 0xffffff88, v2
	v_mov_b32_e32 v2, v25
	v_mad_u64_u32 v[25:26], s[0:1], v28, s19, v[2:3]
	v_cmp_lt_u32_e32 vcc, 63, v27
	v_cndmask_b32_e32 v2, 0, v11, vcc
	v_add_u32_e32 v29, v2, v27
	v_mov_b32_e32 v2, v26
	v_mad_u64_u32 v[26:27], s[0:1], v28, s20, v[2:3]
	v_cmp_lt_u32_e64 s[0:1], 31, v29
	v_cndmask_b32_e64 v2, 0, v12, s[0:1]
	v_add_u32_e32 v29, v2, v29
	v_mov_b32_e32 v2, v27
	v_mad_u64_u32 v[27:28], s[2:3], v28, s21, v[2:3]
	v_cmp_lt_u32_e64 s[2:3], 31, v29
	v_cndmask_b32_e64 v2, 0, v12, s[2:3]
	v_add_u32_e32 v2, v2, v29
	v_cndmask_b32_e32 v29, v26, v24, vcc
	v_cndmask_b32_e32 v27, v27, v25, vcc
	;; [unrolled: 1-line block ×4, first 2 shown]
	v_cndmask_b32_e64 v28, v27, v29, s[0:1]
	v_cndmask_b32_e64 v26, v26, v27, s[0:1]
	;; [unrolled: 1-line block ×3, first 2 shown]
	v_cndmask_b32_e32 v22, v24, v22, vcc
	v_cndmask_b32_e64 v26, v26, v28, s[2:3]
	v_cndmask_b32_e64 v28, v28, v27, s[2:3]
	v_sub_u32_e32 v29, 32, v2
	v_cndmask_b32_e64 v24, v25, v22, s[0:1]
	v_alignbit_b32 v30, v26, v28, v29
	v_cmp_eq_u32_e64 s[4:5], 0, v2
	v_cndmask_b32_e64 v25, v27, v24, s[2:3]
	v_cndmask_b32_e64 v2, v30, v26, s[4:5]
	v_alignbit_b32 v26, v28, v25, v29
	v_cndmask_b32_e32 v21, v23, v21, vcc
	v_cndmask_b32_e64 v26, v26, v28, s[4:5]
	v_bfe_u32 v30, v2, 29, 1
	v_cndmask_b32_e64 v21, v22, v21, s[0:1]
	v_alignbit_b32 v27, v2, v26, 30
	v_sub_u32_e32 v31, 0, v30
	v_cndmask_b32_e64 v21, v24, v21, s[2:3]
	v_xor_b32_e32 v27, v27, v31
	v_alignbit_b32 v22, v25, v21, v29
	v_cndmask_b32_e64 v22, v22, v25, s[4:5]
	v_ffbh_u32_e32 v24, v27
	v_alignbit_b32 v23, v26, v22, 30
	v_min_u32_e32 v24, 32, v24
	v_alignbit_b32 v21, v22, v21, 30
	v_xor_b32_e32 v23, v23, v31
	v_sub_u32_e32 v25, 31, v24
	v_xor_b32_e32 v21, v21, v31
	v_alignbit_b32 v26, v27, v23, v25
	v_alignbit_b32 v21, v23, v21, v25
	;; [unrolled: 1-line block ×3, first 2 shown]
	v_ffbh_u32_e32 v23, v22
	v_min_u32_e32 v23, 32, v23
	v_lshrrev_b32_e32 v28, 29, v2
	v_not_b32_e32 v25, v23
	v_alignbit_b32 v21, v22, v21, v25
	v_lshlrev_b32_e32 v22, 31, v28
	v_or_b32_e32 v25, 0x33000000, v22
	v_add_lshl_u32 v23, v23, v24, 23
	v_lshrrev_b32_e32 v21, 9, v21
	v_sub_u32_e32 v23, v25, v23
	v_or_b32_e32 v22, 0.5, v22
	v_lshlrev_b32_e32 v24, 23, v24
	v_or_b32_e32 v21, v23, v21
	v_lshrrev_b32_e32 v23, 9, v26
	v_sub_u32_e32 v22, v22, v24
	v_or_b32_e32 v22, v23, v22
	v_mul_f32_e32 v23, 0x3fc90fda, v22
	v_fma_f32 v24, v22, s22, -v23
	v_fmac_f32_e32 v24, 0x33a22168, v22
	v_fmac_f32_e32 v24, 0x3fc90fda, v21
	v_lshrrev_b32_e32 v2, 30, v2
	v_add_f32_e32 v22, v23, v24
	v_add_u32_e32 v21, v30, v2
.LBB116_47:                             ;   in Loop: Header=BB116_41 Depth=1
	s_andn2_saveexec_b64 s[0:1], s[10:11]
; %bb.48:                               ;   in Loop: Header=BB116_41 Depth=1
	v_mul_f32_e64 v2, |v19|, s23
	v_rndne_f32_e32 v2, v2
	v_cvt_i32_f32_e32 v21, v2
	v_fma_f32 v22, v2, s24, |v19|
	v_fmac_f32_e32 v22, 0xb3a22168, v2
	v_fmac_f32_e32 v22, 0xa7c234c4, v2
; %bb.49:                               ;   in Loop: Header=BB116_41 Depth=1
	s_or_b64 exec, exec, s[0:1]
	v_alignbit_b32 v2, v7, v6, 16
	v_and_b32_e32 v6, 0xffff0000, v2
	v_and_b32_e32 v23, 0x7fffffff, v6
	v_cmp_nlt_f32_e64 s[0:1], |v6|, s14
                                        ; implicit-def: $vgpr25
                                        ; implicit-def: $vgpr26
	s_and_saveexec_b64 s[2:3], s[0:1]
	s_xor_b64 s[10:11], exec, s[2:3]
	s_cbranch_execz .LBB116_51
; %bb.50:                               ;   in Loop: Header=BB116_41 Depth=1
	v_and_b32_e32 v2, 0x7fffff, v23
	v_or_b32_e32 v31, 0x800000, v2
	v_mad_u64_u32 v[24:25], s[0:1], v31, s15, 0
	v_mov_b32_e32 v2, v25
	v_mad_u64_u32 v[25:26], s[0:1], v31, s16, v[2:3]
	v_mov_b32_e32 v2, v26
	;; [unrolled: 2-line block ×3, first 2 shown]
	v_mad_u64_u32 v[27:28], s[0:1], v31, s18, v[2:3]
	v_lshrrev_b32_e32 v2, 23, v23
	v_add_u32_e32 v30, 0xffffff88, v2
	v_mov_b32_e32 v2, v28
	v_mad_u64_u32 v[28:29], s[0:1], v31, s19, v[2:3]
	v_cmp_lt_u32_e32 vcc, 63, v30
	v_cndmask_b32_e32 v2, 0, v11, vcc
	v_add_u32_e32 v32, v2, v30
	v_mov_b32_e32 v2, v29
	v_mad_u64_u32 v[29:30], s[0:1], v31, s20, v[2:3]
	v_cmp_lt_u32_e64 s[0:1], 31, v32
	v_cndmask_b32_e64 v2, 0, v12, s[0:1]
	v_add_u32_e32 v32, v2, v32
	v_mov_b32_e32 v2, v30
	v_mad_u64_u32 v[30:31], s[2:3], v31, s21, v[2:3]
	v_cmp_lt_u32_e64 s[2:3], 31, v32
	v_cndmask_b32_e64 v2, 0, v12, s[2:3]
	v_add_u32_e32 v2, v2, v32
	v_cndmask_b32_e32 v32, v29, v27, vcc
	v_cndmask_b32_e32 v30, v30, v28, vcc
	;; [unrolled: 1-line block ×4, first 2 shown]
	v_cndmask_b32_e64 v31, v30, v32, s[0:1]
	v_cndmask_b32_e64 v29, v29, v30, s[0:1]
	;; [unrolled: 1-line block ×3, first 2 shown]
	v_cndmask_b32_e32 v25, v27, v25, vcc
	v_cndmask_b32_e64 v29, v29, v31, s[2:3]
	v_cndmask_b32_e64 v31, v31, v30, s[2:3]
	v_sub_u32_e32 v32, 32, v2
	v_cndmask_b32_e64 v27, v28, v25, s[0:1]
	v_alignbit_b32 v33, v29, v31, v32
	v_cmp_eq_u32_e64 s[4:5], 0, v2
	v_cndmask_b32_e64 v28, v30, v27, s[2:3]
	v_cndmask_b32_e64 v2, v33, v29, s[4:5]
	v_alignbit_b32 v29, v31, v28, v32
	v_cndmask_b32_e32 v24, v26, v24, vcc
	v_cndmask_b32_e64 v29, v29, v31, s[4:5]
	v_bfe_u32 v33, v2, 29, 1
	v_cndmask_b32_e64 v24, v25, v24, s[0:1]
	v_alignbit_b32 v30, v2, v29, 30
	v_sub_u32_e32 v34, 0, v33
	v_cndmask_b32_e64 v24, v27, v24, s[2:3]
	v_xor_b32_e32 v30, v30, v34
	v_alignbit_b32 v25, v28, v24, v32
	v_cndmask_b32_e64 v25, v25, v28, s[4:5]
	v_ffbh_u32_e32 v27, v30
	v_alignbit_b32 v26, v29, v25, 30
	v_min_u32_e32 v27, 32, v27
	v_alignbit_b32 v24, v25, v24, 30
	v_xor_b32_e32 v26, v26, v34
	v_sub_u32_e32 v28, 31, v27
	v_xor_b32_e32 v24, v24, v34
	v_alignbit_b32 v29, v30, v26, v28
	v_alignbit_b32 v24, v26, v24, v28
	;; [unrolled: 1-line block ×3, first 2 shown]
	v_ffbh_u32_e32 v26, v25
	v_min_u32_e32 v26, 32, v26
	v_lshrrev_b32_e32 v31, 29, v2
	v_not_b32_e32 v28, v26
	v_alignbit_b32 v24, v25, v24, v28
	v_lshlrev_b32_e32 v25, 31, v31
	v_or_b32_e32 v28, 0x33000000, v25
	v_add_lshl_u32 v26, v26, v27, 23
	v_lshrrev_b32_e32 v24, 9, v24
	v_sub_u32_e32 v26, v28, v26
	v_or_b32_e32 v25, 0.5, v25
	v_lshlrev_b32_e32 v27, 23, v27
	v_or_b32_e32 v24, v26, v24
	v_lshrrev_b32_e32 v26, 9, v29
	v_sub_u32_e32 v25, v25, v27
	v_or_b32_e32 v25, v26, v25
	v_mul_f32_e32 v26, 0x3fc90fda, v25
	v_fma_f32 v27, v25, s22, -v26
	v_fmac_f32_e32 v27, 0x33a22168, v25
	v_fmac_f32_e32 v27, 0x3fc90fda, v24
	v_lshrrev_b32_e32 v2, 30, v2
	v_add_f32_e32 v26, v26, v27
	v_add_u32_e32 v25, v33, v2
.LBB116_51:                             ;   in Loop: Header=BB116_41 Depth=1
	s_andn2_saveexec_b64 s[0:1], s[10:11]
; %bb.52:                               ;   in Loop: Header=BB116_41 Depth=1
	v_mul_f32_e64 v2, |v6|, s23
	v_rndne_f32_e32 v2, v2
	v_cvt_i32_f32_e32 v25, v2
	v_fma_f32 v26, v2, s24, |v6|
	v_fmac_f32_e32 v26, 0xb3a22168, v2
	v_fmac_f32_e32 v26, 0xa7c234c4, v2
; %bb.53:                               ;   in Loop: Header=BB116_41 Depth=1
	s_or_b64 exec, exec, s[0:1]
	v_and_b32_e32 v7, 0xffff0000, v7
	v_and_b32_e32 v24, 0x7fffffff, v7
	v_cmp_nlt_f32_e64 s[0:1], |v7|, s14
                                        ; implicit-def: $vgpr2
                                        ; implicit-def: $vgpr27
	s_and_saveexec_b64 s[2:3], s[0:1]
	s_xor_b64 s[10:11], exec, s[2:3]
	s_cbranch_execz .LBB116_55
; %bb.54:                               ;   in Loop: Header=BB116_41 Depth=1
	v_and_b32_e32 v2, 0x7fffff, v24
	v_or_b32_e32 v34, 0x800000, v2
	v_mad_u64_u32 v[27:28], s[0:1], v34, s15, 0
	v_mov_b32_e32 v2, v28
	v_mad_u64_u32 v[28:29], s[0:1], v34, s16, v[2:3]
	v_mov_b32_e32 v2, v29
	;; [unrolled: 2-line block ×3, first 2 shown]
	v_mad_u64_u32 v[30:31], s[0:1], v34, s18, v[2:3]
	v_lshrrev_b32_e32 v2, 23, v24
	v_add_u32_e32 v33, 0xffffff88, v2
	v_mov_b32_e32 v2, v31
	v_mad_u64_u32 v[31:32], s[0:1], v34, s19, v[2:3]
	v_cmp_lt_u32_e32 vcc, 63, v33
	v_cndmask_b32_e32 v2, 0, v11, vcc
	v_add_u32_e32 v35, v2, v33
	v_mov_b32_e32 v2, v32
	v_mad_u64_u32 v[32:33], s[0:1], v34, s20, v[2:3]
	v_cmp_lt_u32_e64 s[0:1], 31, v35
	v_cndmask_b32_e64 v2, 0, v12, s[0:1]
	v_add_u32_e32 v35, v2, v35
	v_mov_b32_e32 v2, v33
	v_mad_u64_u32 v[33:34], s[2:3], v34, s21, v[2:3]
	v_cmp_lt_u32_e64 s[2:3], 31, v35
	v_cndmask_b32_e64 v2, 0, v12, s[2:3]
	v_add_u32_e32 v2, v2, v35
	v_cndmask_b32_e32 v35, v32, v30, vcc
	v_cndmask_b32_e32 v33, v33, v31, vcc
	;; [unrolled: 1-line block ×4, first 2 shown]
	v_cndmask_b32_e64 v34, v33, v35, s[0:1]
	v_cndmask_b32_e64 v32, v32, v33, s[0:1]
	;; [unrolled: 1-line block ×3, first 2 shown]
	v_cndmask_b32_e32 v28, v30, v28, vcc
	v_cndmask_b32_e64 v32, v32, v34, s[2:3]
	v_cndmask_b32_e64 v34, v34, v33, s[2:3]
	v_sub_u32_e32 v35, 32, v2
	v_cndmask_b32_e64 v30, v31, v28, s[0:1]
	v_alignbit_b32 v36, v32, v34, v35
	v_cmp_eq_u32_e64 s[4:5], 0, v2
	v_cndmask_b32_e64 v31, v33, v30, s[2:3]
	v_cndmask_b32_e64 v2, v36, v32, s[4:5]
	v_alignbit_b32 v32, v34, v31, v35
	v_cndmask_b32_e32 v27, v29, v27, vcc
	v_cndmask_b32_e64 v32, v32, v34, s[4:5]
	v_bfe_u32 v36, v2, 29, 1
	v_cndmask_b32_e64 v27, v28, v27, s[0:1]
	v_alignbit_b32 v33, v2, v32, 30
	v_sub_u32_e32 v37, 0, v36
	v_cndmask_b32_e64 v27, v30, v27, s[2:3]
	v_xor_b32_e32 v33, v33, v37
	v_alignbit_b32 v28, v31, v27, v35
	v_cndmask_b32_e64 v28, v28, v31, s[4:5]
	v_ffbh_u32_e32 v30, v33
	v_alignbit_b32 v29, v32, v28, 30
	v_min_u32_e32 v30, 32, v30
	v_alignbit_b32 v27, v28, v27, 30
	v_xor_b32_e32 v29, v29, v37
	v_sub_u32_e32 v31, 31, v30
	v_xor_b32_e32 v27, v27, v37
	v_alignbit_b32 v32, v33, v29, v31
	v_alignbit_b32 v27, v29, v27, v31
	;; [unrolled: 1-line block ×3, first 2 shown]
	v_ffbh_u32_e32 v29, v28
	v_min_u32_e32 v29, 32, v29
	v_lshrrev_b32_e32 v34, 29, v2
	v_not_b32_e32 v31, v29
	v_alignbit_b32 v27, v28, v27, v31
	v_lshlrev_b32_e32 v28, 31, v34
	v_or_b32_e32 v31, 0x33000000, v28
	v_add_lshl_u32 v29, v29, v30, 23
	v_lshrrev_b32_e32 v27, 9, v27
	v_sub_u32_e32 v29, v31, v29
	v_or_b32_e32 v28, 0.5, v28
	v_lshlrev_b32_e32 v30, 23, v30
	v_or_b32_e32 v27, v29, v27
	v_lshrrev_b32_e32 v29, 9, v32
	v_sub_u32_e32 v28, v28, v30
	v_or_b32_e32 v28, v29, v28
	v_mul_f32_e32 v29, 0x3fc90fda, v28
	v_fma_f32 v30, v28, s22, -v29
	v_fmac_f32_e32 v30, 0x33a22168, v28
	v_fmac_f32_e32 v30, 0x3fc90fda, v27
	v_lshrrev_b32_e32 v2, 30, v2
	v_add_f32_e32 v27, v29, v30
	v_add_u32_e32 v2, v36, v2
.LBB116_55:                             ;   in Loop: Header=BB116_41 Depth=1
	s_andn2_saveexec_b64 s[0:1], s[10:11]
	s_cbranch_execz .LBB116_40
; %bb.56:                               ;   in Loop: Header=BB116_41 Depth=1
	v_mul_f32_e64 v2, |v7|, s23
	v_rndne_f32_e32 v28, v2
	v_cvt_i32_f32_e32 v2, v28
	v_fma_f32 v27, v28, s24, |v7|
	v_fmac_f32_e32 v27, 0xb3a22168, v28
	v_fmac_f32_e32 v27, 0xa7c234c4, v28
	s_branch .LBB116_40
.LBB116_57:
	s_endpgm
	.section	.rodata,"a",@progbits
	.p2align	6, 0x0
	.amdhsa_kernel _ZN2at6native12_GLOBAL__N_125multi_tensor_apply_kernelINS1_18TensorListMetadataILi1EEENS1_14UnaryOpFunctorIN3c108BFloat16ELi1ELi1ELi0EEEJNS0_3SinIfEEEEEvT_T0_DpT1_
		.amdhsa_group_segment_fixed_size 0
		.amdhsa_private_segment_fixed_size 0
		.amdhsa_kernarg_size 3632
		.amdhsa_user_sgpr_count 6
		.amdhsa_user_sgpr_private_segment_buffer 1
		.amdhsa_user_sgpr_dispatch_ptr 0
		.amdhsa_user_sgpr_queue_ptr 0
		.amdhsa_user_sgpr_kernarg_segment_ptr 1
		.amdhsa_user_sgpr_dispatch_id 0
		.amdhsa_user_sgpr_flat_scratch_init 0
		.amdhsa_user_sgpr_private_segment_size 0
		.amdhsa_uses_dynamic_stack 0
		.amdhsa_system_sgpr_private_segment_wavefront_offset 0
		.amdhsa_system_sgpr_workgroup_id_x 1
		.amdhsa_system_sgpr_workgroup_id_y 0
		.amdhsa_system_sgpr_workgroup_id_z 0
		.amdhsa_system_sgpr_workgroup_info 0
		.amdhsa_system_vgpr_workitem_id 0
		.amdhsa_next_free_vgpr 45
		.amdhsa_next_free_sgpr 47
		.amdhsa_reserve_vcc 1
		.amdhsa_reserve_flat_scratch 0
		.amdhsa_float_round_mode_32 0
		.amdhsa_float_round_mode_16_64 0
		.amdhsa_float_denorm_mode_32 3
		.amdhsa_float_denorm_mode_16_64 3
		.amdhsa_dx10_clamp 1
		.amdhsa_ieee_mode 1
		.amdhsa_fp16_overflow 0
		.amdhsa_exception_fp_ieee_invalid_op 0
		.amdhsa_exception_fp_denorm_src 0
		.amdhsa_exception_fp_ieee_div_zero 0
		.amdhsa_exception_fp_ieee_overflow 0
		.amdhsa_exception_fp_ieee_underflow 0
		.amdhsa_exception_fp_ieee_inexact 0
		.amdhsa_exception_int_div_zero 0
	.end_amdhsa_kernel
	.section	.text._ZN2at6native12_GLOBAL__N_125multi_tensor_apply_kernelINS1_18TensorListMetadataILi1EEENS1_14UnaryOpFunctorIN3c108BFloat16ELi1ELi1ELi0EEEJNS0_3SinIfEEEEEvT_T0_DpT1_,"axG",@progbits,_ZN2at6native12_GLOBAL__N_125multi_tensor_apply_kernelINS1_18TensorListMetadataILi1EEENS1_14UnaryOpFunctorIN3c108BFloat16ELi1ELi1ELi0EEEJNS0_3SinIfEEEEEvT_T0_DpT1_,comdat
.Lfunc_end116:
	.size	_ZN2at6native12_GLOBAL__N_125multi_tensor_apply_kernelINS1_18TensorListMetadataILi1EEENS1_14UnaryOpFunctorIN3c108BFloat16ELi1ELi1ELi0EEEJNS0_3SinIfEEEEEvT_T0_DpT1_, .Lfunc_end116-_ZN2at6native12_GLOBAL__N_125multi_tensor_apply_kernelINS1_18TensorListMetadataILi1EEENS1_14UnaryOpFunctorIN3c108BFloat16ELi1ELi1ELi0EEEJNS0_3SinIfEEEEEvT_T0_DpT1_
                                        ; -- End function
	.set _ZN2at6native12_GLOBAL__N_125multi_tensor_apply_kernelINS1_18TensorListMetadataILi1EEENS1_14UnaryOpFunctorIN3c108BFloat16ELi1ELi1ELi0EEEJNS0_3SinIfEEEEEvT_T0_DpT1_.num_vgpr, 45
	.set _ZN2at6native12_GLOBAL__N_125multi_tensor_apply_kernelINS1_18TensorListMetadataILi1EEENS1_14UnaryOpFunctorIN3c108BFloat16ELi1ELi1ELi0EEEJNS0_3SinIfEEEEEvT_T0_DpT1_.num_agpr, 0
	.set _ZN2at6native12_GLOBAL__N_125multi_tensor_apply_kernelINS1_18TensorListMetadataILi1EEENS1_14UnaryOpFunctorIN3c108BFloat16ELi1ELi1ELi0EEEJNS0_3SinIfEEEEEvT_T0_DpT1_.numbered_sgpr, 47
	.set _ZN2at6native12_GLOBAL__N_125multi_tensor_apply_kernelINS1_18TensorListMetadataILi1EEENS1_14UnaryOpFunctorIN3c108BFloat16ELi1ELi1ELi0EEEJNS0_3SinIfEEEEEvT_T0_DpT1_.num_named_barrier, 0
	.set _ZN2at6native12_GLOBAL__N_125multi_tensor_apply_kernelINS1_18TensorListMetadataILi1EEENS1_14UnaryOpFunctorIN3c108BFloat16ELi1ELi1ELi0EEEJNS0_3SinIfEEEEEvT_T0_DpT1_.private_seg_size, 0
	.set _ZN2at6native12_GLOBAL__N_125multi_tensor_apply_kernelINS1_18TensorListMetadataILi1EEENS1_14UnaryOpFunctorIN3c108BFloat16ELi1ELi1ELi0EEEJNS0_3SinIfEEEEEvT_T0_DpT1_.uses_vcc, 1
	.set _ZN2at6native12_GLOBAL__N_125multi_tensor_apply_kernelINS1_18TensorListMetadataILi1EEENS1_14UnaryOpFunctorIN3c108BFloat16ELi1ELi1ELi0EEEJNS0_3SinIfEEEEEvT_T0_DpT1_.uses_flat_scratch, 0
	.set _ZN2at6native12_GLOBAL__N_125multi_tensor_apply_kernelINS1_18TensorListMetadataILi1EEENS1_14UnaryOpFunctorIN3c108BFloat16ELi1ELi1ELi0EEEJNS0_3SinIfEEEEEvT_T0_DpT1_.has_dyn_sized_stack, 0
	.set _ZN2at6native12_GLOBAL__N_125multi_tensor_apply_kernelINS1_18TensorListMetadataILi1EEENS1_14UnaryOpFunctorIN3c108BFloat16ELi1ELi1ELi0EEEJNS0_3SinIfEEEEEvT_T0_DpT1_.has_recursion, 0
	.set _ZN2at6native12_GLOBAL__N_125multi_tensor_apply_kernelINS1_18TensorListMetadataILi1EEENS1_14UnaryOpFunctorIN3c108BFloat16ELi1ELi1ELi0EEEJNS0_3SinIfEEEEEvT_T0_DpT1_.has_indirect_call, 0
	.section	.AMDGPU.csdata,"",@progbits
; Kernel info:
; codeLenInByte = 7448
; TotalNumSgprs: 51
; NumVgprs: 45
; ScratchSize: 0
; MemoryBound: 0
; FloatMode: 240
; IeeeMode: 1
; LDSByteSize: 0 bytes/workgroup (compile time only)
; SGPRBlocks: 6
; VGPRBlocks: 11
; NumSGPRsForWavesPerEU: 51
; NumVGPRsForWavesPerEU: 45
; Occupancy: 5
; WaveLimiterHint : 0
; COMPUTE_PGM_RSRC2:SCRATCH_EN: 0
; COMPUTE_PGM_RSRC2:USER_SGPR: 6
; COMPUTE_PGM_RSRC2:TRAP_HANDLER: 0
; COMPUTE_PGM_RSRC2:TGID_X_EN: 1
; COMPUTE_PGM_RSRC2:TGID_Y_EN: 0
; COMPUTE_PGM_RSRC2:TGID_Z_EN: 0
; COMPUTE_PGM_RSRC2:TIDIG_COMP_CNT: 0
	.section	.text._ZN2at6native12_GLOBAL__N_125multi_tensor_apply_kernelINS1_18TensorListMetadataILi2EEENS1_14UnaryOpFunctorIdLi2ELi1ELi1EEEJNS0_4SinhIdEEEEEvT_T0_DpT1_,"axG",@progbits,_ZN2at6native12_GLOBAL__N_125multi_tensor_apply_kernelINS1_18TensorListMetadataILi2EEENS1_14UnaryOpFunctorIdLi2ELi1ELi1EEEJNS0_4SinhIdEEEEEvT_T0_DpT1_,comdat
	.globl	_ZN2at6native12_GLOBAL__N_125multi_tensor_apply_kernelINS1_18TensorListMetadataILi2EEENS1_14UnaryOpFunctorIdLi2ELi1ELi1EEEJNS0_4SinhIdEEEEEvT_T0_DpT1_ ; -- Begin function _ZN2at6native12_GLOBAL__N_125multi_tensor_apply_kernelINS1_18TensorListMetadataILi2EEENS1_14UnaryOpFunctorIdLi2ELi1ELi1EEEJNS0_4SinhIdEEEEEvT_T0_DpT1_
	.p2align	8
	.type	_ZN2at6native12_GLOBAL__N_125multi_tensor_apply_kernelINS1_18TensorListMetadataILi2EEENS1_14UnaryOpFunctorIdLi2ELi1ELi1EEEJNS0_4SinhIdEEEEEvT_T0_DpT1_,@function
_ZN2at6native12_GLOBAL__N_125multi_tensor_apply_kernelINS1_18TensorListMetadataILi2EEENS1_14UnaryOpFunctorIdLi2ELi1ELi1EEEJNS0_4SinhIdEEEEEvT_T0_DpT1_: ; @_ZN2at6native12_GLOBAL__N_125multi_tensor_apply_kernelINS1_18TensorListMetadataILi2EEENS1_14UnaryOpFunctorIdLi2ELi1ELi1EEEJNS0_4SinhIdEEEEEvT_T0_DpT1_
; %bb.0:
	v_mov_b32_e32 v1, s6
	global_load_ubyte v1, v1, s[4:5] offset:1536
	s_add_u32 s0, s4, s6
	s_mul_hi_u32 s1, s6, 3
	s_mul_i32 s6, s6, 3
	s_addc_u32 s2, s5, 0
	s_add_u32 s0, s0, s6
	s_addc_u32 s1, s2, s1
	s_load_dword s6, s[0:1], 0x740
	s_mov_b32 s9, 0
	s_mov_b32 s13, s9
	s_waitcnt vmcnt(0)
	v_readfirstlane_b32 s0, v1
	s_lshl_b32 s7, s0, 3
	s_load_dwordx2 s[14:15], s[4:5], s7 offset:0x400
	s_load_dwordx2 s[2:3], s[4:5], s7 offset:0x0
	;; [unrolled: 1-line block ×3, first 2 shown]
	s_waitcnt lgkmcnt(0)
	s_ashr_i32 s7, s6, 31
	s_lshl_b64 s[10:11], s[6:7], 19
	s_lshl_b64 s[6:7], s[6:7], 16
	s_add_u32 s8, s2, s10
	s_and_b32 s12, s0, 31
	s_and_b32 s8, s8, 31
	s_sub_u32 s6, s14, s6
	s_subb_u32 s7, s15, s7
	s_and_b32 s14, s14, 3
	s_mov_b32 s15, s9
	s_or_b64 s[12:13], s[12:13], s[14:15]
	s_or_b64 s[8:9], s[12:13], s[8:9]
	s_cmp_eq_u64 s[8:9], 0
	s_mov_b64 s[8:9], -1
	s_cbranch_scc0 .LBB117_5
; %bb.1:
	v_mov_b32_e32 v1, 0x10000
	v_mov_b32_e32 v2, 0
	v_cmp_lt_i64_e32 vcc, s[6:7], v[1:2]
	v_mov_b32_e32 v2, 0
	s_and_b64 s[8:9], vcc, exec
	s_cselect_b32 s9, s7, 0
	s_cselect_b32 s8, s6, 0x10000
	v_lshlrev_b32_e32 v1, 2, v0
	v_cmp_gt_i64_e32 vcc, s[8:9], v[1:2]
	s_and_saveexec_b64 s[12:13], vcc
	s_cbranch_execz .LBB117_4
; %bb.2:
	s_load_dword s14, s[4:5], 0xc5c
	s_mov_b32 s34, 0xfca7ab0c
	v_mov_b32_e32 v1, v2
	v_lshlrev_b32_e32 v2, 5, v0
	s_mov_b32 s16, 0xfefa39ef
	s_mov_b32 s35, 0x3e928af3
	v_mov_b32_e32 v9, s34
	v_mov_b32_e32 v3, s11
	s_waitcnt lgkmcnt(0)
	s_and_b32 s33, s14, 0xffff
	v_add_co_u32_e32 v13, vcc, s10, v2
	s_mov_b32 s17, 0xbfe62e42
	s_mov_b32 s20, 0x3b39803f
	;; [unrolled: 1-line block ×6, first 2 shown]
	v_mov_b32_e32 v10, s35
	s_mov_b32 s34, 0x623fde64
	s_mov_b32 s36, 0x7c89e6b0
	;; [unrolled: 1-line block ×10, first 2 shown]
	v_mov_b32_e32 v12, v1
	v_addc_co_u32_e32 v14, vcc, 0, v3, vcc
	s_lshl_b32 s54, s33, 5
	s_mov_b64 s[14:15], 0
	v_mov_b32_e32 v15, s3
	s_brev_b32 s55, -2
	s_mov_b32 s19, 0x3fe62e42
	s_mov_b32 s18, s16
	;; [unrolled: 1-line block ×18, first 2 shown]
	v_mov_b32_e32 v16, 0x7ff00000
	s_mov_b32 s53, 0x3e400000
	v_mov_b32_e32 v17, s1
	v_mov_b32_e32 v11, v0
.LBB117_3:                              ; =>This Inner Loop Header: Depth=1
	v_add_co_u32_e32 v5, vcc, s2, v13
	v_addc_co_u32_e32 v6, vcc, v15, v14, vcc
	global_load_dwordx4 v[1:4], v[5:6], off offset:16
	s_nop 0
	global_load_dwordx4 v[5:8], v[5:6], off
	s_waitcnt vmcnt(0)
	v_add_f64 v[18:19], |v[5:6]|, s[16:17]
	v_cmp_nge_f64_e64 vcc, |v[5:6]|, s[50:51]
	v_and_b32_e32 v38, 0x7fffffff, v6
	v_add_f64 v[20:21], v[18:19], -|v[5:6]|
	v_add_f64 v[22:23], v[20:21], -v[18:19]
	v_add_f64 v[20:21], v[20:21], s[18:19]
	v_add_f64 v[22:23], |v[5:6]|, v[22:23]
	v_add_f64 v[20:21], v[22:23], -v[20:21]
	v_add_f64 v[20:21], v[20:21], s[20:21]
	v_add_f64 v[22:23], v[18:19], v[20:21]
	v_add_f64 v[18:19], v[18:19], -v[22:23]
	v_add_f64 v[18:19], v[20:21], v[18:19]
	v_mul_f64 v[20:21], v[22:23], s[22:23]
	v_rndne_f64_e32 v[20:21], v[20:21]
	v_fma_f64 v[22:23], v[20:21], s[24:25], v[22:23]
	v_add_f64 v[24:25], v[18:19], v[22:23]
	v_add_f64 v[22:23], v[22:23], -v[24:25]
	v_add_f64 v[18:19], v[18:19], v[22:23]
	v_mul_f64 v[22:23], v[20:21], s[26:27]
	v_add_f64 v[26:27], v[24:25], -v[22:23]
	v_add_f64 v[24:25], v[24:25], -v[26:27]
	;; [unrolled: 1-line block ×3, first 2 shown]
	v_add_f64 v[18:19], v[18:19], v[22:23]
	v_add_f64 v[22:23], v[26:27], v[18:19]
	v_add_f64 v[24:25], v[26:27], -v[22:23]
	v_add_f64 v[18:19], v[18:19], v[24:25]
	v_mul_f64 v[24:25], v[20:21], s[28:29]
	v_add_f64 v[26:27], v[22:23], -v[24:25]
	v_add_f64 v[22:23], v[22:23], -v[26:27]
	v_add_f64 v[22:23], v[22:23], -v[24:25]
	v_add_f64 v[18:19], v[18:19], v[22:23]
	v_add_f64 v[22:23], v[26:27], v[18:19]
	v_add_f64 v[24:25], v[26:27], -v[22:23]
	v_mul_f64 v[26:27], v[22:23], v[22:23]
	v_add_f64 v[18:19], v[18:19], v[24:25]
	v_fma_f64 v[24:25], v[22:23], s[30:31], v[9:10]
	v_fma_f64 v[28:29], v[22:23], v[22:23], -v[26:27]
	v_add_f64 v[30:31], v[18:19], v[18:19]
	v_fma_f64 v[24:25], v[22:23], v[24:25], s[34:35]
	v_fma_f64 v[28:29], v[22:23], v[30:31], v[28:29]
	v_fma_f64 v[24:25], v[22:23], v[24:25], s[36:37]
	v_add_f64 v[30:31], v[26:27], v[28:29]
	v_fma_f64 v[24:25], v[22:23], v[24:25], s[38:39]
	v_add_f64 v[26:27], v[30:31], -v[26:27]
	v_fma_f64 v[24:25], v[22:23], v[24:25], s[40:41]
	v_add_f64 v[26:27], v[28:29], -v[26:27]
	v_fma_f64 v[24:25], v[22:23], v[24:25], s[42:43]
	v_fma_f64 v[24:25], v[22:23], v[24:25], s[44:45]
	;; [unrolled: 1-line block ×4, first 2 shown]
	v_mul_f64 v[28:29], v[30:31], v[24:25]
	v_fma_f64 v[30:31], v[30:31], v[24:25], -v[28:29]
	v_fma_f64 v[24:25], v[26:27], v[24:25], v[30:31]
	v_add_f64 v[26:27], v[28:29], v[24:25]
	v_add_f64 v[28:29], v[26:27], -v[28:29]
	v_add_f64 v[24:25], v[24:25], -v[28:29]
	v_add_f64 v[28:29], v[22:23], v[26:27]
	v_add_f64 v[18:19], v[18:19], v[24:25]
	v_add_f64 v[22:23], v[28:29], -v[22:23]
	v_add_f64 v[22:23], v[26:27], -v[22:23]
	v_add_f64 v[18:19], v[18:19], v[22:23]
	v_add_f64 v[22:23], v[28:29], v[18:19]
	v_add_f64 v[24:25], v[22:23], -v[28:29]
	v_add_f64 v[18:19], v[18:19], -v[24:25]
	v_add_f64 v[24:25], v[22:23], 1.0
	v_add_f64 v[26:27], v[24:25], -1.0
	v_add_f64 v[22:23], v[22:23], -v[26:27]
	v_add_f64 v[18:19], v[18:19], v[22:23]
	v_add_f64 v[22:23], v[24:25], v[18:19]
	v_add_f64 v[24:25], v[22:23], -v[24:25]
	v_add_f64 v[18:19], v[18:19], -v[24:25]
	v_cvt_i32_f64_e32 v24, v[20:21]
	v_ldexp_f64 v[20:21], v[22:23], v24
	v_ldexp_f64 v[18:19], v[18:19], v24
	v_rcp_f64_e32 v[22:23], v[20:21]
	v_fma_f64 v[24:25], -v[20:21], v[22:23], 1.0
	v_fma_f64 v[22:23], v[24:25], v[22:23], v[22:23]
	v_fma_f64 v[24:25], -v[20:21], v[22:23], 1.0
	v_fma_f64 v[22:23], v[24:25], v[22:23], v[22:23]
	v_mul_f64 v[24:25], v[20:21], v[22:23]
	v_fma_f64 v[26:27], v[22:23], v[20:21], -v[24:25]
	v_fma_f64 v[26:27], v[22:23], v[18:19], v[26:27]
	v_add_f64 v[28:29], v[24:25], v[26:27]
	v_add_f64 v[30:31], -v[28:29], 1.0
	v_add_f64 v[24:25], v[28:29], -v[24:25]
	v_add_f64 v[32:33], -v[30:31], 1.0
	v_add_f64 v[24:25], v[24:25], -v[26:27]
	v_add_f64 v[28:29], v[32:33], -v[28:29]
	v_add_f64 v[24:25], v[24:25], v[28:29]
	v_add_f64 v[26:27], v[30:31], v[24:25]
	v_add_f64 v[28:29], v[30:31], -v[26:27]
	v_add_f64 v[24:25], v[24:25], v[28:29]
	v_mul_f64 v[28:29], v[22:23], v[26:27]
	v_mul_f64 v[30:31], v[20:21], v[28:29]
	v_fma_f64 v[32:33], v[28:29], v[20:21], -v[30:31]
	v_fma_f64 v[32:33], v[28:29], v[18:19], v[32:33]
	v_add_f64 v[34:35], v[30:31], v[32:33]
	v_add_f64 v[36:37], v[26:27], -v[34:35]
	v_add_f64 v[30:31], v[34:35], -v[30:31]
	;; [unrolled: 1-line block ×4, first 2 shown]
	v_add_f64 v[24:25], v[24:25], v[26:27]
	v_add_f64 v[26:27], v[30:31], -v[32:33]
	v_add_f64 v[24:25], v[26:27], v[24:25]
	v_add_f64 v[26:27], v[22:23], v[28:29]
	;; [unrolled: 1-line block ×3, first 2 shown]
	v_mul_f64 v[24:25], v[22:23], v[24:25]
	v_add_f64 v[22:23], v[26:27], -v[22:23]
	v_add_f64 v[22:23], v[28:29], -v[22:23]
	v_add_f64 v[22:23], v[22:23], v[24:25]
	v_add_f64 v[24:25], v[26:27], v[22:23]
	v_add_f64 v[26:27], v[24:25], -v[26:27]
	v_ldexp_f64 v[24:25], v[24:25], -2
	v_add_f64 v[22:23], v[22:23], -v[26:27]
	v_add_f64 v[26:27], v[20:21], -v[24:25]
	v_ldexp_f64 v[22:23], v[22:23], -2
	v_add_f64 v[20:21], v[20:21], -v[26:27]
	v_add_f64 v[20:21], v[20:21], -v[24:25]
	v_add_f64 v[18:19], v[18:19], v[20:21]
	v_add_f64 v[18:19], v[18:19], -v[22:23]
	v_add_f64 v[18:19], v[26:27], v[18:19]
	v_cndmask_b32_e32 v19, v16, v19, vcc
	v_cndmask_b32_e32 v18, 0, v18, vcc
	v_cmp_lt_f64_e64 vcc, |v[5:6]|, s[52:53]
	v_cndmask_b32_e32 v5, v18, v5, vcc
	v_cndmask_b32_e32 v18, v19, v38, vcc
	v_bfi_b32 v6, s55, v18, v6
	v_add_f64 v[18:19], |v[7:8]|, s[16:17]
	v_cmp_nge_f64_e64 vcc, |v[7:8]|, s[50:51]
	v_and_b32_e32 v38, 0x7fffffff, v8
	v_add_f64 v[20:21], v[18:19], -|v[7:8]|
	v_add_f64 v[22:23], v[20:21], -v[18:19]
	v_add_f64 v[20:21], v[20:21], s[18:19]
	v_add_f64 v[22:23], |v[7:8]|, v[22:23]
	v_add_f64 v[20:21], v[22:23], -v[20:21]
	v_add_f64 v[20:21], v[20:21], s[20:21]
	v_add_f64 v[22:23], v[18:19], v[20:21]
	v_add_f64 v[18:19], v[18:19], -v[22:23]
	v_add_f64 v[18:19], v[20:21], v[18:19]
	v_mul_f64 v[20:21], v[22:23], s[22:23]
	v_rndne_f64_e32 v[20:21], v[20:21]
	v_fma_f64 v[22:23], v[20:21], s[24:25], v[22:23]
	v_add_f64 v[24:25], v[18:19], v[22:23]
	v_add_f64 v[22:23], v[22:23], -v[24:25]
	v_add_f64 v[18:19], v[18:19], v[22:23]
	v_mul_f64 v[22:23], v[20:21], s[26:27]
	v_add_f64 v[26:27], v[24:25], -v[22:23]
	v_add_f64 v[24:25], v[24:25], -v[26:27]
	;; [unrolled: 1-line block ×3, first 2 shown]
	v_add_f64 v[18:19], v[18:19], v[22:23]
	v_add_f64 v[22:23], v[26:27], v[18:19]
	v_add_f64 v[24:25], v[26:27], -v[22:23]
	v_add_f64 v[18:19], v[18:19], v[24:25]
	v_mul_f64 v[24:25], v[20:21], s[28:29]
	v_add_f64 v[26:27], v[22:23], -v[24:25]
	v_add_f64 v[22:23], v[22:23], -v[26:27]
	;; [unrolled: 1-line block ×3, first 2 shown]
	v_add_f64 v[18:19], v[18:19], v[22:23]
	v_add_f64 v[22:23], v[26:27], v[18:19]
	v_add_f64 v[24:25], v[26:27], -v[22:23]
	v_mul_f64 v[26:27], v[22:23], v[22:23]
	v_add_f64 v[18:19], v[18:19], v[24:25]
	v_fma_f64 v[24:25], v[22:23], s[30:31], v[9:10]
	v_fma_f64 v[28:29], v[22:23], v[22:23], -v[26:27]
	v_add_f64 v[30:31], v[18:19], v[18:19]
	v_fma_f64 v[24:25], v[22:23], v[24:25], s[34:35]
	v_fma_f64 v[28:29], v[22:23], v[30:31], v[28:29]
	;; [unrolled: 1-line block ×3, first 2 shown]
	v_add_f64 v[30:31], v[26:27], v[28:29]
	v_fma_f64 v[24:25], v[22:23], v[24:25], s[38:39]
	v_add_f64 v[26:27], v[30:31], -v[26:27]
	v_fma_f64 v[24:25], v[22:23], v[24:25], s[40:41]
	v_add_f64 v[26:27], v[28:29], -v[26:27]
	v_fma_f64 v[24:25], v[22:23], v[24:25], s[42:43]
	v_fma_f64 v[24:25], v[22:23], v[24:25], s[44:45]
	;; [unrolled: 1-line block ×4, first 2 shown]
	v_mul_f64 v[28:29], v[30:31], v[24:25]
	v_fma_f64 v[30:31], v[30:31], v[24:25], -v[28:29]
	v_fma_f64 v[24:25], v[26:27], v[24:25], v[30:31]
	v_add_f64 v[26:27], v[28:29], v[24:25]
	v_add_f64 v[28:29], v[26:27], -v[28:29]
	v_add_f64 v[24:25], v[24:25], -v[28:29]
	v_add_f64 v[28:29], v[22:23], v[26:27]
	v_add_f64 v[18:19], v[18:19], v[24:25]
	v_add_f64 v[22:23], v[28:29], -v[22:23]
	v_add_f64 v[22:23], v[26:27], -v[22:23]
	v_add_f64 v[18:19], v[18:19], v[22:23]
	v_add_f64 v[22:23], v[28:29], v[18:19]
	v_add_f64 v[24:25], v[22:23], -v[28:29]
	v_add_f64 v[18:19], v[18:19], -v[24:25]
	v_add_f64 v[24:25], v[22:23], 1.0
	v_add_f64 v[26:27], v[24:25], -1.0
	v_add_f64 v[22:23], v[22:23], -v[26:27]
	v_add_f64 v[18:19], v[18:19], v[22:23]
	v_add_f64 v[22:23], v[24:25], v[18:19]
	v_add_f64 v[24:25], v[22:23], -v[24:25]
	v_add_f64 v[18:19], v[18:19], -v[24:25]
	v_cvt_i32_f64_e32 v24, v[20:21]
	v_ldexp_f64 v[20:21], v[22:23], v24
	v_ldexp_f64 v[18:19], v[18:19], v24
	v_rcp_f64_e32 v[22:23], v[20:21]
	v_fma_f64 v[24:25], -v[20:21], v[22:23], 1.0
	v_fma_f64 v[22:23], v[24:25], v[22:23], v[22:23]
	v_fma_f64 v[24:25], -v[20:21], v[22:23], 1.0
	v_fma_f64 v[22:23], v[24:25], v[22:23], v[22:23]
	v_mul_f64 v[24:25], v[20:21], v[22:23]
	v_fma_f64 v[26:27], v[22:23], v[20:21], -v[24:25]
	v_fma_f64 v[26:27], v[22:23], v[18:19], v[26:27]
	v_add_f64 v[28:29], v[24:25], v[26:27]
	v_add_f64 v[30:31], -v[28:29], 1.0
	v_add_f64 v[24:25], v[28:29], -v[24:25]
	v_add_f64 v[32:33], -v[30:31], 1.0
	v_add_f64 v[24:25], v[24:25], -v[26:27]
	v_add_f64 v[28:29], v[32:33], -v[28:29]
	v_add_f64 v[24:25], v[24:25], v[28:29]
	v_add_f64 v[26:27], v[30:31], v[24:25]
	v_add_f64 v[28:29], v[30:31], -v[26:27]
	v_add_f64 v[24:25], v[24:25], v[28:29]
	v_mul_f64 v[28:29], v[22:23], v[26:27]
	v_mul_f64 v[30:31], v[20:21], v[28:29]
	v_fma_f64 v[32:33], v[28:29], v[20:21], -v[30:31]
	v_fma_f64 v[32:33], v[28:29], v[18:19], v[32:33]
	v_add_f64 v[34:35], v[30:31], v[32:33]
	v_add_f64 v[36:37], v[26:27], -v[34:35]
	v_add_f64 v[30:31], v[34:35], -v[30:31]
	;; [unrolled: 1-line block ×4, first 2 shown]
	v_add_f64 v[24:25], v[24:25], v[26:27]
	v_add_f64 v[26:27], v[30:31], -v[32:33]
	v_add_f64 v[24:25], v[26:27], v[24:25]
	v_add_f64 v[26:27], v[22:23], v[28:29]
	;; [unrolled: 1-line block ×3, first 2 shown]
	v_mul_f64 v[24:25], v[22:23], v[24:25]
	v_add_f64 v[22:23], v[26:27], -v[22:23]
	v_add_f64 v[22:23], v[28:29], -v[22:23]
	v_add_f64 v[22:23], v[22:23], v[24:25]
	v_add_f64 v[24:25], v[26:27], v[22:23]
	v_add_f64 v[26:27], v[24:25], -v[26:27]
	v_ldexp_f64 v[24:25], v[24:25], -2
	v_add_f64 v[22:23], v[22:23], -v[26:27]
	v_add_f64 v[26:27], v[20:21], -v[24:25]
	v_ldexp_f64 v[22:23], v[22:23], -2
	v_add_f64 v[20:21], v[20:21], -v[26:27]
	v_add_f64 v[20:21], v[20:21], -v[24:25]
	v_add_f64 v[18:19], v[18:19], v[20:21]
	v_add_f64 v[18:19], v[18:19], -v[22:23]
	v_add_f64 v[18:19], v[26:27], v[18:19]
	v_cndmask_b32_e32 v19, v16, v19, vcc
	v_cndmask_b32_e32 v18, 0, v18, vcc
	v_cmp_lt_f64_e64 vcc, |v[7:8]|, s[52:53]
	v_cndmask_b32_e32 v7, v18, v7, vcc
	v_cndmask_b32_e32 v18, v19, v38, vcc
	v_bfi_b32 v8, s55, v18, v8
	v_add_f64 v[18:19], |v[1:2]|, s[16:17]
	v_cmp_nge_f64_e64 vcc, |v[1:2]|, s[50:51]
	v_and_b32_e32 v38, 0x7fffffff, v2
	v_add_f64 v[20:21], v[18:19], -|v[1:2]|
	v_add_f64 v[22:23], v[20:21], -v[18:19]
	v_add_f64 v[20:21], v[20:21], s[18:19]
	v_add_f64 v[22:23], |v[1:2]|, v[22:23]
	v_add_f64 v[20:21], v[22:23], -v[20:21]
	v_add_f64 v[20:21], v[20:21], s[20:21]
	v_add_f64 v[22:23], v[18:19], v[20:21]
	v_add_f64 v[18:19], v[18:19], -v[22:23]
	v_add_f64 v[18:19], v[20:21], v[18:19]
	v_mul_f64 v[20:21], v[22:23], s[22:23]
	v_rndne_f64_e32 v[20:21], v[20:21]
	v_fma_f64 v[22:23], v[20:21], s[24:25], v[22:23]
	v_add_f64 v[24:25], v[18:19], v[22:23]
	v_add_f64 v[22:23], v[22:23], -v[24:25]
	v_add_f64 v[18:19], v[18:19], v[22:23]
	v_mul_f64 v[22:23], v[20:21], s[26:27]
	v_add_f64 v[26:27], v[24:25], -v[22:23]
	v_add_f64 v[24:25], v[24:25], -v[26:27]
	;; [unrolled: 1-line block ×3, first 2 shown]
	v_add_f64 v[18:19], v[18:19], v[22:23]
	v_add_f64 v[22:23], v[26:27], v[18:19]
	v_add_f64 v[24:25], v[26:27], -v[22:23]
	v_add_f64 v[18:19], v[18:19], v[24:25]
	v_mul_f64 v[24:25], v[20:21], s[28:29]
	v_add_f64 v[26:27], v[22:23], -v[24:25]
	v_add_f64 v[22:23], v[22:23], -v[26:27]
	;; [unrolled: 1-line block ×3, first 2 shown]
	v_add_f64 v[18:19], v[18:19], v[22:23]
	v_add_f64 v[22:23], v[26:27], v[18:19]
	v_add_f64 v[24:25], v[26:27], -v[22:23]
	v_mul_f64 v[26:27], v[22:23], v[22:23]
	v_add_f64 v[18:19], v[18:19], v[24:25]
	v_fma_f64 v[24:25], v[22:23], s[30:31], v[9:10]
	v_fma_f64 v[28:29], v[22:23], v[22:23], -v[26:27]
	v_add_f64 v[30:31], v[18:19], v[18:19]
	v_fma_f64 v[24:25], v[22:23], v[24:25], s[34:35]
	v_fma_f64 v[28:29], v[22:23], v[30:31], v[28:29]
	;; [unrolled: 1-line block ×3, first 2 shown]
	v_add_f64 v[30:31], v[26:27], v[28:29]
	v_fma_f64 v[24:25], v[22:23], v[24:25], s[38:39]
	v_add_f64 v[26:27], v[30:31], -v[26:27]
	v_fma_f64 v[24:25], v[22:23], v[24:25], s[40:41]
	v_add_f64 v[26:27], v[28:29], -v[26:27]
	v_fma_f64 v[24:25], v[22:23], v[24:25], s[42:43]
	v_fma_f64 v[24:25], v[22:23], v[24:25], s[44:45]
	v_fma_f64 v[24:25], v[22:23], v[24:25], s[46:47]
	v_fma_f64 v[24:25], v[22:23], v[24:25], s[48:49]
	v_mul_f64 v[28:29], v[30:31], v[24:25]
	v_fma_f64 v[30:31], v[30:31], v[24:25], -v[28:29]
	v_fma_f64 v[24:25], v[26:27], v[24:25], v[30:31]
	v_add_f64 v[26:27], v[28:29], v[24:25]
	v_add_f64 v[28:29], v[26:27], -v[28:29]
	v_add_f64 v[24:25], v[24:25], -v[28:29]
	v_add_f64 v[28:29], v[22:23], v[26:27]
	v_add_f64 v[18:19], v[18:19], v[24:25]
	v_add_f64 v[22:23], v[28:29], -v[22:23]
	v_add_f64 v[22:23], v[26:27], -v[22:23]
	v_add_f64 v[18:19], v[18:19], v[22:23]
	v_add_f64 v[22:23], v[28:29], v[18:19]
	v_add_f64 v[24:25], v[22:23], -v[28:29]
	v_add_f64 v[18:19], v[18:19], -v[24:25]
	v_add_f64 v[24:25], v[22:23], 1.0
	v_add_f64 v[26:27], v[24:25], -1.0
	v_add_f64 v[22:23], v[22:23], -v[26:27]
	v_add_f64 v[18:19], v[18:19], v[22:23]
	v_add_f64 v[22:23], v[24:25], v[18:19]
	v_add_f64 v[24:25], v[22:23], -v[24:25]
	v_add_f64 v[18:19], v[18:19], -v[24:25]
	v_cvt_i32_f64_e32 v24, v[20:21]
	v_ldexp_f64 v[20:21], v[22:23], v24
	v_ldexp_f64 v[18:19], v[18:19], v24
	v_rcp_f64_e32 v[22:23], v[20:21]
	v_fma_f64 v[24:25], -v[20:21], v[22:23], 1.0
	v_fma_f64 v[22:23], v[24:25], v[22:23], v[22:23]
	v_fma_f64 v[24:25], -v[20:21], v[22:23], 1.0
	v_fma_f64 v[22:23], v[24:25], v[22:23], v[22:23]
	v_mul_f64 v[24:25], v[20:21], v[22:23]
	v_fma_f64 v[26:27], v[22:23], v[20:21], -v[24:25]
	v_fma_f64 v[26:27], v[22:23], v[18:19], v[26:27]
	v_add_f64 v[28:29], v[24:25], v[26:27]
	v_add_f64 v[30:31], -v[28:29], 1.0
	v_add_f64 v[24:25], v[28:29], -v[24:25]
	v_add_f64 v[32:33], -v[30:31], 1.0
	v_add_f64 v[24:25], v[24:25], -v[26:27]
	v_add_f64 v[28:29], v[32:33], -v[28:29]
	v_add_f64 v[24:25], v[24:25], v[28:29]
	v_add_f64 v[26:27], v[30:31], v[24:25]
	v_add_f64 v[28:29], v[30:31], -v[26:27]
	v_add_f64 v[24:25], v[24:25], v[28:29]
	v_mul_f64 v[28:29], v[22:23], v[26:27]
	v_mul_f64 v[30:31], v[20:21], v[28:29]
	v_fma_f64 v[32:33], v[28:29], v[20:21], -v[30:31]
	v_fma_f64 v[32:33], v[28:29], v[18:19], v[32:33]
	v_add_f64 v[34:35], v[30:31], v[32:33]
	v_add_f64 v[36:37], v[26:27], -v[34:35]
	v_add_f64 v[30:31], v[34:35], -v[30:31]
	;; [unrolled: 1-line block ×4, first 2 shown]
	v_add_f64 v[24:25], v[24:25], v[26:27]
	v_add_f64 v[26:27], v[30:31], -v[32:33]
	v_add_f64 v[24:25], v[26:27], v[24:25]
	v_add_f64 v[26:27], v[22:23], v[28:29]
	;; [unrolled: 1-line block ×3, first 2 shown]
	v_mul_f64 v[24:25], v[22:23], v[24:25]
	v_add_f64 v[22:23], v[26:27], -v[22:23]
	v_add_f64 v[22:23], v[28:29], -v[22:23]
	v_add_f64 v[22:23], v[22:23], v[24:25]
	v_add_f64 v[24:25], v[26:27], v[22:23]
	v_add_f64 v[26:27], v[24:25], -v[26:27]
	v_ldexp_f64 v[24:25], v[24:25], -2
	v_add_f64 v[22:23], v[22:23], -v[26:27]
	v_add_f64 v[26:27], v[20:21], -v[24:25]
	v_ldexp_f64 v[22:23], v[22:23], -2
	v_add_f64 v[20:21], v[20:21], -v[26:27]
	v_add_f64 v[20:21], v[20:21], -v[24:25]
	v_add_f64 v[18:19], v[18:19], v[20:21]
	v_add_f64 v[18:19], v[18:19], -v[22:23]
	v_add_f64 v[18:19], v[26:27], v[18:19]
	v_cndmask_b32_e32 v19, v16, v19, vcc
	v_cndmask_b32_e32 v18, 0, v18, vcc
	v_cmp_lt_f64_e64 vcc, |v[1:2]|, s[52:53]
	v_cndmask_b32_e32 v1, v18, v1, vcc
	v_cndmask_b32_e32 v18, v19, v38, vcc
	v_bfi_b32 v2, s55, v18, v2
	v_add_f64 v[18:19], |v[3:4]|, s[16:17]
	v_cmp_nge_f64_e64 vcc, |v[3:4]|, s[50:51]
	v_and_b32_e32 v38, 0x7fffffff, v4
	v_add_f64 v[20:21], v[18:19], -|v[3:4]|
	v_add_f64 v[22:23], v[20:21], -v[18:19]
	v_add_f64 v[20:21], v[20:21], s[18:19]
	v_add_f64 v[22:23], |v[3:4]|, v[22:23]
	v_add_f64 v[20:21], v[22:23], -v[20:21]
	v_add_f64 v[20:21], v[20:21], s[20:21]
	v_add_f64 v[22:23], v[18:19], v[20:21]
	v_add_f64 v[18:19], v[18:19], -v[22:23]
	v_add_f64 v[18:19], v[20:21], v[18:19]
	v_mul_f64 v[20:21], v[22:23], s[22:23]
	v_rndne_f64_e32 v[20:21], v[20:21]
	v_fma_f64 v[22:23], v[20:21], s[24:25], v[22:23]
	v_add_f64 v[24:25], v[18:19], v[22:23]
	v_add_f64 v[22:23], v[22:23], -v[24:25]
	v_add_f64 v[18:19], v[18:19], v[22:23]
	v_mul_f64 v[22:23], v[20:21], s[26:27]
	v_add_f64 v[26:27], v[24:25], -v[22:23]
	v_add_f64 v[24:25], v[24:25], -v[26:27]
	;; [unrolled: 1-line block ×3, first 2 shown]
	v_add_f64 v[18:19], v[18:19], v[22:23]
	v_add_f64 v[22:23], v[26:27], v[18:19]
	v_add_f64 v[24:25], v[26:27], -v[22:23]
	v_add_f64 v[18:19], v[18:19], v[24:25]
	v_mul_f64 v[24:25], v[20:21], s[28:29]
	v_add_f64 v[26:27], v[22:23], -v[24:25]
	v_add_f64 v[22:23], v[22:23], -v[26:27]
	;; [unrolled: 1-line block ×3, first 2 shown]
	v_add_f64 v[18:19], v[18:19], v[22:23]
	v_add_f64 v[22:23], v[26:27], v[18:19]
	v_add_f64 v[24:25], v[26:27], -v[22:23]
	v_mul_f64 v[26:27], v[22:23], v[22:23]
	v_add_f64 v[18:19], v[18:19], v[24:25]
	v_fma_f64 v[24:25], v[22:23], s[30:31], v[9:10]
	v_fma_f64 v[28:29], v[22:23], v[22:23], -v[26:27]
	v_add_f64 v[30:31], v[18:19], v[18:19]
	v_fma_f64 v[24:25], v[22:23], v[24:25], s[34:35]
	v_fma_f64 v[28:29], v[22:23], v[30:31], v[28:29]
	;; [unrolled: 1-line block ×3, first 2 shown]
	v_add_f64 v[30:31], v[26:27], v[28:29]
	v_fma_f64 v[24:25], v[22:23], v[24:25], s[38:39]
	v_add_f64 v[26:27], v[30:31], -v[26:27]
	v_fma_f64 v[24:25], v[22:23], v[24:25], s[40:41]
	v_add_f64 v[26:27], v[28:29], -v[26:27]
	v_fma_f64 v[24:25], v[22:23], v[24:25], s[42:43]
	v_fma_f64 v[24:25], v[22:23], v[24:25], s[44:45]
	;; [unrolled: 1-line block ×4, first 2 shown]
	v_mul_f64 v[28:29], v[30:31], v[24:25]
	v_fma_f64 v[30:31], v[30:31], v[24:25], -v[28:29]
	v_fma_f64 v[24:25], v[26:27], v[24:25], v[30:31]
	v_add_f64 v[26:27], v[28:29], v[24:25]
	v_add_f64 v[28:29], v[26:27], -v[28:29]
	v_add_f64 v[24:25], v[24:25], -v[28:29]
	v_add_f64 v[28:29], v[22:23], v[26:27]
	v_add_f64 v[18:19], v[18:19], v[24:25]
	v_add_f64 v[22:23], v[28:29], -v[22:23]
	v_add_f64 v[22:23], v[26:27], -v[22:23]
	v_add_f64 v[18:19], v[18:19], v[22:23]
	v_add_f64 v[22:23], v[28:29], v[18:19]
	v_add_f64 v[24:25], v[22:23], -v[28:29]
	v_add_f64 v[18:19], v[18:19], -v[24:25]
	v_add_f64 v[24:25], v[22:23], 1.0
	v_add_f64 v[26:27], v[24:25], -1.0
	v_add_f64 v[22:23], v[22:23], -v[26:27]
	v_add_f64 v[18:19], v[18:19], v[22:23]
	v_add_f64 v[22:23], v[24:25], v[18:19]
	v_add_f64 v[24:25], v[22:23], -v[24:25]
	v_add_f64 v[18:19], v[18:19], -v[24:25]
	v_cvt_i32_f64_e32 v24, v[20:21]
	v_ldexp_f64 v[20:21], v[22:23], v24
	v_ldexp_f64 v[18:19], v[18:19], v24
	v_rcp_f64_e32 v[22:23], v[20:21]
	v_fma_f64 v[24:25], -v[20:21], v[22:23], 1.0
	v_fma_f64 v[22:23], v[24:25], v[22:23], v[22:23]
	v_fma_f64 v[24:25], -v[20:21], v[22:23], 1.0
	v_fma_f64 v[22:23], v[24:25], v[22:23], v[22:23]
	v_mul_f64 v[24:25], v[20:21], v[22:23]
	v_fma_f64 v[26:27], v[22:23], v[20:21], -v[24:25]
	v_fma_f64 v[26:27], v[22:23], v[18:19], v[26:27]
	v_add_f64 v[28:29], v[24:25], v[26:27]
	v_add_f64 v[30:31], -v[28:29], 1.0
	v_add_f64 v[24:25], v[28:29], -v[24:25]
	v_add_f64 v[32:33], -v[30:31], 1.0
	v_add_f64 v[24:25], v[24:25], -v[26:27]
	v_add_f64 v[28:29], v[32:33], -v[28:29]
	v_add_f64 v[24:25], v[24:25], v[28:29]
	v_add_f64 v[26:27], v[30:31], v[24:25]
	v_add_f64 v[28:29], v[30:31], -v[26:27]
	v_add_f64 v[24:25], v[24:25], v[28:29]
	v_mul_f64 v[28:29], v[22:23], v[26:27]
	v_mul_f64 v[30:31], v[20:21], v[28:29]
	v_fma_f64 v[32:33], v[28:29], v[20:21], -v[30:31]
	v_fma_f64 v[32:33], v[28:29], v[18:19], v[32:33]
	v_add_f64 v[34:35], v[30:31], v[32:33]
	v_add_f64 v[36:37], v[26:27], -v[34:35]
	v_add_f64 v[30:31], v[34:35], -v[30:31]
	;; [unrolled: 1-line block ×4, first 2 shown]
	v_add_f64 v[24:25], v[24:25], v[26:27]
	v_add_f64 v[26:27], v[30:31], -v[32:33]
	v_add_f64 v[24:25], v[26:27], v[24:25]
	v_add_f64 v[26:27], v[22:23], v[28:29]
	;; [unrolled: 1-line block ×3, first 2 shown]
	v_mul_f64 v[24:25], v[22:23], v[24:25]
	v_add_f64 v[22:23], v[26:27], -v[22:23]
	v_add_f64 v[22:23], v[28:29], -v[22:23]
	v_add_f64 v[22:23], v[22:23], v[24:25]
	v_add_f64 v[24:25], v[26:27], v[22:23]
	v_add_f64 v[26:27], v[24:25], -v[26:27]
	v_ldexp_f64 v[24:25], v[24:25], -2
	v_add_f64 v[22:23], v[22:23], -v[26:27]
	v_add_f64 v[26:27], v[20:21], -v[24:25]
	v_ldexp_f64 v[22:23], v[22:23], -2
	v_add_f64 v[20:21], v[20:21], -v[26:27]
	v_add_f64 v[20:21], v[20:21], -v[24:25]
	v_add_f64 v[18:19], v[18:19], v[20:21]
	v_add_f64 v[18:19], v[18:19], -v[22:23]
	v_add_f64 v[18:19], v[26:27], v[18:19]
	v_cndmask_b32_e32 v19, v16, v19, vcc
	v_cndmask_b32_e32 v18, 0, v18, vcc
	v_cmp_lt_f64_e64 vcc, |v[3:4]|, s[52:53]
	v_cndmask_b32_e32 v3, v18, v3, vcc
	v_cndmask_b32_e32 v18, v19, v38, vcc
	v_bfi_b32 v4, s55, v18, v4
	v_add_co_u32_e32 v18, vcc, s0, v13
	v_addc_co_u32_e32 v19, vcc, v17, v14, vcc
	v_add_co_u32_e32 v11, vcc, s33, v11
	v_addc_co_u32_e32 v12, vcc, 0, v12, vcc
	global_store_dwordx4 v[18:19], v[5:8], off
	global_store_dwordx4 v[18:19], v[1:4], off offset:16
	v_add_co_u32_e32 v13, vcc, s54, v13
	v_lshlrev_b64 v[1:2], 2, v[11:12]
	v_addc_co_u32_e32 v14, vcc, 0, v14, vcc
	v_cmp_le_i64_e32 vcc, s[8:9], v[1:2]
	s_or_b64 s[14:15], vcc, s[14:15]
	s_andn2_b64 exec, exec, s[14:15]
	s_cbranch_execnz .LBB117_3
.LBB117_4:
	s_or_b64 exec, exec, s[12:13]
	s_mov_b64 s[8:9], 0
.LBB117_5:
	s_andn2_b64 vcc, exec, s[8:9]
	s_cbranch_vccnz .LBB117_25
; %bb.6:
	v_cmp_lt_i64_e64 s[8:9], s[6:7], 1
	s_and_b64 vcc, exec, s[8:9]
	s_cbranch_vccnz .LBB117_25
; %bb.7:
	v_mov_b32_e32 v1, 0x10000
	s_load_dword s8, s[4:5], 0xc5c
	v_mov_b32_e32 v2, 0
	v_cmp_lt_i64_e32 vcc, s[6:7], v[1:2]
	v_mov_b32_e32 v3, 0
	s_and_b64 s[4:5], vcc, exec
	v_cmp_lt_u64_e32 vcc, s[6:7], v[1:2]
	s_cselect_b32 s13, s7, 0
	s_cselect_b32 s12, s6, 0x10000
	s_waitcnt lgkmcnt(0)
	s_and_b32 s8, s8, 0xffff
	v_lshlrev_b32_e32 v2, 3, v0
	s_and_b64 s[4:5], vcc, exec
	v_mov_b32_e32 v1, s3
	v_add_co_u32_e32 v11, vcc, s2, v2
	v_mad_u64_u32 v[3:4], s[4:5], s8, 24, v[2:3]
	v_addc_co_u32_e32 v12, vcc, 0, v1, vcc
	v_mov_b32_e32 v1, s1
	v_add_co_u32_e32 v13, vcc, s0, v2
	v_addc_co_u32_e32 v14, vcc, 0, v1, vcc
	v_mov_b32_e32 v1, s3
	v_add_co_u32_e32 v15, vcc, s2, v3
	;; [unrolled: 3-line block ×3, first 2 shown]
	s_cselect_b32 s15, s7, 0
	s_cselect_b32 s14, s6, 0x10000
	v_addc_co_u32_e32 v18, vcc, v1, v4, vcc
	s_lshl_b32 s4, s8, 4
	v_add_co_u32_e32 v1, vcc, s4, v2
	v_addc_co_u32_e64 v2, s[4:5], 0, 0, vcc
	v_mov_b32_e32 v3, s3
	v_add_co_u32_e32 v19, vcc, s2, v1
	v_addc_co_u32_e32 v20, vcc, v3, v2, vcc
	v_mov_b32_e32 v3, s1
	v_add_co_u32_e32 v21, vcc, s0, v1
	v_addc_co_u32_e32 v22, vcc, v3, v2, vcc
	v_add_co_u32_e32 v23, vcc, s8, v0
	v_lshlrev_b32_e32 v1, 3, v23
	v_addc_co_u32_e64 v24, s[4:5], 0, 0, vcc
	v_mov_b32_e32 v2, s3
	v_add_co_u32_e32 v25, vcc, s2, v1
	v_addc_co_u32_e32 v26, vcc, 0, v2, vcc
	v_mov_b32_e32 v2, s1
	v_add_co_u32_e32 v27, vcc, s0, v1
	s_mul_i32 s7, s8, 3
	v_addc_co_u32_e32 v28, vcc, 0, v2, vcc
	s_lshl_b32 s6, s8, 1
	v_add_co_u32_e32 v29, vcc, s7, v0
	s_mov_b32 s18, 0
	s_mov_b32 s20, 0xfefa39ef
	;; [unrolled: 1-line block ×16, first 2 shown]
	v_addc_co_u32_e64 v30, s[0:1], 0, 0, vcc
	v_add_co_u32_e32 v31, vcc, s6, v0
	s_lshl_b32 s33, s8, 2
	s_lshl_b32 s58, s8, 5
	s_mov_b64 s[16:17], 0
	s_brev_b32 s59, -2
	s_mov_b32 s19, 0x3e400000
	s_mov_b32 s21, 0xbfe62e42
	;; [unrolled: 1-line block ×18, first 2 shown]
	v_mov_b32_e32 v1, 0xfca7ab0c
	v_mov_b32_e32 v2, 0x3e928af3
	v_addc_co_u32_e64 v32, s[0:1], 0, 0, vcc
	v_mov_b32_e32 v33, 0x7ff00000
	s_branch .LBB117_9
.LBB117_8:                              ;   in Loop: Header=BB117_9 Depth=1
	s_or_b64 exec, exec, s[0:1]
	v_add_co_u32_e32 v11, vcc, s58, v11
	v_addc_co_u32_e32 v12, vcc, 0, v12, vcc
	v_add_co_u32_e32 v13, vcc, s58, v13
	v_addc_co_u32_e32 v14, vcc, 0, v14, vcc
	;; [unrolled: 2-line block ×6, first 2 shown]
	s_add_u32 s16, s16, s33
	v_add_co_u32_e32 v25, vcc, s58, v25
	s_waitcnt vmcnt(0)
	v_mov_b32_e32 v3, s12
	s_addc_u32 s17, s17, 0
	v_addc_co_u32_e32 v26, vcc, 0, v26, vcc
	v_mov_b32_e32 v4, s13
	v_cmp_ge_i64_e32 vcc, s[16:17], v[3:4]
	v_add_co_u32_e64 v27, s[0:1], s58, v27
	v_addc_co_u32_e64 v28, s[0:1], 0, v28, s[0:1]
	s_cbranch_vccnz .LBB117_25
.LBB117_9:                              ; =>This Inner Loop Header: Depth=1
	v_mov_b32_e32 v4, s17
	v_add_co_u32_e32 v3, vcc, s16, v0
	v_addc_co_u32_e32 v4, vcc, 0, v4, vcc
	v_cmp_gt_u64_e64 s[4:5], s[14:15], v[3:4]
	v_mov_b32_e32 v7, 0
	v_mov_b32_e32 v9, 0
	;; [unrolled: 1-line block ×4, first 2 shown]
	s_and_saveexec_b64 s[0:1], s[4:5]
	s_cbranch_execz .LBB117_11
; %bb.10:                               ;   in Loop: Header=BB117_9 Depth=1
	v_mov_b32_e32 v4, s11
	v_add_co_u32_e32 v3, vcc, s10, v11
	v_addc_co_u32_e32 v4, vcc, v12, v4, vcc
	global_load_dwordx2 v[9:10], v[3:4], off
.LBB117_11:                             ;   in Loop: Header=BB117_9 Depth=1
	s_or_b64 exec, exec, s[0:1]
	v_mov_b32_e32 v4, s17
	v_add_co_u32_e32 v3, vcc, s16, v23
	v_addc_co_u32_e32 v4, vcc, v24, v4, vcc
	v_cmp_gt_u64_e64 s[2:3], s[14:15], v[3:4]
	s_and_saveexec_b64 s[0:1], s[2:3]
	s_cbranch_execz .LBB117_13
; %bb.12:                               ;   in Loop: Header=BB117_9 Depth=1
	v_mov_b32_e32 v4, s11
	v_add_co_u32_e32 v3, vcc, s10, v25
	v_addc_co_u32_e32 v4, vcc, v26, v4, vcc
	global_load_dwordx2 v[7:8], v[3:4], off
.LBB117_13:                             ;   in Loop: Header=BB117_9 Depth=1
	s_or_b64 exec, exec, s[0:1]
	v_mov_b32_e32 v4, s17
	v_add_co_u32_e32 v3, vcc, s16, v31
	v_addc_co_u32_e32 v4, vcc, v32, v4, vcc
	v_cmp_gt_u64_e64 s[0:1], s[14:15], v[3:4]
	v_mov_b32_e32 v3, 0
	v_mov_b32_e32 v5, 0
	;; [unrolled: 1-line block ×4, first 2 shown]
	s_and_saveexec_b64 s[6:7], s[0:1]
	s_cbranch_execz .LBB117_15
; %bb.14:                               ;   in Loop: Header=BB117_9 Depth=1
	v_mov_b32_e32 v6, s11
	v_add_co_u32_e32 v5, vcc, s10, v19
	v_addc_co_u32_e32 v6, vcc, v20, v6, vcc
	global_load_dwordx2 v[5:6], v[5:6], off
.LBB117_15:                             ;   in Loop: Header=BB117_9 Depth=1
	s_or_b64 exec, exec, s[6:7]
	v_mov_b32_e32 v35, s17
	v_add_co_u32_e32 v34, vcc, s16, v29
	v_addc_co_u32_e32 v35, vcc, v30, v35, vcc
	v_cmp_gt_u64_e32 vcc, s[14:15], v[34:35]
	s_and_saveexec_b64 s[8:9], vcc
	s_cbranch_execnz .LBB117_20
; %bb.16:                               ;   in Loop: Header=BB117_9 Depth=1
	s_or_b64 exec, exec, s[8:9]
	s_and_saveexec_b64 s[56:57], s[4:5]
	s_cbranch_execnz .LBB117_21
.LBB117_17:                             ;   in Loop: Header=BB117_9 Depth=1
	s_or_b64 exec, exec, s[56:57]
	s_and_saveexec_b64 s[4:5], s[2:3]
	s_cbranch_execnz .LBB117_22
.LBB117_18:                             ;   in Loop: Header=BB117_9 Depth=1
	s_or_b64 exec, exec, s[4:5]
	s_and_saveexec_b64 s[2:3], s[0:1]
	s_cbranch_execnz .LBB117_23
.LBB117_19:                             ;   in Loop: Header=BB117_9 Depth=1
	s_or_b64 exec, exec, s[2:3]
	s_and_saveexec_b64 s[0:1], vcc
	s_cbranch_execz .LBB117_8
	s_branch .LBB117_24
.LBB117_20:                             ;   in Loop: Header=BB117_9 Depth=1
	v_mov_b32_e32 v4, s11
	v_add_co_u32_e64 v3, s[6:7], s10, v15
	v_addc_co_u32_e64 v4, s[6:7], v16, v4, s[6:7]
	global_load_dwordx2 v[3:4], v[3:4], off
	s_or_b64 exec, exec, s[8:9]
	s_and_saveexec_b64 s[56:57], s[4:5]
	s_cbranch_execz .LBB117_17
.LBB117_21:                             ;   in Loop: Header=BB117_9 Depth=1
	s_waitcnt vmcnt(0)
	v_add_f64 v[34:35], |v[9:10]|, s[20:21]
	s_mov_b32 s22, s20
	s_mov_b32 s29, s21
	v_cmp_nge_f64_e64 s[4:5], |v[9:10]|, s[54:55]
	v_cmp_lt_f64_e64 s[6:7], |v[9:10]|, s[18:19]
	v_add_f64 v[36:37], v[34:35], -|v[9:10]|
	v_add_f64 v[38:39], v[36:37], -v[34:35]
	v_add_f64 v[36:37], v[36:37], s[22:23]
	v_add_f64 v[38:39], |v[9:10]|, v[38:39]
	v_add_f64 v[36:37], v[38:39], -v[36:37]
	v_add_f64 v[36:37], v[36:37], s[24:25]
	v_add_f64 v[38:39], v[34:35], v[36:37]
	v_mul_f64 v[40:41], v[38:39], s[26:27]
	v_add_f64 v[34:35], v[34:35], -v[38:39]
	v_rndne_f64_e32 v[40:41], v[40:41]
	v_add_f64 v[34:35], v[36:37], v[34:35]
	v_fma_f64 v[36:37], v[40:41], s[28:29], v[38:39]
	v_mul_f64 v[38:39], v[40:41], s[30:31]
	v_add_f64 v[42:43], v[34:35], v[36:37]
	v_add_f64 v[44:45], v[42:43], v[38:39]
	v_add_f64 v[36:37], v[36:37], -v[42:43]
	v_add_f64 v[42:43], v[42:43], -v[44:45]
	v_add_f64 v[34:35], v[34:35], v[36:37]
	v_add_f64 v[36:37], v[42:43], v[38:39]
	;; [unrolled: 1-line block ×3, first 2 shown]
	v_mul_f64 v[36:37], v[40:41], s[34:35]
	v_add_f64 v[38:39], v[44:45], v[34:35]
	v_add_f64 v[42:43], v[38:39], v[36:37]
	v_add_f64 v[44:45], v[44:45], -v[38:39]
	v_add_f64 v[38:39], v[38:39], -v[42:43]
	v_add_f64 v[34:35], v[34:35], v[44:45]
	v_add_f64 v[36:37], v[38:39], v[36:37]
	;; [unrolled: 1-line block ×4, first 2 shown]
	v_fma_f64 v[38:39], v[36:37], s[36:37], v[1:2]
	v_add_f64 v[42:43], v[42:43], -v[36:37]
	v_mul_f64 v[44:45], v[36:37], v[36:37]
	v_fma_f64 v[38:39], v[36:37], v[38:39], s[38:39]
	v_add_f64 v[34:35], v[34:35], v[42:43]
	v_fma_f64 v[42:43], v[36:37], v[36:37], -v[44:45]
	v_fma_f64 v[38:39], v[36:37], v[38:39], s[40:41]
	v_add_f64 v[46:47], v[34:35], v[34:35]
	v_fma_f64 v[38:39], v[36:37], v[38:39], s[42:43]
	v_fma_f64 v[42:43], v[36:37], v[46:47], v[42:43]
	v_fma_f64 v[38:39], v[36:37], v[38:39], s[44:45]
	v_add_f64 v[46:47], v[44:45], v[42:43]
	v_fma_f64 v[38:39], v[36:37], v[38:39], s[46:47]
	v_add_f64 v[44:45], v[46:47], -v[44:45]
	v_fma_f64 v[38:39], v[36:37], v[38:39], s[48:49]
	v_add_f64 v[42:43], v[42:43], -v[44:45]
	v_fma_f64 v[38:39], v[36:37], v[38:39], s[50:51]
	v_fma_f64 v[38:39], v[36:37], v[38:39], s[52:53]
	v_mul_f64 v[48:49], v[46:47], v[38:39]
	v_fma_f64 v[44:45], v[46:47], v[38:39], -v[48:49]
	v_fma_f64 v[38:39], v[42:43], v[38:39], v[44:45]
	v_add_f64 v[42:43], v[48:49], v[38:39]
	v_add_f64 v[44:45], v[42:43], -v[48:49]
	v_add_f64 v[46:47], v[36:37], v[42:43]
	v_add_f64 v[38:39], v[38:39], -v[44:45]
	v_add_f64 v[36:37], v[46:47], -v[36:37]
	v_add_f64 v[34:35], v[34:35], v[38:39]
	v_add_f64 v[36:37], v[42:43], -v[36:37]
	v_add_f64 v[34:35], v[34:35], v[36:37]
	v_add_f64 v[36:37], v[46:47], v[34:35]
	v_add_f64 v[38:39], v[36:37], 1.0
	v_add_f64 v[42:43], v[36:37], -v[46:47]
	v_cvt_i32_f64_e32 v46, v[40:41]
	v_add_f64 v[44:45], v[38:39], -1.0
	v_add_f64 v[34:35], v[34:35], -v[42:43]
	v_add_f64 v[36:37], v[36:37], -v[44:45]
	v_add_f64 v[34:35], v[34:35], v[36:37]
	v_add_f64 v[36:37], v[38:39], v[34:35]
	v_ldexp_f64 v[40:41], v[36:37], v46
	v_add_f64 v[36:37], v[36:37], -v[38:39]
	v_rcp_f64_e32 v[42:43], v[40:41]
	v_add_f64 v[34:35], v[34:35], -v[36:37]
	v_ldexp_f64 v[34:35], v[34:35], v46
	v_fma_f64 v[44:45], -v[40:41], v[42:43], 1.0
	v_fma_f64 v[42:43], v[44:45], v[42:43], v[42:43]
	v_fma_f64 v[44:45], -v[40:41], v[42:43], 1.0
	v_fma_f64 v[38:39], v[44:45], v[42:43], v[42:43]
	v_mul_f64 v[36:37], v[40:41], v[38:39]
	v_fma_f64 v[42:43], v[38:39], v[40:41], -v[36:37]
	v_fma_f64 v[42:43], v[38:39], v[34:35], v[42:43]
	v_add_f64 v[44:45], v[36:37], v[42:43]
	v_add_f64 v[46:47], -v[44:45], 1.0
	v_add_f64 v[36:37], v[44:45], -v[36:37]
	v_add_f64 v[48:49], -v[46:47], 1.0
	v_add_f64 v[36:37], v[36:37], -v[42:43]
	v_add_f64 v[42:43], v[48:49], -v[44:45]
	v_add_f64 v[36:37], v[36:37], v[42:43]
	v_add_f64 v[42:43], v[46:47], v[36:37]
	v_mul_f64 v[44:45], v[38:39], v[42:43]
	v_add_f64 v[46:47], v[46:47], -v[42:43]
	v_mul_f64 v[48:49], v[40:41], v[44:45]
	v_add_f64 v[36:37], v[36:37], v[46:47]
	v_fma_f64 v[50:51], v[44:45], v[40:41], -v[48:49]
	v_fma_f64 v[50:51], v[44:45], v[34:35], v[50:51]
	v_add_f64 v[52:53], v[48:49], v[50:51]
	v_add_f64 v[54:55], v[42:43], -v[52:53]
	v_add_f64 v[46:47], v[52:53], -v[48:49]
	;; [unrolled: 1-line block ×5, first 2 shown]
	v_add_f64 v[36:37], v[36:37], v[42:43]
	v_add_f64 v[42:43], v[38:39], v[44:45]
	;; [unrolled: 1-line block ×3, first 2 shown]
	v_add_f64 v[46:47], v[42:43], -v[38:39]
	v_add_f64 v[36:37], v[54:55], v[36:37]
	v_add_f64 v[44:45], v[44:45], -v[46:47]
	v_mul_f64 v[36:37], v[38:39], v[36:37]
	v_add_f64 v[36:37], v[44:45], v[36:37]
	v_add_f64 v[38:39], v[42:43], v[36:37]
	v_ldexp_f64 v[44:45], v[38:39], -2
	v_add_f64 v[38:39], v[38:39], -v[42:43]
	v_add_f64 v[46:47], v[40:41], -v[44:45]
	;; [unrolled: 1-line block ×4, first 2 shown]
	v_ldexp_f64 v[36:37], v[36:37], -2
	v_add_f64 v[38:39], v[40:41], -v[44:45]
	v_add_f64 v[34:35], v[34:35], v[38:39]
	v_mov_b32_e32 v38, s11
	v_add_f64 v[34:35], v[34:35], -v[36:37]
	v_and_b32_e32 v37, 0x7fffffff, v10
	v_add_co_u32_e64 v36, s[8:9], s10, v13
	v_add_f64 v[34:35], v[46:47], v[34:35]
	v_cndmask_b32_e64 v35, v33, v35, s[4:5]
	v_cndmask_b32_e64 v34, 0, v34, s[4:5]
	;; [unrolled: 1-line block ×4, first 2 shown]
	v_bfi_b32 v10, s59, v34, v10
	v_addc_co_u32_e64 v37, s[4:5], v14, v38, s[8:9]
	global_store_dwordx2 v[36:37], v[9:10], off
	s_or_b64 exec, exec, s[56:57]
	s_and_saveexec_b64 s[4:5], s[2:3]
	s_cbranch_execz .LBB117_18
.LBB117_22:                             ;   in Loop: Header=BB117_9 Depth=1
	s_waitcnt vmcnt(0)
	v_add_f64 v[9:10], |v[7:8]|, s[20:21]
	s_mov_b32 s22, s20
	s_mov_b32 s29, s21
	v_cmp_nge_f64_e64 s[2:3], |v[7:8]|, s[54:55]
	v_add_f64 v[34:35], v[9:10], -|v[7:8]|
	v_add_f64 v[36:37], v[34:35], -v[9:10]
	v_add_f64 v[34:35], v[34:35], s[22:23]
	v_add_f64 v[36:37], |v[7:8]|, v[36:37]
	v_add_f64 v[34:35], v[36:37], -v[34:35]
	v_add_f64 v[34:35], v[34:35], s[24:25]
	v_add_f64 v[36:37], v[9:10], v[34:35]
	v_mul_f64 v[38:39], v[36:37], s[26:27]
	v_add_f64 v[9:10], v[9:10], -v[36:37]
	v_rndne_f64_e32 v[38:39], v[38:39]
	v_add_f64 v[9:10], v[34:35], v[9:10]
	v_fma_f64 v[34:35], v[38:39], s[28:29], v[36:37]
	v_mul_f64 v[36:37], v[38:39], s[30:31]
	v_add_f64 v[40:41], v[9:10], v[34:35]
	v_add_f64 v[42:43], v[40:41], v[36:37]
	v_add_f64 v[34:35], v[34:35], -v[40:41]
	v_add_f64 v[40:41], v[40:41], -v[42:43]
	v_add_f64 v[9:10], v[9:10], v[34:35]
	v_add_f64 v[34:35], v[40:41], v[36:37]
	v_add_f64 v[9:10], v[9:10], v[34:35]
	v_mul_f64 v[34:35], v[38:39], s[34:35]
	v_add_f64 v[36:37], v[42:43], v[9:10]
	v_add_f64 v[40:41], v[36:37], v[34:35]
	v_add_f64 v[42:43], v[42:43], -v[36:37]
	v_add_f64 v[36:37], v[36:37], -v[40:41]
	v_add_f64 v[9:10], v[9:10], v[42:43]
	v_add_f64 v[34:35], v[36:37], v[34:35]
	;; [unrolled: 1-line block ×4, first 2 shown]
	v_fma_f64 v[36:37], v[34:35], s[36:37], v[1:2]
	v_add_f64 v[40:41], v[40:41], -v[34:35]
	v_mul_f64 v[42:43], v[34:35], v[34:35]
	v_fma_f64 v[36:37], v[34:35], v[36:37], s[38:39]
	v_add_f64 v[9:10], v[9:10], v[40:41]
	v_fma_f64 v[40:41], v[34:35], v[34:35], -v[42:43]
	v_fma_f64 v[36:37], v[34:35], v[36:37], s[40:41]
	v_add_f64 v[44:45], v[9:10], v[9:10]
	v_fma_f64 v[36:37], v[34:35], v[36:37], s[42:43]
	v_fma_f64 v[40:41], v[34:35], v[44:45], v[40:41]
	;; [unrolled: 1-line block ×3, first 2 shown]
	v_add_f64 v[44:45], v[42:43], v[40:41]
	v_fma_f64 v[36:37], v[34:35], v[36:37], s[46:47]
	v_add_f64 v[42:43], v[44:45], -v[42:43]
	v_fma_f64 v[36:37], v[34:35], v[36:37], s[48:49]
	v_add_f64 v[40:41], v[40:41], -v[42:43]
	v_fma_f64 v[36:37], v[34:35], v[36:37], s[50:51]
	v_fma_f64 v[36:37], v[34:35], v[36:37], s[52:53]
	v_mul_f64 v[46:47], v[44:45], v[36:37]
	v_fma_f64 v[42:43], v[44:45], v[36:37], -v[46:47]
	v_fma_f64 v[36:37], v[40:41], v[36:37], v[42:43]
	v_add_f64 v[40:41], v[46:47], v[36:37]
	v_add_f64 v[42:43], v[34:35], v[40:41]
	v_add_f64 v[44:45], v[40:41], -v[46:47]
	v_add_f64 v[34:35], v[42:43], -v[34:35]
	;; [unrolled: 1-line block ×3, first 2 shown]
	v_cvt_i32_f64_e32 v44, v[38:39]
	v_add_f64 v[34:35], v[40:41], -v[34:35]
	v_add_f64 v[9:10], v[9:10], v[36:37]
	v_add_f64 v[9:10], v[9:10], v[34:35]
	;; [unrolled: 1-line block ×3, first 2 shown]
	v_add_f64 v[36:37], v[34:35], 1.0
	v_add_f64 v[40:41], v[34:35], -v[42:43]
	v_add_f64 v[42:43], v[36:37], -1.0
	v_add_f64 v[9:10], v[9:10], -v[40:41]
	v_add_f64 v[34:35], v[34:35], -v[42:43]
	v_add_f64 v[9:10], v[9:10], v[34:35]
	v_add_f64 v[34:35], v[36:37], v[9:10]
	v_ldexp_f64 v[38:39], v[34:35], v44
	v_add_f64 v[34:35], v[34:35], -v[36:37]
	v_rcp_f64_e32 v[40:41], v[38:39]
	v_add_f64 v[9:10], v[9:10], -v[34:35]
	v_ldexp_f64 v[9:10], v[9:10], v44
	v_fma_f64 v[42:43], -v[38:39], v[40:41], 1.0
	v_fma_f64 v[40:41], v[42:43], v[40:41], v[40:41]
	v_fma_f64 v[42:43], -v[38:39], v[40:41], 1.0
	v_fma_f64 v[36:37], v[42:43], v[40:41], v[40:41]
	v_mul_f64 v[34:35], v[38:39], v[36:37]
	v_fma_f64 v[40:41], v[36:37], v[38:39], -v[34:35]
	v_fma_f64 v[40:41], v[36:37], v[9:10], v[40:41]
	v_add_f64 v[42:43], v[34:35], v[40:41]
	v_add_f64 v[44:45], -v[42:43], 1.0
	v_add_f64 v[34:35], v[42:43], -v[34:35]
	v_add_f64 v[46:47], -v[44:45], 1.0
	v_add_f64 v[34:35], v[34:35], -v[40:41]
	v_add_f64 v[40:41], v[46:47], -v[42:43]
	v_add_f64 v[34:35], v[34:35], v[40:41]
	v_add_f64 v[40:41], v[44:45], v[34:35]
	v_mul_f64 v[42:43], v[36:37], v[40:41]
	v_add_f64 v[44:45], v[44:45], -v[40:41]
	v_mul_f64 v[46:47], v[38:39], v[42:43]
	v_add_f64 v[34:35], v[34:35], v[44:45]
	v_fma_f64 v[48:49], v[42:43], v[38:39], -v[46:47]
	v_fma_f64 v[48:49], v[42:43], v[9:10], v[48:49]
	v_add_f64 v[50:51], v[46:47], v[48:49]
	v_add_f64 v[52:53], v[40:41], -v[50:51]
	v_add_f64 v[44:45], v[50:51], -v[46:47]
	;; [unrolled: 1-line block ×5, first 2 shown]
	v_add_f64 v[34:35], v[34:35], v[40:41]
	v_add_f64 v[40:41], v[36:37], v[42:43]
	;; [unrolled: 1-line block ×3, first 2 shown]
	v_add_f64 v[44:45], v[40:41], -v[36:37]
	v_add_f64 v[34:35], v[52:53], v[34:35]
	v_add_f64 v[42:43], v[42:43], -v[44:45]
	v_mul_f64 v[34:35], v[36:37], v[34:35]
	v_add_f64 v[34:35], v[42:43], v[34:35]
	v_add_f64 v[36:37], v[40:41], v[34:35]
	v_ldexp_f64 v[42:43], v[36:37], -2
	v_add_f64 v[36:37], v[36:37], -v[40:41]
	v_add_f64 v[44:45], v[38:39], -v[42:43]
	;; [unrolled: 1-line block ×4, first 2 shown]
	v_ldexp_f64 v[34:35], v[34:35], -2
	v_add_f64 v[36:37], v[38:39], -v[42:43]
	v_add_f64 v[9:10], v[9:10], v[36:37]
	v_add_f64 v[9:10], v[9:10], -v[34:35]
	v_and_b32_e32 v34, 0x7fffffff, v8
	v_mov_b32_e32 v35, s11
	v_add_f64 v[9:10], v[44:45], v[9:10]
	v_cndmask_b32_e64 v10, v33, v10, s[2:3]
	v_cndmask_b32_e64 v9, 0, v9, s[2:3]
	v_cmp_lt_f64_e64 s[2:3], |v[7:8]|, s[18:19]
	v_cndmask_b32_e64 v7, v9, v7, s[2:3]
	v_cndmask_b32_e64 v9, v10, v34, s[2:3]
	v_bfi_b32 v8, s59, v9, v8
	v_add_co_u32_e64 v9, s[2:3], s10, v27
	v_addc_co_u32_e64 v10, s[2:3], v28, v35, s[2:3]
	global_store_dwordx2 v[9:10], v[7:8], off
	s_or_b64 exec, exec, s[4:5]
	s_and_saveexec_b64 s[2:3], s[0:1]
	s_cbranch_execz .LBB117_19
.LBB117_23:                             ;   in Loop: Header=BB117_9 Depth=1
	s_waitcnt vmcnt(0)
	v_add_f64 v[7:8], |v[5:6]|, s[20:21]
	s_mov_b32 s22, s20
	s_mov_b32 s29, s21
	v_cmp_nge_f64_e64 s[0:1], |v[5:6]|, s[54:55]
	v_add_f64 v[9:10], v[7:8], -|v[5:6]|
	v_add_f64 v[34:35], v[9:10], -v[7:8]
	v_add_f64 v[9:10], v[9:10], s[22:23]
	v_add_f64 v[34:35], |v[5:6]|, v[34:35]
	v_add_f64 v[9:10], v[34:35], -v[9:10]
	v_add_f64 v[9:10], v[9:10], s[24:25]
	v_add_f64 v[34:35], v[7:8], v[9:10]
	v_mul_f64 v[36:37], v[34:35], s[26:27]
	v_add_f64 v[7:8], v[7:8], -v[34:35]
	v_rndne_f64_e32 v[36:37], v[36:37]
	v_add_f64 v[7:8], v[9:10], v[7:8]
	v_fma_f64 v[9:10], v[36:37], s[28:29], v[34:35]
	v_mul_f64 v[34:35], v[36:37], s[30:31]
	v_add_f64 v[38:39], v[7:8], v[9:10]
	v_add_f64 v[40:41], v[38:39], v[34:35]
	v_add_f64 v[9:10], v[9:10], -v[38:39]
	v_add_f64 v[38:39], v[38:39], -v[40:41]
	v_add_f64 v[7:8], v[7:8], v[9:10]
	v_add_f64 v[9:10], v[38:39], v[34:35]
	;; [unrolled: 1-line block ×3, first 2 shown]
	v_mul_f64 v[9:10], v[36:37], s[34:35]
	v_add_f64 v[34:35], v[40:41], v[7:8]
	v_add_f64 v[38:39], v[34:35], v[9:10]
	v_add_f64 v[40:41], v[40:41], -v[34:35]
	v_add_f64 v[34:35], v[34:35], -v[38:39]
	v_add_f64 v[7:8], v[7:8], v[40:41]
	v_add_f64 v[9:10], v[34:35], v[9:10]
	;; [unrolled: 1-line block ×4, first 2 shown]
	v_fma_f64 v[34:35], v[9:10], s[36:37], v[1:2]
	v_add_f64 v[38:39], v[38:39], -v[9:10]
	v_mul_f64 v[40:41], v[9:10], v[9:10]
	v_fma_f64 v[34:35], v[9:10], v[34:35], s[38:39]
	v_add_f64 v[7:8], v[7:8], v[38:39]
	v_fma_f64 v[38:39], v[9:10], v[9:10], -v[40:41]
	v_fma_f64 v[34:35], v[9:10], v[34:35], s[40:41]
	v_add_f64 v[42:43], v[7:8], v[7:8]
	v_fma_f64 v[34:35], v[9:10], v[34:35], s[42:43]
	v_fma_f64 v[38:39], v[9:10], v[42:43], v[38:39]
	;; [unrolled: 1-line block ×3, first 2 shown]
	v_add_f64 v[42:43], v[40:41], v[38:39]
	v_fma_f64 v[34:35], v[9:10], v[34:35], s[46:47]
	v_add_f64 v[40:41], v[42:43], -v[40:41]
	v_fma_f64 v[34:35], v[9:10], v[34:35], s[48:49]
	v_add_f64 v[38:39], v[38:39], -v[40:41]
	v_fma_f64 v[34:35], v[9:10], v[34:35], s[50:51]
	v_fma_f64 v[34:35], v[9:10], v[34:35], s[52:53]
	v_mul_f64 v[44:45], v[42:43], v[34:35]
	v_fma_f64 v[40:41], v[42:43], v[34:35], -v[44:45]
	v_fma_f64 v[34:35], v[38:39], v[34:35], v[40:41]
	v_add_f64 v[38:39], v[44:45], v[34:35]
	v_add_f64 v[40:41], v[9:10], v[38:39]
	v_add_f64 v[42:43], v[38:39], -v[44:45]
	v_add_f64 v[9:10], v[40:41], -v[9:10]
	;; [unrolled: 1-line block ×3, first 2 shown]
	v_cvt_i32_f64_e32 v42, v[36:37]
	v_add_f64 v[9:10], v[38:39], -v[9:10]
	v_add_f64 v[7:8], v[7:8], v[34:35]
	v_add_f64 v[7:8], v[7:8], v[9:10]
	;; [unrolled: 1-line block ×3, first 2 shown]
	v_add_f64 v[34:35], v[9:10], 1.0
	v_add_f64 v[38:39], v[9:10], -v[40:41]
	v_add_f64 v[40:41], v[34:35], -1.0
	v_add_f64 v[7:8], v[7:8], -v[38:39]
	v_add_f64 v[9:10], v[9:10], -v[40:41]
	v_add_f64 v[7:8], v[7:8], v[9:10]
	v_add_f64 v[9:10], v[34:35], v[7:8]
	v_ldexp_f64 v[36:37], v[9:10], v42
	v_add_f64 v[9:10], v[9:10], -v[34:35]
	v_rcp_f64_e32 v[38:39], v[36:37]
	v_add_f64 v[7:8], v[7:8], -v[9:10]
	v_ldexp_f64 v[7:8], v[7:8], v42
	v_fma_f64 v[40:41], -v[36:37], v[38:39], 1.0
	v_fma_f64 v[38:39], v[40:41], v[38:39], v[38:39]
	v_fma_f64 v[40:41], -v[36:37], v[38:39], 1.0
	v_fma_f64 v[34:35], v[40:41], v[38:39], v[38:39]
	v_mul_f64 v[9:10], v[36:37], v[34:35]
	v_fma_f64 v[38:39], v[34:35], v[36:37], -v[9:10]
	v_fma_f64 v[38:39], v[34:35], v[7:8], v[38:39]
	v_add_f64 v[40:41], v[9:10], v[38:39]
	v_add_f64 v[42:43], -v[40:41], 1.0
	v_add_f64 v[9:10], v[40:41], -v[9:10]
	v_add_f64 v[44:45], -v[42:43], 1.0
	v_add_f64 v[9:10], v[9:10], -v[38:39]
	v_add_f64 v[38:39], v[44:45], -v[40:41]
	v_add_f64 v[9:10], v[9:10], v[38:39]
	v_add_f64 v[38:39], v[42:43], v[9:10]
	v_mul_f64 v[40:41], v[34:35], v[38:39]
	v_add_f64 v[42:43], v[42:43], -v[38:39]
	v_mul_f64 v[44:45], v[36:37], v[40:41]
	v_add_f64 v[9:10], v[9:10], v[42:43]
	v_fma_f64 v[46:47], v[40:41], v[36:37], -v[44:45]
	v_fma_f64 v[46:47], v[40:41], v[7:8], v[46:47]
	v_add_f64 v[48:49], v[44:45], v[46:47]
	v_add_f64 v[50:51], v[38:39], -v[48:49]
	v_add_f64 v[42:43], v[48:49], -v[44:45]
	;; [unrolled: 1-line block ×5, first 2 shown]
	v_add_f64 v[9:10], v[9:10], v[38:39]
	v_add_f64 v[38:39], v[34:35], v[40:41]
	v_add_f64 v[9:10], v[42:43], v[9:10]
	v_add_f64 v[42:43], v[38:39], -v[34:35]
	v_add_f64 v[9:10], v[50:51], v[9:10]
	v_add_f64 v[40:41], v[40:41], -v[42:43]
	v_mul_f64 v[9:10], v[34:35], v[9:10]
	v_add_f64 v[9:10], v[40:41], v[9:10]
	v_add_f64 v[34:35], v[38:39], v[9:10]
	v_ldexp_f64 v[40:41], v[34:35], -2
	v_add_f64 v[34:35], v[34:35], -v[38:39]
	v_add_f64 v[42:43], v[36:37], -v[40:41]
	;; [unrolled: 1-line block ×4, first 2 shown]
	v_ldexp_f64 v[9:10], v[9:10], -2
	v_add_f64 v[34:35], v[36:37], -v[40:41]
	v_add_f64 v[7:8], v[7:8], v[34:35]
	v_add_f64 v[7:8], v[7:8], -v[9:10]
	v_and_b32_e32 v9, 0x7fffffff, v6
	v_mov_b32_e32 v10, s11
	v_add_f64 v[7:8], v[42:43], v[7:8]
	v_cndmask_b32_e64 v8, v33, v8, s[0:1]
	v_cndmask_b32_e64 v7, 0, v7, s[0:1]
	v_cmp_lt_f64_e64 s[0:1], |v[5:6]|, s[18:19]
	v_cndmask_b32_e64 v5, v7, v5, s[0:1]
	v_cndmask_b32_e64 v7, v8, v9, s[0:1]
	v_bfi_b32 v6, s59, v7, v6
	v_add_co_u32_e64 v7, s[0:1], s10, v21
	v_addc_co_u32_e64 v8, s[0:1], v22, v10, s[0:1]
	global_store_dwordx2 v[7:8], v[5:6], off
	s_or_b64 exec, exec, s[2:3]
	s_and_saveexec_b64 s[0:1], vcc
	s_cbranch_execz .LBB117_8
.LBB117_24:                             ;   in Loop: Header=BB117_9 Depth=1
	s_waitcnt vmcnt(0)
	v_add_f64 v[5:6], |v[3:4]|, s[20:21]
	s_mov_b32 s22, s20
	s_mov_b32 s29, s21
	v_cmp_nge_f64_e64 vcc, |v[3:4]|, s[54:55]
	v_add_f64 v[7:8], v[5:6], -|v[3:4]|
	v_add_f64 v[9:10], v[7:8], -v[5:6]
	v_add_f64 v[7:8], v[7:8], s[22:23]
	v_add_f64 v[9:10], |v[3:4]|, v[9:10]
	v_add_f64 v[7:8], v[9:10], -v[7:8]
	v_add_f64 v[7:8], v[7:8], s[24:25]
	v_add_f64 v[9:10], v[5:6], v[7:8]
	v_mul_f64 v[34:35], v[9:10], s[26:27]
	v_add_f64 v[5:6], v[5:6], -v[9:10]
	v_rndne_f64_e32 v[34:35], v[34:35]
	v_add_f64 v[5:6], v[7:8], v[5:6]
	v_fma_f64 v[7:8], v[34:35], s[28:29], v[9:10]
	v_mul_f64 v[9:10], v[34:35], s[30:31]
	v_add_f64 v[36:37], v[5:6], v[7:8]
	v_add_f64 v[38:39], v[36:37], v[9:10]
	v_add_f64 v[7:8], v[7:8], -v[36:37]
	v_add_f64 v[36:37], v[36:37], -v[38:39]
	v_add_f64 v[5:6], v[5:6], v[7:8]
	v_add_f64 v[7:8], v[36:37], v[9:10]
	;; [unrolled: 1-line block ×3, first 2 shown]
	v_mul_f64 v[7:8], v[34:35], s[34:35]
	v_add_f64 v[9:10], v[38:39], v[5:6]
	v_add_f64 v[36:37], v[9:10], v[7:8]
	v_add_f64 v[38:39], v[38:39], -v[9:10]
	v_add_f64 v[9:10], v[9:10], -v[36:37]
	v_add_f64 v[5:6], v[5:6], v[38:39]
	v_add_f64 v[7:8], v[9:10], v[7:8]
	;; [unrolled: 1-line block ×4, first 2 shown]
	v_fma_f64 v[9:10], v[7:8], s[36:37], v[1:2]
	v_add_f64 v[36:37], v[36:37], -v[7:8]
	v_mul_f64 v[38:39], v[7:8], v[7:8]
	v_fma_f64 v[9:10], v[7:8], v[9:10], s[38:39]
	v_add_f64 v[5:6], v[5:6], v[36:37]
	v_fma_f64 v[36:37], v[7:8], v[7:8], -v[38:39]
	v_fma_f64 v[9:10], v[7:8], v[9:10], s[40:41]
	v_add_f64 v[40:41], v[5:6], v[5:6]
	v_fma_f64 v[9:10], v[7:8], v[9:10], s[42:43]
	v_fma_f64 v[36:37], v[7:8], v[40:41], v[36:37]
	v_fma_f64 v[9:10], v[7:8], v[9:10], s[44:45]
	v_add_f64 v[40:41], v[38:39], v[36:37]
	v_fma_f64 v[9:10], v[7:8], v[9:10], s[46:47]
	v_add_f64 v[38:39], v[40:41], -v[38:39]
	v_fma_f64 v[9:10], v[7:8], v[9:10], s[48:49]
	v_add_f64 v[36:37], v[36:37], -v[38:39]
	v_fma_f64 v[9:10], v[7:8], v[9:10], s[50:51]
	v_fma_f64 v[9:10], v[7:8], v[9:10], s[52:53]
	v_mul_f64 v[42:43], v[40:41], v[9:10]
	v_fma_f64 v[38:39], v[40:41], v[9:10], -v[42:43]
	v_fma_f64 v[9:10], v[36:37], v[9:10], v[38:39]
	v_add_f64 v[36:37], v[42:43], v[9:10]
	v_add_f64 v[38:39], v[7:8], v[36:37]
	v_add_f64 v[40:41], v[36:37], -v[42:43]
	v_add_f64 v[7:8], v[38:39], -v[7:8]
	;; [unrolled: 1-line block ×3, first 2 shown]
	v_cvt_i32_f64_e32 v40, v[34:35]
	v_add_f64 v[7:8], v[36:37], -v[7:8]
	v_add_f64 v[5:6], v[5:6], v[9:10]
	v_add_f64 v[5:6], v[5:6], v[7:8]
	;; [unrolled: 1-line block ×3, first 2 shown]
	v_add_f64 v[9:10], v[7:8], 1.0
	v_add_f64 v[36:37], v[7:8], -v[38:39]
	v_add_f64 v[38:39], v[9:10], -1.0
	v_add_f64 v[5:6], v[5:6], -v[36:37]
	v_add_f64 v[7:8], v[7:8], -v[38:39]
	v_add_f64 v[5:6], v[5:6], v[7:8]
	v_add_f64 v[7:8], v[9:10], v[5:6]
	v_ldexp_f64 v[34:35], v[7:8], v40
	v_add_f64 v[7:8], v[7:8], -v[9:10]
	v_rcp_f64_e32 v[36:37], v[34:35]
	v_add_f64 v[5:6], v[5:6], -v[7:8]
	v_ldexp_f64 v[5:6], v[5:6], v40
	v_fma_f64 v[38:39], -v[34:35], v[36:37], 1.0
	v_fma_f64 v[36:37], v[38:39], v[36:37], v[36:37]
	v_fma_f64 v[38:39], -v[34:35], v[36:37], 1.0
	v_fma_f64 v[9:10], v[38:39], v[36:37], v[36:37]
	v_mul_f64 v[7:8], v[34:35], v[9:10]
	v_fma_f64 v[36:37], v[9:10], v[34:35], -v[7:8]
	v_fma_f64 v[36:37], v[9:10], v[5:6], v[36:37]
	v_add_f64 v[38:39], v[7:8], v[36:37]
	v_add_f64 v[40:41], -v[38:39], 1.0
	v_add_f64 v[7:8], v[38:39], -v[7:8]
	v_add_f64 v[42:43], -v[40:41], 1.0
	v_add_f64 v[7:8], v[7:8], -v[36:37]
	v_add_f64 v[36:37], v[42:43], -v[38:39]
	v_add_f64 v[7:8], v[7:8], v[36:37]
	v_add_f64 v[36:37], v[40:41], v[7:8]
	v_mul_f64 v[38:39], v[9:10], v[36:37]
	v_add_f64 v[40:41], v[40:41], -v[36:37]
	v_mul_f64 v[42:43], v[34:35], v[38:39]
	v_add_f64 v[7:8], v[7:8], v[40:41]
	v_fma_f64 v[44:45], v[38:39], v[34:35], -v[42:43]
	v_fma_f64 v[44:45], v[38:39], v[5:6], v[44:45]
	v_add_f64 v[46:47], v[42:43], v[44:45]
	v_add_f64 v[48:49], v[36:37], -v[46:47]
	v_add_f64 v[40:41], v[46:47], -v[42:43]
	;; [unrolled: 1-line block ×5, first 2 shown]
	v_add_f64 v[7:8], v[7:8], v[36:37]
	v_add_f64 v[36:37], v[9:10], v[38:39]
	;; [unrolled: 1-line block ×3, first 2 shown]
	v_add_f64 v[40:41], v[36:37], -v[9:10]
	v_add_f64 v[7:8], v[48:49], v[7:8]
	v_add_f64 v[38:39], v[38:39], -v[40:41]
	v_mul_f64 v[7:8], v[9:10], v[7:8]
	v_add_f64 v[7:8], v[38:39], v[7:8]
	v_add_f64 v[9:10], v[36:37], v[7:8]
	v_ldexp_f64 v[38:39], v[9:10], -2
	v_add_f64 v[9:10], v[9:10], -v[36:37]
	v_add_f64 v[40:41], v[34:35], -v[38:39]
	v_add_f64 v[7:8], v[7:8], -v[9:10]
	v_add_f64 v[34:35], v[34:35], -v[40:41]
	v_ldexp_f64 v[7:8], v[7:8], -2
	v_add_f64 v[9:10], v[34:35], -v[38:39]
	v_add_f64 v[5:6], v[5:6], v[9:10]
	v_add_f64 v[5:6], v[5:6], -v[7:8]
	v_and_b32_e32 v7, 0x7fffffff, v4
	v_mov_b32_e32 v8, s11
	v_add_f64 v[5:6], v[40:41], v[5:6]
	v_cndmask_b32_e32 v6, v33, v6, vcc
	v_cndmask_b32_e32 v5, 0, v5, vcc
	v_cmp_lt_f64_e64 vcc, |v[3:4]|, s[18:19]
	v_cndmask_b32_e32 v3, v5, v3, vcc
	v_cndmask_b32_e32 v5, v6, v7, vcc
	v_bfi_b32 v4, s59, v5, v4
	v_add_co_u32_e32 v5, vcc, s10, v17
	v_addc_co_u32_e32 v6, vcc, v18, v8, vcc
	global_store_dwordx2 v[5:6], v[3:4], off
	s_branch .LBB117_8
.LBB117_25:
	s_endpgm
	.section	.rodata,"a",@progbits
	.p2align	6, 0x0
	.amdhsa_kernel _ZN2at6native12_GLOBAL__N_125multi_tensor_apply_kernelINS1_18TensorListMetadataILi2EEENS1_14UnaryOpFunctorIdLi2ELi1ELi1EEEJNS0_4SinhIdEEEEEvT_T0_DpT1_
		.amdhsa_group_segment_fixed_size 0
		.amdhsa_private_segment_fixed_size 0
		.amdhsa_kernarg_size 3408
		.amdhsa_user_sgpr_count 6
		.amdhsa_user_sgpr_private_segment_buffer 1
		.amdhsa_user_sgpr_dispatch_ptr 0
		.amdhsa_user_sgpr_queue_ptr 0
		.amdhsa_user_sgpr_kernarg_segment_ptr 1
		.amdhsa_user_sgpr_dispatch_id 0
		.amdhsa_user_sgpr_flat_scratch_init 0
		.amdhsa_user_sgpr_private_segment_size 0
		.amdhsa_uses_dynamic_stack 0
		.amdhsa_system_sgpr_private_segment_wavefront_offset 0
		.amdhsa_system_sgpr_workgroup_id_x 1
		.amdhsa_system_sgpr_workgroup_id_y 0
		.amdhsa_system_sgpr_workgroup_id_z 0
		.amdhsa_system_sgpr_workgroup_info 0
		.amdhsa_system_vgpr_workitem_id 0
		.amdhsa_next_free_vgpr 56
		.amdhsa_next_free_sgpr 60
		.amdhsa_reserve_vcc 1
		.amdhsa_reserve_flat_scratch 0
		.amdhsa_float_round_mode_32 0
		.amdhsa_float_round_mode_16_64 0
		.amdhsa_float_denorm_mode_32 3
		.amdhsa_float_denorm_mode_16_64 3
		.amdhsa_dx10_clamp 1
		.amdhsa_ieee_mode 1
		.amdhsa_fp16_overflow 0
		.amdhsa_exception_fp_ieee_invalid_op 0
		.amdhsa_exception_fp_denorm_src 0
		.amdhsa_exception_fp_ieee_div_zero 0
		.amdhsa_exception_fp_ieee_overflow 0
		.amdhsa_exception_fp_ieee_underflow 0
		.amdhsa_exception_fp_ieee_inexact 0
		.amdhsa_exception_int_div_zero 0
	.end_amdhsa_kernel
	.section	.text._ZN2at6native12_GLOBAL__N_125multi_tensor_apply_kernelINS1_18TensorListMetadataILi2EEENS1_14UnaryOpFunctorIdLi2ELi1ELi1EEEJNS0_4SinhIdEEEEEvT_T0_DpT1_,"axG",@progbits,_ZN2at6native12_GLOBAL__N_125multi_tensor_apply_kernelINS1_18TensorListMetadataILi2EEENS1_14UnaryOpFunctorIdLi2ELi1ELi1EEEJNS0_4SinhIdEEEEEvT_T0_DpT1_,comdat
.Lfunc_end117:
	.size	_ZN2at6native12_GLOBAL__N_125multi_tensor_apply_kernelINS1_18TensorListMetadataILi2EEENS1_14UnaryOpFunctorIdLi2ELi1ELi1EEEJNS0_4SinhIdEEEEEvT_T0_DpT1_, .Lfunc_end117-_ZN2at6native12_GLOBAL__N_125multi_tensor_apply_kernelINS1_18TensorListMetadataILi2EEENS1_14UnaryOpFunctorIdLi2ELi1ELi1EEEJNS0_4SinhIdEEEEEvT_T0_DpT1_
                                        ; -- End function
	.set _ZN2at6native12_GLOBAL__N_125multi_tensor_apply_kernelINS1_18TensorListMetadataILi2EEENS1_14UnaryOpFunctorIdLi2ELi1ELi1EEEJNS0_4SinhIdEEEEEvT_T0_DpT1_.num_vgpr, 56
	.set _ZN2at6native12_GLOBAL__N_125multi_tensor_apply_kernelINS1_18TensorListMetadataILi2EEENS1_14UnaryOpFunctorIdLi2ELi1ELi1EEEJNS0_4SinhIdEEEEEvT_T0_DpT1_.num_agpr, 0
	.set _ZN2at6native12_GLOBAL__N_125multi_tensor_apply_kernelINS1_18TensorListMetadataILi2EEENS1_14UnaryOpFunctorIdLi2ELi1ELi1EEEJNS0_4SinhIdEEEEEvT_T0_DpT1_.numbered_sgpr, 60
	.set _ZN2at6native12_GLOBAL__N_125multi_tensor_apply_kernelINS1_18TensorListMetadataILi2EEENS1_14UnaryOpFunctorIdLi2ELi1ELi1EEEJNS0_4SinhIdEEEEEvT_T0_DpT1_.num_named_barrier, 0
	.set _ZN2at6native12_GLOBAL__N_125multi_tensor_apply_kernelINS1_18TensorListMetadataILi2EEENS1_14UnaryOpFunctorIdLi2ELi1ELi1EEEJNS0_4SinhIdEEEEEvT_T0_DpT1_.private_seg_size, 0
	.set _ZN2at6native12_GLOBAL__N_125multi_tensor_apply_kernelINS1_18TensorListMetadataILi2EEENS1_14UnaryOpFunctorIdLi2ELi1ELi1EEEJNS0_4SinhIdEEEEEvT_T0_DpT1_.uses_vcc, 1
	.set _ZN2at6native12_GLOBAL__N_125multi_tensor_apply_kernelINS1_18TensorListMetadataILi2EEENS1_14UnaryOpFunctorIdLi2ELi1ELi1EEEJNS0_4SinhIdEEEEEvT_T0_DpT1_.uses_flat_scratch, 0
	.set _ZN2at6native12_GLOBAL__N_125multi_tensor_apply_kernelINS1_18TensorListMetadataILi2EEENS1_14UnaryOpFunctorIdLi2ELi1ELi1EEEJNS0_4SinhIdEEEEEvT_T0_DpT1_.has_dyn_sized_stack, 0
	.set _ZN2at6native12_GLOBAL__N_125multi_tensor_apply_kernelINS1_18TensorListMetadataILi2EEENS1_14UnaryOpFunctorIdLi2ELi1ELi1EEEJNS0_4SinhIdEEEEEvT_T0_DpT1_.has_recursion, 0
	.set _ZN2at6native12_GLOBAL__N_125multi_tensor_apply_kernelINS1_18TensorListMetadataILi2EEENS1_14UnaryOpFunctorIdLi2ELi1ELi1EEEJNS0_4SinhIdEEEEEvT_T0_DpT1_.has_indirect_call, 0
	.section	.AMDGPU.csdata,"",@progbits
; Kernel info:
; codeLenInByte = 9816
; TotalNumSgprs: 64
; NumVgprs: 56
; ScratchSize: 0
; MemoryBound: 0
; FloatMode: 240
; IeeeMode: 1
; LDSByteSize: 0 bytes/workgroup (compile time only)
; SGPRBlocks: 7
; VGPRBlocks: 13
; NumSGPRsForWavesPerEU: 64
; NumVGPRsForWavesPerEU: 56
; Occupancy: 4
; WaveLimiterHint : 0
; COMPUTE_PGM_RSRC2:SCRATCH_EN: 0
; COMPUTE_PGM_RSRC2:USER_SGPR: 6
; COMPUTE_PGM_RSRC2:TRAP_HANDLER: 0
; COMPUTE_PGM_RSRC2:TGID_X_EN: 1
; COMPUTE_PGM_RSRC2:TGID_Y_EN: 0
; COMPUTE_PGM_RSRC2:TGID_Z_EN: 0
; COMPUTE_PGM_RSRC2:TIDIG_COMP_CNT: 0
	.section	.text._ZN2at6native12_GLOBAL__N_125multi_tensor_apply_kernelINS1_18TensorListMetadataILi2EEENS1_14UnaryOpFunctorIfLi2ELi1ELi1EEEJNS0_4SinhIfEEEEEvT_T0_DpT1_,"axG",@progbits,_ZN2at6native12_GLOBAL__N_125multi_tensor_apply_kernelINS1_18TensorListMetadataILi2EEENS1_14UnaryOpFunctorIfLi2ELi1ELi1EEEJNS0_4SinhIfEEEEEvT_T0_DpT1_,comdat
	.globl	_ZN2at6native12_GLOBAL__N_125multi_tensor_apply_kernelINS1_18TensorListMetadataILi2EEENS1_14UnaryOpFunctorIfLi2ELi1ELi1EEEJNS0_4SinhIfEEEEEvT_T0_DpT1_ ; -- Begin function _ZN2at6native12_GLOBAL__N_125multi_tensor_apply_kernelINS1_18TensorListMetadataILi2EEENS1_14UnaryOpFunctorIfLi2ELi1ELi1EEEJNS0_4SinhIfEEEEEvT_T0_DpT1_
	.p2align	8
	.type	_ZN2at6native12_GLOBAL__N_125multi_tensor_apply_kernelINS1_18TensorListMetadataILi2EEENS1_14UnaryOpFunctorIfLi2ELi1ELi1EEEJNS0_4SinhIfEEEEEvT_T0_DpT1_,@function
_ZN2at6native12_GLOBAL__N_125multi_tensor_apply_kernelINS1_18TensorListMetadataILi2EEENS1_14UnaryOpFunctorIfLi2ELi1ELi1EEEJNS0_4SinhIfEEEEEvT_T0_DpT1_: ; @_ZN2at6native12_GLOBAL__N_125multi_tensor_apply_kernelINS1_18TensorListMetadataILi2EEENS1_14UnaryOpFunctorIfLi2ELi1ELi1EEEJNS0_4SinhIfEEEEEvT_T0_DpT1_
; %bb.0:
	v_mov_b32_e32 v1, s6
	global_load_ubyte v1, v1, s[4:5] offset:1536
	s_add_u32 s0, s4, s6
	s_mul_hi_u32 s1, s6, 3
	s_mul_i32 s6, s6, 3
	s_addc_u32 s2, s5, 0
	s_add_u32 s0, s0, s6
	s_addc_u32 s1, s2, s1
	s_load_dword s6, s[0:1], 0x740
	s_mov_b32 s11, 0
	s_mov_b32 s13, s11
	s_waitcnt vmcnt(0)
	v_readfirstlane_b32 s0, v1
	s_lshl_b32 s7, s0, 3
	s_load_dwordx2 s[14:15], s[4:5], s7 offset:0x400
	s_load_dwordx2 s[2:3], s[4:5], s7 offset:0x0
	s_load_dwordx2 s[0:1], s[4:5], s7 offset:0x200
	s_waitcnt lgkmcnt(0)
	s_ashr_i32 s7, s6, 31
	s_lshl_b64 s[8:9], s[6:7], 18
	s_lshl_b64 s[6:7], s[6:7], 16
	s_add_u32 s10, s2, s8
	s_and_b32 s12, s0, 15
	s_and_b32 s10, s10, 15
	s_sub_u32 s6, s14, s6
	s_subb_u32 s7, s15, s7
	s_and_b32 s14, s14, 3
	s_mov_b32 s15, s11
	s_or_b64 s[12:13], s[12:13], s[14:15]
	s_or_b64 s[10:11], s[12:13], s[10:11]
	s_cmp_eq_u64 s[10:11], 0
	s_mov_b64 s[10:11], -1
	s_cbranch_scc0 .LBB118_5
; %bb.1:
	v_mov_b32_e32 v1, 0x10000
	v_mov_b32_e32 v2, 0
	v_cmp_lt_i64_e32 vcc, s[6:7], v[1:2]
	v_mov_b32_e32 v2, 0
	s_and_b64 s[10:11], vcc, exec
	s_cselect_b32 s11, s7, 0
	s_cselect_b32 s10, s6, 0x10000
	v_lshlrev_b32_e32 v1, 2, v0
	v_cmp_gt_i64_e32 vcc, s[10:11], v[1:2]
	s_and_saveexec_b64 s[12:13], vcc
	s_cbranch_execz .LBB118_4
; %bb.2:
	s_load_dword s14, s[4:5], 0xc5c
	v_mov_b32_e32 v1, v2
	v_lshlrev_b32_e32 v2, 4, v0
	v_mov_b32_e32 v3, s9
	v_add_co_u32_e32 v7, vcc, s8, v2
	s_waitcnt lgkmcnt(0)
	s_and_b32 s16, s14, 0xffff
	v_mov_b32_e32 v6, v1
	v_addc_co_u32_e32 v8, vcc, 0, v3, vcc
	s_lshl_b32 s17, s16, 4
	s_mov_b64 s[14:15], 0
	v_mov_b32_e32 v9, s3
	s_mov_b32 s18, 0xbf317218
	v_mov_b32_e32 v10, 0x3d2aadcc
	v_mov_b32_e32 v11, 0x3e2aaa47
	v_mov_b32_e32 v12, 0x3efffffc
	s_mov_b32 s19, 0x42b2d4fc
	v_mov_b32_e32 v13, 0x7f800000
	s_mov_b32 s20, 0x39800000
	s_brev_b32 s21, -2
	v_mov_b32_e32 v14, s1
	v_mov_b32_e32 v5, v0
.LBB118_3:                              ; =>This Inner Loop Header: Depth=1
	v_add_co_u32_e32 v1, vcc, s2, v7
	v_addc_co_u32_e32 v2, vcc, v9, v8, vcc
	global_load_dwordx4 v[1:4], v[1:2], off
	s_waitcnt vmcnt(0)
	v_add_f32_e64 v15, |v1|, s18
	v_sub_f32_e64 v16, v15, |v1|
	v_sub_f32_e32 v17, v16, v15
	v_add_f32_e64 v17, |v1|, v17
	v_add_f32_e32 v16, 0x3f317218, v16
	v_sub_f32_e32 v16, v17, v16
	v_add_f32_e32 v16, 0x3102e308, v16
	v_add_f32_e32 v17, v15, v16
	v_sub_f32_e32 v15, v15, v17
	v_add_f32_e32 v15, v16, v15
	v_mul_f32_e32 v16, 0x3fb8aa3b, v17
	v_rndne_f32_e32 v16, v16
	v_fmac_f32_e32 v17, 0xbf317200, v16
	v_add_f32_e32 v18, v15, v17
	v_sub_f32_e32 v17, v17, v18
	v_add_f32_e32 v15, v15, v17
	v_mul_f32_e32 v17, 0x35bfbc00, v16
	v_sub_f32_e32 v19, v18, v17
	v_sub_f32_e32 v18, v18, v19
	;; [unrolled: 1-line block ×3, first 2 shown]
	v_add_f32_e32 v15, v15, v17
	v_add_f32_e32 v17, v19, v15
	v_sub_f32_e32 v18, v19, v17
	v_add_f32_e32 v15, v15, v18
	v_mul_f32_e32 v18, 0x2ea39ef3, v16
	v_sub_f32_e32 v19, v17, v18
	v_sub_f32_e32 v17, v17, v19
	;; [unrolled: 1-line block ×3, first 2 shown]
	v_add_f32_e32 v15, v15, v17
	v_add_f32_e32 v17, v19, v15
	v_sub_f32_e32 v19, v19, v17
	v_mov_b32_e32 v18, 0x3c091de6
	v_add_f32_e32 v15, v15, v19
	v_mul_f32_e32 v20, v17, v17
	v_fmac_f32_e32 v18, 0x3ab42872, v17
	v_add_f32_e32 v19, v15, v15
	v_fma_f32 v21, v17, v17, -v20
	v_fma_f32 v18, v17, v18, v10
	v_fmac_f32_e32 v21, v17, v19
	v_fma_f32 v18, v17, v18, v11
	v_add_f32_e32 v19, v20, v21
	v_fma_f32 v18, v17, v18, v12
	v_sub_f32_e32 v20, v19, v20
	v_sub_f32_e32 v20, v21, v20
	v_mul_f32_e32 v21, v18, v19
	v_fma_f32 v19, v19, v18, -v21
	v_fmac_f32_e32 v19, v20, v18
	v_add_f32_e32 v18, v21, v19
	v_sub_f32_e32 v20, v18, v21
	v_sub_f32_e32 v19, v19, v20
	v_add_f32_e32 v20, v17, v18
	v_sub_f32_e32 v17, v20, v17
	v_sub_f32_e32 v17, v18, v17
	v_add_f32_e32 v15, v15, v19
	v_add_f32_e32 v15, v15, v17
	;; [unrolled: 1-line block ×3, first 2 shown]
	v_sub_f32_e32 v18, v17, v20
	v_sub_f32_e32 v15, v15, v18
	v_add_f32_e32 v18, 1.0, v17
	v_add_f32_e32 v19, -1.0, v18
	v_sub_f32_e32 v17, v17, v19
	v_cvt_i32_f32_e32 v16, v16
	v_add_f32_e32 v15, v15, v17
	v_add_f32_e32 v17, v18, v15
	v_sub_f32_e32 v18, v17, v18
	v_sub_f32_e32 v15, v15, v18
	v_ldexp_f32 v17, v17, v16
	v_ldexp_f32 v15, v15, v16
	v_rcp_f32_e32 v16, v17
	v_cmp_ngt_f32_e64 vcc, |v1|, s19
	v_cmp_lt_f32_e64 s[22:23], |v1|, s20
	v_mul_f32_e32 v18, v17, v16
	v_fma_f32 v19, v16, v17, -v18
	v_fmac_f32_e32 v19, v16, v15
	v_add_f32_e32 v20, v18, v19
	v_sub_f32_e32 v21, 1.0, v20
	v_sub_f32_e32 v22, 1.0, v21
	v_sub_f32_e32 v18, v20, v18
	v_sub_f32_e32 v22, v22, v20
	;; [unrolled: 1-line block ×3, first 2 shown]
	v_add_f32_e32 v18, v18, v22
	v_add_f32_e32 v19, v21, v18
	v_mul_f32_e32 v20, v16, v19
	v_mul_f32_e32 v22, v17, v20
	v_fma_f32 v23, v20, v17, -v22
	v_fmac_f32_e32 v23, v20, v15
	v_sub_f32_e32 v21, v21, v19
	v_add_f32_e32 v18, v18, v21
	v_add_f32_e32 v21, v22, v23
	v_sub_f32_e32 v24, v19, v21
	v_sub_f32_e32 v19, v19, v24
	;; [unrolled: 1-line block ×4, first 2 shown]
	v_add_f32_e32 v18, v18, v19
	v_sub_f32_e32 v19, v22, v23
	v_add_f32_e32 v18, v19, v18
	v_add_f32_e32 v18, v24, v18
	;; [unrolled: 1-line block ×3, first 2 shown]
	v_mul_f32_e32 v18, v16, v18
	v_sub_f32_e32 v16, v19, v16
	v_sub_f32_e32 v16, v20, v16
	v_add_f32_e32 v16, v16, v18
	v_add_f32_e32 v18, v19, v16
	v_sub_f32_e32 v19, v18, v19
	v_ldexp_f32 v18, v18, -2
	v_sub_f32_e32 v16, v16, v19
	v_sub_f32_e32 v19, v17, v18
	;; [unrolled: 1-line block ×4, first 2 shown]
	v_ldexp_f32 v16, v16, -2
	v_add_f32_e32 v15, v15, v17
	v_sub_f32_e32 v15, v15, v16
	v_add_f32_e32 v15, v19, v15
	v_cndmask_b32_e32 v15, v13, v15, vcc
	v_cndmask_b32_e64 v15, v15, |v1|, s[22:23]
	v_bfi_b32 v1, s21, v15, v1
	v_add_f32_e64 v15, |v2|, s18
	v_sub_f32_e64 v16, v15, |v2|
	v_sub_f32_e32 v17, v16, v15
	v_add_f32_e64 v17, |v2|, v17
	v_add_f32_e32 v16, 0x3f317218, v16
	v_sub_f32_e32 v16, v17, v16
	v_add_f32_e32 v16, 0x3102e308, v16
	v_add_f32_e32 v17, v15, v16
	v_sub_f32_e32 v15, v15, v17
	v_add_f32_e32 v15, v16, v15
	v_mul_f32_e32 v16, 0x3fb8aa3b, v17
	v_rndne_f32_e32 v16, v16
	v_fmac_f32_e32 v17, 0xbf317200, v16
	v_add_f32_e32 v18, v15, v17
	v_sub_f32_e32 v17, v17, v18
	v_add_f32_e32 v15, v15, v17
	v_mul_f32_e32 v17, 0x35bfbc00, v16
	v_sub_f32_e32 v19, v18, v17
	v_sub_f32_e32 v18, v18, v19
	;; [unrolled: 1-line block ×3, first 2 shown]
	v_add_f32_e32 v15, v15, v17
	v_add_f32_e32 v17, v19, v15
	v_sub_f32_e32 v18, v19, v17
	v_add_f32_e32 v15, v15, v18
	v_mul_f32_e32 v18, 0x2ea39ef3, v16
	v_sub_f32_e32 v19, v17, v18
	v_sub_f32_e32 v17, v17, v19
	;; [unrolled: 1-line block ×3, first 2 shown]
	v_add_f32_e32 v15, v15, v17
	v_add_f32_e32 v17, v19, v15
	v_sub_f32_e32 v19, v19, v17
	v_mov_b32_e32 v18, 0x3c091de6
	v_add_f32_e32 v15, v15, v19
	v_mul_f32_e32 v20, v17, v17
	v_fmac_f32_e32 v18, 0x3ab42872, v17
	v_add_f32_e32 v19, v15, v15
	v_fma_f32 v21, v17, v17, -v20
	v_fma_f32 v18, v17, v18, v10
	v_fmac_f32_e32 v21, v17, v19
	v_fma_f32 v18, v17, v18, v11
	v_add_f32_e32 v19, v20, v21
	v_fma_f32 v18, v17, v18, v12
	v_sub_f32_e32 v20, v19, v20
	v_sub_f32_e32 v20, v21, v20
	v_mul_f32_e32 v21, v18, v19
	v_fma_f32 v19, v19, v18, -v21
	v_fmac_f32_e32 v19, v20, v18
	v_add_f32_e32 v18, v21, v19
	v_sub_f32_e32 v20, v18, v21
	v_sub_f32_e32 v19, v19, v20
	v_add_f32_e32 v20, v17, v18
	v_sub_f32_e32 v17, v20, v17
	v_sub_f32_e32 v17, v18, v17
	v_add_f32_e32 v15, v15, v19
	v_add_f32_e32 v15, v15, v17
	;; [unrolled: 1-line block ×3, first 2 shown]
	v_sub_f32_e32 v18, v17, v20
	v_sub_f32_e32 v15, v15, v18
	v_add_f32_e32 v18, 1.0, v17
	v_add_f32_e32 v19, -1.0, v18
	v_sub_f32_e32 v17, v17, v19
	v_cvt_i32_f32_e32 v16, v16
	v_add_f32_e32 v15, v15, v17
	v_add_f32_e32 v17, v18, v15
	v_sub_f32_e32 v18, v17, v18
	v_sub_f32_e32 v15, v15, v18
	v_ldexp_f32 v17, v17, v16
	v_ldexp_f32 v15, v15, v16
	v_rcp_f32_e32 v16, v17
	v_cmp_ngt_f32_e64 vcc, |v2|, s19
	v_cmp_lt_f32_e64 s[22:23], |v2|, s20
	v_mul_f32_e32 v18, v17, v16
	v_fma_f32 v19, v16, v17, -v18
	v_fmac_f32_e32 v19, v16, v15
	v_add_f32_e32 v20, v18, v19
	v_sub_f32_e32 v21, 1.0, v20
	v_sub_f32_e32 v22, 1.0, v21
	v_sub_f32_e32 v18, v20, v18
	v_sub_f32_e32 v22, v22, v20
	;; [unrolled: 1-line block ×3, first 2 shown]
	v_add_f32_e32 v18, v18, v22
	v_add_f32_e32 v19, v21, v18
	v_mul_f32_e32 v20, v16, v19
	v_mul_f32_e32 v22, v17, v20
	v_fma_f32 v23, v20, v17, -v22
	v_fmac_f32_e32 v23, v20, v15
	v_sub_f32_e32 v21, v21, v19
	v_add_f32_e32 v18, v18, v21
	v_add_f32_e32 v21, v22, v23
	v_sub_f32_e32 v24, v19, v21
	v_sub_f32_e32 v19, v19, v24
	;; [unrolled: 1-line block ×4, first 2 shown]
	v_add_f32_e32 v18, v18, v19
	v_sub_f32_e32 v19, v22, v23
	v_add_f32_e32 v18, v19, v18
	v_add_f32_e32 v18, v24, v18
	;; [unrolled: 1-line block ×3, first 2 shown]
	v_mul_f32_e32 v18, v16, v18
	v_sub_f32_e32 v16, v19, v16
	v_sub_f32_e32 v16, v20, v16
	v_add_f32_e32 v16, v16, v18
	v_add_f32_e32 v18, v19, v16
	v_sub_f32_e32 v19, v18, v19
	v_ldexp_f32 v18, v18, -2
	v_sub_f32_e32 v16, v16, v19
	v_sub_f32_e32 v19, v17, v18
	;; [unrolled: 1-line block ×4, first 2 shown]
	v_ldexp_f32 v16, v16, -2
	v_add_f32_e32 v15, v15, v17
	v_sub_f32_e32 v15, v15, v16
	v_add_f32_e32 v15, v19, v15
	v_cndmask_b32_e32 v15, v13, v15, vcc
	v_cndmask_b32_e64 v15, v15, |v2|, s[22:23]
	v_bfi_b32 v2, s21, v15, v2
	v_add_f32_e64 v15, |v3|, s18
	v_sub_f32_e64 v16, v15, |v3|
	v_sub_f32_e32 v17, v16, v15
	v_add_f32_e64 v17, |v3|, v17
	v_add_f32_e32 v16, 0x3f317218, v16
	v_sub_f32_e32 v16, v17, v16
	v_add_f32_e32 v16, 0x3102e308, v16
	v_add_f32_e32 v17, v15, v16
	v_sub_f32_e32 v15, v15, v17
	v_add_f32_e32 v15, v16, v15
	v_mul_f32_e32 v16, 0x3fb8aa3b, v17
	v_rndne_f32_e32 v16, v16
	v_fmac_f32_e32 v17, 0xbf317200, v16
	v_add_f32_e32 v18, v15, v17
	v_sub_f32_e32 v17, v17, v18
	v_add_f32_e32 v15, v15, v17
	v_mul_f32_e32 v17, 0x35bfbc00, v16
	v_sub_f32_e32 v19, v18, v17
	v_sub_f32_e32 v18, v18, v19
	;; [unrolled: 1-line block ×3, first 2 shown]
	v_add_f32_e32 v15, v15, v17
	v_add_f32_e32 v17, v19, v15
	v_sub_f32_e32 v18, v19, v17
	v_add_f32_e32 v15, v15, v18
	v_mul_f32_e32 v18, 0x2ea39ef3, v16
	v_sub_f32_e32 v19, v17, v18
	v_sub_f32_e32 v17, v17, v19
	;; [unrolled: 1-line block ×3, first 2 shown]
	v_add_f32_e32 v15, v15, v17
	v_add_f32_e32 v17, v19, v15
	v_sub_f32_e32 v19, v19, v17
	v_mov_b32_e32 v18, 0x3c091de6
	v_add_f32_e32 v15, v15, v19
	v_mul_f32_e32 v20, v17, v17
	v_fmac_f32_e32 v18, 0x3ab42872, v17
	v_add_f32_e32 v19, v15, v15
	v_fma_f32 v21, v17, v17, -v20
	v_fma_f32 v18, v17, v18, v10
	v_fmac_f32_e32 v21, v17, v19
	v_fma_f32 v18, v17, v18, v11
	v_add_f32_e32 v19, v20, v21
	v_fma_f32 v18, v17, v18, v12
	v_sub_f32_e32 v20, v19, v20
	v_sub_f32_e32 v20, v21, v20
	v_mul_f32_e32 v21, v18, v19
	v_fma_f32 v19, v19, v18, -v21
	v_fmac_f32_e32 v19, v20, v18
	v_add_f32_e32 v18, v21, v19
	v_sub_f32_e32 v20, v18, v21
	v_sub_f32_e32 v19, v19, v20
	v_add_f32_e32 v20, v17, v18
	v_sub_f32_e32 v17, v20, v17
	v_sub_f32_e32 v17, v18, v17
	v_add_f32_e32 v15, v15, v19
	v_add_f32_e32 v15, v15, v17
	;; [unrolled: 1-line block ×3, first 2 shown]
	v_sub_f32_e32 v18, v17, v20
	v_sub_f32_e32 v15, v15, v18
	v_add_f32_e32 v18, 1.0, v17
	v_add_f32_e32 v19, -1.0, v18
	v_sub_f32_e32 v17, v17, v19
	v_cvt_i32_f32_e32 v16, v16
	v_add_f32_e32 v15, v15, v17
	v_add_f32_e32 v17, v18, v15
	v_sub_f32_e32 v18, v17, v18
	v_sub_f32_e32 v15, v15, v18
	v_ldexp_f32 v17, v17, v16
	v_ldexp_f32 v15, v15, v16
	v_rcp_f32_e32 v16, v17
	v_cmp_ngt_f32_e64 vcc, |v3|, s19
	v_cmp_lt_f32_e64 s[22:23], |v3|, s20
	v_mul_f32_e32 v18, v17, v16
	v_fma_f32 v19, v16, v17, -v18
	v_fmac_f32_e32 v19, v16, v15
	v_add_f32_e32 v20, v18, v19
	v_sub_f32_e32 v21, 1.0, v20
	v_sub_f32_e32 v22, 1.0, v21
	v_sub_f32_e32 v18, v20, v18
	v_sub_f32_e32 v22, v22, v20
	;; [unrolled: 1-line block ×3, first 2 shown]
	v_add_f32_e32 v18, v18, v22
	v_add_f32_e32 v19, v21, v18
	v_mul_f32_e32 v20, v16, v19
	v_mul_f32_e32 v22, v17, v20
	v_fma_f32 v23, v20, v17, -v22
	v_fmac_f32_e32 v23, v20, v15
	v_sub_f32_e32 v21, v21, v19
	v_add_f32_e32 v18, v18, v21
	v_add_f32_e32 v21, v22, v23
	v_sub_f32_e32 v24, v19, v21
	v_sub_f32_e32 v19, v19, v24
	;; [unrolled: 1-line block ×4, first 2 shown]
	v_add_f32_e32 v18, v18, v19
	v_sub_f32_e32 v19, v22, v23
	v_add_f32_e32 v18, v19, v18
	v_add_f32_e32 v18, v24, v18
	;; [unrolled: 1-line block ×3, first 2 shown]
	v_mul_f32_e32 v18, v16, v18
	v_sub_f32_e32 v16, v19, v16
	v_sub_f32_e32 v16, v20, v16
	v_add_f32_e32 v16, v16, v18
	v_add_f32_e32 v18, v19, v16
	v_sub_f32_e32 v19, v18, v19
	v_ldexp_f32 v18, v18, -2
	v_sub_f32_e32 v16, v16, v19
	v_sub_f32_e32 v19, v17, v18
	;; [unrolled: 1-line block ×4, first 2 shown]
	v_ldexp_f32 v16, v16, -2
	v_add_f32_e32 v15, v15, v17
	v_sub_f32_e32 v15, v15, v16
	v_add_f32_e32 v15, v19, v15
	v_cndmask_b32_e32 v15, v13, v15, vcc
	v_cndmask_b32_e64 v15, v15, |v3|, s[22:23]
	v_bfi_b32 v3, s21, v15, v3
	v_add_f32_e64 v15, |v4|, s18
	v_sub_f32_e64 v16, v15, |v4|
	v_sub_f32_e32 v17, v16, v15
	v_add_f32_e64 v17, |v4|, v17
	v_add_f32_e32 v16, 0x3f317218, v16
	v_sub_f32_e32 v16, v17, v16
	v_add_f32_e32 v16, 0x3102e308, v16
	v_add_f32_e32 v17, v15, v16
	v_sub_f32_e32 v15, v15, v17
	v_add_f32_e32 v15, v16, v15
	v_mul_f32_e32 v16, 0x3fb8aa3b, v17
	v_rndne_f32_e32 v16, v16
	v_fmac_f32_e32 v17, 0xbf317200, v16
	v_add_f32_e32 v18, v15, v17
	v_sub_f32_e32 v17, v17, v18
	v_add_f32_e32 v15, v15, v17
	v_mul_f32_e32 v17, 0x35bfbc00, v16
	v_sub_f32_e32 v19, v18, v17
	v_sub_f32_e32 v18, v18, v19
	;; [unrolled: 1-line block ×3, first 2 shown]
	v_add_f32_e32 v15, v15, v17
	v_add_f32_e32 v17, v19, v15
	v_sub_f32_e32 v18, v19, v17
	v_add_f32_e32 v15, v15, v18
	v_mul_f32_e32 v18, 0x2ea39ef3, v16
	v_sub_f32_e32 v19, v17, v18
	v_sub_f32_e32 v17, v17, v19
	;; [unrolled: 1-line block ×3, first 2 shown]
	v_add_f32_e32 v15, v15, v17
	v_add_f32_e32 v17, v19, v15
	v_sub_f32_e32 v19, v19, v17
	v_mov_b32_e32 v18, 0x3c091de6
	v_add_f32_e32 v15, v15, v19
	v_mul_f32_e32 v20, v17, v17
	v_fmac_f32_e32 v18, 0x3ab42872, v17
	v_add_f32_e32 v19, v15, v15
	v_fma_f32 v21, v17, v17, -v20
	v_fma_f32 v18, v17, v18, v10
	v_fmac_f32_e32 v21, v17, v19
	v_fma_f32 v18, v17, v18, v11
	v_add_f32_e32 v19, v20, v21
	v_fma_f32 v18, v17, v18, v12
	v_sub_f32_e32 v20, v19, v20
	v_sub_f32_e32 v20, v21, v20
	v_mul_f32_e32 v21, v18, v19
	v_fma_f32 v19, v19, v18, -v21
	v_fmac_f32_e32 v19, v20, v18
	v_add_f32_e32 v18, v21, v19
	v_sub_f32_e32 v20, v18, v21
	v_sub_f32_e32 v19, v19, v20
	v_add_f32_e32 v20, v17, v18
	v_sub_f32_e32 v17, v20, v17
	v_sub_f32_e32 v17, v18, v17
	v_add_f32_e32 v15, v15, v19
	v_add_f32_e32 v15, v15, v17
	;; [unrolled: 1-line block ×3, first 2 shown]
	v_sub_f32_e32 v18, v17, v20
	v_sub_f32_e32 v15, v15, v18
	v_add_f32_e32 v18, 1.0, v17
	v_add_f32_e32 v19, -1.0, v18
	v_sub_f32_e32 v17, v17, v19
	v_cvt_i32_f32_e32 v16, v16
	v_add_f32_e32 v15, v15, v17
	v_add_f32_e32 v17, v18, v15
	v_sub_f32_e32 v18, v17, v18
	v_sub_f32_e32 v15, v15, v18
	v_ldexp_f32 v17, v17, v16
	v_ldexp_f32 v15, v15, v16
	v_rcp_f32_e32 v16, v17
	v_cmp_ngt_f32_e64 vcc, |v4|, s19
	v_cmp_lt_f32_e64 s[22:23], |v4|, s20
	v_mul_f32_e32 v18, v17, v16
	v_fma_f32 v19, v16, v17, -v18
	v_fmac_f32_e32 v19, v16, v15
	v_add_f32_e32 v20, v18, v19
	v_sub_f32_e32 v21, 1.0, v20
	v_sub_f32_e32 v22, 1.0, v21
	v_sub_f32_e32 v18, v20, v18
	v_sub_f32_e32 v22, v22, v20
	;; [unrolled: 1-line block ×3, first 2 shown]
	v_add_f32_e32 v18, v18, v22
	v_add_f32_e32 v19, v21, v18
	v_mul_f32_e32 v20, v16, v19
	v_mul_f32_e32 v22, v17, v20
	v_fma_f32 v23, v20, v17, -v22
	v_fmac_f32_e32 v23, v20, v15
	v_sub_f32_e32 v21, v21, v19
	v_add_f32_e32 v18, v18, v21
	v_add_f32_e32 v21, v22, v23
	v_sub_f32_e32 v24, v19, v21
	v_sub_f32_e32 v19, v19, v24
	;; [unrolled: 1-line block ×4, first 2 shown]
	v_add_f32_e32 v18, v18, v19
	v_sub_f32_e32 v19, v22, v23
	v_add_f32_e32 v18, v19, v18
	v_add_f32_e32 v18, v24, v18
	;; [unrolled: 1-line block ×3, first 2 shown]
	v_mul_f32_e32 v18, v16, v18
	v_sub_f32_e32 v16, v19, v16
	v_sub_f32_e32 v16, v20, v16
	v_add_f32_e32 v16, v16, v18
	v_add_f32_e32 v18, v19, v16
	v_sub_f32_e32 v19, v18, v19
	v_ldexp_f32 v18, v18, -2
	v_sub_f32_e32 v16, v16, v19
	v_sub_f32_e32 v19, v17, v18
	;; [unrolled: 1-line block ×4, first 2 shown]
	v_ldexp_f32 v16, v16, -2
	v_add_f32_e32 v15, v15, v17
	v_sub_f32_e32 v15, v15, v16
	v_add_f32_e32 v15, v19, v15
	v_cndmask_b32_e32 v15, v13, v15, vcc
	v_cndmask_b32_e64 v15, v15, |v4|, s[22:23]
	v_bfi_b32 v4, s21, v15, v4
	v_add_co_u32_e32 v15, vcc, s0, v7
	v_addc_co_u32_e32 v16, vcc, v14, v8, vcc
	v_add_co_u32_e32 v5, vcc, s16, v5
	v_addc_co_u32_e32 v6, vcc, 0, v6, vcc
	global_store_dwordx4 v[15:16], v[1:4], off
	v_add_co_u32_e32 v7, vcc, s17, v7
	v_lshlrev_b64 v[1:2], 2, v[5:6]
	v_addc_co_u32_e32 v8, vcc, 0, v8, vcc
	v_cmp_le_i64_e32 vcc, s[10:11], v[1:2]
	s_or_b64 s[14:15], vcc, s[14:15]
	s_andn2_b64 exec, exec, s[14:15]
	s_cbranch_execnz .LBB118_3
.LBB118_4:
	s_or_b64 exec, exec, s[12:13]
	s_mov_b64 s[10:11], 0
.LBB118_5:
	s_andn2_b64 vcc, exec, s[10:11]
	s_cbranch_vccnz .LBB118_25
; %bb.6:
	v_cmp_lt_i64_e64 s[10:11], s[6:7], 1
	s_and_b64 vcc, exec, s[10:11]
	s_cbranch_vccnz .LBB118_25
; %bb.7:
	v_mov_b32_e32 v1, 0x10000
	s_load_dword s12, s[4:5], 0xc5c
	v_mov_b32_e32 v2, 0
	v_cmp_lt_i64_e32 vcc, s[6:7], v[1:2]
	v_mov_b32_e32 v10, 0
	s_and_b64 s[4:5], vcc, exec
	v_cmp_lt_u64_e32 vcc, s[6:7], v[1:2]
	s_cselect_b32 s11, s7, 0
	s_cselect_b32 s10, s6, 0x10000
	s_waitcnt lgkmcnt(0)
	s_and_b32 s14, s12, 0xffff
	v_lshlrev_b32_e32 v9, 2, v0
	s_and_b64 s[4:5], vcc, exec
	v_mov_b32_e32 v2, s3
	v_add_co_u32_e32 v1, vcc, s2, v9
	v_mad_u64_u32 v[7:8], s[4:5], s14, 12, v[9:10]
	v_addc_co_u32_e32 v2, vcc, 0, v2, vcc
	v_mov_b32_e32 v4, s1
	v_add_co_u32_e32 v3, vcc, s0, v9
	v_addc_co_u32_e32 v4, vcc, 0, v4, vcc
	v_mov_b32_e32 v6, s3
	v_add_co_u32_e32 v5, vcc, s2, v7
	;; [unrolled: 3-line block ×3, first 2 shown]
	s_cselect_b32 s13, s7, 0
	s_cselect_b32 s12, s6, 0x10000
	v_addc_co_u32_e32 v8, vcc, v10, v8, vcc
	s_lshl_b32 s4, s14, 3
	v_add_co_u32_e32 v11, vcc, s4, v9
	v_addc_co_u32_e64 v12, s[4:5], 0, 0, vcc
	v_mov_b32_e32 v10, s3
	v_add_co_u32_e32 v9, vcc, s2, v11
	v_addc_co_u32_e32 v10, vcc, v10, v12, vcc
	v_mov_b32_e32 v13, s1
	v_add_co_u32_e32 v11, vcc, s0, v11
	v_addc_co_u32_e32 v12, vcc, v13, v12, vcc
	v_add_co_u32_e32 v13, vcc, s14, v0
	v_lshlrev_b32_e32 v17, 2, v13
	v_addc_co_u32_e64 v14, s[4:5], 0, 0, vcc
	v_mov_b32_e32 v16, s3
	v_add_co_u32_e32 v15, vcc, s2, v17
	v_addc_co_u32_e32 v16, vcc, 0, v16, vcc
	v_mov_b32_e32 v18, s1
	v_add_co_u32_e32 v17, vcc, s0, v17
	s_mul_i32 s7, s14, 3
	v_addc_co_u32_e32 v18, vcc, 0, v18, vcc
	s_lshl_b32 s6, s14, 1
	v_add_co_u32_e32 v19, vcc, s7, v0
	v_addc_co_u32_e64 v20, s[0:1], 0, 0, vcc
	v_add_co_u32_e32 v21, vcc, s6, v0
	s_lshl_b32 s18, s14, 2
	s_lshl_b32 s19, s14, 4
	s_mov_b64 s[14:15], 0
	s_mov_b32 s20, 0x39800000
	s_mov_b32 s21, 0xbf317218
	;; [unrolled: 1-line block ×3, first 2 shown]
	s_brev_b32 s23, -2
	v_addc_co_u32_e64 v22, s[0:1], 0, 0, vcc
	v_mov_b32_e32 v23, 0x3d2aadcc
	v_mov_b32_e32 v24, 0x3e2aaa47
	;; [unrolled: 1-line block ×4, first 2 shown]
	s_branch .LBB118_9
.LBB118_8:                              ;   in Loop: Header=BB118_9 Depth=1
	s_or_b64 exec, exec, s[0:1]
	v_add_co_u32_e32 v1, vcc, s19, v1
	v_addc_co_u32_e32 v2, vcc, 0, v2, vcc
	v_add_co_u32_e32 v3, vcc, s19, v3
	v_addc_co_u32_e32 v4, vcc, 0, v4, vcc
	;; [unrolled: 2-line block ×6, first 2 shown]
	s_add_u32 s14, s14, s18
	v_add_co_u32_e32 v15, vcc, s19, v15
	s_waitcnt vmcnt(0)
	v_mov_b32_e32 v28, s11
	s_addc_u32 s15, s15, 0
	v_addc_co_u32_e32 v16, vcc, 0, v16, vcc
	v_mov_b32_e32 v27, s10
	v_cmp_ge_i64_e32 vcc, s[14:15], v[27:28]
	v_add_co_u32_e64 v17, s[0:1], s19, v17
	v_addc_co_u32_e64 v18, s[0:1], 0, v18, s[0:1]
	s_cbranch_vccnz .LBB118_25
.LBB118_9:                              ; =>This Inner Loop Header: Depth=1
	v_mov_b32_e32 v28, s15
	v_add_co_u32_e32 v27, vcc, s14, v0
	v_addc_co_u32_e32 v28, vcc, 0, v28, vcc
	v_cmp_gt_u64_e64 s[4:5], s[12:13], v[27:28]
	v_mov_b32_e32 v30, 0
	s_and_saveexec_b64 s[0:1], s[4:5]
	s_cbranch_execz .LBB118_11
; %bb.10:                               ;   in Loop: Header=BB118_9 Depth=1
	v_mov_b32_e32 v28, s9
	v_add_co_u32_e32 v27, vcc, s8, v1
	v_addc_co_u32_e32 v28, vcc, v2, v28, vcc
	global_load_dword v30, v[27:28], off
.LBB118_11:                             ;   in Loop: Header=BB118_9 Depth=1
	s_or_b64 exec, exec, s[0:1]
	v_mov_b32_e32 v28, s15
	v_add_co_u32_e32 v27, vcc, s14, v13
	v_addc_co_u32_e32 v28, vcc, v14, v28, vcc
	v_cmp_gt_u64_e64 s[2:3], s[12:13], v[27:28]
	v_mov_b32_e32 v28, 0
	v_mov_b32_e32 v29, 0
	s_and_saveexec_b64 s[0:1], s[2:3]
	s_cbranch_execz .LBB118_13
; %bb.12:                               ;   in Loop: Header=BB118_9 Depth=1
	v_mov_b32_e32 v27, s9
	v_add_co_u32_e32 v31, vcc, s8, v15
	v_addc_co_u32_e32 v32, vcc, v16, v27, vcc
	global_load_dword v29, v[31:32], off
.LBB118_13:                             ;   in Loop: Header=BB118_9 Depth=1
	s_or_b64 exec, exec, s[0:1]
	v_mov_b32_e32 v27, s15
	v_add_co_u32_e32 v31, vcc, s14, v21
	v_addc_co_u32_e32 v32, vcc, v22, v27, vcc
	v_cmp_gt_u64_e64 s[0:1], s[12:13], v[31:32]
	s_and_saveexec_b64 s[6:7], s[0:1]
	s_cbranch_execz .LBB118_15
; %bb.14:                               ;   in Loop: Header=BB118_9 Depth=1
	v_mov_b32_e32 v28, s9
	v_add_co_u32_e32 v27, vcc, s8, v9
	v_addc_co_u32_e32 v28, vcc, v10, v28, vcc
	global_load_dword v28, v[27:28], off
.LBB118_15:                             ;   in Loop: Header=BB118_9 Depth=1
	s_or_b64 exec, exec, s[6:7]
	v_mov_b32_e32 v27, s15
	v_add_co_u32_e32 v31, vcc, s14, v19
	v_addc_co_u32_e32 v32, vcc, v20, v27, vcc
	v_cmp_gt_u64_e32 vcc, s[12:13], v[31:32]
	v_mov_b32_e32 v27, 0
	s_and_saveexec_b64 s[16:17], vcc
	s_cbranch_execnz .LBB118_20
; %bb.16:                               ;   in Loop: Header=BB118_9 Depth=1
	s_or_b64 exec, exec, s[16:17]
	s_and_saveexec_b64 s[6:7], s[4:5]
	s_cbranch_execnz .LBB118_21
.LBB118_17:                             ;   in Loop: Header=BB118_9 Depth=1
	s_or_b64 exec, exec, s[6:7]
	s_and_saveexec_b64 s[4:5], s[2:3]
	s_cbranch_execnz .LBB118_22
.LBB118_18:                             ;   in Loop: Header=BB118_9 Depth=1
	s_or_b64 exec, exec, s[4:5]
	s_and_saveexec_b64 s[2:3], s[0:1]
	s_cbranch_execnz .LBB118_23
.LBB118_19:                             ;   in Loop: Header=BB118_9 Depth=1
	s_or_b64 exec, exec, s[2:3]
	s_and_saveexec_b64 s[0:1], vcc
	s_cbranch_execz .LBB118_8
	s_branch .LBB118_24
.LBB118_20:                             ;   in Loop: Header=BB118_9 Depth=1
	v_mov_b32_e32 v27, s9
	v_add_co_u32_e64 v31, s[6:7], s8, v5
	v_addc_co_u32_e64 v32, s[6:7], v6, v27, s[6:7]
	global_load_dword v27, v[31:32], off
	s_or_b64 exec, exec, s[16:17]
	s_and_saveexec_b64 s[6:7], s[4:5]
	s_cbranch_execz .LBB118_17
.LBB118_21:                             ;   in Loop: Header=BB118_9 Depth=1
	s_waitcnt vmcnt(0)
	v_add_f32_e64 v31, |v30|, s21
	v_sub_f32_e64 v32, v31, |v30|
	v_sub_f32_e32 v33, v32, v31
	v_add_f32_e64 v33, |v30|, v33
	v_add_f32_e32 v32, 0x3f317218, v32
	v_sub_f32_e32 v32, v33, v32
	v_add_f32_e32 v32, 0x3102e308, v32
	v_add_f32_e32 v33, v31, v32
	v_sub_f32_e32 v31, v31, v33
	v_add_f32_e32 v31, v32, v31
	v_mul_f32_e32 v32, 0x3fb8aa3b, v33
	v_rndne_f32_e32 v32, v32
	v_fmac_f32_e32 v33, 0xbf317200, v32
	v_add_f32_e32 v34, v31, v33
	v_mul_f32_e32 v35, 0x35bfbc00, v32
	v_sub_f32_e32 v36, v34, v35
	v_sub_f32_e32 v33, v33, v34
	v_add_f32_e32 v31, v31, v33
	v_sub_f32_e32 v33, v34, v36
	v_sub_f32_e32 v33, v33, v35
	v_add_f32_e32 v31, v31, v33
	v_add_f32_e32 v33, v36, v31
	v_mul_f32_e32 v34, 0x2ea39ef3, v32
	v_sub_f32_e32 v35, v33, v34
	v_sub_f32_e32 v36, v36, v33
	;; [unrolled: 1-line block ×3, first 2 shown]
	v_add_f32_e32 v31, v31, v36
	v_sub_f32_e32 v33, v33, v34
	v_add_f32_e32 v31, v31, v33
	v_add_f32_e32 v33, v35, v31
	v_mov_b32_e32 v34, 0x3c091de6
	v_sub_f32_e32 v35, v35, v33
	v_fmac_f32_e32 v34, 0x3ab42872, v33
	v_mul_f32_e32 v36, v33, v33
	v_add_f32_e32 v31, v31, v35
	v_fma_f32 v34, v33, v34, v23
	v_add_f32_e32 v35, v31, v31
	v_fma_f32 v37, v33, v33, -v36
	v_fma_f32 v34, v33, v34, v24
	v_fmac_f32_e32 v37, v33, v35
	v_fma_f32 v34, v33, v34, v25
	v_add_f32_e32 v35, v36, v37
	v_mul_f32_e32 v38, v34, v35
	v_sub_f32_e32 v36, v35, v36
	v_sub_f32_e32 v36, v37, v36
	v_fma_f32 v35, v35, v34, -v38
	v_fmac_f32_e32 v35, v36, v34
	v_add_f32_e32 v34, v38, v35
	v_add_f32_e32 v36, v33, v34
	v_sub_f32_e32 v37, v34, v38
	v_sub_f32_e32 v35, v35, v37
	;; [unrolled: 1-line block ×3, first 2 shown]
	v_add_f32_e32 v31, v31, v35
	v_sub_f32_e32 v33, v34, v33
	v_add_f32_e32 v31, v31, v33
	v_add_f32_e32 v33, v36, v31
	v_add_f32_e32 v34, 1.0, v33
	v_sub_f32_e32 v35, v33, v36
	v_sub_f32_e32 v31, v31, v35
	v_add_f32_e32 v35, -1.0, v34
	v_cvt_i32_f32_e32 v32, v32
	v_sub_f32_e32 v33, v33, v35
	v_add_f32_e32 v31, v31, v33
	v_add_f32_e32 v33, v34, v31
	v_ldexp_f32 v35, v33, v32
	v_rcp_f32_e32 v36, v35
	v_sub_f32_e32 v33, v33, v34
	v_sub_f32_e32 v31, v31, v33
	v_ldexp_f32 v31, v31, v32
	v_mul_f32_e32 v37, v35, v36
	v_fma_f32 v32, v36, v35, -v37
	v_fmac_f32_e32 v32, v36, v31
	v_add_f32_e32 v33, v37, v32
	v_sub_f32_e32 v34, 1.0, v33
	v_sub_f32_e32 v37, v33, v37
	v_sub_f32_e32 v32, v37, v32
	v_sub_f32_e32 v37, 1.0, v34
	v_sub_f32_e32 v33, v37, v33
	v_add_f32_e32 v32, v32, v33
	v_add_f32_e32 v33, v34, v32
	v_mul_f32_e32 v37, v36, v33
	v_mul_f32_e32 v40, v35, v37
	v_add_f32_e32 v38, v36, v37
	v_fma_f32 v41, v37, v35, -v40
	v_sub_f32_e32 v39, v38, v36
	v_fmac_f32_e32 v41, v37, v31
	v_sub_f32_e32 v39, v37, v39
	v_add_f32_e32 v37, v40, v41
	v_sub_f32_e32 v42, v33, v37
	v_sub_f32_e32 v34, v34, v33
	v_sub_f32_e32 v33, v33, v42
	v_sub_f32_e32 v40, v37, v40
	v_add_f32_e32 v32, v32, v34
	v_sub_f32_e32 v33, v33, v37
	v_sub_f32_e32 v40, v40, v41
	v_add_f32_e32 v32, v32, v33
	v_add_f32_e32 v32, v40, v32
	;; [unrolled: 1-line block ×3, first 2 shown]
	v_mul_f32_e32 v32, v36, v32
	v_add_f32_e32 v32, v39, v32
	v_add_f32_e32 v33, v38, v32
	v_ldexp_f32 v34, v33, -2
	v_sub_f32_e32 v36, v35, v34
	v_sub_f32_e32 v35, v35, v36
	;; [unrolled: 1-line block ×5, first 2 shown]
	v_add_f32_e32 v31, v31, v34
	v_ldexp_f32 v32, v32, -2
	v_sub_f32_e32 v31, v31, v32
	v_add_f32_e32 v31, v36, v31
	v_cmp_ngt_f32_e64 s[4:5], |v30|, s22
	v_cndmask_b32_e64 v31, v26, v31, s[4:5]
	v_cmp_lt_f32_e64 s[4:5], |v30|, s20
	v_cndmask_b32_e64 v31, v31, |v30|, s[4:5]
	v_bfi_b32 v32, s23, v31, v30
	v_mov_b32_e32 v31, s9
	v_add_co_u32_e64 v30, s[4:5], s8, v3
	v_addc_co_u32_e64 v31, s[4:5], v4, v31, s[4:5]
	global_store_dword v[30:31], v32, off
	s_or_b64 exec, exec, s[6:7]
	s_and_saveexec_b64 s[4:5], s[2:3]
	s_cbranch_execz .LBB118_18
.LBB118_22:                             ;   in Loop: Header=BB118_9 Depth=1
	s_waitcnt vmcnt(0)
	v_add_f32_e64 v30, |v29|, s21
	v_sub_f32_e64 v31, v30, |v29|
	v_sub_f32_e32 v32, v31, v30
	v_add_f32_e64 v32, |v29|, v32
	v_add_f32_e32 v31, 0x3f317218, v31
	v_sub_f32_e32 v31, v32, v31
	v_add_f32_e32 v31, 0x3102e308, v31
	v_add_f32_e32 v32, v30, v31
	v_sub_f32_e32 v30, v30, v32
	v_add_f32_e32 v30, v31, v30
	v_mul_f32_e32 v31, 0x3fb8aa3b, v32
	v_rndne_f32_e32 v31, v31
	v_fmac_f32_e32 v32, 0xbf317200, v31
	v_add_f32_e32 v33, v30, v32
	v_sub_f32_e32 v32, v32, v33
	v_add_f32_e32 v30, v30, v32
	v_mul_f32_e32 v32, 0x35bfbc00, v31
	v_sub_f32_e32 v34, v33, v32
	v_sub_f32_e32 v33, v33, v34
	;; [unrolled: 1-line block ×3, first 2 shown]
	v_add_f32_e32 v30, v30, v32
	v_add_f32_e32 v32, v34, v30
	v_sub_f32_e32 v33, v34, v32
	v_add_f32_e32 v30, v30, v33
	v_mul_f32_e32 v33, 0x2ea39ef3, v31
	v_sub_f32_e32 v34, v32, v33
	v_sub_f32_e32 v32, v32, v34
	;; [unrolled: 1-line block ×3, first 2 shown]
	v_add_f32_e32 v30, v30, v32
	v_add_f32_e32 v32, v34, v30
	v_sub_f32_e32 v34, v34, v32
	v_mov_b32_e32 v33, 0x3c091de6
	v_add_f32_e32 v30, v30, v34
	v_mul_f32_e32 v35, v32, v32
	v_fmac_f32_e32 v33, 0x3ab42872, v32
	v_add_f32_e32 v34, v30, v30
	v_fma_f32 v36, v32, v32, -v35
	v_fma_f32 v33, v32, v33, v23
	v_fmac_f32_e32 v36, v32, v34
	v_fma_f32 v33, v32, v33, v24
	v_add_f32_e32 v34, v35, v36
	v_fma_f32 v33, v32, v33, v25
	v_sub_f32_e32 v35, v34, v35
	v_sub_f32_e32 v35, v36, v35
	v_mul_f32_e32 v36, v33, v34
	v_fma_f32 v34, v34, v33, -v36
	v_fmac_f32_e32 v34, v35, v33
	v_add_f32_e32 v33, v36, v34
	v_sub_f32_e32 v35, v33, v36
	v_sub_f32_e32 v34, v34, v35
	v_add_f32_e32 v35, v32, v33
	v_sub_f32_e32 v32, v35, v32
	v_sub_f32_e32 v32, v33, v32
	v_add_f32_e32 v30, v30, v34
	v_add_f32_e32 v30, v30, v32
	;; [unrolled: 1-line block ×3, first 2 shown]
	v_sub_f32_e32 v33, v32, v35
	v_sub_f32_e32 v30, v30, v33
	v_add_f32_e32 v33, 1.0, v32
	v_add_f32_e32 v34, -1.0, v33
	v_cvt_i32_f32_e32 v31, v31
	v_sub_f32_e32 v32, v32, v34
	v_add_f32_e32 v30, v30, v32
	v_add_f32_e32 v32, v33, v30
	v_ldexp_f32 v34, v32, v31
	v_rcp_f32_e32 v35, v34
	v_sub_f32_e32 v32, v32, v33
	v_sub_f32_e32 v30, v30, v32
	v_ldexp_f32 v30, v30, v31
	v_mul_f32_e32 v31, v34, v35
	v_fma_f32 v32, v35, v34, -v31
	v_fmac_f32_e32 v32, v35, v30
	v_add_f32_e32 v33, v31, v32
	v_sub_f32_e32 v36, 1.0, v33
	v_sub_f32_e32 v37, 1.0, v36
	v_sub_f32_e32 v31, v33, v31
	v_sub_f32_e32 v37, v37, v33
	;; [unrolled: 1-line block ×3, first 2 shown]
	v_add_f32_e32 v31, v31, v37
	v_add_f32_e32 v32, v36, v31
	v_mul_f32_e32 v33, v35, v32
	v_mul_f32_e32 v37, v34, v33
	v_fma_f32 v38, v33, v34, -v37
	v_fmac_f32_e32 v38, v33, v30
	v_sub_f32_e32 v36, v36, v32
	v_add_f32_e32 v31, v31, v36
	v_add_f32_e32 v36, v37, v38
	v_sub_f32_e32 v39, v32, v36
	v_sub_f32_e32 v32, v32, v39
	v_sub_f32_e32 v37, v36, v37
	v_sub_f32_e32 v32, v32, v36
	v_add_f32_e32 v31, v31, v32
	v_sub_f32_e32 v32, v37, v38
	v_add_f32_e32 v31, v32, v31
	v_add_f32_e32 v31, v39, v31
	;; [unrolled: 1-line block ×3, first 2 shown]
	v_mul_f32_e32 v31, v35, v31
	v_sub_f32_e32 v35, v32, v35
	v_sub_f32_e32 v33, v33, v35
	v_add_f32_e32 v31, v33, v31
	v_add_f32_e32 v33, v32, v31
	v_sub_f32_e32 v32, v33, v32
	v_sub_f32_e32 v31, v31, v32
	v_ldexp_f32 v32, v33, -2
	v_sub_f32_e32 v33, v34, v32
	v_sub_f32_e32 v34, v34, v33
	;; [unrolled: 1-line block ×3, first 2 shown]
	v_ldexp_f32 v31, v31, -2
	v_add_f32_e32 v30, v30, v32
	v_sub_f32_e32 v30, v30, v31
	v_add_f32_e32 v30, v33, v30
	v_cmp_ngt_f32_e64 s[2:3], |v29|, s22
	v_cndmask_b32_e64 v30, v26, v30, s[2:3]
	v_cmp_lt_f32_e64 s[2:3], |v29|, s20
	v_cndmask_b32_e64 v30, v30, |v29|, s[2:3]
	v_bfi_b32 v31, s23, v30, v29
	v_mov_b32_e32 v30, s9
	v_add_co_u32_e64 v29, s[2:3], s8, v17
	v_addc_co_u32_e64 v30, s[2:3], v18, v30, s[2:3]
	global_store_dword v[29:30], v31, off
	s_or_b64 exec, exec, s[4:5]
	s_and_saveexec_b64 s[2:3], s[0:1]
	s_cbranch_execz .LBB118_19
.LBB118_23:                             ;   in Loop: Header=BB118_9 Depth=1
	s_waitcnt vmcnt(0)
	v_add_f32_e64 v29, |v28|, s21
	v_sub_f32_e64 v30, v29, |v28|
	v_sub_f32_e32 v31, v30, v29
	v_add_f32_e64 v31, |v28|, v31
	v_add_f32_e32 v30, 0x3f317218, v30
	v_sub_f32_e32 v30, v31, v30
	v_add_f32_e32 v30, 0x3102e308, v30
	v_add_f32_e32 v31, v29, v30
	v_sub_f32_e32 v29, v29, v31
	v_add_f32_e32 v29, v30, v29
	v_mul_f32_e32 v30, 0x3fb8aa3b, v31
	v_rndne_f32_e32 v30, v30
	v_fmac_f32_e32 v31, 0xbf317200, v30
	v_add_f32_e32 v32, v29, v31
	v_sub_f32_e32 v31, v31, v32
	v_add_f32_e32 v29, v29, v31
	v_mul_f32_e32 v31, 0x35bfbc00, v30
	v_sub_f32_e32 v33, v32, v31
	v_sub_f32_e32 v32, v32, v33
	;; [unrolled: 1-line block ×3, first 2 shown]
	v_add_f32_e32 v29, v29, v31
	v_add_f32_e32 v31, v33, v29
	v_sub_f32_e32 v32, v33, v31
	v_add_f32_e32 v29, v29, v32
	v_mul_f32_e32 v32, 0x2ea39ef3, v30
	v_sub_f32_e32 v33, v31, v32
	v_sub_f32_e32 v31, v31, v33
	;; [unrolled: 1-line block ×3, first 2 shown]
	v_add_f32_e32 v29, v29, v31
	v_add_f32_e32 v31, v33, v29
	v_sub_f32_e32 v33, v33, v31
	v_mov_b32_e32 v32, 0x3c091de6
	v_add_f32_e32 v29, v29, v33
	v_mul_f32_e32 v34, v31, v31
	v_fmac_f32_e32 v32, 0x3ab42872, v31
	v_add_f32_e32 v33, v29, v29
	v_fma_f32 v35, v31, v31, -v34
	v_fma_f32 v32, v31, v32, v23
	v_fmac_f32_e32 v35, v31, v33
	v_fma_f32 v32, v31, v32, v24
	v_add_f32_e32 v33, v34, v35
	v_fma_f32 v32, v31, v32, v25
	v_sub_f32_e32 v34, v33, v34
	v_sub_f32_e32 v34, v35, v34
	v_mul_f32_e32 v35, v32, v33
	v_fma_f32 v33, v33, v32, -v35
	v_fmac_f32_e32 v33, v34, v32
	v_add_f32_e32 v32, v35, v33
	v_sub_f32_e32 v34, v32, v35
	v_sub_f32_e32 v33, v33, v34
	v_add_f32_e32 v34, v31, v32
	v_sub_f32_e32 v31, v34, v31
	v_sub_f32_e32 v31, v32, v31
	v_add_f32_e32 v29, v29, v33
	v_add_f32_e32 v29, v29, v31
	;; [unrolled: 1-line block ×3, first 2 shown]
	v_sub_f32_e32 v32, v31, v34
	v_sub_f32_e32 v29, v29, v32
	v_add_f32_e32 v32, 1.0, v31
	v_add_f32_e32 v33, -1.0, v32
	v_cvt_i32_f32_e32 v30, v30
	v_sub_f32_e32 v31, v31, v33
	v_add_f32_e32 v29, v29, v31
	v_add_f32_e32 v31, v32, v29
	v_ldexp_f32 v33, v31, v30
	v_rcp_f32_e32 v34, v33
	v_sub_f32_e32 v31, v31, v32
	v_sub_f32_e32 v29, v29, v31
	v_ldexp_f32 v29, v29, v30
	v_mul_f32_e32 v30, v33, v34
	v_fma_f32 v31, v34, v33, -v30
	v_fmac_f32_e32 v31, v34, v29
	v_add_f32_e32 v32, v30, v31
	v_sub_f32_e32 v35, 1.0, v32
	v_sub_f32_e32 v36, 1.0, v35
	v_sub_f32_e32 v30, v32, v30
	v_sub_f32_e32 v36, v36, v32
	;; [unrolled: 1-line block ×3, first 2 shown]
	v_add_f32_e32 v30, v30, v36
	v_add_f32_e32 v31, v35, v30
	v_mul_f32_e32 v32, v34, v31
	v_mul_f32_e32 v36, v33, v32
	v_fma_f32 v37, v32, v33, -v36
	v_fmac_f32_e32 v37, v32, v29
	v_sub_f32_e32 v35, v35, v31
	v_add_f32_e32 v30, v30, v35
	v_add_f32_e32 v35, v36, v37
	v_sub_f32_e32 v38, v31, v35
	v_sub_f32_e32 v31, v31, v38
	;; [unrolled: 1-line block ×4, first 2 shown]
	v_add_f32_e32 v30, v30, v31
	v_sub_f32_e32 v31, v36, v37
	v_add_f32_e32 v30, v31, v30
	v_add_f32_e32 v30, v38, v30
	;; [unrolled: 1-line block ×3, first 2 shown]
	v_mul_f32_e32 v30, v34, v30
	v_sub_f32_e32 v34, v31, v34
	v_sub_f32_e32 v32, v32, v34
	v_add_f32_e32 v30, v32, v30
	v_add_f32_e32 v32, v31, v30
	v_sub_f32_e32 v31, v32, v31
	v_sub_f32_e32 v30, v30, v31
	v_ldexp_f32 v31, v32, -2
	v_sub_f32_e32 v32, v33, v31
	v_sub_f32_e32 v33, v33, v32
	;; [unrolled: 1-line block ×3, first 2 shown]
	v_ldexp_f32 v30, v30, -2
	v_add_f32_e32 v29, v29, v31
	v_sub_f32_e32 v29, v29, v30
	v_add_f32_e32 v29, v32, v29
	v_cmp_ngt_f32_e64 s[0:1], |v28|, s22
	v_cndmask_b32_e64 v29, v26, v29, s[0:1]
	v_cmp_lt_f32_e64 s[0:1], |v28|, s20
	v_cndmask_b32_e64 v29, v29, |v28|, s[0:1]
	v_bfi_b32 v30, s23, v29, v28
	v_mov_b32_e32 v29, s9
	v_add_co_u32_e64 v28, s[0:1], s8, v11
	v_addc_co_u32_e64 v29, s[0:1], v12, v29, s[0:1]
	global_store_dword v[28:29], v30, off
	s_or_b64 exec, exec, s[2:3]
	s_and_saveexec_b64 s[0:1], vcc
	s_cbranch_execz .LBB118_8
.LBB118_24:                             ;   in Loop: Header=BB118_9 Depth=1
	s_waitcnt vmcnt(0)
	v_add_f32_e64 v28, |v27|, s21
	v_sub_f32_e64 v29, v28, |v27|
	v_sub_f32_e32 v30, v29, v28
	v_add_f32_e64 v30, |v27|, v30
	v_add_f32_e32 v29, 0x3f317218, v29
	v_sub_f32_e32 v29, v30, v29
	v_add_f32_e32 v29, 0x3102e308, v29
	v_add_f32_e32 v30, v28, v29
	v_sub_f32_e32 v28, v28, v30
	v_add_f32_e32 v28, v29, v28
	v_mul_f32_e32 v29, 0x3fb8aa3b, v30
	v_rndne_f32_e32 v29, v29
	v_fmac_f32_e32 v30, 0xbf317200, v29
	v_add_f32_e32 v31, v28, v30
	v_sub_f32_e32 v30, v30, v31
	v_add_f32_e32 v28, v28, v30
	v_mul_f32_e32 v30, 0x35bfbc00, v29
	v_sub_f32_e32 v32, v31, v30
	v_sub_f32_e32 v31, v31, v32
	;; [unrolled: 1-line block ×3, first 2 shown]
	v_add_f32_e32 v28, v28, v30
	v_add_f32_e32 v30, v32, v28
	v_sub_f32_e32 v31, v32, v30
	v_add_f32_e32 v28, v28, v31
	v_mul_f32_e32 v31, 0x2ea39ef3, v29
	v_sub_f32_e32 v32, v30, v31
	v_sub_f32_e32 v30, v30, v32
	;; [unrolled: 1-line block ×3, first 2 shown]
	v_add_f32_e32 v28, v28, v30
	v_add_f32_e32 v30, v32, v28
	v_sub_f32_e32 v32, v32, v30
	v_mov_b32_e32 v31, 0x3c091de6
	v_add_f32_e32 v28, v28, v32
	v_mul_f32_e32 v33, v30, v30
	v_fmac_f32_e32 v31, 0x3ab42872, v30
	v_add_f32_e32 v32, v28, v28
	v_fma_f32 v34, v30, v30, -v33
	v_fma_f32 v31, v30, v31, v23
	v_fmac_f32_e32 v34, v30, v32
	v_fma_f32 v31, v30, v31, v24
	v_add_f32_e32 v32, v33, v34
	v_fma_f32 v31, v30, v31, v25
	v_sub_f32_e32 v33, v32, v33
	v_sub_f32_e32 v33, v34, v33
	v_mul_f32_e32 v34, v31, v32
	v_fma_f32 v32, v32, v31, -v34
	v_fmac_f32_e32 v32, v33, v31
	v_add_f32_e32 v31, v34, v32
	v_sub_f32_e32 v33, v31, v34
	v_sub_f32_e32 v32, v32, v33
	v_add_f32_e32 v33, v30, v31
	v_sub_f32_e32 v30, v33, v30
	v_sub_f32_e32 v30, v31, v30
	v_add_f32_e32 v28, v28, v32
	v_add_f32_e32 v28, v28, v30
	;; [unrolled: 1-line block ×3, first 2 shown]
	v_sub_f32_e32 v31, v30, v33
	v_sub_f32_e32 v28, v28, v31
	v_add_f32_e32 v31, 1.0, v30
	v_add_f32_e32 v32, -1.0, v31
	v_cvt_i32_f32_e32 v29, v29
	v_sub_f32_e32 v30, v30, v32
	v_add_f32_e32 v28, v28, v30
	v_add_f32_e32 v30, v31, v28
	v_ldexp_f32 v32, v30, v29
	v_rcp_f32_e32 v33, v32
	v_sub_f32_e32 v30, v30, v31
	v_sub_f32_e32 v28, v28, v30
	v_ldexp_f32 v28, v28, v29
	v_mul_f32_e32 v29, v32, v33
	v_fma_f32 v30, v33, v32, -v29
	v_fmac_f32_e32 v30, v33, v28
	v_add_f32_e32 v31, v29, v30
	v_sub_f32_e32 v34, 1.0, v31
	v_sub_f32_e32 v35, 1.0, v34
	v_sub_f32_e32 v29, v31, v29
	v_sub_f32_e32 v35, v35, v31
	;; [unrolled: 1-line block ×3, first 2 shown]
	v_add_f32_e32 v29, v29, v35
	v_add_f32_e32 v30, v34, v29
	v_mul_f32_e32 v31, v33, v30
	v_mul_f32_e32 v35, v32, v31
	v_fma_f32 v36, v31, v32, -v35
	v_fmac_f32_e32 v36, v31, v28
	v_sub_f32_e32 v34, v34, v30
	v_add_f32_e32 v29, v29, v34
	v_add_f32_e32 v34, v35, v36
	v_sub_f32_e32 v37, v30, v34
	v_sub_f32_e32 v30, v30, v37
	;; [unrolled: 1-line block ×4, first 2 shown]
	v_add_f32_e32 v29, v29, v30
	v_sub_f32_e32 v30, v35, v36
	v_add_f32_e32 v29, v30, v29
	v_add_f32_e32 v29, v37, v29
	;; [unrolled: 1-line block ×3, first 2 shown]
	v_mul_f32_e32 v29, v33, v29
	v_sub_f32_e32 v33, v30, v33
	v_sub_f32_e32 v31, v31, v33
	v_add_f32_e32 v29, v31, v29
	v_add_f32_e32 v31, v30, v29
	v_sub_f32_e32 v30, v31, v30
	v_sub_f32_e32 v29, v29, v30
	v_ldexp_f32 v30, v31, -2
	v_sub_f32_e32 v31, v32, v30
	v_sub_f32_e32 v32, v32, v31
	;; [unrolled: 1-line block ×3, first 2 shown]
	v_ldexp_f32 v29, v29, -2
	v_add_f32_e32 v28, v28, v30
	v_sub_f32_e32 v28, v28, v29
	v_add_f32_e32 v28, v31, v28
	v_cmp_ngt_f32_e64 vcc, |v27|, s22
	v_cndmask_b32_e32 v28, v26, v28, vcc
	v_cmp_lt_f32_e64 s[2:3], |v27|, s20
	v_cndmask_b32_e64 v28, v28, |v27|, s[2:3]
	v_bfi_b32 v29, s23, v28, v27
	v_mov_b32_e32 v28, s9
	v_add_co_u32_e32 v27, vcc, s8, v7
	v_addc_co_u32_e32 v28, vcc, v8, v28, vcc
	global_store_dword v[27:28], v29, off
	s_branch .LBB118_8
.LBB118_25:
	s_endpgm
	.section	.rodata,"a",@progbits
	.p2align	6, 0x0
	.amdhsa_kernel _ZN2at6native12_GLOBAL__N_125multi_tensor_apply_kernelINS1_18TensorListMetadataILi2EEENS1_14UnaryOpFunctorIfLi2ELi1ELi1EEEJNS0_4SinhIfEEEEEvT_T0_DpT1_
		.amdhsa_group_segment_fixed_size 0
		.amdhsa_private_segment_fixed_size 0
		.amdhsa_kernarg_size 3408
		.amdhsa_user_sgpr_count 6
		.amdhsa_user_sgpr_private_segment_buffer 1
		.amdhsa_user_sgpr_dispatch_ptr 0
		.amdhsa_user_sgpr_queue_ptr 0
		.amdhsa_user_sgpr_kernarg_segment_ptr 1
		.amdhsa_user_sgpr_dispatch_id 0
		.amdhsa_user_sgpr_flat_scratch_init 0
		.amdhsa_user_sgpr_private_segment_size 0
		.amdhsa_uses_dynamic_stack 0
		.amdhsa_system_sgpr_private_segment_wavefront_offset 0
		.amdhsa_system_sgpr_workgroup_id_x 1
		.amdhsa_system_sgpr_workgroup_id_y 0
		.amdhsa_system_sgpr_workgroup_id_z 0
		.amdhsa_system_sgpr_workgroup_info 0
		.amdhsa_system_vgpr_workitem_id 0
		.amdhsa_next_free_vgpr 43
		.amdhsa_next_free_sgpr 24
		.amdhsa_reserve_vcc 1
		.amdhsa_reserve_flat_scratch 0
		.amdhsa_float_round_mode_32 0
		.amdhsa_float_round_mode_16_64 0
		.amdhsa_float_denorm_mode_32 3
		.amdhsa_float_denorm_mode_16_64 3
		.amdhsa_dx10_clamp 1
		.amdhsa_ieee_mode 1
		.amdhsa_fp16_overflow 0
		.amdhsa_exception_fp_ieee_invalid_op 0
		.amdhsa_exception_fp_denorm_src 0
		.amdhsa_exception_fp_ieee_div_zero 0
		.amdhsa_exception_fp_ieee_overflow 0
		.amdhsa_exception_fp_ieee_underflow 0
		.amdhsa_exception_fp_ieee_inexact 0
		.amdhsa_exception_int_div_zero 0
	.end_amdhsa_kernel
	.section	.text._ZN2at6native12_GLOBAL__N_125multi_tensor_apply_kernelINS1_18TensorListMetadataILi2EEENS1_14UnaryOpFunctorIfLi2ELi1ELi1EEEJNS0_4SinhIfEEEEEvT_T0_DpT1_,"axG",@progbits,_ZN2at6native12_GLOBAL__N_125multi_tensor_apply_kernelINS1_18TensorListMetadataILi2EEENS1_14UnaryOpFunctorIfLi2ELi1ELi1EEEJNS0_4SinhIfEEEEEvT_T0_DpT1_,comdat
.Lfunc_end118:
	.size	_ZN2at6native12_GLOBAL__N_125multi_tensor_apply_kernelINS1_18TensorListMetadataILi2EEENS1_14UnaryOpFunctorIfLi2ELi1ELi1EEEJNS0_4SinhIfEEEEEvT_T0_DpT1_, .Lfunc_end118-_ZN2at6native12_GLOBAL__N_125multi_tensor_apply_kernelINS1_18TensorListMetadataILi2EEENS1_14UnaryOpFunctorIfLi2ELi1ELi1EEEJNS0_4SinhIfEEEEEvT_T0_DpT1_
                                        ; -- End function
	.set _ZN2at6native12_GLOBAL__N_125multi_tensor_apply_kernelINS1_18TensorListMetadataILi2EEENS1_14UnaryOpFunctorIfLi2ELi1ELi1EEEJNS0_4SinhIfEEEEEvT_T0_DpT1_.num_vgpr, 43
	.set _ZN2at6native12_GLOBAL__N_125multi_tensor_apply_kernelINS1_18TensorListMetadataILi2EEENS1_14UnaryOpFunctorIfLi2ELi1ELi1EEEJNS0_4SinhIfEEEEEvT_T0_DpT1_.num_agpr, 0
	.set _ZN2at6native12_GLOBAL__N_125multi_tensor_apply_kernelINS1_18TensorListMetadataILi2EEENS1_14UnaryOpFunctorIfLi2ELi1ELi1EEEJNS0_4SinhIfEEEEEvT_T0_DpT1_.numbered_sgpr, 24
	.set _ZN2at6native12_GLOBAL__N_125multi_tensor_apply_kernelINS1_18TensorListMetadataILi2EEENS1_14UnaryOpFunctorIfLi2ELi1ELi1EEEJNS0_4SinhIfEEEEEvT_T0_DpT1_.num_named_barrier, 0
	.set _ZN2at6native12_GLOBAL__N_125multi_tensor_apply_kernelINS1_18TensorListMetadataILi2EEENS1_14UnaryOpFunctorIfLi2ELi1ELi1EEEJNS0_4SinhIfEEEEEvT_T0_DpT1_.private_seg_size, 0
	.set _ZN2at6native12_GLOBAL__N_125multi_tensor_apply_kernelINS1_18TensorListMetadataILi2EEENS1_14UnaryOpFunctorIfLi2ELi1ELi1EEEJNS0_4SinhIfEEEEEvT_T0_DpT1_.uses_vcc, 1
	.set _ZN2at6native12_GLOBAL__N_125multi_tensor_apply_kernelINS1_18TensorListMetadataILi2EEENS1_14UnaryOpFunctorIfLi2ELi1ELi1EEEJNS0_4SinhIfEEEEEvT_T0_DpT1_.uses_flat_scratch, 0
	.set _ZN2at6native12_GLOBAL__N_125multi_tensor_apply_kernelINS1_18TensorListMetadataILi2EEENS1_14UnaryOpFunctorIfLi2ELi1ELi1EEEJNS0_4SinhIfEEEEEvT_T0_DpT1_.has_dyn_sized_stack, 0
	.set _ZN2at6native12_GLOBAL__N_125multi_tensor_apply_kernelINS1_18TensorListMetadataILi2EEENS1_14UnaryOpFunctorIfLi2ELi1ELi1EEEJNS0_4SinhIfEEEEEvT_T0_DpT1_.has_recursion, 0
	.set _ZN2at6native12_GLOBAL__N_125multi_tensor_apply_kernelINS1_18TensorListMetadataILi2EEENS1_14UnaryOpFunctorIfLi2ELi1ELi1EEEJNS0_4SinhIfEEEEEvT_T0_DpT1_.has_indirect_call, 0
	.section	.AMDGPU.csdata,"",@progbits
; Kernel info:
; codeLenInByte = 5872
; TotalNumSgprs: 28
; NumVgprs: 43
; ScratchSize: 0
; MemoryBound: 0
; FloatMode: 240
; IeeeMode: 1
; LDSByteSize: 0 bytes/workgroup (compile time only)
; SGPRBlocks: 3
; VGPRBlocks: 10
; NumSGPRsForWavesPerEU: 28
; NumVGPRsForWavesPerEU: 43
; Occupancy: 5
; WaveLimiterHint : 0
; COMPUTE_PGM_RSRC2:SCRATCH_EN: 0
; COMPUTE_PGM_RSRC2:USER_SGPR: 6
; COMPUTE_PGM_RSRC2:TRAP_HANDLER: 0
; COMPUTE_PGM_RSRC2:TGID_X_EN: 1
; COMPUTE_PGM_RSRC2:TGID_Y_EN: 0
; COMPUTE_PGM_RSRC2:TGID_Z_EN: 0
; COMPUTE_PGM_RSRC2:TIDIG_COMP_CNT: 0
	.section	.text._ZN2at6native12_GLOBAL__N_125multi_tensor_apply_kernelINS1_18TensorListMetadataILi2EEENS1_14UnaryOpFunctorIN3c107complexIdEELi2ELi1ELi1EEEJNS0_4SinhIS8_EEEEEvT_T0_DpT1_,"axG",@progbits,_ZN2at6native12_GLOBAL__N_125multi_tensor_apply_kernelINS1_18TensorListMetadataILi2EEENS1_14UnaryOpFunctorIN3c107complexIdEELi2ELi1ELi1EEEJNS0_4SinhIS8_EEEEEvT_T0_DpT1_,comdat
	.globl	_ZN2at6native12_GLOBAL__N_125multi_tensor_apply_kernelINS1_18TensorListMetadataILi2EEENS1_14UnaryOpFunctorIN3c107complexIdEELi2ELi1ELi1EEEJNS0_4SinhIS8_EEEEEvT_T0_DpT1_ ; -- Begin function _ZN2at6native12_GLOBAL__N_125multi_tensor_apply_kernelINS1_18TensorListMetadataILi2EEENS1_14UnaryOpFunctorIN3c107complexIdEELi2ELi1ELi1EEEJNS0_4SinhIS8_EEEEEvT_T0_DpT1_
	.p2align	8
	.type	_ZN2at6native12_GLOBAL__N_125multi_tensor_apply_kernelINS1_18TensorListMetadataILi2EEENS1_14UnaryOpFunctorIN3c107complexIdEELi2ELi1ELi1EEEJNS0_4SinhIS8_EEEEEvT_T0_DpT1_,@function
_ZN2at6native12_GLOBAL__N_125multi_tensor_apply_kernelINS1_18TensorListMetadataILi2EEENS1_14UnaryOpFunctorIN3c107complexIdEELi2ELi1ELi1EEEJNS0_4SinhIS8_EEEEEvT_T0_DpT1_: ; @_ZN2at6native12_GLOBAL__N_125multi_tensor_apply_kernelINS1_18TensorListMetadataILi2EEENS1_14UnaryOpFunctorIN3c107complexIdEELi2ELi1ELi1EEEJNS0_4SinhIS8_EEEEEvT_T0_DpT1_
; %bb.0:
	v_mov_b32_e32 v50, v0
	v_mov_b32_e32 v0, s6
	global_load_ubyte v0, v0, s[4:5] offset:1536
	s_add_u32 s0, s0, s7
	s_addc_u32 s1, s1, 0
	s_mov_b64 s[34:35], s[4:5]
	s_add_u32 s4, s34, s6
	s_mul_hi_u32 s9, s6, 3
	s_mul_i32 s6, s6, 3
	s_addc_u32 s10, s35, 0
	s_add_u32 s8, s4, s6
	s_addc_u32 s9, s10, s9
	s_load_dword s8, s[8:9], 0x740
	s_mov_b32 s5, 0
	s_mov_b32 s7, s5
	;; [unrolled: 1-line block ×3, first 2 shown]
	s_waitcnt lgkmcnt(0)
	s_ashr_i32 s9, s8, 31
	s_lshl_b64 s[16:17], s[8:9], 20
	s_waitcnt vmcnt(0)
	v_readfirstlane_b32 s4, v0
	s_lshl_b32 s4, s4, 3
	s_load_dwordx2 s[10:11], s[34:35], s4 offset:0x0
	s_load_dwordx2 s[12:13], s[34:35], s4 offset:0x400
	;; [unrolled: 1-line block ×3, first 2 shown]
	s_waitcnt lgkmcnt(0)
	s_add_u32 s44, s10, s16
	s_addc_u32 s45, s11, s17
	s_and_b32 s4, s44, 63
	s_add_u32 s46, s14, s16
	s_addc_u32 s47, s15, s17
	s_lshl_b64 s[8:9], s[8:9], 16
	s_and_b32 s6, s46, 63
	s_sub_u32 s36, s12, s8
	s_subb_u32 s37, s13, s9
	s_and_b32 s8, s12, 3
	s_mov_b32 s9, s5
	s_or_b64 s[6:7], s[6:7], s[8:9]
	s_or_b64 s[4:5], s[6:7], s[4:5]
	s_cmp_eq_u64 s[4:5], 0
	s_mov_b64 s[4:5], -1
	s_cbranch_scc0 .LBB119_5
; %bb.1:
	v_mov_b32_e32 v0, 0x10000
	v_mov_b32_e32 v1, 0
	v_cmp_lt_i64_e32 vcc, s[36:37], v[0:1]
	v_mov_b32_e32 v1, 0
	s_and_b64 s[4:5], vcc, exec
	s_cselect_b32 s39, s37, 0
	s_cselect_b32 s38, s36, 0x10000
	v_lshlrev_b32_e32 v0, 2, v50
	v_cmp_gt_i64_e32 vcc, s[38:39], v[0:1]
	s_and_saveexec_b64 s[48:49], vcc
	s_cbranch_execz .LBB119_4
; %bb.2:
	s_load_dword s4, s[34:35], 0xc5c
	v_mov_b32_e32 v51, v1
	v_mov_b32_e32 v56, v51
	v_lshlrev_b32_e32 v57, 6, v50
	s_mov_b64 s[50:51], 0
	s_waitcnt lgkmcnt(0)
	s_and_b32 s33, s4, 0xffff
	s_mov_b64 s[52:53], s[44:45]
	s_lshl_b32 s43, s33, 6
	s_mov_b64 s[54:55], s[46:47]
	v_mov_b32_e32 v55, v50
.LBB119_3:                              ; =>This Inner Loop Header: Depth=1
	v_mov_b32_e32 v0, s53
	v_add_co_u32_e32 v4, vcc, s52, v57
	v_addc_co_u32_e32 v5, vcc, 0, v0, vcc
	global_load_dwordx4 v[0:3], v[4:5], off
	global_load_dwordx4 v[38:41], v[4:5], off offset:16
	global_load_dwordx4 v[42:45], v[4:5], off offset:48
	global_load_dwordx4 v[46:49], v[4:5], off offset:32
	s_getpc_b64 s[56:57]
	s_add_u32 s56, s56, _ZN6thrust23THRUST_200600_302600_NS6detail7complex5csinhERKNS0_7complexIdEE@rel32@lo+4
	s_addc_u32 s57, s57, _ZN6thrust23THRUST_200600_302600_NS6detail7complex5csinhERKNS0_7complexIdEE@rel32@hi+12
	s_swappc_b64 s[30:31], s[56:57]
	v_mov_b32_e32 v51, v0
	v_mov_b32_e32 v52, v1
	v_mov_b32_e32 v53, v2
	v_mov_b32_e32 v54, v3
	v_mov_b32_e32 v0, v38
	v_mov_b32_e32 v1, v39
	v_mov_b32_e32 v2, v40
	v_mov_b32_e32 v3, v41
	s_swappc_b64 s[30:31], s[56:57]
	v_mov_b32_e32 v38, v0
	v_mov_b32_e32 v39, v1
	v_mov_b32_e32 v40, v2
	v_mov_b32_e32 v41, v3
	v_mov_b32_e32 v0, v46
	v_mov_b32_e32 v1, v47
	v_mov_b32_e32 v2, v48
	v_mov_b32_e32 v3, v49
	;; [unrolled: 9-line block ×3, first 2 shown]
	s_swappc_b64 s[30:31], s[56:57]
	v_add_co_u32_e32 v55, vcc, s33, v55
	v_addc_co_u32_e32 v56, vcc, 0, v56, vcc
	v_mov_b32_e32 v5, s55
	v_add_co_u32_e32 v4, vcc, s54, v57
	v_lshlrev_b64 v[6:7], 2, v[55:56]
	s_add_u32 s54, s54, s43
	v_addc_co_u32_e32 v5, vcc, 0, v5, vcc
	s_addc_u32 s55, s55, 0
	s_add_u32 s52, s52, s43
	v_cmp_le_i64_e32 vcc, s[38:39], v[6:7]
	s_addc_u32 s53, s53, 0
	s_or_b64 s[50:51], vcc, s[50:51]
	global_store_dwordx4 v[4:5], v[51:54], off
	global_store_dwordx4 v[4:5], v[38:41], off offset:16
	global_store_dwordx4 v[4:5], v[46:49], off offset:32
	;; [unrolled: 1-line block ×3, first 2 shown]
	s_andn2_b64 exec, exec, s[50:51]
	s_cbranch_execnz .LBB119_3
.LBB119_4:
	s_or_b64 exec, exec, s[48:49]
	s_mov_b64 s[4:5], 0
.LBB119_5:
	s_andn2_b64 vcc, exec, s[4:5]
	s_cbranch_vccnz .LBB119_25
; %bb.6:
	v_cmp_lt_i64_e64 s[4:5], s[36:37], 1
	s_and_b64 vcc, exec, s[4:5]
	s_cbranch_vccnz .LBB119_25
; %bb.7:
	v_mov_b32_e32 v0, 0x10000
	s_load_dword s6, s[34:35], 0xc5c
	v_mov_b32_e32 v1, 0
	v_cmp_lt_i64_e32 vcc, s[36:37], v[0:1]
	s_mov_b64 s[52:53], 0
	s_and_b64 s[4:5], vcc, exec
	v_cmp_lt_u64_e32 vcc, s[36:37], v[0:1]
	s_cselect_b32 s49, s37, 0
	s_cselect_b32 s48, s36, 0x10000
	s_waitcnt lgkmcnt(0)
	s_and_b32 s33, s6, 0xffff
	s_and_b64 s[4:5], vcc, exec
	s_cselect_b32 s51, s37, 0
	s_cselect_b32 s50, s36, 0x10000
	s_lshl_b32 s43, s33, 1
	s_mul_i32 s56, s33, 3
	s_lshl_b32 s57, s33, 2
	s_branch .LBB119_9
.LBB119_8:                              ;   in Loop: Header=BB119_9 Depth=1
	s_or_b64 exec, exec, s[36:37]
	s_add_u32 s52, s52, s57
	s_waitcnt vmcnt(0)
	v_mov_b32_e32 v0, s48
	s_addc_u32 s53, s53, 0
	v_mov_b32_e32 v1, s49
	v_cmp_ge_i64_e32 vcc, s[52:53], v[0:1]
	s_cbranch_vccnz .LBB119_25
.LBB119_9:                              ; =>This Inner Loop Header: Depth=1
	v_mov_b32_e32 v0, s53
	v_add_co_u32_e32 v57, vcc, s52, v50
	v_addc_co_u32_e32 v58, vcc, 0, v0, vcc
	v_cmp_gt_u64_e32 vcc, s[50:51], v[57:58]
	v_mov_b32_e32 v44, 0
	v_mov_b32_e32 v2, 0
	;; [unrolled: 1-line block ×6, first 2 shown]
	s_and_saveexec_b64 s[6:7], vcc
	s_cbranch_execz .LBB119_11
; %bb.10:                               ;   in Loop: Header=BB119_9 Depth=1
	v_lshlrev_b64 v[0:1], 4, v[57:58]
	v_mov_b32_e32 v2, s45
	v_add_co_u32_e64 v0, s[4:5], s44, v0
	v_addc_co_u32_e64 v1, s[4:5], v2, v1, s[4:5]
	global_load_dwordx4 v[0:3], v[0:1], off
.LBB119_11:                             ;   in Loop: Header=BB119_9 Depth=1
	s_or_b64 exec, exec, s[6:7]
	v_add_co_u32_e64 v55, s[4:5], s33, v57
	v_addc_co_u32_e64 v56, s[4:5], 0, v58, s[4:5]
	v_cmp_gt_u64_e64 s[38:39], s[50:51], v[55:56]
	v_mov_b32_e32 v42, 0
	v_mov_b32_e32 v43, 0
	s_and_saveexec_b64 s[6:7], s[38:39]
	s_cbranch_execz .LBB119_13
; %bb.12:                               ;   in Loop: Header=BB119_9 Depth=1
	v_lshlrev_b64 v[4:5], 4, v[55:56]
	v_mov_b32_e32 v6, s45
	v_add_co_u32_e64 v4, s[4:5], s44, v4
	v_addc_co_u32_e64 v5, s[4:5], v6, v5, s[4:5]
	global_load_dwordx4 v[42:45], v[4:5], off
.LBB119_13:                             ;   in Loop: Header=BB119_9 Depth=1
	s_or_b64 exec, exec, s[6:7]
	v_add_co_u32_e64 v53, s[4:5], s43, v57
	v_addc_co_u32_e64 v54, s[4:5], 0, v58, s[4:5]
	v_cmp_gt_u64_e64 s[36:37], s[50:51], v[53:54]
	v_mov_b32_e32 v40, 0
	v_mov_b32_e32 v48, 0
	;; [unrolled: 1-line block ×6, first 2 shown]
	s_and_saveexec_b64 s[6:7], s[36:37]
	s_cbranch_execz .LBB119_15
; %bb.14:                               ;   in Loop: Header=BB119_9 Depth=1
	v_lshlrev_b64 v[4:5], 4, v[53:54]
	v_mov_b32_e32 v6, s45
	v_add_co_u32_e64 v4, s[4:5], s44, v4
	v_addc_co_u32_e64 v5, s[4:5], v6, v5, s[4:5]
	global_load_dwordx4 v[46:49], v[4:5], off
.LBB119_15:                             ;   in Loop: Header=BB119_9 Depth=1
	s_or_b64 exec, exec, s[6:7]
	v_add_co_u32_e64 v51, s[4:5], s56, v57
	v_addc_co_u32_e64 v52, s[4:5], 0, v58, s[4:5]
	v_cmp_gt_u64_e64 s[34:35], s[50:51], v[51:52]
	v_mov_b32_e32 v38, 0
	v_mov_b32_e32 v39, 0
	s_and_saveexec_b64 s[6:7], s[34:35]
	s_cbranch_execnz .LBB119_20
; %bb.16:                               ;   in Loop: Header=BB119_9 Depth=1
	s_or_b64 exec, exec, s[6:7]
	s_and_saveexec_b64 s[54:55], vcc
	s_cbranch_execnz .LBB119_21
.LBB119_17:                             ;   in Loop: Header=BB119_9 Depth=1
	s_or_b64 exec, exec, s[54:55]
	s_and_saveexec_b64 s[54:55], s[38:39]
	s_cbranch_execnz .LBB119_22
.LBB119_18:                             ;   in Loop: Header=BB119_9 Depth=1
	s_or_b64 exec, exec, s[54:55]
	s_and_saveexec_b64 s[38:39], s[36:37]
	s_cbranch_execnz .LBB119_23
.LBB119_19:                             ;   in Loop: Header=BB119_9 Depth=1
	s_or_b64 exec, exec, s[38:39]
	s_and_saveexec_b64 s[36:37], s[34:35]
	s_cbranch_execz .LBB119_8
	s_branch .LBB119_24
.LBB119_20:                             ;   in Loop: Header=BB119_9 Depth=1
	v_lshlrev_b64 v[4:5], 4, v[51:52]
	v_mov_b32_e32 v6, s45
	v_add_co_u32_e64 v4, s[4:5], s44, v4
	v_addc_co_u32_e64 v5, s[4:5], v6, v5, s[4:5]
	global_load_dwordx4 v[38:41], v[4:5], off
	s_or_b64 exec, exec, s[6:7]
	s_and_saveexec_b64 s[54:55], vcc
	s_cbranch_execz .LBB119_17
.LBB119_21:                             ;   in Loop: Header=BB119_9 Depth=1
	s_getpc_b64 s[4:5]
	s_add_u32 s4, s4, _ZN6thrust23THRUST_200600_302600_NS6detail7complex5csinhERKNS0_7complexIdEE@rel32@lo+4
	s_addc_u32 s5, s5, _ZN6thrust23THRUST_200600_302600_NS6detail7complex5csinhERKNS0_7complexIdEE@rel32@hi+12
	s_swappc_b64 s[30:31], s[4:5]
	v_lshlrev_b64 v[4:5], 4, v[57:58]
	v_mov_b32_e32 v6, s47
	v_add_co_u32_e32 v4, vcc, s46, v4
	v_addc_co_u32_e32 v5, vcc, v6, v5, vcc
	global_store_dwordx4 v[4:5], v[0:3], off
	s_or_b64 exec, exec, s[54:55]
	s_and_saveexec_b64 s[54:55], s[38:39]
	s_cbranch_execz .LBB119_18
.LBB119_22:                             ;   in Loop: Header=BB119_9 Depth=1
	s_getpc_b64 s[4:5]
	s_add_u32 s4, s4, _ZN6thrust23THRUST_200600_302600_NS6detail7complex5csinhERKNS0_7complexIdEE@rel32@lo+4
	s_addc_u32 s5, s5, _ZN6thrust23THRUST_200600_302600_NS6detail7complex5csinhERKNS0_7complexIdEE@rel32@hi+12
	s_waitcnt vmcnt(0)
	v_mov_b32_e32 v0, v42
	v_mov_b32_e32 v1, v43
	;; [unrolled: 1-line block ×4, first 2 shown]
	s_swappc_b64 s[30:31], s[4:5]
	v_lshlrev_b64 v[4:5], 4, v[55:56]
	v_mov_b32_e32 v6, s47
	v_add_co_u32_e32 v4, vcc, s46, v4
	v_addc_co_u32_e32 v5, vcc, v6, v5, vcc
	global_store_dwordx4 v[4:5], v[0:3], off
	s_or_b64 exec, exec, s[54:55]
	s_and_saveexec_b64 s[38:39], s[36:37]
	s_cbranch_execz .LBB119_19
.LBB119_23:                             ;   in Loop: Header=BB119_9 Depth=1
	s_getpc_b64 s[4:5]
	s_add_u32 s4, s4, _ZN6thrust23THRUST_200600_302600_NS6detail7complex5csinhERKNS0_7complexIdEE@rel32@lo+4
	s_addc_u32 s5, s5, _ZN6thrust23THRUST_200600_302600_NS6detail7complex5csinhERKNS0_7complexIdEE@rel32@hi+12
	s_waitcnt vmcnt(0)
	v_mov_b32_e32 v0, v46
	v_mov_b32_e32 v1, v47
	;; [unrolled: 1-line block ×4, first 2 shown]
	s_swappc_b64 s[30:31], s[4:5]
	v_lshlrev_b64 v[4:5], 4, v[53:54]
	v_mov_b32_e32 v6, s47
	v_add_co_u32_e32 v4, vcc, s46, v4
	v_addc_co_u32_e32 v5, vcc, v6, v5, vcc
	global_store_dwordx4 v[4:5], v[0:3], off
	s_or_b64 exec, exec, s[38:39]
	s_and_saveexec_b64 s[36:37], s[34:35]
	s_cbranch_execz .LBB119_8
.LBB119_24:                             ;   in Loop: Header=BB119_9 Depth=1
	s_getpc_b64 s[4:5]
	s_add_u32 s4, s4, _ZN6thrust23THRUST_200600_302600_NS6detail7complex5csinhERKNS0_7complexIdEE@rel32@lo+4
	s_addc_u32 s5, s5, _ZN6thrust23THRUST_200600_302600_NS6detail7complex5csinhERKNS0_7complexIdEE@rel32@hi+12
	s_waitcnt vmcnt(0)
	v_mov_b32_e32 v0, v38
	v_mov_b32_e32 v1, v39
	;; [unrolled: 1-line block ×4, first 2 shown]
	s_swappc_b64 s[30:31], s[4:5]
	v_lshlrev_b64 v[4:5], 4, v[51:52]
	v_mov_b32_e32 v6, s47
	v_add_co_u32_e32 v4, vcc, s46, v4
	v_addc_co_u32_e32 v5, vcc, v6, v5, vcc
	global_store_dwordx4 v[4:5], v[0:3], off
	s_branch .LBB119_8
.LBB119_25:
	s_endpgm
	.section	.rodata,"a",@progbits
	.p2align	6, 0x0
	.amdhsa_kernel _ZN2at6native12_GLOBAL__N_125multi_tensor_apply_kernelINS1_18TensorListMetadataILi2EEENS1_14UnaryOpFunctorIN3c107complexIdEELi2ELi1ELi1EEEJNS0_4SinhIS8_EEEEEvT_T0_DpT1_
		.amdhsa_group_segment_fixed_size 0
		.amdhsa_private_segment_fixed_size 0
		.amdhsa_kernarg_size 3408
		.amdhsa_user_sgpr_count 6
		.amdhsa_user_sgpr_private_segment_buffer 1
		.amdhsa_user_sgpr_dispatch_ptr 0
		.amdhsa_user_sgpr_queue_ptr 0
		.amdhsa_user_sgpr_kernarg_segment_ptr 1
		.amdhsa_user_sgpr_dispatch_id 0
		.amdhsa_user_sgpr_flat_scratch_init 0
		.amdhsa_user_sgpr_private_segment_size 0
		.amdhsa_uses_dynamic_stack 0
		.amdhsa_system_sgpr_private_segment_wavefront_offset 0
		.amdhsa_system_sgpr_workgroup_id_x 1
		.amdhsa_system_sgpr_workgroup_id_y 0
		.amdhsa_system_sgpr_workgroup_id_z 0
		.amdhsa_system_sgpr_workgroup_info 0
		.amdhsa_system_vgpr_workitem_id 0
		.amdhsa_next_free_vgpr 59
		.amdhsa_next_free_sgpr 58
		.amdhsa_reserve_vcc 1
		.amdhsa_reserve_flat_scratch 0
		.amdhsa_float_round_mode_32 0
		.amdhsa_float_round_mode_16_64 0
		.amdhsa_float_denorm_mode_32 3
		.amdhsa_float_denorm_mode_16_64 3
		.amdhsa_dx10_clamp 1
		.amdhsa_ieee_mode 1
		.amdhsa_fp16_overflow 0
		.amdhsa_exception_fp_ieee_invalid_op 0
		.amdhsa_exception_fp_denorm_src 0
		.amdhsa_exception_fp_ieee_div_zero 0
		.amdhsa_exception_fp_ieee_overflow 0
		.amdhsa_exception_fp_ieee_underflow 0
		.amdhsa_exception_fp_ieee_inexact 0
		.amdhsa_exception_int_div_zero 0
	.end_amdhsa_kernel
	.section	.text._ZN2at6native12_GLOBAL__N_125multi_tensor_apply_kernelINS1_18TensorListMetadataILi2EEENS1_14UnaryOpFunctorIN3c107complexIdEELi2ELi1ELi1EEEJNS0_4SinhIS8_EEEEEvT_T0_DpT1_,"axG",@progbits,_ZN2at6native12_GLOBAL__N_125multi_tensor_apply_kernelINS1_18TensorListMetadataILi2EEENS1_14UnaryOpFunctorIN3c107complexIdEELi2ELi1ELi1EEEJNS0_4SinhIS8_EEEEEvT_T0_DpT1_,comdat
.Lfunc_end119:
	.size	_ZN2at6native12_GLOBAL__N_125multi_tensor_apply_kernelINS1_18TensorListMetadataILi2EEENS1_14UnaryOpFunctorIN3c107complexIdEELi2ELi1ELi1EEEJNS0_4SinhIS8_EEEEEvT_T0_DpT1_, .Lfunc_end119-_ZN2at6native12_GLOBAL__N_125multi_tensor_apply_kernelINS1_18TensorListMetadataILi2EEENS1_14UnaryOpFunctorIN3c107complexIdEELi2ELi1ELi1EEEJNS0_4SinhIS8_EEEEEvT_T0_DpT1_
                                        ; -- End function
	.set _ZN2at6native12_GLOBAL__N_125multi_tensor_apply_kernelINS1_18TensorListMetadataILi2EEENS1_14UnaryOpFunctorIN3c107complexIdEELi2ELi1ELi1EEEJNS0_4SinhIS8_EEEEEvT_T0_DpT1_.num_vgpr, max(59, .L_ZN6thrust23THRUST_200600_302600_NS6detail7complex5csinhERKNS0_7complexIdEE.num_vgpr)
	.set _ZN2at6native12_GLOBAL__N_125multi_tensor_apply_kernelINS1_18TensorListMetadataILi2EEENS1_14UnaryOpFunctorIN3c107complexIdEELi2ELi1ELi1EEEJNS0_4SinhIS8_EEEEEvT_T0_DpT1_.num_agpr, max(0, .L_ZN6thrust23THRUST_200600_302600_NS6detail7complex5csinhERKNS0_7complexIdEE.num_agpr)
	.set _ZN2at6native12_GLOBAL__N_125multi_tensor_apply_kernelINS1_18TensorListMetadataILi2EEENS1_14UnaryOpFunctorIN3c107complexIdEELi2ELi1ELi1EEEJNS0_4SinhIS8_EEEEEvT_T0_DpT1_.numbered_sgpr, max(58, .L_ZN6thrust23THRUST_200600_302600_NS6detail7complex5csinhERKNS0_7complexIdEE.numbered_sgpr)
	.set _ZN2at6native12_GLOBAL__N_125multi_tensor_apply_kernelINS1_18TensorListMetadataILi2EEENS1_14UnaryOpFunctorIN3c107complexIdEELi2ELi1ELi1EEEJNS0_4SinhIS8_EEEEEvT_T0_DpT1_.num_named_barrier, max(0, .L_ZN6thrust23THRUST_200600_302600_NS6detail7complex5csinhERKNS0_7complexIdEE.num_named_barrier)
	.set _ZN2at6native12_GLOBAL__N_125multi_tensor_apply_kernelINS1_18TensorListMetadataILi2EEENS1_14UnaryOpFunctorIN3c107complexIdEELi2ELi1ELi1EEEJNS0_4SinhIS8_EEEEEvT_T0_DpT1_.private_seg_size, 0+max(.L_ZN6thrust23THRUST_200600_302600_NS6detail7complex5csinhERKNS0_7complexIdEE.private_seg_size)
	.set _ZN2at6native12_GLOBAL__N_125multi_tensor_apply_kernelINS1_18TensorListMetadataILi2EEENS1_14UnaryOpFunctorIN3c107complexIdEELi2ELi1ELi1EEEJNS0_4SinhIS8_EEEEEvT_T0_DpT1_.uses_vcc, or(1, .L_ZN6thrust23THRUST_200600_302600_NS6detail7complex5csinhERKNS0_7complexIdEE.uses_vcc)
	.set _ZN2at6native12_GLOBAL__N_125multi_tensor_apply_kernelINS1_18TensorListMetadataILi2EEENS1_14UnaryOpFunctorIN3c107complexIdEELi2ELi1ELi1EEEJNS0_4SinhIS8_EEEEEvT_T0_DpT1_.uses_flat_scratch, or(0, .L_ZN6thrust23THRUST_200600_302600_NS6detail7complex5csinhERKNS0_7complexIdEE.uses_flat_scratch)
	.set _ZN2at6native12_GLOBAL__N_125multi_tensor_apply_kernelINS1_18TensorListMetadataILi2EEENS1_14UnaryOpFunctorIN3c107complexIdEELi2ELi1ELi1EEEJNS0_4SinhIS8_EEEEEvT_T0_DpT1_.has_dyn_sized_stack, or(0, .L_ZN6thrust23THRUST_200600_302600_NS6detail7complex5csinhERKNS0_7complexIdEE.has_dyn_sized_stack)
	.set _ZN2at6native12_GLOBAL__N_125multi_tensor_apply_kernelINS1_18TensorListMetadataILi2EEENS1_14UnaryOpFunctorIN3c107complexIdEELi2ELi1ELi1EEEJNS0_4SinhIS8_EEEEEvT_T0_DpT1_.has_recursion, or(0, .L_ZN6thrust23THRUST_200600_302600_NS6detail7complex5csinhERKNS0_7complexIdEE.has_recursion)
	.set _ZN2at6native12_GLOBAL__N_125multi_tensor_apply_kernelINS1_18TensorListMetadataILi2EEENS1_14UnaryOpFunctorIN3c107complexIdEELi2ELi1ELi1EEEJNS0_4SinhIS8_EEEEEvT_T0_DpT1_.has_indirect_call, or(0, .L_ZN6thrust23THRUST_200600_302600_NS6detail7complex5csinhERKNS0_7complexIdEE.has_indirect_call)
	.section	.AMDGPU.csdata,"",@progbits
; Kernel info:
; codeLenInByte = 1432
; TotalNumSgprs: 62
; NumVgprs: 59
; ScratchSize: 0
; MemoryBound: 1
; FloatMode: 240
; IeeeMode: 1
; LDSByteSize: 0 bytes/workgroup (compile time only)
; SGPRBlocks: 7
; VGPRBlocks: 14
; NumSGPRsForWavesPerEU: 62
; NumVGPRsForWavesPerEU: 59
; Occupancy: 4
; WaveLimiterHint : 0
; COMPUTE_PGM_RSRC2:SCRATCH_EN: 0
; COMPUTE_PGM_RSRC2:USER_SGPR: 6
; COMPUTE_PGM_RSRC2:TRAP_HANDLER: 0
; COMPUTE_PGM_RSRC2:TGID_X_EN: 1
; COMPUTE_PGM_RSRC2:TGID_Y_EN: 0
; COMPUTE_PGM_RSRC2:TGID_Z_EN: 0
; COMPUTE_PGM_RSRC2:TIDIG_COMP_CNT: 0
	.section	.text._ZN2at6native12_GLOBAL__N_125multi_tensor_apply_kernelINS1_18TensorListMetadataILi2EEENS1_14UnaryOpFunctorIN3c107complexIfEELi2ELi1ELi1EEEJNS0_4SinhIS8_EEEEEvT_T0_DpT1_,"axG",@progbits,_ZN2at6native12_GLOBAL__N_125multi_tensor_apply_kernelINS1_18TensorListMetadataILi2EEENS1_14UnaryOpFunctorIN3c107complexIfEELi2ELi1ELi1EEEJNS0_4SinhIS8_EEEEEvT_T0_DpT1_,comdat
	.globl	_ZN2at6native12_GLOBAL__N_125multi_tensor_apply_kernelINS1_18TensorListMetadataILi2EEENS1_14UnaryOpFunctorIN3c107complexIfEELi2ELi1ELi1EEEJNS0_4SinhIS8_EEEEEvT_T0_DpT1_ ; -- Begin function _ZN2at6native12_GLOBAL__N_125multi_tensor_apply_kernelINS1_18TensorListMetadataILi2EEENS1_14UnaryOpFunctorIN3c107complexIfEELi2ELi1ELi1EEEJNS0_4SinhIS8_EEEEEvT_T0_DpT1_
	.p2align	8
	.type	_ZN2at6native12_GLOBAL__N_125multi_tensor_apply_kernelINS1_18TensorListMetadataILi2EEENS1_14UnaryOpFunctorIN3c107complexIfEELi2ELi1ELi1EEEJNS0_4SinhIS8_EEEEEvT_T0_DpT1_,@function
_ZN2at6native12_GLOBAL__N_125multi_tensor_apply_kernelINS1_18TensorListMetadataILi2EEENS1_14UnaryOpFunctorIN3c107complexIfEELi2ELi1ELi1EEEJNS0_4SinhIS8_EEEEEvT_T0_DpT1_: ; @_ZN2at6native12_GLOBAL__N_125multi_tensor_apply_kernelINS1_18TensorListMetadataILi2EEENS1_14UnaryOpFunctorIN3c107complexIfEELi2ELi1ELi1EEEJNS0_4SinhIS8_EEEEEvT_T0_DpT1_
; %bb.0:
	v_mov_b32_e32 v19, v0
	v_mov_b32_e32 v0, s6
	global_load_ubyte v0, v0, s[4:5] offset:1536
	s_add_u32 s0, s0, s7
	s_addc_u32 s1, s1, 0
	s_mov_b64 s[26:27], s[4:5]
	s_add_u32 s4, s26, s6
	s_mul_hi_u32 s9, s6, 3
	s_mul_i32 s6, s6, 3
	s_addc_u32 s10, s27, 0
	s_add_u32 s8, s4, s6
	s_addc_u32 s9, s10, s9
	s_load_dword s8, s[8:9], 0x740
	s_mov_b32 s5, 0
	s_mov_b32 s7, s5
	;; [unrolled: 1-line block ×3, first 2 shown]
	s_waitcnt lgkmcnt(0)
	s_ashr_i32 s9, s8, 31
	s_lshl_b64 s[16:17], s[8:9], 19
	s_waitcnt vmcnt(0)
	v_readfirstlane_b32 s4, v0
	s_lshl_b32 s4, s4, 3
	s_load_dwordx2 s[10:11], s[26:27], s4 offset:0x0
	s_load_dwordx2 s[12:13], s[26:27], s4 offset:0x400
	;; [unrolled: 1-line block ×3, first 2 shown]
	s_waitcnt lgkmcnt(0)
	s_add_u32 s36, s10, s16
	s_addc_u32 s37, s11, s17
	s_and_b32 s4, s36, 31
	s_add_u32 s38, s14, s16
	s_addc_u32 s39, s15, s17
	s_lshl_b64 s[8:9], s[8:9], 16
	s_and_b32 s6, s38, 31
	s_sub_u32 s28, s12, s8
	s_subb_u32 s29, s13, s9
	s_and_b32 s8, s12, 3
	s_mov_b32 s9, s5
	s_or_b64 s[6:7], s[6:7], s[8:9]
	s_or_b64 s[4:5], s[6:7], s[4:5]
	s_cmp_eq_u64 s[4:5], 0
	s_mov_b64 s[4:5], -1
	s_cbranch_scc0 .LBB120_5
; %bb.1:
	v_mov_b32_e32 v0, 0x10000
	v_mov_b32_e32 v1, 0
	v_cmp_lt_i64_e32 vcc, s[28:29], v[0:1]
	v_mov_b32_e32 v1, 0
	s_and_b64 s[4:5], vcc, exec
	s_cselect_b32 s35, s29, 0
	s_cselect_b32 s34, s28, 0x10000
	v_lshlrev_b32_e32 v0, 2, v19
	v_cmp_gt_i64_e32 vcc, s[34:35], v[0:1]
	s_and_saveexec_b64 s[40:41], vcc
	s_cbranch_execz .LBB120_4
; %bb.2:
	s_load_dword s4, s[26:27], 0xc5c
	v_mov_b32_e32 v20, v1
	v_mov_b32_e32 v29, v20
	v_lshlrev_b32_e32 v30, 5, v19
	s_mov_b64 s[42:43], 0
	s_waitcnt lgkmcnt(0)
	s_and_b32 s33, s4, 0xffff
	s_mov_b64 s[44:45], s[36:37]
	s_lshl_b32 s48, s33, 5
	s_mov_b64 s[46:47], s[38:39]
	v_mov_b32_e32 v28, v19
.LBB120_3:                              ; =>This Inner Loop Header: Depth=1
	v_mov_b32_e32 v1, s45
	v_add_co_u32_e32 v0, vcc, s44, v30
	v_addc_co_u32_e32 v1, vcc, 0, v1, vcc
	global_load_dwordx4 v[20:23], v[0:1], off
	global_load_dwordx4 v[24:27], v[0:1], off offset:16
	s_getpc_b64 s[50:51]
	s_add_u32 s50, s50, _ZN6thrust23THRUST_200600_302600_NS6detail7complex6csinhfERKNS0_7complexIfEE@rel32@lo+4
	s_addc_u32 s51, s51, _ZN6thrust23THRUST_200600_302600_NS6detail7complex6csinhfERKNS0_7complexIfEE@rel32@hi+12
	s_waitcnt vmcnt(1)
	v_mov_b32_e32 v0, v20
	v_mov_b32_e32 v1, v21
	s_swappc_b64 s[30:31], s[50:51]
	v_mov_b32_e32 v20, v0
	v_mov_b32_e32 v21, v1
	v_mov_b32_e32 v0, v22
	v_mov_b32_e32 v1, v23
	s_swappc_b64 s[30:31], s[50:51]
	v_mov_b32_e32 v22, v0
	v_mov_b32_e32 v23, v1
	v_mov_b32_e32 v0, v24
	v_mov_b32_e32 v1, v25
	s_swappc_b64 s[30:31], s[50:51]
	v_mov_b32_e32 v24, v0
	v_mov_b32_e32 v25, v1
	v_mov_b32_e32 v0, v26
	v_mov_b32_e32 v1, v27
	s_swappc_b64 s[30:31], s[50:51]
	v_add_co_u32_e32 v28, vcc, s33, v28
	v_addc_co_u32_e32 v29, vcc, 0, v29, vcc
	v_mov_b32_e32 v26, v0
	v_mov_b32_e32 v27, v1
	;; [unrolled: 1-line block ×3, first 2 shown]
	v_add_co_u32_e32 v0, vcc, s46, v30
	v_lshlrev_b64 v[2:3], 2, v[28:29]
	s_add_u32 s46, s46, s48
	v_addc_co_u32_e32 v1, vcc, 0, v1, vcc
	s_addc_u32 s47, s47, 0
	s_add_u32 s44, s44, s48
	v_cmp_le_i64_e32 vcc, s[34:35], v[2:3]
	s_addc_u32 s45, s45, 0
	s_or_b64 s[42:43], vcc, s[42:43]
	global_store_dwordx4 v[0:1], v[20:23], off
	global_store_dwordx4 v[0:1], v[24:27], off offset:16
	s_andn2_b64 exec, exec, s[42:43]
	s_cbranch_execnz .LBB120_3
.LBB120_4:
	s_or_b64 exec, exec, s[40:41]
	s_mov_b64 s[4:5], 0
.LBB120_5:
	s_andn2_b64 vcc, exec, s[4:5]
	s_cbranch_vccnz .LBB120_25
; %bb.6:
	v_cmp_lt_i64_e64 s[4:5], s[28:29], 1
	s_and_b64 vcc, exec, s[4:5]
	s_cbranch_vccnz .LBB120_25
; %bb.7:
	v_mov_b32_e32 v0, 0x10000
	s_load_dword s6, s[26:27], 0xc5c
	v_mov_b32_e32 v1, 0
	v_cmp_lt_i64_e32 vcc, s[28:29], v[0:1]
	s_mov_b64 s[44:45], 0
	s_and_b64 s[4:5], vcc, exec
	v_cmp_lt_u64_e32 vcc, s[28:29], v[0:1]
	s_cselect_b32 s41, s29, 0
	s_cselect_b32 s40, s28, 0x10000
	s_waitcnt lgkmcnt(0)
	s_and_b32 s33, s6, 0xffff
	s_and_b64 s[4:5], vcc, exec
	s_cselect_b32 s43, s29, 0
	s_cselect_b32 s42, s28, 0x10000
	s_lshl_b32 s48, s33, 1
	s_mul_i32 s49, s33, 3
	s_lshl_b32 s50, s33, 2
	s_branch .LBB120_9
.LBB120_8:                              ;   in Loop: Header=BB120_9 Depth=1
	s_or_b64 exec, exec, s[26:27]
	s_add_u32 s44, s44, s50
	s_waitcnt vmcnt(0)
	v_mov_b32_e32 v0, s40
	s_addc_u32 s45, s45, 0
	v_mov_b32_e32 v1, s41
	v_cmp_ge_i64_e32 vcc, s[44:45], v[0:1]
	s_cbranch_vccnz .LBB120_25
.LBB120_9:                              ; =>This Inner Loop Header: Depth=1
	v_mov_b32_e32 v0, s45
	v_add_co_u32_e32 v26, vcc, s44, v19
	v_addc_co_u32_e32 v27, vcc, 0, v0, vcc
	v_cmp_gt_u64_e32 vcc, s[42:43], v[26:27]
	v_mov_b32_e32 v1, 0
	v_mov_b32_e32 v0, 0
	s_and_saveexec_b64 s[6:7], vcc
	s_cbranch_execz .LBB120_11
; %bb.10:                               ;   in Loop: Header=BB120_9 Depth=1
	v_lshlrev_b64 v[0:1], 3, v[26:27]
	v_mov_b32_e32 v2, s37
	v_add_co_u32_e64 v0, s[4:5], s36, v0
	v_addc_co_u32_e64 v1, s[4:5], v2, v1, s[4:5]
	global_load_dwordx2 v[0:1], v[0:1], off
.LBB120_11:                             ;   in Loop: Header=BB120_9 Depth=1
	s_or_b64 exec, exec, s[6:7]
	v_add_co_u32_e64 v28, s[4:5], s33, v26
	v_addc_co_u32_e64 v29, s[4:5], 0, v27, s[4:5]
	v_cmp_gt_u64_e64 s[26:27], s[42:43], v[28:29]
	v_mov_b32_e32 v21, 0
	v_mov_b32_e32 v23, 0
	;; [unrolled: 1-line block ×3, first 2 shown]
	s_and_saveexec_b64 s[6:7], s[26:27]
	s_cbranch_execz .LBB120_13
; %bb.12:                               ;   in Loop: Header=BB120_9 Depth=1
	v_lshlrev_b64 v[2:3], 3, v[28:29]
	v_mov_b32_e32 v4, s37
	v_add_co_u32_e64 v2, s[4:5], s36, v2
	v_addc_co_u32_e64 v3, s[4:5], v4, v3, s[4:5]
	global_load_dwordx2 v[22:23], v[2:3], off
.LBB120_13:                             ;   in Loop: Header=BB120_9 Depth=1
	s_or_b64 exec, exec, s[6:7]
	v_add_co_u32_e64 v30, s[4:5], s48, v26
	v_addc_co_u32_e64 v31, s[4:5], 0, v27, s[4:5]
	v_cmp_gt_u64_e64 s[28:29], s[42:43], v[30:31]
	v_mov_b32_e32 v20, 0
	s_and_saveexec_b64 s[6:7], s[28:29]
	s_cbranch_execz .LBB120_15
; %bb.14:                               ;   in Loop: Header=BB120_9 Depth=1
	v_lshlrev_b64 v[2:3], 3, v[30:31]
	v_mov_b32_e32 v4, s37
	v_add_co_u32_e64 v2, s[4:5], s36, v2
	v_addc_co_u32_e64 v3, s[4:5], v4, v3, s[4:5]
	global_load_dwordx2 v[20:21], v[2:3], off
.LBB120_15:                             ;   in Loop: Header=BB120_9 Depth=1
	s_or_b64 exec, exec, s[6:7]
	v_add_co_u32_e64 v32, s[4:5], s49, v26
	v_addc_co_u32_e64 v33, s[4:5], 0, v27, s[4:5]
	v_cmp_gt_u64_e64 s[34:35], s[42:43], v[32:33]
	v_mov_b32_e32 v25, 0
	v_mov_b32_e32 v24, 0
	s_and_saveexec_b64 s[6:7], s[34:35]
	s_cbranch_execnz .LBB120_20
; %bb.16:                               ;   in Loop: Header=BB120_9 Depth=1
	s_or_b64 exec, exec, s[6:7]
	s_and_saveexec_b64 s[46:47], vcc
	s_cbranch_execnz .LBB120_21
.LBB120_17:                             ;   in Loop: Header=BB120_9 Depth=1
	s_or_b64 exec, exec, s[46:47]
	s_and_saveexec_b64 s[46:47], s[26:27]
	s_cbranch_execnz .LBB120_22
.LBB120_18:                             ;   in Loop: Header=BB120_9 Depth=1
	s_or_b64 exec, exec, s[46:47]
	s_and_saveexec_b64 s[26:27], s[28:29]
	s_cbranch_execnz .LBB120_23
.LBB120_19:                             ;   in Loop: Header=BB120_9 Depth=1
	s_or_b64 exec, exec, s[26:27]
	s_and_saveexec_b64 s[26:27], s[34:35]
	s_cbranch_execz .LBB120_8
	s_branch .LBB120_24
.LBB120_20:                             ;   in Loop: Header=BB120_9 Depth=1
	v_lshlrev_b64 v[2:3], 3, v[32:33]
	v_mov_b32_e32 v4, s37
	v_add_co_u32_e64 v2, s[4:5], s36, v2
	v_addc_co_u32_e64 v3, s[4:5], v4, v3, s[4:5]
	global_load_dwordx2 v[24:25], v[2:3], off
	s_or_b64 exec, exec, s[6:7]
	s_and_saveexec_b64 s[46:47], vcc
	s_cbranch_execz .LBB120_17
.LBB120_21:                             ;   in Loop: Header=BB120_9 Depth=1
	s_getpc_b64 s[4:5]
	s_add_u32 s4, s4, _ZN6thrust23THRUST_200600_302600_NS6detail7complex6csinhfERKNS0_7complexIfEE@rel32@lo+4
	s_addc_u32 s5, s5, _ZN6thrust23THRUST_200600_302600_NS6detail7complex6csinhfERKNS0_7complexIfEE@rel32@hi+12
	s_swappc_b64 s[30:31], s[4:5]
	v_lshlrev_b64 v[2:3], 3, v[26:27]
	v_mov_b32_e32 v4, s39
	v_add_co_u32_e32 v2, vcc, s38, v2
	v_addc_co_u32_e32 v3, vcc, v4, v3, vcc
	global_store_dwordx2 v[2:3], v[0:1], off
	s_or_b64 exec, exec, s[46:47]
	s_and_saveexec_b64 s[46:47], s[26:27]
	s_cbranch_execz .LBB120_18
.LBB120_22:                             ;   in Loop: Header=BB120_9 Depth=1
	s_getpc_b64 s[4:5]
	s_add_u32 s4, s4, _ZN6thrust23THRUST_200600_302600_NS6detail7complex6csinhfERKNS0_7complexIfEE@rel32@lo+4
	s_addc_u32 s5, s5, _ZN6thrust23THRUST_200600_302600_NS6detail7complex6csinhfERKNS0_7complexIfEE@rel32@hi+12
	s_waitcnt vmcnt(0)
	v_mov_b32_e32 v0, v22
	v_mov_b32_e32 v1, v23
	s_swappc_b64 s[30:31], s[4:5]
	v_lshlrev_b64 v[2:3], 3, v[28:29]
	v_mov_b32_e32 v4, s39
	v_add_co_u32_e32 v2, vcc, s38, v2
	v_addc_co_u32_e32 v3, vcc, v4, v3, vcc
	global_store_dwordx2 v[2:3], v[0:1], off
	s_or_b64 exec, exec, s[46:47]
	s_and_saveexec_b64 s[26:27], s[28:29]
	s_cbranch_execz .LBB120_19
.LBB120_23:                             ;   in Loop: Header=BB120_9 Depth=1
	s_getpc_b64 s[4:5]
	s_add_u32 s4, s4, _ZN6thrust23THRUST_200600_302600_NS6detail7complex6csinhfERKNS0_7complexIfEE@rel32@lo+4
	s_addc_u32 s5, s5, _ZN6thrust23THRUST_200600_302600_NS6detail7complex6csinhfERKNS0_7complexIfEE@rel32@hi+12
	s_waitcnt vmcnt(0)
	v_mov_b32_e32 v0, v20
	v_mov_b32_e32 v1, v21
	s_swappc_b64 s[30:31], s[4:5]
	v_lshlrev_b64 v[2:3], 3, v[30:31]
	v_mov_b32_e32 v4, s39
	v_add_co_u32_e32 v2, vcc, s38, v2
	v_addc_co_u32_e32 v3, vcc, v4, v3, vcc
	global_store_dwordx2 v[2:3], v[0:1], off
	s_or_b64 exec, exec, s[26:27]
	s_and_saveexec_b64 s[26:27], s[34:35]
	s_cbranch_execz .LBB120_8
.LBB120_24:                             ;   in Loop: Header=BB120_9 Depth=1
	s_getpc_b64 s[4:5]
	s_add_u32 s4, s4, _ZN6thrust23THRUST_200600_302600_NS6detail7complex6csinhfERKNS0_7complexIfEE@rel32@lo+4
	s_addc_u32 s5, s5, _ZN6thrust23THRUST_200600_302600_NS6detail7complex6csinhfERKNS0_7complexIfEE@rel32@hi+12
	s_waitcnt vmcnt(0)
	v_mov_b32_e32 v0, v24
	v_mov_b32_e32 v1, v25
	s_swappc_b64 s[30:31], s[4:5]
	v_lshlrev_b64 v[2:3], 3, v[32:33]
	v_mov_b32_e32 v4, s39
	v_add_co_u32_e32 v2, vcc, s38, v2
	v_addc_co_u32_e32 v3, vcc, v4, v3, vcc
	global_store_dwordx2 v[2:3], v[0:1], off
	s_branch .LBB120_8
.LBB120_25:
	s_endpgm
	.section	.rodata,"a",@progbits
	.p2align	6, 0x0
	.amdhsa_kernel _ZN2at6native12_GLOBAL__N_125multi_tensor_apply_kernelINS1_18TensorListMetadataILi2EEENS1_14UnaryOpFunctorIN3c107complexIfEELi2ELi1ELi1EEEJNS0_4SinhIS8_EEEEEvT_T0_DpT1_
		.amdhsa_group_segment_fixed_size 0
		.amdhsa_private_segment_fixed_size 0
		.amdhsa_kernarg_size 3408
		.amdhsa_user_sgpr_count 6
		.amdhsa_user_sgpr_private_segment_buffer 1
		.amdhsa_user_sgpr_dispatch_ptr 0
		.amdhsa_user_sgpr_queue_ptr 0
		.amdhsa_user_sgpr_kernarg_segment_ptr 1
		.amdhsa_user_sgpr_dispatch_id 0
		.amdhsa_user_sgpr_flat_scratch_init 0
		.amdhsa_user_sgpr_private_segment_size 0
		.amdhsa_uses_dynamic_stack 0
		.amdhsa_system_sgpr_private_segment_wavefront_offset 0
		.amdhsa_system_sgpr_workgroup_id_x 1
		.amdhsa_system_sgpr_workgroup_id_y 0
		.amdhsa_system_sgpr_workgroup_id_z 0
		.amdhsa_system_sgpr_workgroup_info 0
		.amdhsa_system_vgpr_workitem_id 0
		.amdhsa_next_free_vgpr 34
		.amdhsa_next_free_sgpr 52
		.amdhsa_reserve_vcc 1
		.amdhsa_reserve_flat_scratch 0
		.amdhsa_float_round_mode_32 0
		.amdhsa_float_round_mode_16_64 0
		.amdhsa_float_denorm_mode_32 3
		.amdhsa_float_denorm_mode_16_64 3
		.amdhsa_dx10_clamp 1
		.amdhsa_ieee_mode 1
		.amdhsa_fp16_overflow 0
		.amdhsa_exception_fp_ieee_invalid_op 0
		.amdhsa_exception_fp_denorm_src 0
		.amdhsa_exception_fp_ieee_div_zero 0
		.amdhsa_exception_fp_ieee_overflow 0
		.amdhsa_exception_fp_ieee_underflow 0
		.amdhsa_exception_fp_ieee_inexact 0
		.amdhsa_exception_int_div_zero 0
	.end_amdhsa_kernel
	.section	.text._ZN2at6native12_GLOBAL__N_125multi_tensor_apply_kernelINS1_18TensorListMetadataILi2EEENS1_14UnaryOpFunctorIN3c107complexIfEELi2ELi1ELi1EEEJNS0_4SinhIS8_EEEEEvT_T0_DpT1_,"axG",@progbits,_ZN2at6native12_GLOBAL__N_125multi_tensor_apply_kernelINS1_18TensorListMetadataILi2EEENS1_14UnaryOpFunctorIN3c107complexIfEELi2ELi1ELi1EEEJNS0_4SinhIS8_EEEEEvT_T0_DpT1_,comdat
.Lfunc_end120:
	.size	_ZN2at6native12_GLOBAL__N_125multi_tensor_apply_kernelINS1_18TensorListMetadataILi2EEENS1_14UnaryOpFunctorIN3c107complexIfEELi2ELi1ELi1EEEJNS0_4SinhIS8_EEEEEvT_T0_DpT1_, .Lfunc_end120-_ZN2at6native12_GLOBAL__N_125multi_tensor_apply_kernelINS1_18TensorListMetadataILi2EEENS1_14UnaryOpFunctorIN3c107complexIfEELi2ELi1ELi1EEEJNS0_4SinhIS8_EEEEEvT_T0_DpT1_
                                        ; -- End function
	.set _ZN2at6native12_GLOBAL__N_125multi_tensor_apply_kernelINS1_18TensorListMetadataILi2EEENS1_14UnaryOpFunctorIN3c107complexIfEELi2ELi1ELi1EEEJNS0_4SinhIS8_EEEEEvT_T0_DpT1_.num_vgpr, max(34, .L_ZN6thrust23THRUST_200600_302600_NS6detail7complex6csinhfERKNS0_7complexIfEE.num_vgpr)
	.set _ZN2at6native12_GLOBAL__N_125multi_tensor_apply_kernelINS1_18TensorListMetadataILi2EEENS1_14UnaryOpFunctorIN3c107complexIfEELi2ELi1ELi1EEEJNS0_4SinhIS8_EEEEEvT_T0_DpT1_.num_agpr, max(0, .L_ZN6thrust23THRUST_200600_302600_NS6detail7complex6csinhfERKNS0_7complexIfEE.num_agpr)
	.set _ZN2at6native12_GLOBAL__N_125multi_tensor_apply_kernelINS1_18TensorListMetadataILi2EEENS1_14UnaryOpFunctorIN3c107complexIfEELi2ELi1ELi1EEEJNS0_4SinhIS8_EEEEEvT_T0_DpT1_.numbered_sgpr, max(52, .L_ZN6thrust23THRUST_200600_302600_NS6detail7complex6csinhfERKNS0_7complexIfEE.numbered_sgpr)
	.set _ZN2at6native12_GLOBAL__N_125multi_tensor_apply_kernelINS1_18TensorListMetadataILi2EEENS1_14UnaryOpFunctorIN3c107complexIfEELi2ELi1ELi1EEEJNS0_4SinhIS8_EEEEEvT_T0_DpT1_.num_named_barrier, max(0, .L_ZN6thrust23THRUST_200600_302600_NS6detail7complex6csinhfERKNS0_7complexIfEE.num_named_barrier)
	.set _ZN2at6native12_GLOBAL__N_125multi_tensor_apply_kernelINS1_18TensorListMetadataILi2EEENS1_14UnaryOpFunctorIN3c107complexIfEELi2ELi1ELi1EEEJNS0_4SinhIS8_EEEEEvT_T0_DpT1_.private_seg_size, 0+max(.L_ZN6thrust23THRUST_200600_302600_NS6detail7complex6csinhfERKNS0_7complexIfEE.private_seg_size)
	.set _ZN2at6native12_GLOBAL__N_125multi_tensor_apply_kernelINS1_18TensorListMetadataILi2EEENS1_14UnaryOpFunctorIN3c107complexIfEELi2ELi1ELi1EEEJNS0_4SinhIS8_EEEEEvT_T0_DpT1_.uses_vcc, or(1, .L_ZN6thrust23THRUST_200600_302600_NS6detail7complex6csinhfERKNS0_7complexIfEE.uses_vcc)
	.set _ZN2at6native12_GLOBAL__N_125multi_tensor_apply_kernelINS1_18TensorListMetadataILi2EEENS1_14UnaryOpFunctorIN3c107complexIfEELi2ELi1ELi1EEEJNS0_4SinhIS8_EEEEEvT_T0_DpT1_.uses_flat_scratch, or(0, .L_ZN6thrust23THRUST_200600_302600_NS6detail7complex6csinhfERKNS0_7complexIfEE.uses_flat_scratch)
	.set _ZN2at6native12_GLOBAL__N_125multi_tensor_apply_kernelINS1_18TensorListMetadataILi2EEENS1_14UnaryOpFunctorIN3c107complexIfEELi2ELi1ELi1EEEJNS0_4SinhIS8_EEEEEvT_T0_DpT1_.has_dyn_sized_stack, or(0, .L_ZN6thrust23THRUST_200600_302600_NS6detail7complex6csinhfERKNS0_7complexIfEE.has_dyn_sized_stack)
	.set _ZN2at6native12_GLOBAL__N_125multi_tensor_apply_kernelINS1_18TensorListMetadataILi2EEENS1_14UnaryOpFunctorIN3c107complexIfEELi2ELi1ELi1EEEJNS0_4SinhIS8_EEEEEvT_T0_DpT1_.has_recursion, or(0, .L_ZN6thrust23THRUST_200600_302600_NS6detail7complex6csinhfERKNS0_7complexIfEE.has_recursion)
	.set _ZN2at6native12_GLOBAL__N_125multi_tensor_apply_kernelINS1_18TensorListMetadataILi2EEENS1_14UnaryOpFunctorIN3c107complexIfEELi2ELi1ELi1EEEJNS0_4SinhIS8_EEEEEvT_T0_DpT1_.has_indirect_call, or(0, .L_ZN6thrust23THRUST_200600_302600_NS6detail7complex6csinhfERKNS0_7complexIfEE.has_indirect_call)
	.section	.AMDGPU.csdata,"",@progbits
; Kernel info:
; codeLenInByte = 1316
; TotalNumSgprs: 56
; NumVgprs: 34
; ScratchSize: 0
; MemoryBound: 0
; FloatMode: 240
; IeeeMode: 1
; LDSByteSize: 0 bytes/workgroup (compile time only)
; SGPRBlocks: 6
; VGPRBlocks: 8
; NumSGPRsForWavesPerEU: 56
; NumVGPRsForWavesPerEU: 34
; Occupancy: 7
; WaveLimiterHint : 0
; COMPUTE_PGM_RSRC2:SCRATCH_EN: 0
; COMPUTE_PGM_RSRC2:USER_SGPR: 6
; COMPUTE_PGM_RSRC2:TRAP_HANDLER: 0
; COMPUTE_PGM_RSRC2:TGID_X_EN: 1
; COMPUTE_PGM_RSRC2:TGID_Y_EN: 0
; COMPUTE_PGM_RSRC2:TGID_Z_EN: 0
; COMPUTE_PGM_RSRC2:TIDIG_COMP_CNT: 0
	.section	.text._ZN2at6native12_GLOBAL__N_125multi_tensor_apply_kernelINS1_18TensorListMetadataILi2EEENS1_14UnaryOpFunctorIN3c104HalfELi2ELi1ELi1EEEJNS0_4SinhIfEEEEEvT_T0_DpT1_,"axG",@progbits,_ZN2at6native12_GLOBAL__N_125multi_tensor_apply_kernelINS1_18TensorListMetadataILi2EEENS1_14UnaryOpFunctorIN3c104HalfELi2ELi1ELi1EEEJNS0_4SinhIfEEEEEvT_T0_DpT1_,comdat
	.globl	_ZN2at6native12_GLOBAL__N_125multi_tensor_apply_kernelINS1_18TensorListMetadataILi2EEENS1_14UnaryOpFunctorIN3c104HalfELi2ELi1ELi1EEEJNS0_4SinhIfEEEEEvT_T0_DpT1_ ; -- Begin function _ZN2at6native12_GLOBAL__N_125multi_tensor_apply_kernelINS1_18TensorListMetadataILi2EEENS1_14UnaryOpFunctorIN3c104HalfELi2ELi1ELi1EEEJNS0_4SinhIfEEEEEvT_T0_DpT1_
	.p2align	8
	.type	_ZN2at6native12_GLOBAL__N_125multi_tensor_apply_kernelINS1_18TensorListMetadataILi2EEENS1_14UnaryOpFunctorIN3c104HalfELi2ELi1ELi1EEEJNS0_4SinhIfEEEEEvT_T0_DpT1_,@function
_ZN2at6native12_GLOBAL__N_125multi_tensor_apply_kernelINS1_18TensorListMetadataILi2EEENS1_14UnaryOpFunctorIN3c104HalfELi2ELi1ELi1EEEJNS0_4SinhIfEEEEEvT_T0_DpT1_: ; @_ZN2at6native12_GLOBAL__N_125multi_tensor_apply_kernelINS1_18TensorListMetadataILi2EEENS1_14UnaryOpFunctorIN3c104HalfELi2ELi1ELi1EEEJNS0_4SinhIfEEEEEvT_T0_DpT1_
; %bb.0:
	v_mov_b32_e32 v1, s6
	global_load_ubyte v1, v1, s[4:5] offset:1536
	s_add_u32 s0, s4, s6
	s_mul_hi_u32 s1, s6, 3
	s_mul_i32 s6, s6, 3
	s_addc_u32 s2, s5, 0
	s_add_u32 s0, s0, s6
	s_addc_u32 s1, s2, s1
	s_load_dword s6, s[0:1], 0x740
	s_mov_b32 s11, 0
	s_mov_b32 s13, s11
	s_waitcnt vmcnt(0)
	v_readfirstlane_b32 s0, v1
	s_lshl_b32 s7, s0, 3
	s_load_dwordx2 s[14:15], s[4:5], s7 offset:0x400
	s_load_dwordx2 s[2:3], s[4:5], s7 offset:0x0
	;; [unrolled: 1-line block ×3, first 2 shown]
	s_waitcnt lgkmcnt(0)
	s_ashr_i32 s7, s6, 31
	s_lshl_b64 s[8:9], s[6:7], 17
	s_lshl_b64 s[6:7], s[6:7], 16
	s_add_u32 s10, s2, s8
	s_and_b32 s12, s0, 7
	s_and_b32 s10, s10, 7
	s_sub_u32 s6, s14, s6
	s_subb_u32 s7, s15, s7
	s_and_b32 s14, s14, 3
	s_mov_b32 s15, s11
	s_or_b64 s[12:13], s[12:13], s[14:15]
	s_or_b64 s[10:11], s[12:13], s[10:11]
	s_cmp_eq_u64 s[10:11], 0
	s_mov_b64 s[10:11], -1
	s_cbranch_scc0 .LBB121_5
; %bb.1:
	v_mov_b32_e32 v1, 0x10000
	v_mov_b32_e32 v2, 0
	v_cmp_lt_i64_e32 vcc, s[6:7], v[1:2]
	v_mov_b32_e32 v2, 0
	s_and_b64 s[10:11], vcc, exec
	s_cselect_b32 s11, s7, 0
	s_cselect_b32 s10, s6, 0x10000
	v_lshlrev_b32_e32 v1, 2, v0
	v_cmp_gt_i64_e32 vcc, s[10:11], v[1:2]
	s_and_saveexec_b64 s[12:13], vcc
	s_cbranch_execz .LBB121_4
; %bb.2:
	s_load_dword s14, s[4:5], 0xc5c
	v_mov_b32_e32 v1, v2
	v_lshlrev_b32_e32 v2, 3, v0
	v_mov_b32_e32 v3, s9
	v_add_co_u32_e32 v5, vcc, s8, v2
	s_waitcnt lgkmcnt(0)
	s_and_b32 s16, s14, 0xffff
	v_mov_b32_e32 v2, v1
	v_addc_co_u32_e32 v6, vcc, 0, v3, vcc
	s_lshl_b32 s17, s16, 3
	s_mov_b64 s[14:15], 0
	v_mov_b32_e32 v7, s3
	s_mov_b32 s18, 0xbf317218
	v_mov_b32_e32 v8, 0x3d2aadcc
	v_mov_b32_e32 v9, 0x3e2aaa47
	;; [unrolled: 1-line block ×3, first 2 shown]
	s_mov_b32 s19, 0x42b2d4fc
	v_mov_b32_e32 v11, 0x7f800000
	s_mov_b32 s20, 0x39800000
	s_movk_i32 s21, 0x7fff
	v_mov_b32_e32 v12, s1
	v_mov_b32_e32 v1, v0
.LBB121_3:                              ; =>This Inner Loop Header: Depth=1
	v_add_co_u32_e32 v3, vcc, s2, v5
	v_addc_co_u32_e32 v4, vcc, v7, v6, vcc
	global_load_dwordx2 v[3:4], v[3:4], off
	s_waitcnt vmcnt(0)
	v_cvt_f32_f16_e32 v15, v3
	v_lshrrev_b32_e32 v14, 16, v3
	v_lshrrev_b32_e32 v13, 16, v4
	v_add_f32_e64 v16, |v15|, s18
	v_sub_f32_e64 v17, v16, |v15|
	v_sub_f32_e32 v18, v17, v16
	v_add_f32_e64 v18, |v15|, v18
	v_add_f32_e32 v17, 0x3f317218, v17
	v_sub_f32_e32 v17, v18, v17
	v_add_f32_e32 v17, 0x3102e308, v17
	v_add_f32_e32 v18, v16, v17
	v_sub_f32_e32 v16, v16, v18
	v_add_f32_e32 v16, v17, v16
	v_mul_f32_e32 v17, 0x3fb8aa3b, v18
	v_rndne_f32_e32 v17, v17
	v_fmac_f32_e32 v18, 0xbf317200, v17
	v_add_f32_e32 v19, v16, v18
	v_sub_f32_e32 v18, v18, v19
	v_add_f32_e32 v16, v16, v18
	v_mul_f32_e32 v18, 0x35bfbc00, v17
	v_sub_f32_e32 v20, v19, v18
	v_sub_f32_e32 v19, v19, v20
	;; [unrolled: 1-line block ×3, first 2 shown]
	v_add_f32_e32 v16, v16, v18
	v_add_f32_e32 v18, v20, v16
	v_sub_f32_e32 v19, v20, v18
	v_add_f32_e32 v16, v16, v19
	v_mul_f32_e32 v19, 0x2ea39ef3, v17
	v_sub_f32_e32 v20, v18, v19
	v_sub_f32_e32 v18, v18, v20
	;; [unrolled: 1-line block ×3, first 2 shown]
	v_add_f32_e32 v16, v16, v18
	v_add_f32_e32 v18, v20, v16
	v_sub_f32_e32 v20, v20, v18
	v_mov_b32_e32 v19, 0x3c091de6
	v_add_f32_e32 v16, v16, v20
	v_mul_f32_e32 v21, v18, v18
	v_fmac_f32_e32 v19, 0x3ab42872, v18
	v_add_f32_e32 v20, v16, v16
	v_fma_f32 v22, v18, v18, -v21
	v_fma_f32 v19, v18, v19, v8
	v_fmac_f32_e32 v22, v18, v20
	v_fma_f32 v19, v18, v19, v9
	v_add_f32_e32 v20, v21, v22
	v_fma_f32 v19, v18, v19, v10
	v_sub_f32_e32 v21, v20, v21
	v_sub_f32_e32 v21, v22, v21
	v_mul_f32_e32 v22, v19, v20
	v_fma_f32 v20, v20, v19, -v22
	v_fmac_f32_e32 v20, v21, v19
	v_add_f32_e32 v19, v22, v20
	v_sub_f32_e32 v21, v19, v22
	v_sub_f32_e32 v20, v20, v21
	v_add_f32_e32 v21, v18, v19
	v_sub_f32_e32 v18, v21, v18
	v_sub_f32_e32 v18, v19, v18
	v_add_f32_e32 v16, v16, v20
	v_add_f32_e32 v16, v16, v18
	;; [unrolled: 1-line block ×3, first 2 shown]
	v_sub_f32_e32 v19, v18, v21
	v_sub_f32_e32 v16, v16, v19
	v_add_f32_e32 v19, 1.0, v18
	v_add_f32_e32 v20, -1.0, v19
	v_sub_f32_e32 v18, v18, v20
	v_cvt_i32_f32_e32 v17, v17
	v_add_f32_e32 v16, v16, v18
	v_add_f32_e32 v18, v19, v16
	v_sub_f32_e32 v19, v18, v19
	v_sub_f32_e32 v16, v16, v19
	v_ldexp_f32 v18, v18, v17
	v_ldexp_f32 v16, v16, v17
	v_rcp_f32_e32 v17, v18
	v_cmp_ngt_f32_e64 vcc, |v15|, s19
	v_cmp_lt_f32_e64 s[22:23], |v15|, s20
	v_mul_f32_e32 v19, v18, v17
	v_fma_f32 v20, v17, v18, -v19
	v_fmac_f32_e32 v20, v17, v16
	v_add_f32_e32 v21, v19, v20
	v_sub_f32_e32 v22, 1.0, v21
	v_sub_f32_e32 v23, 1.0, v22
	v_sub_f32_e32 v19, v21, v19
	v_sub_f32_e32 v23, v23, v21
	v_sub_f32_e32 v19, v19, v20
	v_add_f32_e32 v19, v19, v23
	v_add_f32_e32 v20, v22, v19
	v_mul_f32_e32 v21, v17, v20
	v_mul_f32_e32 v23, v18, v21
	v_fma_f32 v24, v21, v18, -v23
	v_fmac_f32_e32 v24, v21, v16
	v_sub_f32_e32 v22, v22, v20
	v_add_f32_e32 v19, v19, v22
	v_add_f32_e32 v22, v23, v24
	v_sub_f32_e32 v25, v20, v22
	v_sub_f32_e32 v20, v20, v25
	;; [unrolled: 1-line block ×4, first 2 shown]
	v_add_f32_e32 v19, v19, v20
	v_sub_f32_e32 v20, v23, v24
	v_add_f32_e32 v19, v20, v19
	v_add_f32_e32 v19, v25, v19
	;; [unrolled: 1-line block ×3, first 2 shown]
	v_mul_f32_e32 v19, v17, v19
	v_sub_f32_e32 v17, v20, v17
	v_sub_f32_e32 v17, v21, v17
	v_add_f32_e32 v17, v17, v19
	v_add_f32_e32 v19, v20, v17
	v_sub_f32_e32 v20, v19, v20
	v_ldexp_f32 v19, v19, -2
	v_sub_f32_e32 v17, v17, v20
	v_sub_f32_e32 v20, v18, v19
	;; [unrolled: 1-line block ×4, first 2 shown]
	v_ldexp_f32 v17, v17, -2
	v_add_f32_e32 v16, v16, v18
	v_sub_f32_e32 v16, v16, v17
	v_add_f32_e32 v16, v20, v16
	v_cndmask_b32_e32 v16, v11, v16, vcc
	v_cndmask_b32_e64 v15, v16, |v15|, s[22:23]
	v_cvt_f16_f32_e32 v15, v15
	v_bfi_b32 v3, s21, v15, v3
	v_cvt_f32_f16_e32 v15, v14
	v_add_f32_e64 v16, |v15|, s18
	v_sub_f32_e64 v17, v16, |v15|
	v_sub_f32_e32 v18, v17, v16
	v_add_f32_e64 v18, |v15|, v18
	v_add_f32_e32 v17, 0x3f317218, v17
	v_sub_f32_e32 v17, v18, v17
	v_add_f32_e32 v17, 0x3102e308, v17
	v_add_f32_e32 v18, v16, v17
	v_sub_f32_e32 v16, v16, v18
	v_add_f32_e32 v16, v17, v16
	v_mul_f32_e32 v17, 0x3fb8aa3b, v18
	v_rndne_f32_e32 v17, v17
	v_fmac_f32_e32 v18, 0xbf317200, v17
	v_add_f32_e32 v19, v16, v18
	v_sub_f32_e32 v18, v18, v19
	v_add_f32_e32 v16, v16, v18
	v_mul_f32_e32 v18, 0x35bfbc00, v17
	v_sub_f32_e32 v20, v19, v18
	v_sub_f32_e32 v19, v19, v20
	;; [unrolled: 1-line block ×3, first 2 shown]
	v_add_f32_e32 v16, v16, v18
	v_add_f32_e32 v18, v20, v16
	v_sub_f32_e32 v19, v20, v18
	v_add_f32_e32 v16, v16, v19
	v_mul_f32_e32 v19, 0x2ea39ef3, v17
	v_sub_f32_e32 v20, v18, v19
	v_sub_f32_e32 v18, v18, v20
	v_sub_f32_e32 v18, v18, v19
	v_add_f32_e32 v16, v16, v18
	v_add_f32_e32 v18, v20, v16
	v_sub_f32_e32 v20, v20, v18
	v_mov_b32_e32 v19, 0x3c091de6
	v_add_f32_e32 v16, v16, v20
	v_mul_f32_e32 v21, v18, v18
	v_fmac_f32_e32 v19, 0x3ab42872, v18
	v_add_f32_e32 v20, v16, v16
	v_fma_f32 v22, v18, v18, -v21
	v_fma_f32 v19, v18, v19, v8
	v_fmac_f32_e32 v22, v18, v20
	v_fma_f32 v19, v18, v19, v9
	v_add_f32_e32 v20, v21, v22
	v_fma_f32 v19, v18, v19, v10
	v_sub_f32_e32 v21, v20, v21
	v_sub_f32_e32 v21, v22, v21
	v_mul_f32_e32 v22, v19, v20
	v_fma_f32 v20, v20, v19, -v22
	v_fmac_f32_e32 v20, v21, v19
	v_add_f32_e32 v19, v22, v20
	v_sub_f32_e32 v21, v19, v22
	v_sub_f32_e32 v20, v20, v21
	v_add_f32_e32 v21, v18, v19
	v_sub_f32_e32 v18, v21, v18
	v_sub_f32_e32 v18, v19, v18
	v_add_f32_e32 v16, v16, v20
	v_add_f32_e32 v16, v16, v18
	;; [unrolled: 1-line block ×3, first 2 shown]
	v_sub_f32_e32 v19, v18, v21
	v_sub_f32_e32 v16, v16, v19
	v_add_f32_e32 v19, 1.0, v18
	v_add_f32_e32 v20, -1.0, v19
	v_sub_f32_e32 v18, v18, v20
	v_cvt_i32_f32_e32 v17, v17
	v_add_f32_e32 v16, v16, v18
	v_add_f32_e32 v18, v19, v16
	v_sub_f32_e32 v19, v18, v19
	v_sub_f32_e32 v16, v16, v19
	v_ldexp_f32 v18, v18, v17
	v_ldexp_f32 v16, v16, v17
	v_rcp_f32_e32 v17, v18
	v_cmp_ngt_f32_e64 vcc, |v15|, s19
	v_cmp_lt_f32_e64 s[22:23], |v15|, s20
	v_mul_f32_e32 v19, v18, v17
	v_fma_f32 v20, v17, v18, -v19
	v_fmac_f32_e32 v20, v17, v16
	v_add_f32_e32 v21, v19, v20
	v_sub_f32_e32 v22, 1.0, v21
	v_sub_f32_e32 v23, 1.0, v22
	v_sub_f32_e32 v19, v21, v19
	v_sub_f32_e32 v23, v23, v21
	;; [unrolled: 1-line block ×3, first 2 shown]
	v_add_f32_e32 v19, v19, v23
	v_add_f32_e32 v20, v22, v19
	v_mul_f32_e32 v21, v17, v20
	v_mul_f32_e32 v23, v18, v21
	v_fma_f32 v24, v21, v18, -v23
	v_fmac_f32_e32 v24, v21, v16
	v_sub_f32_e32 v22, v22, v20
	v_add_f32_e32 v19, v19, v22
	v_add_f32_e32 v22, v23, v24
	v_sub_f32_e32 v25, v20, v22
	v_sub_f32_e32 v20, v20, v25
	;; [unrolled: 1-line block ×4, first 2 shown]
	v_add_f32_e32 v19, v19, v20
	v_sub_f32_e32 v20, v23, v24
	v_add_f32_e32 v19, v20, v19
	v_add_f32_e32 v19, v25, v19
	v_add_f32_e32 v20, v17, v21
	v_mul_f32_e32 v19, v17, v19
	v_sub_f32_e32 v17, v20, v17
	v_sub_f32_e32 v17, v21, v17
	v_add_f32_e32 v17, v17, v19
	v_add_f32_e32 v19, v20, v17
	v_sub_f32_e32 v20, v19, v20
	v_ldexp_f32 v19, v19, -2
	v_sub_f32_e32 v17, v17, v20
	v_sub_f32_e32 v20, v18, v19
	;; [unrolled: 1-line block ×4, first 2 shown]
	v_ldexp_f32 v17, v17, -2
	v_add_f32_e32 v16, v16, v18
	v_sub_f32_e32 v16, v16, v17
	v_add_f32_e32 v16, v20, v16
	v_cndmask_b32_e32 v16, v11, v16, vcc
	v_cndmask_b32_e64 v15, v16, |v15|, s[22:23]
	v_cvt_f16_f32_e32 v15, v15
	v_bfi_b32 v14, s21, v15, v14
	v_cvt_f32_f16_e32 v15, v4
	v_pack_b32_f16 v3, v3, v14
	v_add_f32_e64 v16, |v15|, s18
	v_sub_f32_e64 v17, v16, |v15|
	v_sub_f32_e32 v18, v17, v16
	v_add_f32_e64 v18, |v15|, v18
	v_add_f32_e32 v17, 0x3f317218, v17
	v_sub_f32_e32 v17, v18, v17
	v_add_f32_e32 v17, 0x3102e308, v17
	v_add_f32_e32 v18, v16, v17
	v_sub_f32_e32 v16, v16, v18
	v_add_f32_e32 v16, v17, v16
	v_mul_f32_e32 v17, 0x3fb8aa3b, v18
	v_rndne_f32_e32 v17, v17
	v_fmac_f32_e32 v18, 0xbf317200, v17
	v_add_f32_e32 v19, v16, v18
	v_sub_f32_e32 v18, v18, v19
	v_add_f32_e32 v16, v16, v18
	v_mul_f32_e32 v18, 0x35bfbc00, v17
	v_sub_f32_e32 v20, v19, v18
	v_sub_f32_e32 v19, v19, v20
	;; [unrolled: 1-line block ×3, first 2 shown]
	v_add_f32_e32 v16, v16, v18
	v_add_f32_e32 v18, v20, v16
	v_sub_f32_e32 v19, v20, v18
	v_add_f32_e32 v16, v16, v19
	v_mul_f32_e32 v19, 0x2ea39ef3, v17
	v_sub_f32_e32 v20, v18, v19
	v_sub_f32_e32 v18, v18, v20
	;; [unrolled: 1-line block ×3, first 2 shown]
	v_add_f32_e32 v16, v16, v18
	v_add_f32_e32 v18, v20, v16
	v_sub_f32_e32 v20, v20, v18
	v_mov_b32_e32 v19, 0x3c091de6
	v_add_f32_e32 v16, v16, v20
	v_mul_f32_e32 v21, v18, v18
	v_fmac_f32_e32 v19, 0x3ab42872, v18
	v_add_f32_e32 v20, v16, v16
	v_fma_f32 v22, v18, v18, -v21
	v_fma_f32 v19, v18, v19, v8
	v_fmac_f32_e32 v22, v18, v20
	v_fma_f32 v19, v18, v19, v9
	v_add_f32_e32 v20, v21, v22
	v_fma_f32 v19, v18, v19, v10
	v_sub_f32_e32 v21, v20, v21
	v_sub_f32_e32 v21, v22, v21
	v_mul_f32_e32 v22, v19, v20
	v_fma_f32 v20, v20, v19, -v22
	v_fmac_f32_e32 v20, v21, v19
	v_add_f32_e32 v19, v22, v20
	v_sub_f32_e32 v21, v19, v22
	v_sub_f32_e32 v20, v20, v21
	v_add_f32_e32 v21, v18, v19
	v_sub_f32_e32 v18, v21, v18
	v_sub_f32_e32 v18, v19, v18
	v_add_f32_e32 v16, v16, v20
	v_add_f32_e32 v16, v16, v18
	;; [unrolled: 1-line block ×3, first 2 shown]
	v_sub_f32_e32 v19, v18, v21
	v_sub_f32_e32 v16, v16, v19
	v_add_f32_e32 v19, 1.0, v18
	v_add_f32_e32 v20, -1.0, v19
	v_sub_f32_e32 v18, v18, v20
	v_cvt_i32_f32_e32 v17, v17
	v_add_f32_e32 v16, v16, v18
	v_add_f32_e32 v18, v19, v16
	v_sub_f32_e32 v19, v18, v19
	v_sub_f32_e32 v16, v16, v19
	v_ldexp_f32 v18, v18, v17
	v_ldexp_f32 v16, v16, v17
	v_rcp_f32_e32 v17, v18
	v_cmp_ngt_f32_e64 vcc, |v15|, s19
	v_cmp_lt_f32_e64 s[22:23], |v15|, s20
	v_mul_f32_e32 v19, v18, v17
	v_fma_f32 v20, v17, v18, -v19
	v_fmac_f32_e32 v20, v17, v16
	v_add_f32_e32 v21, v19, v20
	v_sub_f32_e32 v22, 1.0, v21
	v_sub_f32_e32 v23, 1.0, v22
	v_sub_f32_e32 v19, v21, v19
	v_sub_f32_e32 v23, v23, v21
	;; [unrolled: 1-line block ×3, first 2 shown]
	v_add_f32_e32 v19, v19, v23
	v_add_f32_e32 v20, v22, v19
	v_mul_f32_e32 v21, v17, v20
	v_mul_f32_e32 v23, v18, v21
	v_fma_f32 v24, v21, v18, -v23
	v_fmac_f32_e32 v24, v21, v16
	v_sub_f32_e32 v22, v22, v20
	v_add_f32_e32 v19, v19, v22
	v_add_f32_e32 v22, v23, v24
	v_sub_f32_e32 v25, v20, v22
	v_sub_f32_e32 v20, v20, v25
	;; [unrolled: 1-line block ×4, first 2 shown]
	v_add_f32_e32 v19, v19, v20
	v_sub_f32_e32 v20, v23, v24
	v_add_f32_e32 v19, v20, v19
	v_add_f32_e32 v19, v25, v19
	;; [unrolled: 1-line block ×3, first 2 shown]
	v_mul_f32_e32 v19, v17, v19
	v_sub_f32_e32 v17, v20, v17
	v_sub_f32_e32 v17, v21, v17
	v_add_f32_e32 v17, v17, v19
	v_add_f32_e32 v19, v20, v17
	v_sub_f32_e32 v20, v19, v20
	v_ldexp_f32 v19, v19, -2
	v_sub_f32_e32 v17, v17, v20
	v_sub_f32_e32 v20, v18, v19
	;; [unrolled: 1-line block ×4, first 2 shown]
	v_ldexp_f32 v17, v17, -2
	v_add_f32_e32 v16, v16, v18
	v_sub_f32_e32 v16, v16, v17
	v_add_f32_e32 v16, v20, v16
	v_cndmask_b32_e32 v16, v11, v16, vcc
	v_cndmask_b32_e64 v15, v16, |v15|, s[22:23]
	v_cvt_f16_f32_e32 v15, v15
	v_bfi_b32 v4, s21, v15, v4
	v_cvt_f32_f16_e32 v15, v13
	v_add_f32_e64 v16, |v15|, s18
	v_sub_f32_e64 v17, v16, |v15|
	v_sub_f32_e32 v18, v17, v16
	v_add_f32_e64 v18, |v15|, v18
	v_add_f32_e32 v17, 0x3f317218, v17
	v_sub_f32_e32 v17, v18, v17
	v_add_f32_e32 v17, 0x3102e308, v17
	v_add_f32_e32 v18, v16, v17
	v_sub_f32_e32 v16, v16, v18
	v_add_f32_e32 v16, v17, v16
	v_mul_f32_e32 v17, 0x3fb8aa3b, v18
	v_rndne_f32_e32 v17, v17
	v_fmac_f32_e32 v18, 0xbf317200, v17
	v_add_f32_e32 v19, v16, v18
	v_sub_f32_e32 v18, v18, v19
	v_add_f32_e32 v16, v16, v18
	v_mul_f32_e32 v18, 0x35bfbc00, v17
	v_sub_f32_e32 v20, v19, v18
	v_sub_f32_e32 v19, v19, v20
	;; [unrolled: 1-line block ×3, first 2 shown]
	v_add_f32_e32 v16, v16, v18
	v_add_f32_e32 v18, v20, v16
	v_sub_f32_e32 v19, v20, v18
	v_add_f32_e32 v16, v16, v19
	v_mul_f32_e32 v19, 0x2ea39ef3, v17
	v_sub_f32_e32 v20, v18, v19
	v_sub_f32_e32 v18, v18, v20
	;; [unrolled: 1-line block ×3, first 2 shown]
	v_add_f32_e32 v16, v16, v18
	v_add_f32_e32 v18, v20, v16
	v_sub_f32_e32 v20, v20, v18
	v_mov_b32_e32 v19, 0x3c091de6
	v_add_f32_e32 v16, v16, v20
	v_mul_f32_e32 v21, v18, v18
	v_fmac_f32_e32 v19, 0x3ab42872, v18
	v_add_f32_e32 v20, v16, v16
	v_fma_f32 v22, v18, v18, -v21
	v_fma_f32 v19, v18, v19, v8
	v_fmac_f32_e32 v22, v18, v20
	v_fma_f32 v19, v18, v19, v9
	v_add_f32_e32 v20, v21, v22
	v_fma_f32 v19, v18, v19, v10
	v_sub_f32_e32 v21, v20, v21
	v_sub_f32_e32 v21, v22, v21
	v_mul_f32_e32 v22, v19, v20
	v_fma_f32 v20, v20, v19, -v22
	v_fmac_f32_e32 v20, v21, v19
	v_add_f32_e32 v19, v22, v20
	v_sub_f32_e32 v21, v19, v22
	v_sub_f32_e32 v20, v20, v21
	v_add_f32_e32 v21, v18, v19
	v_sub_f32_e32 v18, v21, v18
	v_sub_f32_e32 v18, v19, v18
	v_add_f32_e32 v16, v16, v20
	v_add_f32_e32 v16, v16, v18
	;; [unrolled: 1-line block ×3, first 2 shown]
	v_sub_f32_e32 v19, v18, v21
	v_sub_f32_e32 v16, v16, v19
	v_add_f32_e32 v19, 1.0, v18
	v_add_f32_e32 v20, -1.0, v19
	v_sub_f32_e32 v18, v18, v20
	v_cvt_i32_f32_e32 v17, v17
	v_add_f32_e32 v16, v16, v18
	v_add_f32_e32 v18, v19, v16
	v_sub_f32_e32 v19, v18, v19
	v_sub_f32_e32 v16, v16, v19
	v_ldexp_f32 v18, v18, v17
	v_ldexp_f32 v16, v16, v17
	v_rcp_f32_e32 v17, v18
	v_cmp_ngt_f32_e64 vcc, |v15|, s19
	v_cmp_lt_f32_e64 s[22:23], |v15|, s20
	v_mul_f32_e32 v19, v18, v17
	v_fma_f32 v20, v17, v18, -v19
	v_fmac_f32_e32 v20, v17, v16
	v_add_f32_e32 v21, v19, v20
	v_sub_f32_e32 v22, 1.0, v21
	v_sub_f32_e32 v23, 1.0, v22
	v_sub_f32_e32 v19, v21, v19
	v_sub_f32_e32 v23, v23, v21
	;; [unrolled: 1-line block ×3, first 2 shown]
	v_add_f32_e32 v19, v19, v23
	v_add_f32_e32 v20, v22, v19
	v_mul_f32_e32 v21, v17, v20
	v_mul_f32_e32 v23, v18, v21
	v_fma_f32 v24, v21, v18, -v23
	v_fmac_f32_e32 v24, v21, v16
	v_sub_f32_e32 v22, v22, v20
	v_add_f32_e32 v19, v19, v22
	v_add_f32_e32 v22, v23, v24
	v_sub_f32_e32 v25, v20, v22
	v_sub_f32_e32 v20, v20, v25
	;; [unrolled: 1-line block ×4, first 2 shown]
	v_add_f32_e32 v19, v19, v20
	v_sub_f32_e32 v20, v23, v24
	v_add_f32_e32 v19, v20, v19
	v_add_f32_e32 v19, v25, v19
	v_add_f32_e32 v20, v17, v21
	v_mul_f32_e32 v19, v17, v19
	v_sub_f32_e32 v17, v20, v17
	v_sub_f32_e32 v17, v21, v17
	v_add_f32_e32 v17, v17, v19
	v_add_f32_e32 v19, v20, v17
	v_sub_f32_e32 v20, v19, v20
	v_ldexp_f32 v19, v19, -2
	v_sub_f32_e32 v17, v17, v20
	v_sub_f32_e32 v20, v18, v19
	;; [unrolled: 1-line block ×4, first 2 shown]
	v_ldexp_f32 v17, v17, -2
	v_add_f32_e32 v16, v16, v18
	v_sub_f32_e32 v16, v16, v17
	v_add_f32_e32 v16, v20, v16
	v_cndmask_b32_e32 v16, v11, v16, vcc
	v_cndmask_b32_e64 v15, v16, |v15|, s[22:23]
	v_cvt_f16_f32_e32 v15, v15
	v_bfi_b32 v13, s21, v15, v13
	v_add_co_u32_e32 v15, vcc, s0, v5
	v_addc_co_u32_e32 v16, vcc, v12, v6, vcc
	v_add_co_u32_e32 v1, vcc, s16, v1
	v_pack_b32_f16 v4, v4, v13
	v_addc_co_u32_e32 v2, vcc, 0, v2, vcc
	global_store_dwordx2 v[15:16], v[3:4], off
	v_lshlrev_b64 v[3:4], 2, v[1:2]
	v_add_co_u32_e32 v5, vcc, s17, v5
	v_addc_co_u32_e32 v6, vcc, 0, v6, vcc
	v_cmp_le_i64_e32 vcc, s[10:11], v[3:4]
	s_or_b64 s[14:15], vcc, s[14:15]
	s_andn2_b64 exec, exec, s[14:15]
	s_cbranch_execnz .LBB121_3
.LBB121_4:
	s_or_b64 exec, exec, s[12:13]
	s_mov_b64 s[10:11], 0
.LBB121_5:
	s_andn2_b64 vcc, exec, s[10:11]
	s_cbranch_vccnz .LBB121_25
; %bb.6:
	v_cmp_lt_i64_e64 s[10:11], s[6:7], 1
	s_and_b64 vcc, exec, s[10:11]
	s_cbranch_vccnz .LBB121_25
; %bb.7:
	v_mov_b32_e32 v1, 0x10000
	s_load_dword s12, s[4:5], 0xc5c
	v_mov_b32_e32 v2, 0
	v_cmp_lt_i64_e32 vcc, s[6:7], v[1:2]
	v_mov_b32_e32 v10, 0
	s_and_b64 s[4:5], vcc, exec
	v_cmp_lt_u64_e32 vcc, s[6:7], v[1:2]
	s_cselect_b32 s11, s7, 0
	s_cselect_b32 s10, s6, 0x10000
	s_waitcnt lgkmcnt(0)
	s_and_b32 s14, s12, 0xffff
	v_lshlrev_b32_e32 v9, 1, v0
	s_and_b64 s[4:5], vcc, exec
	v_mov_b32_e32 v2, s3
	v_add_co_u32_e32 v1, vcc, s2, v9
	v_mad_u64_u32 v[7:8], s[4:5], s14, 6, v[9:10]
	v_addc_co_u32_e32 v2, vcc, 0, v2, vcc
	v_mov_b32_e32 v4, s1
	v_add_co_u32_e32 v3, vcc, s0, v9
	v_addc_co_u32_e32 v4, vcc, 0, v4, vcc
	v_mov_b32_e32 v6, s3
	v_add_co_u32_e32 v5, vcc, s2, v7
	;; [unrolled: 3-line block ×3, first 2 shown]
	s_cselect_b32 s13, s7, 0
	s_cselect_b32 s12, s6, 0x10000
	s_lshl_b32 s18, s14, 2
	v_addc_co_u32_e32 v8, vcc, v10, v8, vcc
	v_add_co_u32_e32 v11, vcc, s18, v9
	v_addc_co_u32_e64 v12, s[4:5], 0, 0, vcc
	v_mov_b32_e32 v10, s3
	v_add_co_u32_e32 v9, vcc, s2, v11
	v_addc_co_u32_e32 v10, vcc, v10, v12, vcc
	v_mov_b32_e32 v13, s1
	v_add_co_u32_e32 v11, vcc, s0, v11
	v_addc_co_u32_e32 v12, vcc, v13, v12, vcc
	v_add_co_u32_e32 v13, vcc, s14, v0
	v_lshlrev_b32_e32 v17, 1, v13
	v_addc_co_u32_e64 v14, s[4:5], 0, 0, vcc
	v_mov_b32_e32 v16, s3
	v_add_co_u32_e32 v15, vcc, s2, v17
	v_addc_co_u32_e32 v16, vcc, 0, v16, vcc
	v_mov_b32_e32 v18, s1
	v_add_co_u32_e32 v17, vcc, s0, v17
	s_mul_i32 s7, s14, 3
	v_addc_co_u32_e32 v18, vcc, 0, v18, vcc
	s_lshl_b32 s6, s14, 1
	v_add_co_u32_e32 v19, vcc, s7, v0
	v_addc_co_u32_e64 v20, s[0:1], 0, 0, vcc
	v_add_co_u32_e32 v21, vcc, s6, v0
	s_lshl_b32 s19, s14, 3
	s_mov_b64 s[14:15], 0
	s_mov_b32 s20, 0x39800000
	s_mov_b32 s21, 0xbf317218
	;; [unrolled: 1-line block ×3, first 2 shown]
	s_movk_i32 s23, 0x7fff
	v_addc_co_u32_e64 v22, s[0:1], 0, 0, vcc
	v_mov_b32_e32 v23, 0x3d2aadcc
	v_mov_b32_e32 v24, 0x3e2aaa47
	;; [unrolled: 1-line block ×4, first 2 shown]
	s_branch .LBB121_9
.LBB121_8:                              ;   in Loop: Header=BB121_9 Depth=1
	s_or_b64 exec, exec, s[0:1]
	v_add_co_u32_e32 v1, vcc, s19, v1
	v_addc_co_u32_e32 v2, vcc, 0, v2, vcc
	v_add_co_u32_e32 v3, vcc, s19, v3
	v_addc_co_u32_e32 v4, vcc, 0, v4, vcc
	;; [unrolled: 2-line block ×6, first 2 shown]
	s_add_u32 s14, s14, s18
	v_add_co_u32_e32 v15, vcc, s19, v15
	v_mov_b32_e32 v28, s11
	s_addc_u32 s15, s15, 0
	v_addc_co_u32_e32 v16, vcc, 0, v16, vcc
	v_mov_b32_e32 v27, s10
	v_cmp_ge_i64_e32 vcc, s[14:15], v[27:28]
	v_add_co_u32_e64 v17, s[0:1], s19, v17
	v_addc_co_u32_e64 v18, s[0:1], 0, v18, s[0:1]
	s_cbranch_vccnz .LBB121_25
.LBB121_9:                              ; =>This Inner Loop Header: Depth=1
	v_mov_b32_e32 v28, s15
	v_add_co_u32_e32 v27, vcc, s14, v0
	v_addc_co_u32_e32 v28, vcc, 0, v28, vcc
	v_cmp_gt_u64_e64 s[4:5], s[12:13], v[27:28]
	v_mov_b32_e32 v30, 0
	s_and_saveexec_b64 s[0:1], s[4:5]
	s_cbranch_execz .LBB121_11
; %bb.10:                               ;   in Loop: Header=BB121_9 Depth=1
	v_mov_b32_e32 v28, s9
	v_add_co_u32_e32 v27, vcc, s8, v1
	v_addc_co_u32_e32 v28, vcc, v2, v28, vcc
	global_load_ushort v27, v[27:28], off
	s_waitcnt vmcnt(0)
	v_cvt_f32_f16_e32 v30, v27
.LBB121_11:                             ;   in Loop: Header=BB121_9 Depth=1
	s_or_b64 exec, exec, s[0:1]
	v_mov_b32_e32 v28, s15
	v_add_co_u32_e32 v27, vcc, s14, v13
	v_addc_co_u32_e32 v28, vcc, v14, v28, vcc
	v_cmp_gt_u64_e64 s[2:3], s[12:13], v[27:28]
	v_mov_b32_e32 v28, 0
	v_mov_b32_e32 v29, 0
	s_and_saveexec_b64 s[0:1], s[2:3]
	s_cbranch_execz .LBB121_13
; %bb.12:                               ;   in Loop: Header=BB121_9 Depth=1
	v_mov_b32_e32 v27, s9
	v_add_co_u32_e32 v31, vcc, s8, v15
	v_addc_co_u32_e32 v32, vcc, v16, v27, vcc
	global_load_ushort v27, v[31:32], off
	s_waitcnt vmcnt(0)
	v_cvt_f32_f16_e32 v29, v27
.LBB121_13:                             ;   in Loop: Header=BB121_9 Depth=1
	s_or_b64 exec, exec, s[0:1]
	v_mov_b32_e32 v27, s15
	v_add_co_u32_e32 v31, vcc, s14, v21
	v_addc_co_u32_e32 v32, vcc, v22, v27, vcc
	v_cmp_gt_u64_e64 s[0:1], s[12:13], v[31:32]
	s_and_saveexec_b64 s[6:7], s[0:1]
	s_cbranch_execz .LBB121_15
; %bb.14:                               ;   in Loop: Header=BB121_9 Depth=1
	v_mov_b32_e32 v28, s9
	v_add_co_u32_e32 v27, vcc, s8, v9
	v_addc_co_u32_e32 v28, vcc, v10, v28, vcc
	global_load_ushort v27, v[27:28], off
	s_waitcnt vmcnt(0)
	v_cvt_f32_f16_e32 v28, v27
.LBB121_15:                             ;   in Loop: Header=BB121_9 Depth=1
	s_or_b64 exec, exec, s[6:7]
	v_mov_b32_e32 v27, s15
	v_add_co_u32_e32 v31, vcc, s14, v19
	v_addc_co_u32_e32 v32, vcc, v20, v27, vcc
	v_cmp_gt_u64_e32 vcc, s[12:13], v[31:32]
	v_mov_b32_e32 v27, 0
	s_and_saveexec_b64 s[16:17], vcc
	s_cbranch_execnz .LBB121_20
; %bb.16:                               ;   in Loop: Header=BB121_9 Depth=1
	s_or_b64 exec, exec, s[16:17]
	s_and_saveexec_b64 s[6:7], s[4:5]
	s_cbranch_execnz .LBB121_21
.LBB121_17:                             ;   in Loop: Header=BB121_9 Depth=1
	s_or_b64 exec, exec, s[6:7]
	s_and_saveexec_b64 s[4:5], s[2:3]
	s_cbranch_execnz .LBB121_22
.LBB121_18:                             ;   in Loop: Header=BB121_9 Depth=1
	s_or_b64 exec, exec, s[4:5]
	s_and_saveexec_b64 s[2:3], s[0:1]
	s_cbranch_execnz .LBB121_23
.LBB121_19:                             ;   in Loop: Header=BB121_9 Depth=1
	s_or_b64 exec, exec, s[2:3]
	s_and_saveexec_b64 s[0:1], vcc
	s_cbranch_execz .LBB121_8
	s_branch .LBB121_24
.LBB121_20:                             ;   in Loop: Header=BB121_9 Depth=1
	v_mov_b32_e32 v27, s9
	v_add_co_u32_e64 v31, s[6:7], s8, v5
	v_addc_co_u32_e64 v32, s[6:7], v6, v27, s[6:7]
	global_load_ushort v27, v[31:32], off
	s_waitcnt vmcnt(0)
	v_cvt_f32_f16_e32 v27, v27
	s_or_b64 exec, exec, s[16:17]
	s_and_saveexec_b64 s[6:7], s[4:5]
	s_cbranch_execz .LBB121_17
.LBB121_21:                             ;   in Loop: Header=BB121_9 Depth=1
	v_add_f32_e64 v31, |v30|, s21
	v_sub_f32_e64 v32, v31, |v30|
	v_sub_f32_e32 v33, v32, v31
	v_add_f32_e64 v33, |v30|, v33
	v_add_f32_e32 v32, 0x3f317218, v32
	v_sub_f32_e32 v32, v33, v32
	v_add_f32_e32 v32, 0x3102e308, v32
	v_add_f32_e32 v33, v31, v32
	v_sub_f32_e32 v31, v31, v33
	v_add_f32_e32 v31, v32, v31
	v_mul_f32_e32 v32, 0x3fb8aa3b, v33
	v_rndne_f32_e32 v32, v32
	v_fmac_f32_e32 v33, 0xbf317200, v32
	v_add_f32_e32 v34, v31, v33
	v_mul_f32_e32 v35, 0x35bfbc00, v32
	v_sub_f32_e32 v36, v34, v35
	v_sub_f32_e32 v33, v33, v34
	v_add_f32_e32 v31, v31, v33
	v_sub_f32_e32 v33, v34, v36
	v_sub_f32_e32 v33, v33, v35
	v_add_f32_e32 v31, v31, v33
	v_add_f32_e32 v33, v36, v31
	v_mul_f32_e32 v34, 0x2ea39ef3, v32
	v_sub_f32_e32 v35, v33, v34
	v_sub_f32_e32 v36, v36, v33
	;; [unrolled: 1-line block ×3, first 2 shown]
	v_add_f32_e32 v31, v31, v36
	v_sub_f32_e32 v33, v33, v34
	v_add_f32_e32 v31, v31, v33
	v_add_f32_e32 v33, v35, v31
	v_mov_b32_e32 v34, 0x3c091de6
	v_sub_f32_e32 v35, v35, v33
	v_fmac_f32_e32 v34, 0x3ab42872, v33
	v_mul_f32_e32 v36, v33, v33
	v_add_f32_e32 v31, v31, v35
	v_fma_f32 v34, v33, v34, v23
	v_add_f32_e32 v35, v31, v31
	v_fma_f32 v37, v33, v33, -v36
	v_fma_f32 v34, v33, v34, v24
	v_fmac_f32_e32 v37, v33, v35
	v_fma_f32 v34, v33, v34, v25
	v_add_f32_e32 v35, v36, v37
	v_mul_f32_e32 v38, v34, v35
	v_sub_f32_e32 v36, v35, v36
	v_sub_f32_e32 v36, v37, v36
	v_fma_f32 v35, v35, v34, -v38
	v_fmac_f32_e32 v35, v36, v34
	v_add_f32_e32 v34, v38, v35
	v_add_f32_e32 v36, v33, v34
	v_sub_f32_e32 v37, v34, v38
	v_sub_f32_e32 v35, v35, v37
	;; [unrolled: 1-line block ×3, first 2 shown]
	v_add_f32_e32 v31, v31, v35
	v_sub_f32_e32 v33, v34, v33
	v_add_f32_e32 v31, v31, v33
	v_add_f32_e32 v33, v36, v31
	v_add_f32_e32 v34, 1.0, v33
	v_sub_f32_e32 v35, v33, v36
	v_sub_f32_e32 v31, v31, v35
	v_add_f32_e32 v35, -1.0, v34
	v_cvt_i32_f32_e32 v32, v32
	v_sub_f32_e32 v33, v33, v35
	v_add_f32_e32 v31, v31, v33
	v_add_f32_e32 v33, v34, v31
	v_ldexp_f32 v35, v33, v32
	v_rcp_f32_e32 v36, v35
	v_sub_f32_e32 v33, v33, v34
	v_sub_f32_e32 v31, v31, v33
	v_ldexp_f32 v31, v31, v32
	v_mul_f32_e32 v37, v35, v36
	v_fma_f32 v32, v36, v35, -v37
	v_fmac_f32_e32 v32, v36, v31
	v_add_f32_e32 v33, v37, v32
	v_sub_f32_e32 v34, 1.0, v33
	v_sub_f32_e32 v37, v33, v37
	v_sub_f32_e32 v32, v37, v32
	v_sub_f32_e32 v37, 1.0, v34
	v_sub_f32_e32 v33, v37, v33
	v_add_f32_e32 v32, v32, v33
	v_add_f32_e32 v33, v34, v32
	v_mul_f32_e32 v37, v36, v33
	v_mul_f32_e32 v40, v35, v37
	v_add_f32_e32 v38, v36, v37
	v_fma_f32 v41, v37, v35, -v40
	v_sub_f32_e32 v39, v38, v36
	v_fmac_f32_e32 v41, v37, v31
	v_sub_f32_e32 v39, v37, v39
	v_add_f32_e32 v37, v40, v41
	v_sub_f32_e32 v42, v33, v37
	v_sub_f32_e32 v34, v34, v33
	;; [unrolled: 1-line block ×4, first 2 shown]
	v_add_f32_e32 v32, v32, v34
	v_sub_f32_e32 v33, v33, v37
	v_sub_f32_e32 v40, v40, v41
	v_add_f32_e32 v32, v32, v33
	v_add_f32_e32 v32, v40, v32
	;; [unrolled: 1-line block ×3, first 2 shown]
	v_mul_f32_e32 v32, v36, v32
	v_add_f32_e32 v32, v39, v32
	v_add_f32_e32 v33, v38, v32
	v_ldexp_f32 v34, v33, -2
	v_sub_f32_e32 v36, v35, v34
	v_sub_f32_e32 v35, v35, v36
	;; [unrolled: 1-line block ×5, first 2 shown]
	v_add_f32_e32 v31, v31, v34
	v_ldexp_f32 v32, v32, -2
	v_sub_f32_e32 v31, v31, v32
	v_add_f32_e32 v31, v36, v31
	v_cmp_ngt_f32_e64 s[4:5], |v30|, s22
	v_cndmask_b32_e64 v31, v26, v31, s[4:5]
	v_cmp_lt_f32_e64 s[4:5], |v30|, s20
	v_cndmask_b32_e64 v31, v31, |v30|, s[4:5]
	v_cvt_f16_f32_e32 v31, v31
	v_lshrrev_b32_e32 v30, 16, v30
	v_bfi_b32 v32, s23, v31, v30
	v_mov_b32_e32 v31, s9
	v_add_co_u32_e64 v30, s[4:5], s8, v3
	v_addc_co_u32_e64 v31, s[4:5], v4, v31, s[4:5]
	global_store_short v[30:31], v32, off
	s_or_b64 exec, exec, s[6:7]
	s_and_saveexec_b64 s[4:5], s[2:3]
	s_cbranch_execz .LBB121_18
.LBB121_22:                             ;   in Loop: Header=BB121_9 Depth=1
	v_add_f32_e64 v30, |v29|, s21
	v_sub_f32_e64 v31, v30, |v29|
	v_sub_f32_e32 v32, v31, v30
	v_add_f32_e64 v32, |v29|, v32
	v_add_f32_e32 v31, 0x3f317218, v31
	v_sub_f32_e32 v31, v32, v31
	v_add_f32_e32 v31, 0x3102e308, v31
	v_add_f32_e32 v32, v30, v31
	v_sub_f32_e32 v30, v30, v32
	v_add_f32_e32 v30, v31, v30
	v_mul_f32_e32 v31, 0x3fb8aa3b, v32
	v_rndne_f32_e32 v31, v31
	v_fmac_f32_e32 v32, 0xbf317200, v31
	v_add_f32_e32 v33, v30, v32
	v_sub_f32_e32 v32, v32, v33
	v_add_f32_e32 v30, v30, v32
	v_mul_f32_e32 v32, 0x35bfbc00, v31
	v_sub_f32_e32 v34, v33, v32
	v_sub_f32_e32 v33, v33, v34
	;; [unrolled: 1-line block ×3, first 2 shown]
	v_add_f32_e32 v30, v30, v32
	v_add_f32_e32 v32, v34, v30
	v_sub_f32_e32 v33, v34, v32
	v_add_f32_e32 v30, v30, v33
	v_mul_f32_e32 v33, 0x2ea39ef3, v31
	v_sub_f32_e32 v34, v32, v33
	v_sub_f32_e32 v32, v32, v34
	;; [unrolled: 1-line block ×3, first 2 shown]
	v_add_f32_e32 v30, v30, v32
	v_add_f32_e32 v32, v34, v30
	v_sub_f32_e32 v34, v34, v32
	v_mov_b32_e32 v33, 0x3c091de6
	v_add_f32_e32 v30, v30, v34
	v_mul_f32_e32 v35, v32, v32
	v_fmac_f32_e32 v33, 0x3ab42872, v32
	v_add_f32_e32 v34, v30, v30
	v_fma_f32 v36, v32, v32, -v35
	v_fma_f32 v33, v32, v33, v23
	v_fmac_f32_e32 v36, v32, v34
	v_fma_f32 v33, v32, v33, v24
	v_add_f32_e32 v34, v35, v36
	v_fma_f32 v33, v32, v33, v25
	v_sub_f32_e32 v35, v34, v35
	v_sub_f32_e32 v35, v36, v35
	v_mul_f32_e32 v36, v33, v34
	v_fma_f32 v34, v34, v33, -v36
	v_fmac_f32_e32 v34, v35, v33
	v_add_f32_e32 v33, v36, v34
	v_sub_f32_e32 v35, v33, v36
	v_sub_f32_e32 v34, v34, v35
	v_add_f32_e32 v35, v32, v33
	v_sub_f32_e32 v32, v35, v32
	v_sub_f32_e32 v32, v33, v32
	v_add_f32_e32 v30, v30, v34
	v_add_f32_e32 v30, v30, v32
	;; [unrolled: 1-line block ×3, first 2 shown]
	v_sub_f32_e32 v33, v32, v35
	v_sub_f32_e32 v30, v30, v33
	v_add_f32_e32 v33, 1.0, v32
	v_add_f32_e32 v34, -1.0, v33
	v_cvt_i32_f32_e32 v31, v31
	v_sub_f32_e32 v32, v32, v34
	v_add_f32_e32 v30, v30, v32
	v_add_f32_e32 v32, v33, v30
	v_ldexp_f32 v34, v32, v31
	v_rcp_f32_e32 v35, v34
	v_sub_f32_e32 v32, v32, v33
	v_sub_f32_e32 v30, v30, v32
	v_ldexp_f32 v30, v30, v31
	v_mul_f32_e32 v31, v34, v35
	v_fma_f32 v32, v35, v34, -v31
	v_fmac_f32_e32 v32, v35, v30
	v_add_f32_e32 v33, v31, v32
	v_sub_f32_e32 v36, 1.0, v33
	v_sub_f32_e32 v37, 1.0, v36
	v_sub_f32_e32 v31, v33, v31
	v_sub_f32_e32 v37, v37, v33
	;; [unrolled: 1-line block ×3, first 2 shown]
	v_add_f32_e32 v31, v31, v37
	v_add_f32_e32 v32, v36, v31
	v_mul_f32_e32 v33, v35, v32
	v_mul_f32_e32 v37, v34, v33
	v_fma_f32 v38, v33, v34, -v37
	v_fmac_f32_e32 v38, v33, v30
	v_sub_f32_e32 v36, v36, v32
	v_add_f32_e32 v31, v31, v36
	v_add_f32_e32 v36, v37, v38
	v_sub_f32_e32 v39, v32, v36
	v_sub_f32_e32 v32, v32, v39
	;; [unrolled: 1-line block ×4, first 2 shown]
	v_add_f32_e32 v31, v31, v32
	v_sub_f32_e32 v32, v37, v38
	v_add_f32_e32 v31, v32, v31
	v_add_f32_e32 v31, v39, v31
	;; [unrolled: 1-line block ×3, first 2 shown]
	v_mul_f32_e32 v31, v35, v31
	v_sub_f32_e32 v35, v32, v35
	v_sub_f32_e32 v33, v33, v35
	v_add_f32_e32 v31, v33, v31
	v_add_f32_e32 v33, v32, v31
	v_sub_f32_e32 v32, v33, v32
	v_sub_f32_e32 v31, v31, v32
	v_ldexp_f32 v32, v33, -2
	v_sub_f32_e32 v33, v34, v32
	v_sub_f32_e32 v34, v34, v33
	;; [unrolled: 1-line block ×3, first 2 shown]
	v_ldexp_f32 v31, v31, -2
	v_add_f32_e32 v30, v30, v32
	v_sub_f32_e32 v30, v30, v31
	v_add_f32_e32 v30, v33, v30
	v_cmp_ngt_f32_e64 s[2:3], |v29|, s22
	v_cndmask_b32_e64 v30, v26, v30, s[2:3]
	v_cmp_lt_f32_e64 s[2:3], |v29|, s20
	v_cndmask_b32_e64 v30, v30, |v29|, s[2:3]
	v_cvt_f16_f32_e32 v30, v30
	v_lshrrev_b32_e32 v29, 16, v29
	v_bfi_b32 v31, s23, v30, v29
	v_mov_b32_e32 v30, s9
	v_add_co_u32_e64 v29, s[2:3], s8, v17
	v_addc_co_u32_e64 v30, s[2:3], v18, v30, s[2:3]
	global_store_short v[29:30], v31, off
	s_or_b64 exec, exec, s[4:5]
	s_and_saveexec_b64 s[2:3], s[0:1]
	s_cbranch_execz .LBB121_19
.LBB121_23:                             ;   in Loop: Header=BB121_9 Depth=1
	v_add_f32_e64 v29, |v28|, s21
	v_sub_f32_e64 v30, v29, |v28|
	v_sub_f32_e32 v31, v30, v29
	v_add_f32_e64 v31, |v28|, v31
	v_add_f32_e32 v30, 0x3f317218, v30
	v_sub_f32_e32 v30, v31, v30
	v_add_f32_e32 v30, 0x3102e308, v30
	v_add_f32_e32 v31, v29, v30
	v_sub_f32_e32 v29, v29, v31
	v_add_f32_e32 v29, v30, v29
	v_mul_f32_e32 v30, 0x3fb8aa3b, v31
	v_rndne_f32_e32 v30, v30
	v_fmac_f32_e32 v31, 0xbf317200, v30
	v_add_f32_e32 v32, v29, v31
	v_sub_f32_e32 v31, v31, v32
	v_add_f32_e32 v29, v29, v31
	v_mul_f32_e32 v31, 0x35bfbc00, v30
	v_sub_f32_e32 v33, v32, v31
	v_sub_f32_e32 v32, v32, v33
	;; [unrolled: 1-line block ×3, first 2 shown]
	v_add_f32_e32 v29, v29, v31
	v_add_f32_e32 v31, v33, v29
	v_sub_f32_e32 v32, v33, v31
	v_add_f32_e32 v29, v29, v32
	v_mul_f32_e32 v32, 0x2ea39ef3, v30
	v_sub_f32_e32 v33, v31, v32
	v_sub_f32_e32 v31, v31, v33
	;; [unrolled: 1-line block ×3, first 2 shown]
	v_add_f32_e32 v29, v29, v31
	v_add_f32_e32 v31, v33, v29
	v_sub_f32_e32 v33, v33, v31
	v_mov_b32_e32 v32, 0x3c091de6
	v_add_f32_e32 v29, v29, v33
	v_mul_f32_e32 v34, v31, v31
	v_fmac_f32_e32 v32, 0x3ab42872, v31
	v_add_f32_e32 v33, v29, v29
	v_fma_f32 v35, v31, v31, -v34
	v_fma_f32 v32, v31, v32, v23
	v_fmac_f32_e32 v35, v31, v33
	v_fma_f32 v32, v31, v32, v24
	v_add_f32_e32 v33, v34, v35
	v_fma_f32 v32, v31, v32, v25
	v_sub_f32_e32 v34, v33, v34
	v_sub_f32_e32 v34, v35, v34
	v_mul_f32_e32 v35, v32, v33
	v_fma_f32 v33, v33, v32, -v35
	v_fmac_f32_e32 v33, v34, v32
	v_add_f32_e32 v32, v35, v33
	v_sub_f32_e32 v34, v32, v35
	v_sub_f32_e32 v33, v33, v34
	v_add_f32_e32 v34, v31, v32
	v_sub_f32_e32 v31, v34, v31
	v_sub_f32_e32 v31, v32, v31
	v_add_f32_e32 v29, v29, v33
	v_add_f32_e32 v29, v29, v31
	;; [unrolled: 1-line block ×3, first 2 shown]
	v_sub_f32_e32 v32, v31, v34
	v_sub_f32_e32 v29, v29, v32
	v_add_f32_e32 v32, 1.0, v31
	v_add_f32_e32 v33, -1.0, v32
	v_cvt_i32_f32_e32 v30, v30
	v_sub_f32_e32 v31, v31, v33
	v_add_f32_e32 v29, v29, v31
	v_add_f32_e32 v31, v32, v29
	v_ldexp_f32 v33, v31, v30
	v_rcp_f32_e32 v34, v33
	v_sub_f32_e32 v31, v31, v32
	v_sub_f32_e32 v29, v29, v31
	v_ldexp_f32 v29, v29, v30
	v_mul_f32_e32 v30, v33, v34
	v_fma_f32 v31, v34, v33, -v30
	v_fmac_f32_e32 v31, v34, v29
	v_add_f32_e32 v32, v30, v31
	v_sub_f32_e32 v35, 1.0, v32
	v_sub_f32_e32 v36, 1.0, v35
	v_sub_f32_e32 v30, v32, v30
	v_sub_f32_e32 v36, v36, v32
	;; [unrolled: 1-line block ×3, first 2 shown]
	v_add_f32_e32 v30, v30, v36
	v_add_f32_e32 v31, v35, v30
	v_mul_f32_e32 v32, v34, v31
	v_mul_f32_e32 v36, v33, v32
	v_fma_f32 v37, v32, v33, -v36
	v_fmac_f32_e32 v37, v32, v29
	v_sub_f32_e32 v35, v35, v31
	v_add_f32_e32 v30, v30, v35
	v_add_f32_e32 v35, v36, v37
	v_sub_f32_e32 v38, v31, v35
	v_sub_f32_e32 v31, v31, v38
	;; [unrolled: 1-line block ×4, first 2 shown]
	v_add_f32_e32 v30, v30, v31
	v_sub_f32_e32 v31, v36, v37
	v_add_f32_e32 v30, v31, v30
	v_add_f32_e32 v30, v38, v30
	;; [unrolled: 1-line block ×3, first 2 shown]
	v_mul_f32_e32 v30, v34, v30
	v_sub_f32_e32 v34, v31, v34
	v_sub_f32_e32 v32, v32, v34
	v_add_f32_e32 v30, v32, v30
	v_add_f32_e32 v32, v31, v30
	v_sub_f32_e32 v31, v32, v31
	v_sub_f32_e32 v30, v30, v31
	v_ldexp_f32 v31, v32, -2
	v_sub_f32_e32 v32, v33, v31
	v_sub_f32_e32 v33, v33, v32
	;; [unrolled: 1-line block ×3, first 2 shown]
	v_ldexp_f32 v30, v30, -2
	v_add_f32_e32 v29, v29, v31
	v_sub_f32_e32 v29, v29, v30
	v_add_f32_e32 v29, v32, v29
	v_cmp_ngt_f32_e64 s[0:1], |v28|, s22
	v_cndmask_b32_e64 v29, v26, v29, s[0:1]
	v_cmp_lt_f32_e64 s[0:1], |v28|, s20
	v_cndmask_b32_e64 v29, v29, |v28|, s[0:1]
	v_cvt_f16_f32_e32 v29, v29
	v_lshrrev_b32_e32 v28, 16, v28
	v_bfi_b32 v30, s23, v29, v28
	v_mov_b32_e32 v29, s9
	v_add_co_u32_e64 v28, s[0:1], s8, v11
	v_addc_co_u32_e64 v29, s[0:1], v12, v29, s[0:1]
	global_store_short v[28:29], v30, off
	s_or_b64 exec, exec, s[2:3]
	s_and_saveexec_b64 s[0:1], vcc
	s_cbranch_execz .LBB121_8
.LBB121_24:                             ;   in Loop: Header=BB121_9 Depth=1
	v_add_f32_e64 v28, |v27|, s21
	v_sub_f32_e64 v29, v28, |v27|
	v_sub_f32_e32 v30, v29, v28
	v_add_f32_e64 v30, |v27|, v30
	v_add_f32_e32 v29, 0x3f317218, v29
	v_sub_f32_e32 v29, v30, v29
	v_add_f32_e32 v29, 0x3102e308, v29
	v_add_f32_e32 v30, v28, v29
	v_sub_f32_e32 v28, v28, v30
	v_add_f32_e32 v28, v29, v28
	v_mul_f32_e32 v29, 0x3fb8aa3b, v30
	v_rndne_f32_e32 v29, v29
	v_fmac_f32_e32 v30, 0xbf317200, v29
	v_add_f32_e32 v31, v28, v30
	v_sub_f32_e32 v30, v30, v31
	v_add_f32_e32 v28, v28, v30
	v_mul_f32_e32 v30, 0x35bfbc00, v29
	v_sub_f32_e32 v32, v31, v30
	v_sub_f32_e32 v31, v31, v32
	;; [unrolled: 1-line block ×3, first 2 shown]
	v_add_f32_e32 v28, v28, v30
	v_add_f32_e32 v30, v32, v28
	v_sub_f32_e32 v31, v32, v30
	v_add_f32_e32 v28, v28, v31
	v_mul_f32_e32 v31, 0x2ea39ef3, v29
	v_sub_f32_e32 v32, v30, v31
	v_sub_f32_e32 v30, v30, v32
	;; [unrolled: 1-line block ×3, first 2 shown]
	v_add_f32_e32 v28, v28, v30
	v_add_f32_e32 v30, v32, v28
	v_sub_f32_e32 v32, v32, v30
	v_mov_b32_e32 v31, 0x3c091de6
	v_add_f32_e32 v28, v28, v32
	v_mul_f32_e32 v33, v30, v30
	v_fmac_f32_e32 v31, 0x3ab42872, v30
	v_add_f32_e32 v32, v28, v28
	v_fma_f32 v34, v30, v30, -v33
	v_fma_f32 v31, v30, v31, v23
	v_fmac_f32_e32 v34, v30, v32
	v_fma_f32 v31, v30, v31, v24
	v_add_f32_e32 v32, v33, v34
	v_fma_f32 v31, v30, v31, v25
	v_sub_f32_e32 v33, v32, v33
	v_sub_f32_e32 v33, v34, v33
	v_mul_f32_e32 v34, v31, v32
	v_fma_f32 v32, v32, v31, -v34
	v_fmac_f32_e32 v32, v33, v31
	v_add_f32_e32 v31, v34, v32
	v_sub_f32_e32 v33, v31, v34
	v_sub_f32_e32 v32, v32, v33
	v_add_f32_e32 v33, v30, v31
	v_sub_f32_e32 v30, v33, v30
	v_sub_f32_e32 v30, v31, v30
	v_add_f32_e32 v28, v28, v32
	v_add_f32_e32 v28, v28, v30
	v_add_f32_e32 v30, v33, v28
	v_sub_f32_e32 v31, v30, v33
	v_sub_f32_e32 v28, v28, v31
	v_add_f32_e32 v31, 1.0, v30
	v_add_f32_e32 v32, -1.0, v31
	v_cvt_i32_f32_e32 v29, v29
	v_sub_f32_e32 v30, v30, v32
	v_add_f32_e32 v28, v28, v30
	v_add_f32_e32 v30, v31, v28
	v_ldexp_f32 v32, v30, v29
	v_rcp_f32_e32 v33, v32
	v_sub_f32_e32 v30, v30, v31
	v_sub_f32_e32 v28, v28, v30
	v_ldexp_f32 v28, v28, v29
	v_mul_f32_e32 v29, v32, v33
	v_fma_f32 v30, v33, v32, -v29
	v_fmac_f32_e32 v30, v33, v28
	v_add_f32_e32 v31, v29, v30
	v_sub_f32_e32 v34, 1.0, v31
	v_sub_f32_e32 v35, 1.0, v34
	v_sub_f32_e32 v29, v31, v29
	v_sub_f32_e32 v35, v35, v31
	;; [unrolled: 1-line block ×3, first 2 shown]
	v_add_f32_e32 v29, v29, v35
	v_add_f32_e32 v30, v34, v29
	v_mul_f32_e32 v31, v33, v30
	v_mul_f32_e32 v35, v32, v31
	v_fma_f32 v36, v31, v32, -v35
	v_fmac_f32_e32 v36, v31, v28
	v_sub_f32_e32 v34, v34, v30
	v_add_f32_e32 v29, v29, v34
	v_add_f32_e32 v34, v35, v36
	v_sub_f32_e32 v37, v30, v34
	v_sub_f32_e32 v30, v30, v37
	;; [unrolled: 1-line block ×4, first 2 shown]
	v_add_f32_e32 v29, v29, v30
	v_sub_f32_e32 v30, v35, v36
	v_add_f32_e32 v29, v30, v29
	v_add_f32_e32 v29, v37, v29
	;; [unrolled: 1-line block ×3, first 2 shown]
	v_mul_f32_e32 v29, v33, v29
	v_sub_f32_e32 v33, v30, v33
	v_sub_f32_e32 v31, v31, v33
	v_add_f32_e32 v29, v31, v29
	v_add_f32_e32 v31, v30, v29
	v_sub_f32_e32 v30, v31, v30
	v_sub_f32_e32 v29, v29, v30
	v_ldexp_f32 v30, v31, -2
	v_sub_f32_e32 v31, v32, v30
	v_sub_f32_e32 v32, v32, v31
	v_sub_f32_e32 v30, v32, v30
	v_ldexp_f32 v29, v29, -2
	v_add_f32_e32 v28, v28, v30
	v_sub_f32_e32 v28, v28, v29
	v_add_f32_e32 v28, v31, v28
	v_cmp_ngt_f32_e64 vcc, |v27|, s22
	v_cndmask_b32_e32 v28, v26, v28, vcc
	v_cmp_lt_f32_e64 s[2:3], |v27|, s20
	v_cndmask_b32_e64 v28, v28, |v27|, s[2:3]
	v_cvt_f16_f32_e32 v28, v28
	v_lshrrev_b32_e32 v27, 16, v27
	v_bfi_b32 v29, s23, v28, v27
	v_mov_b32_e32 v28, s9
	v_add_co_u32_e32 v27, vcc, s8, v7
	v_addc_co_u32_e32 v28, vcc, v8, v28, vcc
	global_store_short v[27:28], v29, off
	s_branch .LBB121_8
.LBB121_25:
	s_endpgm
	.section	.rodata,"a",@progbits
	.p2align	6, 0x0
	.amdhsa_kernel _ZN2at6native12_GLOBAL__N_125multi_tensor_apply_kernelINS1_18TensorListMetadataILi2EEENS1_14UnaryOpFunctorIN3c104HalfELi2ELi1ELi1EEEJNS0_4SinhIfEEEEEvT_T0_DpT1_
		.amdhsa_group_segment_fixed_size 0
		.amdhsa_private_segment_fixed_size 0
		.amdhsa_kernarg_size 3408
		.amdhsa_user_sgpr_count 6
		.amdhsa_user_sgpr_private_segment_buffer 1
		.amdhsa_user_sgpr_dispatch_ptr 0
		.amdhsa_user_sgpr_queue_ptr 0
		.amdhsa_user_sgpr_kernarg_segment_ptr 1
		.amdhsa_user_sgpr_dispatch_id 0
		.amdhsa_user_sgpr_flat_scratch_init 0
		.amdhsa_user_sgpr_private_segment_size 0
		.amdhsa_uses_dynamic_stack 0
		.amdhsa_system_sgpr_private_segment_wavefront_offset 0
		.amdhsa_system_sgpr_workgroup_id_x 1
		.amdhsa_system_sgpr_workgroup_id_y 0
		.amdhsa_system_sgpr_workgroup_id_z 0
		.amdhsa_system_sgpr_workgroup_info 0
		.amdhsa_system_vgpr_workitem_id 0
		.amdhsa_next_free_vgpr 43
		.amdhsa_next_free_sgpr 24
		.amdhsa_reserve_vcc 1
		.amdhsa_reserve_flat_scratch 0
		.amdhsa_float_round_mode_32 0
		.amdhsa_float_round_mode_16_64 0
		.amdhsa_float_denorm_mode_32 3
		.amdhsa_float_denorm_mode_16_64 3
		.amdhsa_dx10_clamp 1
		.amdhsa_ieee_mode 1
		.amdhsa_fp16_overflow 0
		.amdhsa_exception_fp_ieee_invalid_op 0
		.amdhsa_exception_fp_denorm_src 0
		.amdhsa_exception_fp_ieee_div_zero 0
		.amdhsa_exception_fp_ieee_overflow 0
		.amdhsa_exception_fp_ieee_underflow 0
		.amdhsa_exception_fp_ieee_inexact 0
		.amdhsa_exception_int_div_zero 0
	.end_amdhsa_kernel
	.section	.text._ZN2at6native12_GLOBAL__N_125multi_tensor_apply_kernelINS1_18TensorListMetadataILi2EEENS1_14UnaryOpFunctorIN3c104HalfELi2ELi1ELi1EEEJNS0_4SinhIfEEEEEvT_T0_DpT1_,"axG",@progbits,_ZN2at6native12_GLOBAL__N_125multi_tensor_apply_kernelINS1_18TensorListMetadataILi2EEENS1_14UnaryOpFunctorIN3c104HalfELi2ELi1ELi1EEEJNS0_4SinhIfEEEEEvT_T0_DpT1_,comdat
.Lfunc_end121:
	.size	_ZN2at6native12_GLOBAL__N_125multi_tensor_apply_kernelINS1_18TensorListMetadataILi2EEENS1_14UnaryOpFunctorIN3c104HalfELi2ELi1ELi1EEEJNS0_4SinhIfEEEEEvT_T0_DpT1_, .Lfunc_end121-_ZN2at6native12_GLOBAL__N_125multi_tensor_apply_kernelINS1_18TensorListMetadataILi2EEENS1_14UnaryOpFunctorIN3c104HalfELi2ELi1ELi1EEEJNS0_4SinhIfEEEEEvT_T0_DpT1_
                                        ; -- End function
	.set _ZN2at6native12_GLOBAL__N_125multi_tensor_apply_kernelINS1_18TensorListMetadataILi2EEENS1_14UnaryOpFunctorIN3c104HalfELi2ELi1ELi1EEEJNS0_4SinhIfEEEEEvT_T0_DpT1_.num_vgpr, 43
	.set _ZN2at6native12_GLOBAL__N_125multi_tensor_apply_kernelINS1_18TensorListMetadataILi2EEENS1_14UnaryOpFunctorIN3c104HalfELi2ELi1ELi1EEEJNS0_4SinhIfEEEEEvT_T0_DpT1_.num_agpr, 0
	.set _ZN2at6native12_GLOBAL__N_125multi_tensor_apply_kernelINS1_18TensorListMetadataILi2EEENS1_14UnaryOpFunctorIN3c104HalfELi2ELi1ELi1EEEJNS0_4SinhIfEEEEEvT_T0_DpT1_.numbered_sgpr, 24
	.set _ZN2at6native12_GLOBAL__N_125multi_tensor_apply_kernelINS1_18TensorListMetadataILi2EEENS1_14UnaryOpFunctorIN3c104HalfELi2ELi1ELi1EEEJNS0_4SinhIfEEEEEvT_T0_DpT1_.num_named_barrier, 0
	.set _ZN2at6native12_GLOBAL__N_125multi_tensor_apply_kernelINS1_18TensorListMetadataILi2EEENS1_14UnaryOpFunctorIN3c104HalfELi2ELi1ELi1EEEJNS0_4SinhIfEEEEEvT_T0_DpT1_.private_seg_size, 0
	.set _ZN2at6native12_GLOBAL__N_125multi_tensor_apply_kernelINS1_18TensorListMetadataILi2EEENS1_14UnaryOpFunctorIN3c104HalfELi2ELi1ELi1EEEJNS0_4SinhIfEEEEEvT_T0_DpT1_.uses_vcc, 1
	.set _ZN2at6native12_GLOBAL__N_125multi_tensor_apply_kernelINS1_18TensorListMetadataILi2EEENS1_14UnaryOpFunctorIN3c104HalfELi2ELi1ELi1EEEJNS0_4SinhIfEEEEEvT_T0_DpT1_.uses_flat_scratch, 0
	.set _ZN2at6native12_GLOBAL__N_125multi_tensor_apply_kernelINS1_18TensorListMetadataILi2EEENS1_14UnaryOpFunctorIN3c104HalfELi2ELi1ELi1EEEJNS0_4SinhIfEEEEEvT_T0_DpT1_.has_dyn_sized_stack, 0
	.set _ZN2at6native12_GLOBAL__N_125multi_tensor_apply_kernelINS1_18TensorListMetadataILi2EEENS1_14UnaryOpFunctorIN3c104HalfELi2ELi1ELi1EEEJNS0_4SinhIfEEEEEvT_T0_DpT1_.has_recursion, 0
	.set _ZN2at6native12_GLOBAL__N_125multi_tensor_apply_kernelINS1_18TensorListMetadataILi2EEENS1_14UnaryOpFunctorIN3c104HalfELi2ELi1ELi1EEEJNS0_4SinhIfEEEEEvT_T0_DpT1_.has_indirect_call, 0
	.section	.AMDGPU.csdata,"",@progbits
; Kernel info:
; codeLenInByte = 5968
; TotalNumSgprs: 28
; NumVgprs: 43
; ScratchSize: 0
; MemoryBound: 0
; FloatMode: 240
; IeeeMode: 1
; LDSByteSize: 0 bytes/workgroup (compile time only)
; SGPRBlocks: 3
; VGPRBlocks: 10
; NumSGPRsForWavesPerEU: 28
; NumVGPRsForWavesPerEU: 43
; Occupancy: 5
; WaveLimiterHint : 0
; COMPUTE_PGM_RSRC2:SCRATCH_EN: 0
; COMPUTE_PGM_RSRC2:USER_SGPR: 6
; COMPUTE_PGM_RSRC2:TRAP_HANDLER: 0
; COMPUTE_PGM_RSRC2:TGID_X_EN: 1
; COMPUTE_PGM_RSRC2:TGID_Y_EN: 0
; COMPUTE_PGM_RSRC2:TGID_Z_EN: 0
; COMPUTE_PGM_RSRC2:TIDIG_COMP_CNT: 0
	.section	.text._ZN2at6native12_GLOBAL__N_125multi_tensor_apply_kernelINS1_18TensorListMetadataILi2EEENS1_14UnaryOpFunctorIN3c108BFloat16ELi2ELi1ELi1EEEJNS0_4SinhIfEEEEEvT_T0_DpT1_,"axG",@progbits,_ZN2at6native12_GLOBAL__N_125multi_tensor_apply_kernelINS1_18TensorListMetadataILi2EEENS1_14UnaryOpFunctorIN3c108BFloat16ELi2ELi1ELi1EEEJNS0_4SinhIfEEEEEvT_T0_DpT1_,comdat
	.globl	_ZN2at6native12_GLOBAL__N_125multi_tensor_apply_kernelINS1_18TensorListMetadataILi2EEENS1_14UnaryOpFunctorIN3c108BFloat16ELi2ELi1ELi1EEEJNS0_4SinhIfEEEEEvT_T0_DpT1_ ; -- Begin function _ZN2at6native12_GLOBAL__N_125multi_tensor_apply_kernelINS1_18TensorListMetadataILi2EEENS1_14UnaryOpFunctorIN3c108BFloat16ELi2ELi1ELi1EEEJNS0_4SinhIfEEEEEvT_T0_DpT1_
	.p2align	8
	.type	_ZN2at6native12_GLOBAL__N_125multi_tensor_apply_kernelINS1_18TensorListMetadataILi2EEENS1_14UnaryOpFunctorIN3c108BFloat16ELi2ELi1ELi1EEEJNS0_4SinhIfEEEEEvT_T0_DpT1_,@function
_ZN2at6native12_GLOBAL__N_125multi_tensor_apply_kernelINS1_18TensorListMetadataILi2EEENS1_14UnaryOpFunctorIN3c108BFloat16ELi2ELi1ELi1EEEJNS0_4SinhIfEEEEEvT_T0_DpT1_: ; @_ZN2at6native12_GLOBAL__N_125multi_tensor_apply_kernelINS1_18TensorListMetadataILi2EEENS1_14UnaryOpFunctorIN3c108BFloat16ELi2ELi1ELi1EEEJNS0_4SinhIfEEEEEvT_T0_DpT1_
; %bb.0:
	v_mov_b32_e32 v1, s6
	global_load_ubyte v1, v1, s[4:5] offset:1536
	s_add_u32 s0, s4, s6
	s_mul_hi_u32 s1, s6, 3
	s_mul_i32 s6, s6, 3
	s_addc_u32 s2, s5, 0
	s_add_u32 s0, s0, s6
	s_addc_u32 s1, s2, s1
	s_load_dword s6, s[0:1], 0x740
	s_mov_b32 s11, 0
	s_mov_b32 s13, s11
	s_waitcnt vmcnt(0)
	v_readfirstlane_b32 s0, v1
	s_lshl_b32 s7, s0, 3
	s_load_dwordx2 s[14:15], s[4:5], s7 offset:0x400
	s_load_dwordx2 s[2:3], s[4:5], s7 offset:0x0
	;; [unrolled: 1-line block ×3, first 2 shown]
	s_waitcnt lgkmcnt(0)
	s_ashr_i32 s7, s6, 31
	s_lshl_b64 s[8:9], s[6:7], 17
	s_lshl_b64 s[6:7], s[6:7], 16
	s_add_u32 s10, s2, s8
	s_and_b32 s12, s0, 7
	s_and_b32 s10, s10, 7
	s_sub_u32 s6, s14, s6
	s_subb_u32 s7, s15, s7
	s_and_b32 s14, s14, 3
	s_mov_b32 s15, s11
	s_or_b64 s[12:13], s[12:13], s[14:15]
	s_or_b64 s[10:11], s[12:13], s[10:11]
	s_cmp_eq_u64 s[10:11], 0
	s_mov_b64 s[10:11], -1
	s_cbranch_scc0 .LBB122_5
; %bb.1:
	v_mov_b32_e32 v1, 0x10000
	v_mov_b32_e32 v2, 0
	v_cmp_lt_i64_e32 vcc, s[6:7], v[1:2]
	v_mov_b32_e32 v2, 0
	s_and_b64 s[10:11], vcc, exec
	s_cselect_b32 s11, s7, 0
	s_cselect_b32 s10, s6, 0x10000
	v_lshlrev_b32_e32 v1, 2, v0
	v_cmp_gt_i64_e32 vcc, s[10:11], v[1:2]
	s_and_saveexec_b64 s[12:13], vcc
	s_cbranch_execz .LBB122_4
; %bb.2:
	s_load_dword s14, s[4:5], 0xc5c
	v_mov_b32_e32 v1, v2
	v_lshlrev_b32_e32 v2, 3, v0
	v_mov_b32_e32 v3, s9
	v_add_co_u32_e32 v5, vcc, s8, v2
	s_waitcnt lgkmcnt(0)
	s_and_b32 s16, s14, 0xffff
	v_mov_b32_e32 v2, v1
	v_addc_co_u32_e32 v6, vcc, 0, v3, vcc
	s_lshl_b32 s17, s16, 3
	s_mov_b64 s[14:15], 0
	v_mov_b32_e32 v7, s3
	s_mov_b32 s18, 0xbf317218
	v_mov_b32_e32 v8, 0x3d2aadcc
	v_mov_b32_e32 v9, 0x3e2aaa47
	;; [unrolled: 1-line block ×3, first 2 shown]
	s_mov_b32 s19, 0x42b2d4fc
	v_mov_b32_e32 v11, 0x7f800000
	s_mov_b32 s20, 0x39800000
	s_brev_b32 s21, -2
	s_movk_i32 s22, 0x7fff
	v_mov_b32_e32 v12, s1
	v_mov_b32_e32 v13, 0x7fc00000
	;; [unrolled: 1-line block ×4, first 2 shown]
.LBB122_3:                              ; =>This Inner Loop Header: Depth=1
	v_add_co_u32_e32 v3, vcc, s2, v5
	v_addc_co_u32_e32 v4, vcc, v7, v6, vcc
	global_load_dwordx2 v[3:4], v[3:4], off
	s_waitcnt vmcnt(0)
	v_lshlrev_b32_e32 v15, 16, v3
	v_add_f32_e64 v16, |v15|, s18
	v_sub_f32_e64 v18, v16, |v15|
	v_sub_f32_e32 v19, v18, v16
	v_add_f32_e64 v19, |v15|, v19
	v_add_f32_e32 v18, 0x3f317218, v18
	v_sub_f32_e32 v18, v19, v18
	v_add_f32_e32 v18, 0x3102e308, v18
	v_add_f32_e32 v19, v16, v18
	v_sub_f32_e32 v16, v16, v19
	v_add_f32_e32 v16, v18, v16
	v_mul_f32_e32 v18, 0x3fb8aa3b, v19
	v_rndne_f32_e32 v18, v18
	v_fmac_f32_e32 v19, 0xbf317200, v18
	v_add_f32_e32 v20, v16, v19
	v_sub_f32_e32 v19, v19, v20
	v_add_f32_e32 v16, v16, v19
	v_mul_f32_e32 v19, 0x35bfbc00, v18
	v_sub_f32_e32 v21, v20, v19
	v_sub_f32_e32 v20, v20, v21
	;; [unrolled: 1-line block ×3, first 2 shown]
	v_add_f32_e32 v16, v16, v19
	v_add_f32_e32 v19, v21, v16
	v_sub_f32_e32 v20, v21, v19
	v_add_f32_e32 v16, v16, v20
	v_mul_f32_e32 v20, 0x2ea39ef3, v18
	v_sub_f32_e32 v21, v19, v20
	v_sub_f32_e32 v19, v19, v21
	v_sub_f32_e32 v19, v19, v20
	v_add_f32_e32 v16, v16, v19
	v_add_f32_e32 v19, v21, v16
	v_sub_f32_e32 v21, v21, v19
	v_mov_b32_e32 v20, 0x3c091de6
	v_add_f32_e32 v16, v16, v21
	v_mul_f32_e32 v22, v19, v19
	v_fmac_f32_e32 v20, 0x3ab42872, v19
	v_add_f32_e32 v21, v16, v16
	v_fma_f32 v23, v19, v19, -v22
	v_fma_f32 v20, v19, v20, v8
	v_fmac_f32_e32 v23, v19, v21
	v_fma_f32 v20, v19, v20, v9
	v_add_f32_e32 v21, v22, v23
	v_fma_f32 v20, v19, v20, v10
	v_sub_f32_e32 v22, v21, v22
	v_sub_f32_e32 v22, v23, v22
	v_mul_f32_e32 v23, v20, v21
	v_fma_f32 v21, v21, v20, -v23
	v_fmac_f32_e32 v21, v22, v20
	v_add_f32_e32 v20, v23, v21
	v_sub_f32_e32 v22, v20, v23
	v_sub_f32_e32 v21, v21, v22
	v_add_f32_e32 v22, v19, v20
	v_sub_f32_e32 v19, v22, v19
	v_sub_f32_e32 v19, v20, v19
	v_add_f32_e32 v16, v16, v21
	v_add_f32_e32 v16, v16, v19
	;; [unrolled: 1-line block ×3, first 2 shown]
	v_sub_f32_e32 v20, v19, v22
	v_sub_f32_e32 v16, v16, v20
	v_add_f32_e32 v20, 1.0, v19
	v_add_f32_e32 v21, -1.0, v20
	v_sub_f32_e32 v19, v19, v21
	v_cvt_i32_f32_e32 v18, v18
	v_add_f32_e32 v16, v16, v19
	v_add_f32_e32 v19, v20, v16
	v_sub_f32_e32 v20, v19, v20
	v_sub_f32_e32 v16, v16, v20
	v_ldexp_f32 v19, v19, v18
	v_ldexp_f32 v16, v16, v18
	v_rcp_f32_e32 v18, v19
	v_and_b32_e32 v17, 0xffff0000, v3
	v_alignbit_b32 v3, v4, v3, 16
	v_and_b32_e32 v3, 0xffff0000, v3
	v_mul_f32_e32 v20, v19, v18
	v_fma_f32 v21, v18, v19, -v20
	v_fmac_f32_e32 v21, v18, v16
	v_add_f32_e32 v22, v20, v21
	v_sub_f32_e32 v23, 1.0, v22
	v_sub_f32_e32 v24, 1.0, v23
	v_sub_f32_e32 v20, v22, v20
	v_sub_f32_e32 v24, v24, v22
	;; [unrolled: 1-line block ×3, first 2 shown]
	v_add_f32_e32 v20, v20, v24
	v_add_f32_e32 v21, v23, v20
	v_mul_f32_e32 v22, v18, v21
	v_mul_f32_e32 v24, v19, v22
	v_fma_f32 v25, v22, v19, -v24
	v_fmac_f32_e32 v25, v22, v16
	v_sub_f32_e32 v23, v23, v21
	v_add_f32_e32 v20, v20, v23
	v_add_f32_e32 v23, v24, v25
	v_sub_f32_e32 v26, v21, v23
	v_sub_f32_e32 v21, v21, v26
	;; [unrolled: 1-line block ×4, first 2 shown]
	v_add_f32_e32 v20, v20, v21
	v_sub_f32_e32 v21, v24, v25
	v_add_f32_e32 v20, v21, v20
	v_add_f32_e32 v20, v26, v20
	v_add_f32_e32 v21, v18, v22
	v_mul_f32_e32 v20, v18, v20
	v_sub_f32_e32 v18, v21, v18
	v_sub_f32_e32 v18, v22, v18
	v_add_f32_e32 v18, v18, v20
	v_add_f32_e32 v20, v21, v18
	v_sub_f32_e32 v21, v20, v21
	v_ldexp_f32 v20, v20, -2
	v_sub_f32_e32 v18, v18, v21
	v_sub_f32_e32 v21, v19, v20
	;; [unrolled: 1-line block ×4, first 2 shown]
	v_ldexp_f32 v18, v18, -2
	v_add_f32_e32 v16, v16, v19
	v_sub_f32_e32 v16, v16, v18
	v_add_f32_e64 v18, |v17|, s18
	v_sub_f32_e64 v19, v18, |v17|
	v_sub_f32_e32 v20, v19, v18
	v_add_f32_e64 v20, |v17|, v20
	v_add_f32_e32 v19, 0x3f317218, v19
	v_sub_f32_e32 v19, v20, v19
	v_add_f32_e32 v19, 0x3102e308, v19
	v_add_f32_e32 v20, v18, v19
	v_sub_f32_e32 v18, v18, v20
	v_add_f32_e32 v18, v19, v18
	v_mul_f32_e32 v19, 0x3fb8aa3b, v20
	v_rndne_f32_e32 v19, v19
	v_fmac_f32_e32 v20, 0xbf317200, v19
	v_add_f32_e32 v16, v21, v16
	v_add_f32_e32 v21, v18, v20
	v_sub_f32_e32 v20, v20, v21
	v_add_f32_e32 v18, v18, v20
	v_mul_f32_e32 v20, 0x35bfbc00, v19
	v_sub_f32_e32 v22, v21, v20
	v_sub_f32_e32 v21, v21, v22
	;; [unrolled: 1-line block ×3, first 2 shown]
	v_add_f32_e32 v18, v18, v20
	v_add_f32_e32 v20, v22, v18
	v_sub_f32_e32 v21, v22, v20
	v_add_f32_e32 v18, v18, v21
	v_mul_f32_e32 v21, 0x2ea39ef3, v19
	v_sub_f32_e32 v22, v20, v21
	v_sub_f32_e32 v20, v20, v22
	;; [unrolled: 1-line block ×3, first 2 shown]
	v_add_f32_e32 v18, v18, v20
	v_add_f32_e32 v20, v22, v18
	v_sub_f32_e32 v22, v22, v20
	v_mov_b32_e32 v21, 0x3c091de6
	v_add_f32_e32 v18, v18, v22
	v_mul_f32_e32 v23, v20, v20
	v_fmac_f32_e32 v21, 0x3ab42872, v20
	v_add_f32_e32 v22, v18, v18
	v_fma_f32 v24, v20, v20, -v23
	v_fma_f32 v21, v20, v21, v8
	v_fmac_f32_e32 v24, v20, v22
	v_fma_f32 v21, v20, v21, v9
	v_add_f32_e32 v22, v23, v24
	v_fma_f32 v21, v20, v21, v10
	v_sub_f32_e32 v23, v22, v23
	v_sub_f32_e32 v23, v24, v23
	v_mul_f32_e32 v24, v21, v22
	v_fma_f32 v22, v22, v21, -v24
	v_fmac_f32_e32 v22, v23, v21
	v_add_f32_e32 v21, v24, v22
	v_sub_f32_e32 v23, v21, v24
	v_sub_f32_e32 v22, v22, v23
	v_add_f32_e32 v23, v20, v21
	v_sub_f32_e32 v20, v23, v20
	v_sub_f32_e32 v20, v21, v20
	v_add_f32_e32 v18, v18, v22
	v_add_f32_e32 v18, v18, v20
	;; [unrolled: 1-line block ×3, first 2 shown]
	v_sub_f32_e32 v21, v20, v23
	v_sub_f32_e32 v18, v18, v21
	v_add_f32_e32 v21, 1.0, v20
	v_add_f32_e32 v22, -1.0, v21
	v_sub_f32_e32 v20, v20, v22
	v_cvt_i32_f32_e32 v19, v19
	v_add_f32_e32 v18, v18, v20
	v_add_f32_e32 v20, v21, v18
	v_sub_f32_e32 v21, v20, v21
	v_sub_f32_e32 v18, v18, v21
	v_ldexp_f32 v20, v20, v19
	v_ldexp_f32 v18, v18, v19
	v_rcp_f32_e32 v19, v20
	v_cmp_ngt_f32_e64 vcc, |v15|, s19
	v_cndmask_b32_e32 v16, v11, v16, vcc
	v_cmp_lt_f32_e64 s[24:25], |v15|, s20
	v_mul_f32_e32 v21, v20, v19
	v_fma_f32 v22, v19, v20, -v21
	v_fmac_f32_e32 v22, v19, v18
	v_add_f32_e32 v23, v21, v22
	v_sub_f32_e32 v24, 1.0, v23
	v_sub_f32_e32 v25, 1.0, v24
	v_sub_f32_e32 v21, v23, v21
	v_sub_f32_e32 v25, v25, v23
	;; [unrolled: 1-line block ×3, first 2 shown]
	v_add_f32_e32 v21, v21, v25
	v_add_f32_e32 v22, v24, v21
	v_mul_f32_e32 v23, v19, v22
	v_mul_f32_e32 v25, v20, v23
	v_fma_f32 v26, v23, v20, -v25
	v_fmac_f32_e32 v26, v23, v18
	v_sub_f32_e32 v24, v24, v22
	v_add_f32_e32 v21, v21, v24
	v_add_f32_e32 v24, v25, v26
	v_sub_f32_e32 v27, v22, v24
	v_sub_f32_e32 v22, v22, v27
	;; [unrolled: 1-line block ×4, first 2 shown]
	v_add_f32_e32 v21, v21, v22
	v_sub_f32_e32 v22, v25, v26
	v_add_f32_e32 v21, v22, v21
	v_add_f32_e32 v21, v27, v21
	v_add_f32_e32 v22, v19, v23
	v_mul_f32_e32 v21, v19, v21
	v_sub_f32_e32 v19, v22, v19
	v_sub_f32_e32 v19, v23, v19
	v_add_f32_e32 v19, v19, v21
	v_add_f32_e32 v21, v22, v19
	v_sub_f32_e32 v22, v21, v22
	v_ldexp_f32 v21, v21, -2
	v_sub_f32_e32 v19, v19, v22
	v_sub_f32_e32 v22, v20, v21
	;; [unrolled: 1-line block ×4, first 2 shown]
	v_ldexp_f32 v19, v19, -2
	v_add_f32_e32 v18, v18, v20
	v_sub_f32_e32 v18, v18, v19
	v_add_f32_e64 v19, |v3|, s18
	v_sub_f32_e64 v20, v19, |v3|
	v_sub_f32_e32 v21, v20, v19
	v_add_f32_e64 v21, |v3|, v21
	v_add_f32_e32 v20, 0x3f317218, v20
	v_sub_f32_e32 v20, v21, v20
	v_add_f32_e32 v20, 0x3102e308, v20
	v_add_f32_e32 v21, v19, v20
	v_sub_f32_e32 v19, v19, v21
	v_add_f32_e32 v19, v20, v19
	v_mul_f32_e32 v20, 0x3fb8aa3b, v21
	v_rndne_f32_e32 v20, v20
	v_fmac_f32_e32 v21, 0xbf317200, v20
	v_add_f32_e32 v18, v22, v18
	v_add_f32_e32 v22, v19, v21
	v_sub_f32_e32 v21, v21, v22
	v_add_f32_e32 v19, v19, v21
	v_mul_f32_e32 v21, 0x35bfbc00, v20
	v_sub_f32_e32 v23, v22, v21
	v_sub_f32_e32 v22, v22, v23
	;; [unrolled: 1-line block ×3, first 2 shown]
	v_add_f32_e32 v19, v19, v21
	v_add_f32_e32 v21, v23, v19
	v_sub_f32_e32 v22, v23, v21
	v_add_f32_e32 v19, v19, v22
	v_mul_f32_e32 v22, 0x2ea39ef3, v20
	v_sub_f32_e32 v23, v21, v22
	v_sub_f32_e32 v21, v21, v23
	;; [unrolled: 1-line block ×3, first 2 shown]
	v_add_f32_e32 v19, v19, v21
	v_add_f32_e32 v21, v23, v19
	v_sub_f32_e32 v23, v23, v21
	v_mov_b32_e32 v22, 0x3c091de6
	v_add_f32_e32 v19, v19, v23
	v_mul_f32_e32 v24, v21, v21
	v_fmac_f32_e32 v22, 0x3ab42872, v21
	v_add_f32_e32 v23, v19, v19
	v_fma_f32 v25, v21, v21, -v24
	v_fma_f32 v22, v21, v22, v8
	v_fmac_f32_e32 v25, v21, v23
	v_fma_f32 v22, v21, v22, v9
	v_add_f32_e32 v23, v24, v25
	v_fma_f32 v22, v21, v22, v10
	v_sub_f32_e32 v24, v23, v24
	v_sub_f32_e32 v24, v25, v24
	v_mul_f32_e32 v25, v22, v23
	v_fma_f32 v23, v23, v22, -v25
	v_fmac_f32_e32 v23, v24, v22
	v_add_f32_e32 v22, v25, v23
	v_sub_f32_e32 v24, v22, v25
	v_sub_f32_e32 v23, v23, v24
	v_add_f32_e32 v24, v21, v22
	v_sub_f32_e32 v21, v24, v21
	v_sub_f32_e32 v21, v22, v21
	v_add_f32_e32 v19, v19, v23
	v_add_f32_e32 v19, v19, v21
	;; [unrolled: 1-line block ×3, first 2 shown]
	v_sub_f32_e32 v22, v21, v24
	v_sub_f32_e32 v19, v19, v22
	v_add_f32_e32 v22, 1.0, v21
	v_add_f32_e32 v23, -1.0, v22
	v_sub_f32_e32 v21, v21, v23
	v_cvt_i32_f32_e32 v20, v20
	v_add_f32_e32 v19, v19, v21
	v_add_f32_e32 v21, v22, v19
	v_sub_f32_e32 v22, v21, v22
	v_sub_f32_e32 v19, v19, v22
	v_ldexp_f32 v21, v21, v20
	v_ldexp_f32 v19, v19, v20
	v_rcp_f32_e32 v20, v21
	v_cmp_ngt_f32_e64 vcc, |v17|, s19
	v_cndmask_b32_e64 v16, v16, |v15|, s[24:25]
	v_cndmask_b32_e32 v18, v11, v18, vcc
	v_mul_f32_e32 v22, v21, v20
	v_fma_f32 v23, v20, v21, -v22
	v_fmac_f32_e32 v23, v20, v19
	v_add_f32_e32 v24, v22, v23
	v_sub_f32_e32 v25, 1.0, v24
	v_sub_f32_e32 v26, 1.0, v25
	v_sub_f32_e32 v22, v24, v22
	v_sub_f32_e32 v26, v26, v24
	;; [unrolled: 1-line block ×3, first 2 shown]
	v_add_f32_e32 v22, v22, v26
	v_add_f32_e32 v23, v25, v22
	v_mul_f32_e32 v24, v20, v23
	v_mul_f32_e32 v26, v21, v24
	v_fma_f32 v27, v24, v21, -v26
	v_fmac_f32_e32 v27, v24, v19
	v_sub_f32_e32 v25, v25, v23
	v_add_f32_e32 v22, v22, v25
	v_add_f32_e32 v25, v26, v27
	v_sub_f32_e32 v28, v23, v25
	v_sub_f32_e32 v23, v23, v28
	;; [unrolled: 1-line block ×4, first 2 shown]
	v_add_f32_e32 v22, v22, v23
	v_sub_f32_e32 v23, v26, v27
	v_add_f32_e32 v22, v23, v22
	v_add_f32_e32 v22, v28, v22
	;; [unrolled: 1-line block ×3, first 2 shown]
	v_mul_f32_e32 v22, v20, v22
	v_sub_f32_e32 v20, v23, v20
	v_sub_f32_e32 v20, v24, v20
	v_add_f32_e32 v20, v20, v22
	v_add_f32_e32 v22, v23, v20
	v_sub_f32_e32 v23, v22, v23
	v_ldexp_f32 v22, v22, -2
	v_sub_f32_e32 v20, v20, v23
	v_sub_f32_e32 v23, v21, v22
	;; [unrolled: 1-line block ×4, first 2 shown]
	v_ldexp_f32 v20, v20, -2
	v_add_f32_e32 v19, v19, v21
	v_sub_f32_e32 v19, v19, v20
	v_cmp_lt_f32_e64 s[24:25], |v17|, s20
	v_add_f32_e32 v19, v23, v19
	v_cmp_ngt_f32_e64 vcc, |v3|, s19
	v_cndmask_b32_e64 v18, v18, |v17|, s[24:25]
	v_cndmask_b32_e32 v19, v11, v19, vcc
	v_cmp_lt_f32_e64 s[24:25], |v3|, s20
	v_cndmask_b32_e64 v19, v19, |v3|, s[24:25]
	v_bfi_b32 v19, s21, v19, v3
	v_bfe_u32 v3, v19, 16, 1
	v_add3_u32 v3, v19, v3, s22
	v_lshrrev_b32_e32 v20, 16, v3
	v_and_b32_e32 v3, 0xffff0000, v4
	v_add_f32_e64 v4, |v3|, s18
	v_sub_f32_e64 v21, v4, |v3|
	v_sub_f32_e32 v22, v21, v4
	v_add_f32_e64 v22, |v3|, v22
	v_add_f32_e32 v21, 0x3f317218, v21
	v_sub_f32_e32 v21, v22, v21
	v_add_f32_e32 v21, 0x3102e308, v21
	v_add_f32_e32 v22, v4, v21
	v_sub_f32_e32 v4, v4, v22
	v_add_f32_e32 v4, v21, v4
	v_mul_f32_e32 v21, 0x3fb8aa3b, v22
	v_rndne_f32_e32 v21, v21
	v_fmac_f32_e32 v22, 0xbf317200, v21
	v_add_f32_e32 v23, v4, v22
	v_sub_f32_e32 v22, v22, v23
	v_add_f32_e32 v4, v4, v22
	v_mul_f32_e32 v22, 0x35bfbc00, v21
	v_sub_f32_e32 v24, v23, v22
	v_sub_f32_e32 v23, v23, v24
	;; [unrolled: 1-line block ×3, first 2 shown]
	v_add_f32_e32 v4, v4, v22
	v_add_f32_e32 v22, v24, v4
	v_sub_f32_e32 v23, v24, v22
	v_add_f32_e32 v4, v4, v23
	v_mul_f32_e32 v23, 0x2ea39ef3, v21
	v_sub_f32_e32 v24, v22, v23
	v_sub_f32_e32 v22, v22, v24
	;; [unrolled: 1-line block ×3, first 2 shown]
	v_add_f32_e32 v4, v4, v22
	v_add_f32_e32 v22, v24, v4
	v_sub_f32_e32 v24, v24, v22
	v_mov_b32_e32 v23, 0x3c091de6
	v_add_f32_e32 v4, v4, v24
	v_mul_f32_e32 v25, v22, v22
	v_fmac_f32_e32 v23, 0x3ab42872, v22
	v_add_f32_e32 v24, v4, v4
	v_fma_f32 v26, v22, v22, -v25
	v_fma_f32 v23, v22, v23, v8
	v_fmac_f32_e32 v26, v22, v24
	v_fma_f32 v23, v22, v23, v9
	v_add_f32_e32 v24, v25, v26
	v_fma_f32 v23, v22, v23, v10
	v_sub_f32_e32 v25, v24, v25
	v_sub_f32_e32 v25, v26, v25
	v_mul_f32_e32 v26, v23, v24
	v_fma_f32 v24, v24, v23, -v26
	v_fmac_f32_e32 v24, v25, v23
	v_add_f32_e32 v23, v26, v24
	v_sub_f32_e32 v25, v23, v26
	v_sub_f32_e32 v24, v24, v25
	v_add_f32_e32 v25, v22, v23
	v_sub_f32_e32 v22, v25, v22
	v_sub_f32_e32 v22, v23, v22
	v_add_f32_e32 v4, v4, v24
	v_add_f32_e32 v4, v4, v22
	;; [unrolled: 1-line block ×3, first 2 shown]
	v_sub_f32_e32 v23, v22, v25
	v_sub_f32_e32 v4, v4, v23
	v_add_f32_e32 v23, 1.0, v22
	v_add_f32_e32 v24, -1.0, v23
	v_sub_f32_e32 v22, v22, v24
	v_cvt_i32_f32_e32 v21, v21
	v_add_f32_e32 v4, v4, v22
	v_add_f32_e32 v22, v23, v4
	v_sub_f32_e32 v23, v22, v23
	v_sub_f32_e32 v4, v4, v23
	v_ldexp_f32 v22, v22, v21
	v_ldexp_f32 v4, v4, v21
	v_rcp_f32_e32 v21, v22
	v_cmp_ngt_f32_e64 vcc, |v3|, s19
	v_cmp_lt_f32_e64 s[24:25], |v3|, s20
	v_bfi_b32 v17, s21, v18, v17
	v_mul_f32_e32 v23, v22, v21
	v_fma_f32 v24, v21, v22, -v23
	v_fmac_f32_e32 v24, v21, v4
	v_add_f32_e32 v25, v23, v24
	v_sub_f32_e32 v26, 1.0, v25
	v_sub_f32_e32 v27, 1.0, v26
	v_sub_f32_e32 v23, v25, v23
	v_sub_f32_e32 v27, v27, v25
	;; [unrolled: 1-line block ×3, first 2 shown]
	v_add_f32_e32 v23, v23, v27
	v_add_f32_e32 v24, v26, v23
	v_mul_f32_e32 v25, v21, v24
	v_mul_f32_e32 v27, v22, v25
	v_fma_f32 v28, v25, v22, -v27
	v_fmac_f32_e32 v28, v25, v4
	v_sub_f32_e32 v26, v26, v24
	v_add_f32_e32 v23, v23, v26
	v_add_f32_e32 v26, v27, v28
	v_sub_f32_e32 v29, v24, v26
	v_sub_f32_e32 v24, v24, v29
	;; [unrolled: 1-line block ×4, first 2 shown]
	v_add_f32_e32 v23, v23, v24
	v_sub_f32_e32 v24, v27, v28
	v_add_f32_e32 v23, v24, v23
	v_add_f32_e32 v23, v29, v23
	;; [unrolled: 1-line block ×3, first 2 shown]
	v_mul_f32_e32 v23, v21, v23
	v_sub_f32_e32 v21, v24, v21
	v_sub_f32_e32 v21, v25, v21
	v_add_f32_e32 v21, v21, v23
	v_add_f32_e32 v23, v24, v21
	v_sub_f32_e32 v24, v23, v24
	v_ldexp_f32 v23, v23, -2
	v_sub_f32_e32 v21, v21, v24
	v_sub_f32_e32 v24, v22, v23
	;; [unrolled: 1-line block ×4, first 2 shown]
	v_ldexp_f32 v21, v21, -2
	v_add_f32_e32 v4, v4, v22
	v_sub_f32_e32 v4, v4, v21
	v_add_f32_e32 v4, v24, v4
	v_cndmask_b32_e32 v4, v11, v4, vcc
	v_cndmask_b32_e64 v4, v4, |v3|, s[24:25]
	v_bfi_b32 v21, s21, v4, v3
	v_bfe_u32 v3, v21, 16, 1
	v_add3_u32 v22, v21, v3, s22
	v_add_co_u32_e32 v3, vcc, s0, v5
	v_addc_co_u32_e32 v4, vcc, v12, v6, vcc
	v_bfi_b32 v15, s21, v16, v15
	v_bfe_u32 v18, v17, 16, 1
	v_and_b32_e32 v22, 0xffff0000, v22
	v_cmp_o_f32_e32 vcc, v21, v21
	v_bfe_u32 v16, v15, 16, 1
	v_add3_u32 v18, v17, v18, s22
	v_cndmask_b32_e32 v21, v13, v22, vcc
	v_cmp_o_f32_e32 vcc, v19, v19
	v_add3_u32 v16, v15, v16, s22
	v_and_b32_e32 v18, 0xffff0000, v18
	v_cndmask_b32_e32 v19, v14, v20, vcc
	v_cmp_o_f32_e32 vcc, v17, v17
	v_lshrrev_b32_e32 v16, 16, v16
	v_cndmask_b32_e32 v17, v13, v18, vcc
	v_cmp_o_f32_e32 vcc, v15, v15
	v_cndmask_b32_e32 v15, v14, v16, vcc
	v_or_b32_e32 v15, v15, v17
	v_add_co_u32_e32 v1, vcc, s16, v1
	v_or3_b32 v16, 0, v19, v21
	v_or3_b32 v15, v15, 0, 0
	v_addc_co_u32_e32 v2, vcc, 0, v2, vcc
	global_store_dwordx2 v[3:4], v[15:16], off
	v_lshlrev_b64 v[3:4], 2, v[1:2]
	v_add_co_u32_e32 v5, vcc, s17, v5
	v_addc_co_u32_e32 v6, vcc, 0, v6, vcc
	v_cmp_le_i64_e32 vcc, s[10:11], v[3:4]
	s_or_b64 s[14:15], vcc, s[14:15]
	s_andn2_b64 exec, exec, s[14:15]
	s_cbranch_execnz .LBB122_3
.LBB122_4:
	s_or_b64 exec, exec, s[12:13]
	s_mov_b64 s[10:11], 0
.LBB122_5:
	s_andn2_b64 vcc, exec, s[10:11]
	s_cbranch_vccnz .LBB122_25
; %bb.6:
	v_cmp_lt_i64_e64 s[10:11], s[6:7], 1
	s_and_b64 vcc, exec, s[10:11]
	s_cbranch_vccnz .LBB122_25
; %bb.7:
	v_mov_b32_e32 v1, 0x10000
	s_load_dword s12, s[4:5], 0xc5c
	v_mov_b32_e32 v2, 0
	v_cmp_lt_i64_e32 vcc, s[6:7], v[1:2]
	v_mov_b32_e32 v10, 0
	s_and_b64 s[4:5], vcc, exec
	v_cmp_lt_u64_e32 vcc, s[6:7], v[1:2]
	s_cselect_b32 s11, s7, 0
	s_cselect_b32 s10, s6, 0x10000
	s_waitcnt lgkmcnt(0)
	s_and_b32 s14, s12, 0xffff
	v_lshlrev_b32_e32 v9, 1, v0
	s_and_b64 s[4:5], vcc, exec
	v_mov_b32_e32 v2, s3
	v_add_co_u32_e32 v1, vcc, s2, v9
	v_mad_u64_u32 v[7:8], s[4:5], s14, 6, v[9:10]
	v_addc_co_u32_e32 v2, vcc, 0, v2, vcc
	v_mov_b32_e32 v4, s1
	v_add_co_u32_e32 v3, vcc, s0, v9
	v_addc_co_u32_e32 v4, vcc, 0, v4, vcc
	v_mov_b32_e32 v6, s3
	v_add_co_u32_e32 v5, vcc, s2, v7
	v_addc_co_u32_e32 v6, vcc, v6, v8, vcc
	v_mov_b32_e32 v10, s1
	v_add_co_u32_e32 v7, vcc, s0, v7
	s_cselect_b32 s13, s7, 0
	s_cselect_b32 s12, s6, 0x10000
	s_lshl_b32 s18, s14, 2
	v_addc_co_u32_e32 v8, vcc, v10, v8, vcc
	v_add_co_u32_e32 v11, vcc, s18, v9
	v_addc_co_u32_e64 v12, s[4:5], 0, 0, vcc
	v_mov_b32_e32 v10, s3
	v_add_co_u32_e32 v9, vcc, s2, v11
	v_addc_co_u32_e32 v10, vcc, v10, v12, vcc
	v_mov_b32_e32 v13, s1
	v_add_co_u32_e32 v11, vcc, s0, v11
	v_addc_co_u32_e32 v12, vcc, v13, v12, vcc
	v_add_co_u32_e32 v13, vcc, s14, v0
	v_lshlrev_b32_e32 v17, 1, v13
	v_addc_co_u32_e64 v14, s[4:5], 0, 0, vcc
	v_mov_b32_e32 v16, s3
	v_add_co_u32_e32 v15, vcc, s2, v17
	v_addc_co_u32_e32 v16, vcc, 0, v16, vcc
	v_mov_b32_e32 v18, s1
	v_add_co_u32_e32 v17, vcc, s0, v17
	s_mul_i32 s7, s14, 3
	v_addc_co_u32_e32 v18, vcc, 0, v18, vcc
	s_lshl_b32 s6, s14, 1
	v_add_co_u32_e32 v19, vcc, s7, v0
	v_addc_co_u32_e64 v20, s[0:1], 0, 0, vcc
	v_add_co_u32_e32 v21, vcc, s6, v0
	s_lshl_b32 s19, s14, 3
	s_mov_b64 s[14:15], 0
	s_mov_b32 s20, 0x39800000
	s_mov_b32 s21, 0xbf317218
	;; [unrolled: 1-line block ×3, first 2 shown]
	s_brev_b32 s23, -2
	s_movk_i32 s24, 0x7fff
	v_addc_co_u32_e64 v22, s[0:1], 0, 0, vcc
	v_mov_b32_e32 v23, 0x3d2aadcc
	v_mov_b32_e32 v24, 0x3e2aaa47
	;; [unrolled: 1-line block ×5, first 2 shown]
	s_branch .LBB122_9
.LBB122_8:                              ;   in Loop: Header=BB122_9 Depth=1
	s_or_b64 exec, exec, s[2:3]
	v_add_co_u32_e32 v1, vcc, s19, v1
	v_addc_co_u32_e32 v2, vcc, 0, v2, vcc
	v_add_co_u32_e32 v3, vcc, s19, v3
	v_addc_co_u32_e32 v4, vcc, 0, v4, vcc
	;; [unrolled: 2-line block ×6, first 2 shown]
	s_add_u32 s14, s14, s18
	v_add_co_u32_e32 v15, vcc, s19, v15
	v_mov_b32_e32 v29, s11
	s_addc_u32 s15, s15, 0
	v_addc_co_u32_e32 v16, vcc, 0, v16, vcc
	v_mov_b32_e32 v28, s10
	v_cmp_ge_i64_e32 vcc, s[14:15], v[28:29]
	v_add_co_u32_e64 v17, s[0:1], s19, v17
	v_addc_co_u32_e64 v18, s[0:1], 0, v18, s[0:1]
	s_cbranch_vccnz .LBB122_25
.LBB122_9:                              ; =>This Inner Loop Header: Depth=1
	v_mov_b32_e32 v29, s15
	v_add_co_u32_e32 v28, vcc, s14, v0
	v_addc_co_u32_e32 v29, vcc, 0, v29, vcc
	v_cmp_gt_u64_e32 vcc, s[12:13], v[28:29]
	v_mov_b32_e32 v31, 0
	s_and_saveexec_b64 s[2:3], vcc
	s_cbranch_execz .LBB122_11
; %bb.10:                               ;   in Loop: Header=BB122_9 Depth=1
	v_mov_b32_e32 v29, s9
	v_add_co_u32_e64 v28, s[0:1], s8, v1
	v_addc_co_u32_e64 v29, s[0:1], v2, v29, s[0:1]
	global_load_ushort v28, v[28:29], off
	s_waitcnt vmcnt(0)
	v_lshlrev_b32_e32 v31, 16, v28
.LBB122_11:                             ;   in Loop: Header=BB122_9 Depth=1
	s_or_b64 exec, exec, s[2:3]
	v_mov_b32_e32 v29, s15
	v_add_co_u32_e64 v28, s[0:1], s14, v13
	v_addc_co_u32_e64 v29, s[0:1], v14, v29, s[0:1]
	v_cmp_gt_u64_e64 s[4:5], s[12:13], v[28:29]
	v_mov_b32_e32 v29, 0
	v_mov_b32_e32 v30, 0
	s_and_saveexec_b64 s[2:3], s[4:5]
	s_cbranch_execz .LBB122_13
; %bb.12:                               ;   in Loop: Header=BB122_9 Depth=1
	v_mov_b32_e32 v28, s9
	v_add_co_u32_e64 v32, s[0:1], s8, v15
	v_addc_co_u32_e64 v33, s[0:1], v16, v28, s[0:1]
	global_load_ushort v28, v[32:33], off
	s_waitcnt vmcnt(0)
	v_lshlrev_b32_e32 v30, 16, v28
.LBB122_13:                             ;   in Loop: Header=BB122_9 Depth=1
	s_or_b64 exec, exec, s[2:3]
	v_mov_b32_e32 v28, s15
	v_add_co_u32_e64 v32, s[0:1], s14, v21
	v_addc_co_u32_e64 v33, s[0:1], v22, v28, s[0:1]
	v_cmp_gt_u64_e64 s[2:3], s[12:13], v[32:33]
	s_and_saveexec_b64 s[6:7], s[2:3]
	s_cbranch_execz .LBB122_15
; %bb.14:                               ;   in Loop: Header=BB122_9 Depth=1
	v_mov_b32_e32 v29, s9
	v_add_co_u32_e64 v28, s[0:1], s8, v9
	v_addc_co_u32_e64 v29, s[0:1], v10, v29, s[0:1]
	global_load_ushort v28, v[28:29], off
	s_waitcnt vmcnt(0)
	v_lshlrev_b32_e32 v29, 16, v28
.LBB122_15:                             ;   in Loop: Header=BB122_9 Depth=1
	s_or_b64 exec, exec, s[6:7]
	v_mov_b32_e32 v28, s15
	v_add_co_u32_e64 v32, s[0:1], s14, v19
	v_addc_co_u32_e64 v33, s[0:1], v20, v28, s[0:1]
	v_cmp_gt_u64_e64 s[0:1], s[12:13], v[32:33]
	v_mov_b32_e32 v28, 0
	s_and_saveexec_b64 s[16:17], s[0:1]
	s_cbranch_execnz .LBB122_20
; %bb.16:                               ;   in Loop: Header=BB122_9 Depth=1
	s_or_b64 exec, exec, s[16:17]
	s_and_saveexec_b64 s[6:7], vcc
	s_cbranch_execnz .LBB122_21
.LBB122_17:                             ;   in Loop: Header=BB122_9 Depth=1
	s_or_b64 exec, exec, s[6:7]
	s_and_saveexec_b64 s[6:7], s[4:5]
	s_cbranch_execnz .LBB122_22
.LBB122_18:                             ;   in Loop: Header=BB122_9 Depth=1
	s_or_b64 exec, exec, s[6:7]
	s_and_saveexec_b64 s[4:5], s[2:3]
	s_cbranch_execnz .LBB122_23
.LBB122_19:                             ;   in Loop: Header=BB122_9 Depth=1
	s_or_b64 exec, exec, s[4:5]
	s_and_saveexec_b64 s[2:3], s[0:1]
	s_cbranch_execz .LBB122_8
	s_branch .LBB122_24
.LBB122_20:                             ;   in Loop: Header=BB122_9 Depth=1
	v_mov_b32_e32 v28, s9
	v_add_co_u32_e64 v32, s[6:7], s8, v5
	v_addc_co_u32_e64 v33, s[6:7], v6, v28, s[6:7]
	global_load_ushort v28, v[32:33], off
	s_waitcnt vmcnt(0)
	v_lshlrev_b32_e32 v28, 16, v28
	s_or_b64 exec, exec, s[16:17]
	s_and_saveexec_b64 s[6:7], vcc
	s_cbranch_execz .LBB122_17
.LBB122_21:                             ;   in Loop: Header=BB122_9 Depth=1
	v_add_f32_e64 v32, |v31|, s21
	v_sub_f32_e64 v33, v32, |v31|
	v_sub_f32_e32 v34, v33, v32
	v_add_f32_e64 v34, |v31|, v34
	v_add_f32_e32 v33, 0x3f317218, v33
	v_sub_f32_e32 v33, v34, v33
	v_add_f32_e32 v33, 0x3102e308, v33
	v_add_f32_e32 v34, v32, v33
	v_sub_f32_e32 v32, v32, v34
	v_add_f32_e32 v32, v33, v32
	v_mul_f32_e32 v33, 0x3fb8aa3b, v34
	v_rndne_f32_e32 v33, v33
	v_fmac_f32_e32 v34, 0xbf317200, v33
	v_add_f32_e32 v35, v32, v34
	v_mul_f32_e32 v36, 0x35bfbc00, v33
	v_sub_f32_e32 v37, v35, v36
	v_sub_f32_e32 v34, v34, v35
	v_add_f32_e32 v32, v32, v34
	v_sub_f32_e32 v34, v35, v37
	v_sub_f32_e32 v34, v34, v36
	v_add_f32_e32 v32, v32, v34
	v_add_f32_e32 v34, v37, v32
	v_mul_f32_e32 v35, 0x2ea39ef3, v33
	v_sub_f32_e32 v36, v34, v35
	v_sub_f32_e32 v37, v37, v34
	;; [unrolled: 1-line block ×3, first 2 shown]
	v_add_f32_e32 v32, v32, v37
	v_sub_f32_e32 v34, v34, v35
	v_add_f32_e32 v32, v32, v34
	v_add_f32_e32 v34, v36, v32
	v_mov_b32_e32 v35, 0x3c091de6
	v_sub_f32_e32 v36, v36, v34
	v_fmac_f32_e32 v35, 0x3ab42872, v34
	v_mul_f32_e32 v37, v34, v34
	v_add_f32_e32 v32, v32, v36
	v_fma_f32 v35, v34, v35, v23
	v_add_f32_e32 v36, v32, v32
	v_fma_f32 v38, v34, v34, -v37
	v_fma_f32 v35, v34, v35, v24
	v_fmac_f32_e32 v38, v34, v36
	v_fma_f32 v35, v34, v35, v25
	v_add_f32_e32 v36, v37, v38
	v_mul_f32_e32 v39, v35, v36
	v_sub_f32_e32 v37, v36, v37
	v_sub_f32_e32 v37, v38, v37
	v_fma_f32 v36, v36, v35, -v39
	v_fmac_f32_e32 v36, v37, v35
	v_add_f32_e32 v35, v39, v36
	v_add_f32_e32 v37, v34, v35
	v_sub_f32_e32 v38, v35, v39
	v_sub_f32_e32 v36, v36, v38
	;; [unrolled: 1-line block ×3, first 2 shown]
	v_add_f32_e32 v32, v32, v36
	v_sub_f32_e32 v34, v35, v34
	v_add_f32_e32 v32, v32, v34
	v_add_f32_e32 v34, v37, v32
	v_add_f32_e32 v35, 1.0, v34
	v_sub_f32_e32 v36, v34, v37
	v_sub_f32_e32 v32, v32, v36
	v_add_f32_e32 v36, -1.0, v35
	v_cvt_i32_f32_e32 v33, v33
	v_sub_f32_e32 v34, v34, v36
	v_add_f32_e32 v32, v32, v34
	v_add_f32_e32 v34, v35, v32
	v_ldexp_f32 v36, v34, v33
	v_rcp_f32_e32 v37, v36
	v_sub_f32_e32 v34, v34, v35
	v_sub_f32_e32 v32, v32, v34
	v_ldexp_f32 v32, v32, v33
	v_mul_f32_e32 v38, v36, v37
	v_fma_f32 v33, v37, v36, -v38
	v_fmac_f32_e32 v33, v37, v32
	v_add_f32_e32 v34, v38, v33
	v_sub_f32_e32 v35, 1.0, v34
	v_sub_f32_e32 v38, v34, v38
	v_sub_f32_e32 v33, v38, v33
	v_sub_f32_e32 v38, 1.0, v35
	v_sub_f32_e32 v34, v38, v34
	v_add_f32_e32 v33, v33, v34
	v_add_f32_e32 v34, v35, v33
	v_mul_f32_e32 v38, v37, v34
	v_mul_f32_e32 v41, v36, v38
	v_add_f32_e32 v39, v37, v38
	v_fma_f32 v42, v38, v36, -v41
	v_sub_f32_e32 v40, v39, v37
	v_fmac_f32_e32 v42, v38, v32
	v_sub_f32_e32 v40, v38, v40
	v_add_f32_e32 v38, v41, v42
	v_sub_f32_e32 v43, v34, v38
	v_sub_f32_e32 v35, v35, v34
	;; [unrolled: 1-line block ×4, first 2 shown]
	v_add_f32_e32 v33, v33, v35
	v_sub_f32_e32 v34, v34, v38
	v_sub_f32_e32 v41, v41, v42
	v_add_f32_e32 v33, v33, v34
	v_add_f32_e32 v33, v41, v33
	;; [unrolled: 1-line block ×3, first 2 shown]
	v_mul_f32_e32 v33, v37, v33
	v_add_f32_e32 v33, v40, v33
	v_add_f32_e32 v34, v39, v33
	v_ldexp_f32 v35, v34, -2
	v_sub_f32_e32 v37, v36, v35
	v_sub_f32_e32 v36, v36, v37
	;; [unrolled: 1-line block ×5, first 2 shown]
	v_add_f32_e32 v32, v32, v35
	v_ldexp_f32 v33, v33, -2
	v_sub_f32_e32 v32, v32, v33
	v_add_f32_e32 v32, v37, v32
	v_cmp_ngt_f32_e64 vcc, |v31|, s22
	v_cndmask_b32_e32 v32, v26, v32, vcc
	v_cmp_lt_f32_e64 s[16:17], |v31|, s20
	v_cndmask_b32_e64 v32, v32, |v31|, s[16:17]
	v_bfi_b32 v31, s23, v32, v31
	v_bfe_u32 v32, v31, 16, 1
	v_add3_u32 v32, v31, v32, s24
	v_cmp_o_f32_e32 vcc, v31, v31
	v_cndmask_b32_sdwa v33, v27, v32, vcc dst_sel:DWORD dst_unused:UNUSED_PAD src0_sel:DWORD src1_sel:WORD_1
	v_mov_b32_e32 v32, s9
	v_add_co_u32_e32 v31, vcc, s8, v3
	v_addc_co_u32_e32 v32, vcc, v4, v32, vcc
	global_store_short v[31:32], v33, off
	s_or_b64 exec, exec, s[6:7]
	s_and_saveexec_b64 s[6:7], s[4:5]
	s_cbranch_execz .LBB122_18
.LBB122_22:                             ;   in Loop: Header=BB122_9 Depth=1
	v_add_f32_e64 v31, |v30|, s21
	v_sub_f32_e64 v32, v31, |v30|
	v_sub_f32_e32 v33, v32, v31
	v_add_f32_e64 v33, |v30|, v33
	v_add_f32_e32 v32, 0x3f317218, v32
	v_sub_f32_e32 v32, v33, v32
	v_add_f32_e32 v32, 0x3102e308, v32
	v_add_f32_e32 v33, v31, v32
	v_sub_f32_e32 v31, v31, v33
	v_add_f32_e32 v31, v32, v31
	v_mul_f32_e32 v32, 0x3fb8aa3b, v33
	v_rndne_f32_e32 v32, v32
	v_fmac_f32_e32 v33, 0xbf317200, v32
	v_add_f32_e32 v34, v31, v33
	v_sub_f32_e32 v33, v33, v34
	v_add_f32_e32 v31, v31, v33
	v_mul_f32_e32 v33, 0x35bfbc00, v32
	v_sub_f32_e32 v35, v34, v33
	v_sub_f32_e32 v34, v34, v35
	;; [unrolled: 1-line block ×3, first 2 shown]
	v_add_f32_e32 v31, v31, v33
	v_add_f32_e32 v33, v35, v31
	v_sub_f32_e32 v34, v35, v33
	v_add_f32_e32 v31, v31, v34
	v_mul_f32_e32 v34, 0x2ea39ef3, v32
	v_sub_f32_e32 v35, v33, v34
	v_sub_f32_e32 v33, v33, v35
	;; [unrolled: 1-line block ×3, first 2 shown]
	v_add_f32_e32 v31, v31, v33
	v_add_f32_e32 v33, v35, v31
	v_sub_f32_e32 v35, v35, v33
	v_mov_b32_e32 v34, 0x3c091de6
	v_add_f32_e32 v31, v31, v35
	v_mul_f32_e32 v36, v33, v33
	v_fmac_f32_e32 v34, 0x3ab42872, v33
	v_add_f32_e32 v35, v31, v31
	v_fma_f32 v37, v33, v33, -v36
	v_fma_f32 v34, v33, v34, v23
	v_fmac_f32_e32 v37, v33, v35
	v_fma_f32 v34, v33, v34, v24
	v_add_f32_e32 v35, v36, v37
	v_fma_f32 v34, v33, v34, v25
	v_sub_f32_e32 v36, v35, v36
	v_sub_f32_e32 v36, v37, v36
	v_mul_f32_e32 v37, v34, v35
	v_fma_f32 v35, v35, v34, -v37
	v_fmac_f32_e32 v35, v36, v34
	v_add_f32_e32 v34, v37, v35
	v_sub_f32_e32 v36, v34, v37
	v_sub_f32_e32 v35, v35, v36
	v_add_f32_e32 v36, v33, v34
	v_sub_f32_e32 v33, v36, v33
	v_sub_f32_e32 v33, v34, v33
	v_add_f32_e32 v31, v31, v35
	v_add_f32_e32 v31, v31, v33
	v_add_f32_e32 v33, v36, v31
	v_sub_f32_e32 v34, v33, v36
	v_sub_f32_e32 v31, v31, v34
	v_add_f32_e32 v34, 1.0, v33
	v_add_f32_e32 v35, -1.0, v34
	v_cvt_i32_f32_e32 v32, v32
	v_sub_f32_e32 v33, v33, v35
	v_add_f32_e32 v31, v31, v33
	v_add_f32_e32 v33, v34, v31
	v_ldexp_f32 v35, v33, v32
	v_rcp_f32_e32 v36, v35
	v_sub_f32_e32 v33, v33, v34
	v_sub_f32_e32 v31, v31, v33
	v_ldexp_f32 v31, v31, v32
	v_mul_f32_e32 v32, v35, v36
	v_fma_f32 v33, v36, v35, -v32
	v_fmac_f32_e32 v33, v36, v31
	v_add_f32_e32 v34, v32, v33
	v_sub_f32_e32 v37, 1.0, v34
	v_sub_f32_e32 v38, 1.0, v37
	v_sub_f32_e32 v32, v34, v32
	v_sub_f32_e32 v38, v38, v34
	;; [unrolled: 1-line block ×3, first 2 shown]
	v_add_f32_e32 v32, v32, v38
	v_add_f32_e32 v33, v37, v32
	v_mul_f32_e32 v34, v36, v33
	v_mul_f32_e32 v38, v35, v34
	v_fma_f32 v39, v34, v35, -v38
	v_fmac_f32_e32 v39, v34, v31
	v_sub_f32_e32 v37, v37, v33
	v_add_f32_e32 v32, v32, v37
	v_add_f32_e32 v37, v38, v39
	v_sub_f32_e32 v40, v33, v37
	v_sub_f32_e32 v33, v33, v40
	;; [unrolled: 1-line block ×4, first 2 shown]
	v_add_f32_e32 v32, v32, v33
	v_sub_f32_e32 v33, v38, v39
	v_add_f32_e32 v32, v33, v32
	v_add_f32_e32 v32, v40, v32
	;; [unrolled: 1-line block ×3, first 2 shown]
	v_mul_f32_e32 v32, v36, v32
	v_sub_f32_e32 v36, v33, v36
	v_sub_f32_e32 v34, v34, v36
	v_add_f32_e32 v32, v34, v32
	v_add_f32_e32 v34, v33, v32
	v_sub_f32_e32 v33, v34, v33
	v_sub_f32_e32 v32, v32, v33
	v_ldexp_f32 v33, v34, -2
	v_sub_f32_e32 v34, v35, v33
	v_sub_f32_e32 v35, v35, v34
	;; [unrolled: 1-line block ×3, first 2 shown]
	v_ldexp_f32 v32, v32, -2
	v_add_f32_e32 v31, v31, v33
	v_sub_f32_e32 v31, v31, v32
	v_add_f32_e32 v31, v34, v31
	v_cmp_ngt_f32_e64 vcc, |v30|, s22
	v_cndmask_b32_e32 v31, v26, v31, vcc
	v_cmp_lt_f32_e64 s[4:5], |v30|, s20
	v_cndmask_b32_e64 v31, v31, |v30|, s[4:5]
	v_bfi_b32 v30, s23, v31, v30
	v_bfe_u32 v31, v30, 16, 1
	v_add3_u32 v31, v30, v31, s24
	v_cmp_o_f32_e32 vcc, v30, v30
	v_cndmask_b32_sdwa v32, v27, v31, vcc dst_sel:DWORD dst_unused:UNUSED_PAD src0_sel:DWORD src1_sel:WORD_1
	v_mov_b32_e32 v31, s9
	v_add_co_u32_e32 v30, vcc, s8, v17
	v_addc_co_u32_e32 v31, vcc, v18, v31, vcc
	global_store_short v[30:31], v32, off
	s_or_b64 exec, exec, s[6:7]
	s_and_saveexec_b64 s[4:5], s[2:3]
	s_cbranch_execz .LBB122_19
.LBB122_23:                             ;   in Loop: Header=BB122_9 Depth=1
	v_add_f32_e64 v30, |v29|, s21
	v_sub_f32_e64 v31, v30, |v29|
	v_sub_f32_e32 v32, v31, v30
	v_add_f32_e64 v32, |v29|, v32
	v_add_f32_e32 v31, 0x3f317218, v31
	v_sub_f32_e32 v31, v32, v31
	v_add_f32_e32 v31, 0x3102e308, v31
	v_add_f32_e32 v32, v30, v31
	v_sub_f32_e32 v30, v30, v32
	v_add_f32_e32 v30, v31, v30
	v_mul_f32_e32 v31, 0x3fb8aa3b, v32
	v_rndne_f32_e32 v31, v31
	v_fmac_f32_e32 v32, 0xbf317200, v31
	v_add_f32_e32 v33, v30, v32
	v_sub_f32_e32 v32, v32, v33
	v_add_f32_e32 v30, v30, v32
	v_mul_f32_e32 v32, 0x35bfbc00, v31
	v_sub_f32_e32 v34, v33, v32
	v_sub_f32_e32 v33, v33, v34
	;; [unrolled: 1-line block ×3, first 2 shown]
	v_add_f32_e32 v30, v30, v32
	v_add_f32_e32 v32, v34, v30
	v_sub_f32_e32 v33, v34, v32
	v_add_f32_e32 v30, v30, v33
	v_mul_f32_e32 v33, 0x2ea39ef3, v31
	v_sub_f32_e32 v34, v32, v33
	v_sub_f32_e32 v32, v32, v34
	v_sub_f32_e32 v32, v32, v33
	v_add_f32_e32 v30, v30, v32
	v_add_f32_e32 v32, v34, v30
	v_sub_f32_e32 v34, v34, v32
	v_mov_b32_e32 v33, 0x3c091de6
	v_add_f32_e32 v30, v30, v34
	v_mul_f32_e32 v35, v32, v32
	v_fmac_f32_e32 v33, 0x3ab42872, v32
	v_add_f32_e32 v34, v30, v30
	v_fma_f32 v36, v32, v32, -v35
	v_fma_f32 v33, v32, v33, v23
	v_fmac_f32_e32 v36, v32, v34
	v_fma_f32 v33, v32, v33, v24
	v_add_f32_e32 v34, v35, v36
	v_fma_f32 v33, v32, v33, v25
	v_sub_f32_e32 v35, v34, v35
	v_sub_f32_e32 v35, v36, v35
	v_mul_f32_e32 v36, v33, v34
	v_fma_f32 v34, v34, v33, -v36
	v_fmac_f32_e32 v34, v35, v33
	v_add_f32_e32 v33, v36, v34
	v_sub_f32_e32 v35, v33, v36
	v_sub_f32_e32 v34, v34, v35
	v_add_f32_e32 v35, v32, v33
	v_sub_f32_e32 v32, v35, v32
	v_sub_f32_e32 v32, v33, v32
	v_add_f32_e32 v30, v30, v34
	v_add_f32_e32 v30, v30, v32
	v_add_f32_e32 v32, v35, v30
	v_sub_f32_e32 v33, v32, v35
	v_sub_f32_e32 v30, v30, v33
	v_add_f32_e32 v33, 1.0, v32
	v_add_f32_e32 v34, -1.0, v33
	v_cvt_i32_f32_e32 v31, v31
	v_sub_f32_e32 v32, v32, v34
	v_add_f32_e32 v30, v30, v32
	v_add_f32_e32 v32, v33, v30
	v_ldexp_f32 v34, v32, v31
	v_rcp_f32_e32 v35, v34
	v_sub_f32_e32 v32, v32, v33
	v_sub_f32_e32 v30, v30, v32
	v_ldexp_f32 v30, v30, v31
	v_mul_f32_e32 v31, v34, v35
	v_fma_f32 v32, v35, v34, -v31
	v_fmac_f32_e32 v32, v35, v30
	v_add_f32_e32 v33, v31, v32
	v_sub_f32_e32 v36, 1.0, v33
	v_sub_f32_e32 v37, 1.0, v36
	v_sub_f32_e32 v31, v33, v31
	v_sub_f32_e32 v37, v37, v33
	;; [unrolled: 1-line block ×3, first 2 shown]
	v_add_f32_e32 v31, v31, v37
	v_add_f32_e32 v32, v36, v31
	v_mul_f32_e32 v33, v35, v32
	v_mul_f32_e32 v37, v34, v33
	v_fma_f32 v38, v33, v34, -v37
	v_fmac_f32_e32 v38, v33, v30
	v_sub_f32_e32 v36, v36, v32
	v_add_f32_e32 v31, v31, v36
	v_add_f32_e32 v36, v37, v38
	v_sub_f32_e32 v39, v32, v36
	v_sub_f32_e32 v32, v32, v39
	v_sub_f32_e32 v37, v36, v37
	v_sub_f32_e32 v32, v32, v36
	v_add_f32_e32 v31, v31, v32
	v_sub_f32_e32 v32, v37, v38
	v_add_f32_e32 v31, v32, v31
	v_add_f32_e32 v31, v39, v31
	;; [unrolled: 1-line block ×3, first 2 shown]
	v_mul_f32_e32 v31, v35, v31
	v_sub_f32_e32 v35, v32, v35
	v_sub_f32_e32 v33, v33, v35
	v_add_f32_e32 v31, v33, v31
	v_add_f32_e32 v33, v32, v31
	v_sub_f32_e32 v32, v33, v32
	v_sub_f32_e32 v31, v31, v32
	v_ldexp_f32 v32, v33, -2
	v_sub_f32_e32 v33, v34, v32
	v_sub_f32_e32 v34, v34, v33
	;; [unrolled: 1-line block ×3, first 2 shown]
	v_ldexp_f32 v31, v31, -2
	v_add_f32_e32 v30, v30, v32
	v_sub_f32_e32 v30, v30, v31
	v_add_f32_e32 v30, v33, v30
	v_cmp_ngt_f32_e64 vcc, |v29|, s22
	v_cndmask_b32_e32 v30, v26, v30, vcc
	v_cmp_lt_f32_e64 s[2:3], |v29|, s20
	v_cndmask_b32_e64 v30, v30, |v29|, s[2:3]
	v_bfi_b32 v29, s23, v30, v29
	v_bfe_u32 v30, v29, 16, 1
	v_add3_u32 v30, v29, v30, s24
	v_cmp_o_f32_e32 vcc, v29, v29
	v_cndmask_b32_sdwa v31, v27, v30, vcc dst_sel:DWORD dst_unused:UNUSED_PAD src0_sel:DWORD src1_sel:WORD_1
	v_mov_b32_e32 v30, s9
	v_add_co_u32_e32 v29, vcc, s8, v11
	v_addc_co_u32_e32 v30, vcc, v12, v30, vcc
	global_store_short v[29:30], v31, off
	s_or_b64 exec, exec, s[4:5]
	s_and_saveexec_b64 s[2:3], s[0:1]
	s_cbranch_execz .LBB122_8
.LBB122_24:                             ;   in Loop: Header=BB122_9 Depth=1
	v_add_f32_e64 v29, |v28|, s21
	v_sub_f32_e64 v30, v29, |v28|
	v_sub_f32_e32 v31, v30, v29
	v_add_f32_e64 v31, |v28|, v31
	v_add_f32_e32 v30, 0x3f317218, v30
	v_sub_f32_e32 v30, v31, v30
	v_add_f32_e32 v30, 0x3102e308, v30
	v_add_f32_e32 v31, v29, v30
	v_sub_f32_e32 v29, v29, v31
	v_add_f32_e32 v29, v30, v29
	v_mul_f32_e32 v30, 0x3fb8aa3b, v31
	v_rndne_f32_e32 v30, v30
	v_fmac_f32_e32 v31, 0xbf317200, v30
	v_add_f32_e32 v32, v29, v31
	v_sub_f32_e32 v31, v31, v32
	v_add_f32_e32 v29, v29, v31
	v_mul_f32_e32 v31, 0x35bfbc00, v30
	v_sub_f32_e32 v33, v32, v31
	v_sub_f32_e32 v32, v32, v33
	;; [unrolled: 1-line block ×3, first 2 shown]
	v_add_f32_e32 v29, v29, v31
	v_add_f32_e32 v31, v33, v29
	v_sub_f32_e32 v32, v33, v31
	v_add_f32_e32 v29, v29, v32
	v_mul_f32_e32 v32, 0x2ea39ef3, v30
	v_sub_f32_e32 v33, v31, v32
	v_sub_f32_e32 v31, v31, v33
	;; [unrolled: 1-line block ×3, first 2 shown]
	v_add_f32_e32 v29, v29, v31
	v_add_f32_e32 v31, v33, v29
	v_sub_f32_e32 v33, v33, v31
	v_mov_b32_e32 v32, 0x3c091de6
	v_add_f32_e32 v29, v29, v33
	v_mul_f32_e32 v34, v31, v31
	v_fmac_f32_e32 v32, 0x3ab42872, v31
	v_add_f32_e32 v33, v29, v29
	v_fma_f32 v35, v31, v31, -v34
	v_fma_f32 v32, v31, v32, v23
	v_fmac_f32_e32 v35, v31, v33
	v_fma_f32 v32, v31, v32, v24
	v_add_f32_e32 v33, v34, v35
	v_fma_f32 v32, v31, v32, v25
	v_sub_f32_e32 v34, v33, v34
	v_sub_f32_e32 v34, v35, v34
	v_mul_f32_e32 v35, v32, v33
	v_fma_f32 v33, v33, v32, -v35
	v_fmac_f32_e32 v33, v34, v32
	v_add_f32_e32 v32, v35, v33
	v_sub_f32_e32 v34, v32, v35
	v_sub_f32_e32 v33, v33, v34
	v_add_f32_e32 v34, v31, v32
	v_sub_f32_e32 v31, v34, v31
	v_sub_f32_e32 v31, v32, v31
	v_add_f32_e32 v29, v29, v33
	v_add_f32_e32 v29, v29, v31
	;; [unrolled: 1-line block ×3, first 2 shown]
	v_sub_f32_e32 v32, v31, v34
	v_sub_f32_e32 v29, v29, v32
	v_add_f32_e32 v32, 1.0, v31
	v_add_f32_e32 v33, -1.0, v32
	v_cvt_i32_f32_e32 v30, v30
	v_sub_f32_e32 v31, v31, v33
	v_add_f32_e32 v29, v29, v31
	v_add_f32_e32 v31, v32, v29
	v_ldexp_f32 v33, v31, v30
	v_rcp_f32_e32 v34, v33
	v_sub_f32_e32 v31, v31, v32
	v_sub_f32_e32 v29, v29, v31
	v_ldexp_f32 v29, v29, v30
	v_mul_f32_e32 v30, v33, v34
	v_fma_f32 v31, v34, v33, -v30
	v_fmac_f32_e32 v31, v34, v29
	v_add_f32_e32 v32, v30, v31
	v_sub_f32_e32 v35, 1.0, v32
	v_sub_f32_e32 v36, 1.0, v35
	v_sub_f32_e32 v30, v32, v30
	v_sub_f32_e32 v36, v36, v32
	;; [unrolled: 1-line block ×3, first 2 shown]
	v_add_f32_e32 v30, v30, v36
	v_add_f32_e32 v31, v35, v30
	v_mul_f32_e32 v32, v34, v31
	v_mul_f32_e32 v36, v33, v32
	v_fma_f32 v37, v32, v33, -v36
	v_fmac_f32_e32 v37, v32, v29
	v_sub_f32_e32 v35, v35, v31
	v_add_f32_e32 v30, v30, v35
	v_add_f32_e32 v35, v36, v37
	v_sub_f32_e32 v38, v31, v35
	v_sub_f32_e32 v31, v31, v38
	v_sub_f32_e32 v36, v35, v36
	v_sub_f32_e32 v31, v31, v35
	v_add_f32_e32 v30, v30, v31
	v_sub_f32_e32 v31, v36, v37
	v_add_f32_e32 v30, v31, v30
	v_add_f32_e32 v30, v38, v30
	v_add_f32_e32 v31, v34, v32
	v_mul_f32_e32 v30, v34, v30
	v_sub_f32_e32 v34, v31, v34
	v_sub_f32_e32 v32, v32, v34
	v_add_f32_e32 v30, v32, v30
	v_add_f32_e32 v32, v31, v30
	v_sub_f32_e32 v31, v32, v31
	v_sub_f32_e32 v30, v30, v31
	v_ldexp_f32 v31, v32, -2
	v_sub_f32_e32 v32, v33, v31
	v_sub_f32_e32 v33, v33, v32
	;; [unrolled: 1-line block ×3, first 2 shown]
	v_ldexp_f32 v30, v30, -2
	v_add_f32_e32 v29, v29, v31
	v_sub_f32_e32 v29, v29, v30
	v_add_f32_e32 v29, v32, v29
	v_cmp_ngt_f32_e64 vcc, |v28|, s22
	v_cndmask_b32_e32 v29, v26, v29, vcc
	v_cmp_lt_f32_e64 s[0:1], |v28|, s20
	v_cndmask_b32_e64 v29, v29, |v28|, s[0:1]
	v_bfi_b32 v28, s23, v29, v28
	v_bfe_u32 v29, v28, 16, 1
	v_add3_u32 v29, v28, v29, s24
	v_cmp_o_f32_e32 vcc, v28, v28
	v_cndmask_b32_sdwa v30, v27, v29, vcc dst_sel:DWORD dst_unused:UNUSED_PAD src0_sel:DWORD src1_sel:WORD_1
	v_mov_b32_e32 v29, s9
	v_add_co_u32_e32 v28, vcc, s8, v7
	v_addc_co_u32_e32 v29, vcc, v8, v29, vcc
	global_store_short v[28:29], v30, off
	s_branch .LBB122_8
.LBB122_25:
	s_endpgm
	.section	.rodata,"a",@progbits
	.p2align	6, 0x0
	.amdhsa_kernel _ZN2at6native12_GLOBAL__N_125multi_tensor_apply_kernelINS1_18TensorListMetadataILi2EEENS1_14UnaryOpFunctorIN3c108BFloat16ELi2ELi1ELi1EEEJNS0_4SinhIfEEEEEvT_T0_DpT1_
		.amdhsa_group_segment_fixed_size 0
		.amdhsa_private_segment_fixed_size 0
		.amdhsa_kernarg_size 3408
		.amdhsa_user_sgpr_count 6
		.amdhsa_user_sgpr_private_segment_buffer 1
		.amdhsa_user_sgpr_dispatch_ptr 0
		.amdhsa_user_sgpr_queue_ptr 0
		.amdhsa_user_sgpr_kernarg_segment_ptr 1
		.amdhsa_user_sgpr_dispatch_id 0
		.amdhsa_user_sgpr_flat_scratch_init 0
		.amdhsa_user_sgpr_private_segment_size 0
		.amdhsa_uses_dynamic_stack 0
		.amdhsa_system_sgpr_private_segment_wavefront_offset 0
		.amdhsa_system_sgpr_workgroup_id_x 1
		.amdhsa_system_sgpr_workgroup_id_y 0
		.amdhsa_system_sgpr_workgroup_id_z 0
		.amdhsa_system_sgpr_workgroup_info 0
		.amdhsa_system_vgpr_workitem_id 0
		.amdhsa_next_free_vgpr 44
		.amdhsa_next_free_sgpr 26
		.amdhsa_reserve_vcc 1
		.amdhsa_reserve_flat_scratch 0
		.amdhsa_float_round_mode_32 0
		.amdhsa_float_round_mode_16_64 0
		.amdhsa_float_denorm_mode_32 3
		.amdhsa_float_denorm_mode_16_64 3
		.amdhsa_dx10_clamp 1
		.amdhsa_ieee_mode 1
		.amdhsa_fp16_overflow 0
		.amdhsa_exception_fp_ieee_invalid_op 0
		.amdhsa_exception_fp_denorm_src 0
		.amdhsa_exception_fp_ieee_div_zero 0
		.amdhsa_exception_fp_ieee_overflow 0
		.amdhsa_exception_fp_ieee_underflow 0
		.amdhsa_exception_fp_ieee_inexact 0
		.amdhsa_exception_int_div_zero 0
	.end_amdhsa_kernel
	.section	.text._ZN2at6native12_GLOBAL__N_125multi_tensor_apply_kernelINS1_18TensorListMetadataILi2EEENS1_14UnaryOpFunctorIN3c108BFloat16ELi2ELi1ELi1EEEJNS0_4SinhIfEEEEEvT_T0_DpT1_,"axG",@progbits,_ZN2at6native12_GLOBAL__N_125multi_tensor_apply_kernelINS1_18TensorListMetadataILi2EEENS1_14UnaryOpFunctorIN3c108BFloat16ELi2ELi1ELi1EEEJNS0_4SinhIfEEEEEvT_T0_DpT1_,comdat
.Lfunc_end122:
	.size	_ZN2at6native12_GLOBAL__N_125multi_tensor_apply_kernelINS1_18TensorListMetadataILi2EEENS1_14UnaryOpFunctorIN3c108BFloat16ELi2ELi1ELi1EEEJNS0_4SinhIfEEEEEvT_T0_DpT1_, .Lfunc_end122-_ZN2at6native12_GLOBAL__N_125multi_tensor_apply_kernelINS1_18TensorListMetadataILi2EEENS1_14UnaryOpFunctorIN3c108BFloat16ELi2ELi1ELi1EEEJNS0_4SinhIfEEEEEvT_T0_DpT1_
                                        ; -- End function
	.set _ZN2at6native12_GLOBAL__N_125multi_tensor_apply_kernelINS1_18TensorListMetadataILi2EEENS1_14UnaryOpFunctorIN3c108BFloat16ELi2ELi1ELi1EEEJNS0_4SinhIfEEEEEvT_T0_DpT1_.num_vgpr, 44
	.set _ZN2at6native12_GLOBAL__N_125multi_tensor_apply_kernelINS1_18TensorListMetadataILi2EEENS1_14UnaryOpFunctorIN3c108BFloat16ELi2ELi1ELi1EEEJNS0_4SinhIfEEEEEvT_T0_DpT1_.num_agpr, 0
	.set _ZN2at6native12_GLOBAL__N_125multi_tensor_apply_kernelINS1_18TensorListMetadataILi2EEENS1_14UnaryOpFunctorIN3c108BFloat16ELi2ELi1ELi1EEEJNS0_4SinhIfEEEEEvT_T0_DpT1_.numbered_sgpr, 26
	.set _ZN2at6native12_GLOBAL__N_125multi_tensor_apply_kernelINS1_18TensorListMetadataILi2EEENS1_14UnaryOpFunctorIN3c108BFloat16ELi2ELi1ELi1EEEJNS0_4SinhIfEEEEEvT_T0_DpT1_.num_named_barrier, 0
	.set _ZN2at6native12_GLOBAL__N_125multi_tensor_apply_kernelINS1_18TensorListMetadataILi2EEENS1_14UnaryOpFunctorIN3c108BFloat16ELi2ELi1ELi1EEEJNS0_4SinhIfEEEEEvT_T0_DpT1_.private_seg_size, 0
	.set _ZN2at6native12_GLOBAL__N_125multi_tensor_apply_kernelINS1_18TensorListMetadataILi2EEENS1_14UnaryOpFunctorIN3c108BFloat16ELi2ELi1ELi1EEEJNS0_4SinhIfEEEEEvT_T0_DpT1_.uses_vcc, 1
	.set _ZN2at6native12_GLOBAL__N_125multi_tensor_apply_kernelINS1_18TensorListMetadataILi2EEENS1_14UnaryOpFunctorIN3c108BFloat16ELi2ELi1ELi1EEEJNS0_4SinhIfEEEEEvT_T0_DpT1_.uses_flat_scratch, 0
	.set _ZN2at6native12_GLOBAL__N_125multi_tensor_apply_kernelINS1_18TensorListMetadataILi2EEENS1_14UnaryOpFunctorIN3c108BFloat16ELi2ELi1ELi1EEEJNS0_4SinhIfEEEEEvT_T0_DpT1_.has_dyn_sized_stack, 0
	.set _ZN2at6native12_GLOBAL__N_125multi_tensor_apply_kernelINS1_18TensorListMetadataILi2EEENS1_14UnaryOpFunctorIN3c108BFloat16ELi2ELi1ELi1EEEJNS0_4SinhIfEEEEEvT_T0_DpT1_.has_recursion, 0
	.set _ZN2at6native12_GLOBAL__N_125multi_tensor_apply_kernelINS1_18TensorListMetadataILi2EEENS1_14UnaryOpFunctorIN3c108BFloat16ELi2ELi1ELi1EEEJNS0_4SinhIfEEEEEvT_T0_DpT1_.has_indirect_call, 0
	.section	.AMDGPU.csdata,"",@progbits
; Kernel info:
; codeLenInByte = 6212
; TotalNumSgprs: 30
; NumVgprs: 44
; ScratchSize: 0
; MemoryBound: 0
; FloatMode: 240
; IeeeMode: 1
; LDSByteSize: 0 bytes/workgroup (compile time only)
; SGPRBlocks: 3
; VGPRBlocks: 10
; NumSGPRsForWavesPerEU: 30
; NumVGPRsForWavesPerEU: 44
; Occupancy: 5
; WaveLimiterHint : 0
; COMPUTE_PGM_RSRC2:SCRATCH_EN: 0
; COMPUTE_PGM_RSRC2:USER_SGPR: 6
; COMPUTE_PGM_RSRC2:TRAP_HANDLER: 0
; COMPUTE_PGM_RSRC2:TGID_X_EN: 1
; COMPUTE_PGM_RSRC2:TGID_Y_EN: 0
; COMPUTE_PGM_RSRC2:TGID_Z_EN: 0
; COMPUTE_PGM_RSRC2:TIDIG_COMP_CNT: 0
	.section	.text._ZN2at6native12_GLOBAL__N_125multi_tensor_apply_kernelINS1_18TensorListMetadataILi1EEENS1_14UnaryOpFunctorIdLi1ELi1ELi0EEEJNS0_4SinhIdEEEEEvT_T0_DpT1_,"axG",@progbits,_ZN2at6native12_GLOBAL__N_125multi_tensor_apply_kernelINS1_18TensorListMetadataILi1EEENS1_14UnaryOpFunctorIdLi1ELi1ELi0EEEJNS0_4SinhIdEEEEEvT_T0_DpT1_,comdat
	.globl	_ZN2at6native12_GLOBAL__N_125multi_tensor_apply_kernelINS1_18TensorListMetadataILi1EEENS1_14UnaryOpFunctorIdLi1ELi1ELi0EEEJNS0_4SinhIdEEEEEvT_T0_DpT1_ ; -- Begin function _ZN2at6native12_GLOBAL__N_125multi_tensor_apply_kernelINS1_18TensorListMetadataILi1EEENS1_14UnaryOpFunctorIdLi1ELi1ELi0EEEJNS0_4SinhIdEEEEEvT_T0_DpT1_
	.p2align	8
	.type	_ZN2at6native12_GLOBAL__N_125multi_tensor_apply_kernelINS1_18TensorListMetadataILi1EEENS1_14UnaryOpFunctorIdLi1ELi1ELi0EEEJNS0_4SinhIdEEEEEvT_T0_DpT1_,@function
_ZN2at6native12_GLOBAL__N_125multi_tensor_apply_kernelINS1_18TensorListMetadataILi1EEENS1_14UnaryOpFunctorIdLi1ELi1ELi0EEEJNS0_4SinhIdEEEEEvT_T0_DpT1_: ; @_ZN2at6native12_GLOBAL__N_125multi_tensor_apply_kernelINS1_18TensorListMetadataILi1EEENS1_14UnaryOpFunctorIdLi1ELi1ELi0EEEJNS0_4SinhIdEEEEEvT_T0_DpT1_
; %bb.0:
	v_mov_b32_e32 v1, s6
	global_load_ubyte v1, v1, s[4:5] offset:1760
	s_add_u32 s0, s4, s6
	s_mul_hi_u32 s1, s6, 3
	s_mul_i32 s6, s6, 3
	s_addc_u32 s2, s5, 0
	s_add_u32 s0, s0, s6
	s_addc_u32 s1, s2, s1
	s_load_dword s0, s[0:1], 0x820
	s_mov_b32 s7, 0
	s_waitcnt vmcnt(0)
	v_readfirstlane_b32 s1, v1
	s_lshl_b32 s1, s1, 3
	s_load_dwordx2 s[2:3], s[4:5], s1 offset:0x370
	s_load_dwordx2 s[10:11], s[4:5], s1 offset:0x0
	s_waitcnt lgkmcnt(0)
	s_ashr_i32 s1, s0, 31
	s_lshl_b64 s[12:13], s[0:1], 19
	s_lshl_b64 s[0:1], s[0:1], 16
	s_and_b32 s6, s10, 31
	s_sub_u32 s14, s2, s0
	s_subb_u32 s15, s3, s1
	s_and_b32 s0, s2, 3
	s_mov_b32 s1, s7
	s_or_b64 s[0:1], s[6:7], s[0:1]
	s_cmp_eq_u64 s[0:1], 0
	s_cbranch_scc1 .LBB123_21
; %bb.1:
	v_cmp_lt_i64_e64 s[0:1], s[14:15], 1
	s_and_b64 vcc, exec, s[0:1]
	s_cbranch_vccnz .LBB123_20
; %bb.2:
	v_mov_b32_e32 v1, 0x10000
	s_load_dword s2, s[4:5], 0xd3c
	v_mov_b32_e32 v2, 0
	v_cmp_lt_i64_e32 vcc, s[14:15], v[1:2]
	s_mov_b32 s22, 0
	s_and_b64 s[0:1], vcc, exec
	v_cmp_lt_u64_e32 vcc, s[14:15], v[1:2]
	s_cselect_b32 s17, s15, 0
	s_cselect_b32 s16, s14, 0x10000
	s_waitcnt lgkmcnt(0)
	s_and_b32 s2, s2, 0xffff
	s_and_b64 s[0:1], vcc, exec
	s_cselect_b32 s19, s15, 0
	s_cselect_b32 s18, s14, 0x10000
	s_lshl_b32 s3, s2, 1
	s_lshl_b32 s33, s2, 2
	s_add_u32 s6, s10, s12
	v_lshlrev_b32_e32 v1, 3, v0
	s_addc_u32 s7, s11, s13
	v_mov_b32_e32 v2, s7
	v_add_co_u32_e32 v1, vcc, s6, v1
	s_mul_i32 s0, s2, 3
	v_addc_co_u32_e32 v2, vcc, 0, v2, vcc
	v_add_co_u32_e32 v15, vcc, s0, v0
	v_addc_co_u32_e64 v16, s[0:1], 0, 0, vcc
	v_add_co_u32_e32 v17, vcc, s3, v0
	v_addc_co_u32_e64 v18, s[0:1], 0, 0, vcc
	v_add_co_u32_e32 v19, vcc, s2, v0
	v_lshlrev_b32_e32 v3, 3, v19
	v_addc_co_u32_e64 v20, s[0:1], 0, 0, vcc
	v_mov_b32_e32 v4, s7
	v_add_co_u32_e32 v3, vcc, s6, v3
	s_mov_b32 s24, 0xfefa39ef
	s_mov_b32 s28, 0x3b39803f
	;; [unrolled: 1-line block ×15, first 2 shown]
	s_lshl_b32 s62, s2, 5
	s_mul_i32 s63, s2, 24
	s_lshl_b32 s64, s2, 4
	v_addc_co_u32_e32 v4, vcc, 0, v4, vcc
	s_mov_b64 s[20:21], 0
	s_brev_b32 s65, -2
	s_mov_b32 s23, 0x3e400000
	s_mov_b32 s25, 0xbfe62e42
	;; [unrolled: 1-line block ×18, first 2 shown]
	v_mov_b32_e32 v5, 0xfca7ab0c
	v_mov_b32_e32 v6, 0x3e928af3
	;; [unrolled: 1-line block ×3, first 2 shown]
	s_branch .LBB123_4
.LBB123_3:                              ;   in Loop: Header=BB123_4 Depth=1
	s_or_b64 exec, exec, s[0:1]
	s_add_u32 s20, s20, s33
	v_add_co_u32_e32 v1, vcc, s62, v1
	s_waitcnt vmcnt(0)
	v_mov_b32_e32 v7, s16
	s_addc_u32 s21, s21, 0
	v_addc_co_u32_e32 v2, vcc, 0, v2, vcc
	v_mov_b32_e32 v8, s17
	v_cmp_lt_i64_e32 vcc, s[20:21], v[7:8]
	v_add_co_u32_e64 v3, s[0:1], s62, v3
	v_addc_co_u32_e64 v4, s[0:1], 0, v4, s[0:1]
	s_cbranch_vccz .LBB123_20
.LBB123_4:                              ; =>This Inner Loop Header: Depth=1
	v_mov_b32_e32 v8, s21
	v_add_co_u32_e32 v7, vcc, s20, v0
	v_addc_co_u32_e32 v8, vcc, 0, v8, vcc
	v_cmp_gt_u64_e64 s[6:7], s[18:19], v[7:8]
	v_mov_b32_e32 v11, 0
	v_mov_b32_e32 v13, 0
	;; [unrolled: 1-line block ×4, first 2 shown]
	s_and_saveexec_b64 s[0:1], s[6:7]
	s_cbranch_execz .LBB123_6
; %bb.5:                                ;   in Loop: Header=BB123_4 Depth=1
	global_load_dwordx2 v[13:14], v[1:2], off
.LBB123_6:                              ;   in Loop: Header=BB123_4 Depth=1
	s_or_b64 exec, exec, s[0:1]
	v_mov_b32_e32 v8, s21
	v_add_co_u32_e32 v7, vcc, s20, v19
	v_addc_co_u32_e32 v8, vcc, v20, v8, vcc
	v_cmp_gt_u64_e64 s[2:3], s[18:19], v[7:8]
	s_and_saveexec_b64 s[0:1], s[2:3]
	s_cbranch_execz .LBB123_8
; %bb.7:                                ;   in Loop: Header=BB123_4 Depth=1
	global_load_dwordx2 v[11:12], v[3:4], off
.LBB123_8:                              ;   in Loop: Header=BB123_4 Depth=1
	s_or_b64 exec, exec, s[0:1]
	v_mov_b32_e32 v8, s21
	v_add_co_u32_e32 v7, vcc, s20, v17
	v_addc_co_u32_e32 v8, vcc, v18, v8, vcc
	v_cmp_gt_u64_e64 s[0:1], s[18:19], v[7:8]
	v_mov_b32_e32 v7, 0
	v_mov_b32_e32 v9, 0
	;; [unrolled: 1-line block ×4, first 2 shown]
	s_and_saveexec_b64 s[8:9], s[0:1]
	s_cbranch_execz .LBB123_10
; %bb.9:                                ;   in Loop: Header=BB123_4 Depth=1
	v_add_co_u32_e32 v9, vcc, s64, v1
	v_addc_co_u32_e32 v10, vcc, 0, v2, vcc
	global_load_dwordx2 v[9:10], v[9:10], off
.LBB123_10:                             ;   in Loop: Header=BB123_4 Depth=1
	s_or_b64 exec, exec, s[8:9]
	v_mov_b32_e32 v23, s21
	v_add_co_u32_e32 v22, vcc, s20, v15
	v_addc_co_u32_e32 v23, vcc, v16, v23, vcc
	v_cmp_gt_u64_e32 vcc, s[18:19], v[22:23]
	s_and_saveexec_b64 s[60:61], vcc
	s_cbranch_execnz .LBB123_15
; %bb.11:                               ;   in Loop: Header=BB123_4 Depth=1
	s_or_b64 exec, exec, s[60:61]
	s_and_saveexec_b64 s[8:9], s[6:7]
	s_cbranch_execnz .LBB123_16
.LBB123_12:                             ;   in Loop: Header=BB123_4 Depth=1
	s_or_b64 exec, exec, s[8:9]
	s_and_saveexec_b64 s[6:7], s[2:3]
	s_cbranch_execnz .LBB123_17
.LBB123_13:                             ;   in Loop: Header=BB123_4 Depth=1
	s_or_b64 exec, exec, s[6:7]
	s_and_saveexec_b64 s[2:3], s[0:1]
	s_cbranch_execnz .LBB123_18
.LBB123_14:                             ;   in Loop: Header=BB123_4 Depth=1
	s_or_b64 exec, exec, s[2:3]
	s_and_saveexec_b64 s[0:1], vcc
	s_cbranch_execz .LBB123_3
	s_branch .LBB123_19
.LBB123_15:                             ;   in Loop: Header=BB123_4 Depth=1
	v_add_co_u32_e64 v7, s[8:9], s63, v1
	v_addc_co_u32_e64 v8, s[8:9], 0, v2, s[8:9]
	global_load_dwordx2 v[7:8], v[7:8], off
	s_or_b64 exec, exec, s[60:61]
	s_and_saveexec_b64 s[8:9], s[6:7]
	s_cbranch_execz .LBB123_12
.LBB123_16:                             ;   in Loop: Header=BB123_4 Depth=1
	s_waitcnt vmcnt(0)
	v_add_f64 v[22:23], |v[13:14]|, s[24:25]
	s_mov_b32 s26, s24
	s_mov_b32 s35, s25
	v_cmp_nge_f64_e64 s[6:7], |v[13:14]|, s[58:59]
	v_add_f64 v[24:25], v[22:23], -|v[13:14]|
	v_add_f64 v[26:27], v[24:25], -v[22:23]
	v_add_f64 v[24:25], v[24:25], s[26:27]
	v_add_f64 v[26:27], |v[13:14]|, v[26:27]
	v_add_f64 v[24:25], v[26:27], -v[24:25]
	v_add_f64 v[24:25], v[24:25], s[28:29]
	v_add_f64 v[26:27], v[22:23], v[24:25]
	v_mul_f64 v[28:29], v[26:27], s[30:31]
	v_add_f64 v[22:23], v[22:23], -v[26:27]
	v_rndne_f64_e32 v[28:29], v[28:29]
	v_add_f64 v[22:23], v[24:25], v[22:23]
	v_fma_f64 v[24:25], v[28:29], s[34:35], v[26:27]
	v_mul_f64 v[26:27], v[28:29], s[36:37]
	v_add_f64 v[30:31], v[22:23], v[24:25]
	v_add_f64 v[32:33], v[30:31], v[26:27]
	v_add_f64 v[24:25], v[24:25], -v[30:31]
	v_add_f64 v[30:31], v[30:31], -v[32:33]
	v_add_f64 v[22:23], v[22:23], v[24:25]
	v_add_f64 v[24:25], v[30:31], v[26:27]
	;; [unrolled: 1-line block ×3, first 2 shown]
	v_mul_f64 v[24:25], v[28:29], s[38:39]
	v_add_f64 v[26:27], v[32:33], v[22:23]
	v_add_f64 v[30:31], v[26:27], v[24:25]
	v_add_f64 v[32:33], v[32:33], -v[26:27]
	v_add_f64 v[26:27], v[26:27], -v[30:31]
	v_add_f64 v[22:23], v[22:23], v[32:33]
	v_add_f64 v[24:25], v[26:27], v[24:25]
	;; [unrolled: 1-line block ×4, first 2 shown]
	v_fma_f64 v[26:27], v[24:25], s[40:41], v[5:6]
	v_add_f64 v[30:31], v[30:31], -v[24:25]
	v_mul_f64 v[32:33], v[24:25], v[24:25]
	v_fma_f64 v[26:27], v[24:25], v[26:27], s[42:43]
	v_add_f64 v[22:23], v[22:23], v[30:31]
	v_fma_f64 v[30:31], v[24:25], v[24:25], -v[32:33]
	v_fma_f64 v[26:27], v[24:25], v[26:27], s[44:45]
	v_add_f64 v[34:35], v[22:23], v[22:23]
	v_fma_f64 v[26:27], v[24:25], v[26:27], s[46:47]
	v_fma_f64 v[30:31], v[24:25], v[34:35], v[30:31]
	;; [unrolled: 1-line block ×3, first 2 shown]
	v_add_f64 v[34:35], v[32:33], v[30:31]
	v_fma_f64 v[26:27], v[24:25], v[26:27], s[50:51]
	v_add_f64 v[32:33], v[34:35], -v[32:33]
	v_fma_f64 v[26:27], v[24:25], v[26:27], s[52:53]
	v_add_f64 v[30:31], v[30:31], -v[32:33]
	v_fma_f64 v[26:27], v[24:25], v[26:27], s[54:55]
	v_fma_f64 v[26:27], v[24:25], v[26:27], s[56:57]
	v_mul_f64 v[36:37], v[34:35], v[26:27]
	v_fma_f64 v[32:33], v[34:35], v[26:27], -v[36:37]
	v_fma_f64 v[26:27], v[30:31], v[26:27], v[32:33]
	v_add_f64 v[30:31], v[36:37], v[26:27]
	v_add_f64 v[32:33], v[30:31], -v[36:37]
	v_add_f64 v[34:35], v[24:25], v[30:31]
	v_add_f64 v[26:27], v[26:27], -v[32:33]
	v_add_f64 v[24:25], v[34:35], -v[24:25]
	v_add_f64 v[22:23], v[22:23], v[26:27]
	v_add_f64 v[24:25], v[30:31], -v[24:25]
	v_add_f64 v[22:23], v[22:23], v[24:25]
	v_add_f64 v[24:25], v[34:35], v[22:23]
	v_add_f64 v[26:27], v[24:25], 1.0
	v_add_f64 v[30:31], v[24:25], -v[34:35]
	v_cvt_i32_f64_e32 v34, v[28:29]
	v_add_f64 v[32:33], v[26:27], -1.0
	v_add_f64 v[22:23], v[22:23], -v[30:31]
	v_add_f64 v[24:25], v[24:25], -v[32:33]
	v_add_f64 v[22:23], v[22:23], v[24:25]
	v_add_f64 v[24:25], v[26:27], v[22:23]
	v_ldexp_f64 v[28:29], v[24:25], v34
	v_add_f64 v[24:25], v[24:25], -v[26:27]
	v_rcp_f64_e32 v[30:31], v[28:29]
	v_add_f64 v[22:23], v[22:23], -v[24:25]
	v_ldexp_f64 v[22:23], v[22:23], v34
	v_fma_f64 v[32:33], -v[28:29], v[30:31], 1.0
	v_fma_f64 v[30:31], v[32:33], v[30:31], v[30:31]
	v_fma_f64 v[32:33], -v[28:29], v[30:31], 1.0
	v_fma_f64 v[26:27], v[32:33], v[30:31], v[30:31]
	v_mul_f64 v[24:25], v[28:29], v[26:27]
	v_fma_f64 v[30:31], v[26:27], v[28:29], -v[24:25]
	v_fma_f64 v[30:31], v[26:27], v[22:23], v[30:31]
	v_add_f64 v[32:33], v[24:25], v[30:31]
	v_add_f64 v[34:35], -v[32:33], 1.0
	v_add_f64 v[24:25], v[32:33], -v[24:25]
	v_add_f64 v[36:37], -v[34:35], 1.0
	v_add_f64 v[24:25], v[24:25], -v[30:31]
	v_add_f64 v[30:31], v[36:37], -v[32:33]
	v_add_f64 v[24:25], v[24:25], v[30:31]
	v_add_f64 v[30:31], v[34:35], v[24:25]
	v_mul_f64 v[32:33], v[26:27], v[30:31]
	v_add_f64 v[34:35], v[34:35], -v[30:31]
	v_mul_f64 v[36:37], v[28:29], v[32:33]
	v_add_f64 v[24:25], v[24:25], v[34:35]
	v_fma_f64 v[38:39], v[32:33], v[28:29], -v[36:37]
	v_fma_f64 v[38:39], v[32:33], v[22:23], v[38:39]
	v_add_f64 v[40:41], v[36:37], v[38:39]
	v_add_f64 v[42:43], v[30:31], -v[40:41]
	v_add_f64 v[34:35], v[40:41], -v[36:37]
	;; [unrolled: 1-line block ×5, first 2 shown]
	v_add_f64 v[24:25], v[24:25], v[30:31]
	v_add_f64 v[30:31], v[26:27], v[32:33]
	;; [unrolled: 1-line block ×3, first 2 shown]
	v_add_f64 v[34:35], v[30:31], -v[26:27]
	v_add_f64 v[24:25], v[42:43], v[24:25]
	v_add_f64 v[32:33], v[32:33], -v[34:35]
	v_mul_f64 v[24:25], v[26:27], v[24:25]
	v_add_f64 v[24:25], v[32:33], v[24:25]
	v_add_f64 v[26:27], v[30:31], v[24:25]
	v_ldexp_f64 v[32:33], v[26:27], -2
	v_add_f64 v[26:27], v[26:27], -v[30:31]
	v_add_f64 v[34:35], v[28:29], -v[32:33]
	;; [unrolled: 1-line block ×4, first 2 shown]
	v_ldexp_f64 v[24:25], v[24:25], -2
	v_add_f64 v[26:27], v[28:29], -v[32:33]
	v_add_f64 v[22:23], v[22:23], v[26:27]
	v_add_f64 v[22:23], v[22:23], -v[24:25]
	v_and_b32_e32 v24, 0x7fffffff, v14
	v_add_f64 v[22:23], v[34:35], v[22:23]
	v_cndmask_b32_e64 v23, v21, v23, s[6:7]
	v_cndmask_b32_e64 v22, 0, v22, s[6:7]
	v_cmp_lt_f64_e64 s[6:7], |v[13:14]|, s[22:23]
	v_cndmask_b32_e64 v13, v22, v13, s[6:7]
	v_cndmask_b32_e64 v22, v23, v24, s[6:7]
	v_bfi_b32 v14, s65, v22, v14
	global_store_dwordx2 v[1:2], v[13:14], off
	s_or_b64 exec, exec, s[8:9]
	s_and_saveexec_b64 s[6:7], s[2:3]
	s_cbranch_execz .LBB123_13
.LBB123_17:                             ;   in Loop: Header=BB123_4 Depth=1
	s_waitcnt vmcnt(0)
	v_add_f64 v[13:14], |v[11:12]|, s[24:25]
	s_mov_b32 s26, s24
	s_mov_b32 s35, s25
	v_cmp_nge_f64_e64 s[2:3], |v[11:12]|, s[58:59]
	v_add_f64 v[22:23], v[13:14], -|v[11:12]|
	v_add_f64 v[24:25], v[22:23], -v[13:14]
	v_add_f64 v[22:23], v[22:23], s[26:27]
	v_add_f64 v[24:25], |v[11:12]|, v[24:25]
	v_add_f64 v[22:23], v[24:25], -v[22:23]
	v_add_f64 v[22:23], v[22:23], s[28:29]
	v_add_f64 v[24:25], v[13:14], v[22:23]
	v_mul_f64 v[26:27], v[24:25], s[30:31]
	v_add_f64 v[13:14], v[13:14], -v[24:25]
	v_rndne_f64_e32 v[26:27], v[26:27]
	v_add_f64 v[13:14], v[22:23], v[13:14]
	v_fma_f64 v[22:23], v[26:27], s[34:35], v[24:25]
	v_mul_f64 v[24:25], v[26:27], s[36:37]
	v_add_f64 v[28:29], v[13:14], v[22:23]
	v_add_f64 v[30:31], v[28:29], v[24:25]
	v_add_f64 v[22:23], v[22:23], -v[28:29]
	v_add_f64 v[28:29], v[28:29], -v[30:31]
	v_add_f64 v[13:14], v[13:14], v[22:23]
	v_add_f64 v[22:23], v[28:29], v[24:25]
	;; [unrolled: 1-line block ×3, first 2 shown]
	v_mul_f64 v[22:23], v[26:27], s[38:39]
	v_add_f64 v[24:25], v[30:31], v[13:14]
	v_add_f64 v[28:29], v[24:25], v[22:23]
	v_add_f64 v[30:31], v[30:31], -v[24:25]
	v_add_f64 v[24:25], v[24:25], -v[28:29]
	v_add_f64 v[13:14], v[13:14], v[30:31]
	v_add_f64 v[22:23], v[24:25], v[22:23]
	;; [unrolled: 1-line block ×4, first 2 shown]
	v_fma_f64 v[24:25], v[22:23], s[40:41], v[5:6]
	v_add_f64 v[28:29], v[28:29], -v[22:23]
	v_mul_f64 v[30:31], v[22:23], v[22:23]
	v_fma_f64 v[24:25], v[22:23], v[24:25], s[42:43]
	v_add_f64 v[13:14], v[13:14], v[28:29]
	v_fma_f64 v[28:29], v[22:23], v[22:23], -v[30:31]
	v_fma_f64 v[24:25], v[22:23], v[24:25], s[44:45]
	v_add_f64 v[32:33], v[13:14], v[13:14]
	v_fma_f64 v[24:25], v[22:23], v[24:25], s[46:47]
	v_fma_f64 v[28:29], v[22:23], v[32:33], v[28:29]
	;; [unrolled: 1-line block ×3, first 2 shown]
	v_add_f64 v[32:33], v[30:31], v[28:29]
	v_fma_f64 v[24:25], v[22:23], v[24:25], s[50:51]
	v_add_f64 v[30:31], v[32:33], -v[30:31]
	v_fma_f64 v[24:25], v[22:23], v[24:25], s[52:53]
	v_add_f64 v[28:29], v[28:29], -v[30:31]
	v_fma_f64 v[24:25], v[22:23], v[24:25], s[54:55]
	v_fma_f64 v[24:25], v[22:23], v[24:25], s[56:57]
	v_mul_f64 v[34:35], v[32:33], v[24:25]
	v_fma_f64 v[30:31], v[32:33], v[24:25], -v[34:35]
	v_fma_f64 v[24:25], v[28:29], v[24:25], v[30:31]
	v_add_f64 v[28:29], v[34:35], v[24:25]
	v_add_f64 v[30:31], v[22:23], v[28:29]
	v_add_f64 v[32:33], v[28:29], -v[34:35]
	v_add_f64 v[22:23], v[30:31], -v[22:23]
	;; [unrolled: 1-line block ×3, first 2 shown]
	v_cvt_i32_f64_e32 v32, v[26:27]
	v_add_f64 v[22:23], v[28:29], -v[22:23]
	v_add_f64 v[13:14], v[13:14], v[24:25]
	v_add_f64 v[13:14], v[13:14], v[22:23]
	;; [unrolled: 1-line block ×3, first 2 shown]
	v_add_f64 v[24:25], v[22:23], 1.0
	v_add_f64 v[28:29], v[22:23], -v[30:31]
	v_add_f64 v[30:31], v[24:25], -1.0
	v_add_f64 v[13:14], v[13:14], -v[28:29]
	v_add_f64 v[22:23], v[22:23], -v[30:31]
	v_add_f64 v[13:14], v[13:14], v[22:23]
	v_add_f64 v[22:23], v[24:25], v[13:14]
	v_ldexp_f64 v[26:27], v[22:23], v32
	v_add_f64 v[22:23], v[22:23], -v[24:25]
	v_rcp_f64_e32 v[28:29], v[26:27]
	v_add_f64 v[13:14], v[13:14], -v[22:23]
	v_ldexp_f64 v[13:14], v[13:14], v32
	v_fma_f64 v[30:31], -v[26:27], v[28:29], 1.0
	v_fma_f64 v[28:29], v[30:31], v[28:29], v[28:29]
	v_fma_f64 v[30:31], -v[26:27], v[28:29], 1.0
	v_fma_f64 v[24:25], v[30:31], v[28:29], v[28:29]
	v_mul_f64 v[22:23], v[26:27], v[24:25]
	v_fma_f64 v[28:29], v[24:25], v[26:27], -v[22:23]
	v_fma_f64 v[28:29], v[24:25], v[13:14], v[28:29]
	v_add_f64 v[30:31], v[22:23], v[28:29]
	v_add_f64 v[32:33], -v[30:31], 1.0
	v_add_f64 v[22:23], v[30:31], -v[22:23]
	v_add_f64 v[34:35], -v[32:33], 1.0
	v_add_f64 v[22:23], v[22:23], -v[28:29]
	v_add_f64 v[28:29], v[34:35], -v[30:31]
	v_add_f64 v[22:23], v[22:23], v[28:29]
	v_add_f64 v[28:29], v[32:33], v[22:23]
	v_mul_f64 v[30:31], v[24:25], v[28:29]
	v_add_f64 v[32:33], v[32:33], -v[28:29]
	v_mul_f64 v[34:35], v[26:27], v[30:31]
	v_add_f64 v[22:23], v[22:23], v[32:33]
	v_fma_f64 v[36:37], v[30:31], v[26:27], -v[34:35]
	v_fma_f64 v[36:37], v[30:31], v[13:14], v[36:37]
	v_add_f64 v[38:39], v[34:35], v[36:37]
	v_add_f64 v[40:41], v[28:29], -v[38:39]
	v_add_f64 v[32:33], v[38:39], -v[34:35]
	;; [unrolled: 1-line block ×5, first 2 shown]
	v_add_f64 v[22:23], v[22:23], v[28:29]
	v_add_f64 v[28:29], v[24:25], v[30:31]
	;; [unrolled: 1-line block ×3, first 2 shown]
	v_add_f64 v[32:33], v[28:29], -v[24:25]
	v_add_f64 v[22:23], v[40:41], v[22:23]
	v_add_f64 v[30:31], v[30:31], -v[32:33]
	v_mul_f64 v[22:23], v[24:25], v[22:23]
	v_add_f64 v[22:23], v[30:31], v[22:23]
	v_add_f64 v[24:25], v[28:29], v[22:23]
	v_ldexp_f64 v[30:31], v[24:25], -2
	v_add_f64 v[24:25], v[24:25], -v[28:29]
	v_add_f64 v[32:33], v[26:27], -v[30:31]
	;; [unrolled: 1-line block ×4, first 2 shown]
	v_ldexp_f64 v[22:23], v[22:23], -2
	v_add_f64 v[24:25], v[26:27], -v[30:31]
	v_add_f64 v[13:14], v[13:14], v[24:25]
	v_add_f64 v[13:14], v[13:14], -v[22:23]
	v_and_b32_e32 v22, 0x7fffffff, v12
	v_add_f64 v[13:14], v[32:33], v[13:14]
	v_cndmask_b32_e64 v14, v21, v14, s[2:3]
	v_cndmask_b32_e64 v13, 0, v13, s[2:3]
	v_cmp_lt_f64_e64 s[2:3], |v[11:12]|, s[22:23]
	v_cndmask_b32_e64 v11, v13, v11, s[2:3]
	v_cndmask_b32_e64 v13, v14, v22, s[2:3]
	v_bfi_b32 v12, s65, v13, v12
	global_store_dwordx2 v[3:4], v[11:12], off
	s_or_b64 exec, exec, s[6:7]
	s_and_saveexec_b64 s[2:3], s[0:1]
	s_cbranch_execz .LBB123_14
.LBB123_18:                             ;   in Loop: Header=BB123_4 Depth=1
	s_waitcnt vmcnt(0)
	v_add_f64 v[11:12], |v[9:10]|, s[24:25]
	s_mov_b32 s26, s24
	s_mov_b32 s35, s25
	v_cmp_nge_f64_e64 s[0:1], |v[9:10]|, s[58:59]
	v_add_f64 v[13:14], v[11:12], -|v[9:10]|
	v_add_f64 v[22:23], v[13:14], -v[11:12]
	v_add_f64 v[13:14], v[13:14], s[26:27]
	v_add_f64 v[22:23], |v[9:10]|, v[22:23]
	v_add_f64 v[13:14], v[22:23], -v[13:14]
	v_add_f64 v[13:14], v[13:14], s[28:29]
	v_add_f64 v[22:23], v[11:12], v[13:14]
	v_mul_f64 v[24:25], v[22:23], s[30:31]
	v_add_f64 v[11:12], v[11:12], -v[22:23]
	v_rndne_f64_e32 v[24:25], v[24:25]
	v_add_f64 v[11:12], v[13:14], v[11:12]
	v_fma_f64 v[13:14], v[24:25], s[34:35], v[22:23]
	v_mul_f64 v[22:23], v[24:25], s[36:37]
	v_add_f64 v[26:27], v[11:12], v[13:14]
	v_add_f64 v[28:29], v[26:27], v[22:23]
	v_add_f64 v[13:14], v[13:14], -v[26:27]
	v_add_f64 v[26:27], v[26:27], -v[28:29]
	v_add_f64 v[11:12], v[11:12], v[13:14]
	v_add_f64 v[13:14], v[26:27], v[22:23]
	;; [unrolled: 1-line block ×3, first 2 shown]
	v_mul_f64 v[13:14], v[24:25], s[38:39]
	v_add_f64 v[22:23], v[28:29], v[11:12]
	v_add_f64 v[26:27], v[22:23], v[13:14]
	v_add_f64 v[28:29], v[28:29], -v[22:23]
	v_add_f64 v[22:23], v[22:23], -v[26:27]
	v_add_f64 v[11:12], v[11:12], v[28:29]
	v_add_f64 v[13:14], v[22:23], v[13:14]
	;; [unrolled: 1-line block ×4, first 2 shown]
	v_fma_f64 v[22:23], v[13:14], s[40:41], v[5:6]
	v_add_f64 v[26:27], v[26:27], -v[13:14]
	v_mul_f64 v[28:29], v[13:14], v[13:14]
	v_fma_f64 v[22:23], v[13:14], v[22:23], s[42:43]
	v_add_f64 v[11:12], v[11:12], v[26:27]
	v_fma_f64 v[26:27], v[13:14], v[13:14], -v[28:29]
	v_fma_f64 v[22:23], v[13:14], v[22:23], s[44:45]
	v_add_f64 v[30:31], v[11:12], v[11:12]
	v_fma_f64 v[22:23], v[13:14], v[22:23], s[46:47]
	v_fma_f64 v[26:27], v[13:14], v[30:31], v[26:27]
	;; [unrolled: 1-line block ×3, first 2 shown]
	v_add_f64 v[30:31], v[28:29], v[26:27]
	v_fma_f64 v[22:23], v[13:14], v[22:23], s[50:51]
	v_add_f64 v[28:29], v[30:31], -v[28:29]
	v_fma_f64 v[22:23], v[13:14], v[22:23], s[52:53]
	v_add_f64 v[26:27], v[26:27], -v[28:29]
	v_fma_f64 v[22:23], v[13:14], v[22:23], s[54:55]
	v_fma_f64 v[22:23], v[13:14], v[22:23], s[56:57]
	v_mul_f64 v[32:33], v[30:31], v[22:23]
	v_fma_f64 v[28:29], v[30:31], v[22:23], -v[32:33]
	v_fma_f64 v[22:23], v[26:27], v[22:23], v[28:29]
	v_add_f64 v[26:27], v[32:33], v[22:23]
	v_add_f64 v[28:29], v[13:14], v[26:27]
	v_add_f64 v[30:31], v[26:27], -v[32:33]
	v_add_f64 v[13:14], v[28:29], -v[13:14]
	;; [unrolled: 1-line block ×3, first 2 shown]
	v_cvt_i32_f64_e32 v30, v[24:25]
	v_add_f64 v[13:14], v[26:27], -v[13:14]
	v_add_f64 v[11:12], v[11:12], v[22:23]
	v_add_f64 v[11:12], v[11:12], v[13:14]
	v_add_f64 v[13:14], v[28:29], v[11:12]
	v_add_f64 v[22:23], v[13:14], 1.0
	v_add_f64 v[26:27], v[13:14], -v[28:29]
	v_add_f64 v[28:29], v[22:23], -1.0
	v_add_f64 v[11:12], v[11:12], -v[26:27]
	v_add_f64 v[13:14], v[13:14], -v[28:29]
	v_add_f64 v[11:12], v[11:12], v[13:14]
	v_add_f64 v[13:14], v[22:23], v[11:12]
	v_ldexp_f64 v[24:25], v[13:14], v30
	v_add_f64 v[13:14], v[13:14], -v[22:23]
	v_rcp_f64_e32 v[26:27], v[24:25]
	v_add_f64 v[11:12], v[11:12], -v[13:14]
	v_ldexp_f64 v[11:12], v[11:12], v30
	v_fma_f64 v[28:29], -v[24:25], v[26:27], 1.0
	v_fma_f64 v[26:27], v[28:29], v[26:27], v[26:27]
	v_fma_f64 v[28:29], -v[24:25], v[26:27], 1.0
	v_fma_f64 v[22:23], v[28:29], v[26:27], v[26:27]
	v_mul_f64 v[13:14], v[24:25], v[22:23]
	v_fma_f64 v[26:27], v[22:23], v[24:25], -v[13:14]
	v_fma_f64 v[26:27], v[22:23], v[11:12], v[26:27]
	v_add_f64 v[28:29], v[13:14], v[26:27]
	v_add_f64 v[30:31], -v[28:29], 1.0
	v_add_f64 v[13:14], v[28:29], -v[13:14]
	v_add_f64 v[32:33], -v[30:31], 1.0
	v_add_f64 v[13:14], v[13:14], -v[26:27]
	v_add_f64 v[26:27], v[32:33], -v[28:29]
	v_add_f64 v[13:14], v[13:14], v[26:27]
	v_add_f64 v[26:27], v[30:31], v[13:14]
	v_mul_f64 v[28:29], v[22:23], v[26:27]
	v_add_f64 v[30:31], v[30:31], -v[26:27]
	v_mul_f64 v[32:33], v[24:25], v[28:29]
	v_add_f64 v[13:14], v[13:14], v[30:31]
	v_fma_f64 v[34:35], v[28:29], v[24:25], -v[32:33]
	v_fma_f64 v[34:35], v[28:29], v[11:12], v[34:35]
	v_add_f64 v[36:37], v[32:33], v[34:35]
	v_add_f64 v[38:39], v[26:27], -v[36:37]
	v_add_f64 v[30:31], v[36:37], -v[32:33]
	;; [unrolled: 1-line block ×5, first 2 shown]
	v_add_f64 v[13:14], v[13:14], v[26:27]
	v_add_f64 v[26:27], v[22:23], v[28:29]
	;; [unrolled: 1-line block ×3, first 2 shown]
	v_add_f64 v[30:31], v[26:27], -v[22:23]
	v_add_f64 v[13:14], v[38:39], v[13:14]
	v_add_f64 v[28:29], v[28:29], -v[30:31]
	v_mul_f64 v[13:14], v[22:23], v[13:14]
	v_add_f64 v[13:14], v[28:29], v[13:14]
	v_add_f64 v[22:23], v[26:27], v[13:14]
	v_ldexp_f64 v[28:29], v[22:23], -2
	v_add_f64 v[22:23], v[22:23], -v[26:27]
	v_add_f64 v[30:31], v[24:25], -v[28:29]
	;; [unrolled: 1-line block ×4, first 2 shown]
	v_ldexp_f64 v[13:14], v[13:14], -2
	v_add_f64 v[22:23], v[24:25], -v[28:29]
	v_add_f64 v[11:12], v[11:12], v[22:23]
	v_add_f64 v[11:12], v[11:12], -v[13:14]
	v_and_b32_e32 v13, 0x7fffffff, v10
	v_add_f64 v[11:12], v[30:31], v[11:12]
	v_cndmask_b32_e64 v12, v21, v12, s[0:1]
	v_cndmask_b32_e64 v11, 0, v11, s[0:1]
	v_cmp_lt_f64_e64 s[0:1], |v[9:10]|, s[22:23]
	v_cndmask_b32_e64 v9, v11, v9, s[0:1]
	v_cndmask_b32_e64 v11, v12, v13, s[0:1]
	v_bfi_b32 v10, s65, v11, v10
	v_add_co_u32_e64 v11, s[0:1], s64, v1
	v_addc_co_u32_e64 v12, s[0:1], 0, v2, s[0:1]
	global_store_dwordx2 v[11:12], v[9:10], off
	s_or_b64 exec, exec, s[2:3]
	s_and_saveexec_b64 s[0:1], vcc
	s_cbranch_execz .LBB123_3
.LBB123_19:                             ;   in Loop: Header=BB123_4 Depth=1
	s_waitcnt vmcnt(0)
	v_add_f64 v[9:10], |v[7:8]|, s[24:25]
	s_mov_b32 s26, s24
	s_mov_b32 s35, s25
	v_cmp_nge_f64_e64 vcc, |v[7:8]|, s[58:59]
	v_add_f64 v[11:12], v[9:10], -|v[7:8]|
	v_add_f64 v[13:14], v[11:12], -v[9:10]
	v_add_f64 v[11:12], v[11:12], s[26:27]
	v_add_f64 v[13:14], |v[7:8]|, v[13:14]
	v_add_f64 v[11:12], v[13:14], -v[11:12]
	v_add_f64 v[11:12], v[11:12], s[28:29]
	v_add_f64 v[13:14], v[9:10], v[11:12]
	v_mul_f64 v[22:23], v[13:14], s[30:31]
	v_add_f64 v[9:10], v[9:10], -v[13:14]
	v_rndne_f64_e32 v[22:23], v[22:23]
	v_add_f64 v[9:10], v[11:12], v[9:10]
	v_fma_f64 v[11:12], v[22:23], s[34:35], v[13:14]
	v_mul_f64 v[13:14], v[22:23], s[36:37]
	v_add_f64 v[24:25], v[9:10], v[11:12]
	v_add_f64 v[26:27], v[24:25], v[13:14]
	v_add_f64 v[11:12], v[11:12], -v[24:25]
	v_add_f64 v[24:25], v[24:25], -v[26:27]
	v_add_f64 v[9:10], v[9:10], v[11:12]
	v_add_f64 v[11:12], v[24:25], v[13:14]
	;; [unrolled: 1-line block ×3, first 2 shown]
	v_mul_f64 v[11:12], v[22:23], s[38:39]
	v_add_f64 v[13:14], v[26:27], v[9:10]
	v_add_f64 v[24:25], v[13:14], v[11:12]
	v_add_f64 v[26:27], v[26:27], -v[13:14]
	v_add_f64 v[13:14], v[13:14], -v[24:25]
	v_add_f64 v[9:10], v[9:10], v[26:27]
	v_add_f64 v[11:12], v[13:14], v[11:12]
	;; [unrolled: 1-line block ×4, first 2 shown]
	v_fma_f64 v[13:14], v[11:12], s[40:41], v[5:6]
	v_add_f64 v[24:25], v[24:25], -v[11:12]
	v_mul_f64 v[26:27], v[11:12], v[11:12]
	v_fma_f64 v[13:14], v[11:12], v[13:14], s[42:43]
	v_add_f64 v[9:10], v[9:10], v[24:25]
	v_fma_f64 v[24:25], v[11:12], v[11:12], -v[26:27]
	v_fma_f64 v[13:14], v[11:12], v[13:14], s[44:45]
	v_add_f64 v[28:29], v[9:10], v[9:10]
	v_fma_f64 v[13:14], v[11:12], v[13:14], s[46:47]
	v_fma_f64 v[24:25], v[11:12], v[28:29], v[24:25]
	v_fma_f64 v[13:14], v[11:12], v[13:14], s[48:49]
	v_add_f64 v[28:29], v[26:27], v[24:25]
	v_fma_f64 v[13:14], v[11:12], v[13:14], s[50:51]
	v_add_f64 v[26:27], v[28:29], -v[26:27]
	v_fma_f64 v[13:14], v[11:12], v[13:14], s[52:53]
	v_add_f64 v[24:25], v[24:25], -v[26:27]
	v_fma_f64 v[13:14], v[11:12], v[13:14], s[54:55]
	v_fma_f64 v[13:14], v[11:12], v[13:14], s[56:57]
	v_mul_f64 v[30:31], v[28:29], v[13:14]
	v_fma_f64 v[26:27], v[28:29], v[13:14], -v[30:31]
	v_fma_f64 v[13:14], v[24:25], v[13:14], v[26:27]
	v_add_f64 v[24:25], v[30:31], v[13:14]
	v_add_f64 v[26:27], v[11:12], v[24:25]
	v_add_f64 v[28:29], v[24:25], -v[30:31]
	v_add_f64 v[11:12], v[26:27], -v[11:12]
	;; [unrolled: 1-line block ×3, first 2 shown]
	v_cvt_i32_f64_e32 v28, v[22:23]
	v_add_f64 v[11:12], v[24:25], -v[11:12]
	v_add_f64 v[9:10], v[9:10], v[13:14]
	v_add_f64 v[9:10], v[9:10], v[11:12]
	;; [unrolled: 1-line block ×3, first 2 shown]
	v_add_f64 v[13:14], v[11:12], 1.0
	v_add_f64 v[24:25], v[11:12], -v[26:27]
	v_add_f64 v[26:27], v[13:14], -1.0
	v_add_f64 v[9:10], v[9:10], -v[24:25]
	v_add_f64 v[11:12], v[11:12], -v[26:27]
	v_add_f64 v[9:10], v[9:10], v[11:12]
	v_add_f64 v[11:12], v[13:14], v[9:10]
	v_ldexp_f64 v[22:23], v[11:12], v28
	v_add_f64 v[11:12], v[11:12], -v[13:14]
	v_rcp_f64_e32 v[24:25], v[22:23]
	v_add_f64 v[9:10], v[9:10], -v[11:12]
	v_ldexp_f64 v[9:10], v[9:10], v28
	v_fma_f64 v[26:27], -v[22:23], v[24:25], 1.0
	v_fma_f64 v[24:25], v[26:27], v[24:25], v[24:25]
	v_fma_f64 v[26:27], -v[22:23], v[24:25], 1.0
	v_fma_f64 v[13:14], v[26:27], v[24:25], v[24:25]
	v_mul_f64 v[11:12], v[22:23], v[13:14]
	v_fma_f64 v[24:25], v[13:14], v[22:23], -v[11:12]
	v_fma_f64 v[24:25], v[13:14], v[9:10], v[24:25]
	v_add_f64 v[26:27], v[11:12], v[24:25]
	v_add_f64 v[28:29], -v[26:27], 1.0
	v_add_f64 v[11:12], v[26:27], -v[11:12]
	v_add_f64 v[30:31], -v[28:29], 1.0
	v_add_f64 v[11:12], v[11:12], -v[24:25]
	v_add_f64 v[24:25], v[30:31], -v[26:27]
	v_add_f64 v[11:12], v[11:12], v[24:25]
	v_add_f64 v[24:25], v[28:29], v[11:12]
	v_mul_f64 v[26:27], v[13:14], v[24:25]
	v_add_f64 v[28:29], v[28:29], -v[24:25]
	v_mul_f64 v[30:31], v[22:23], v[26:27]
	v_add_f64 v[11:12], v[11:12], v[28:29]
	v_fma_f64 v[32:33], v[26:27], v[22:23], -v[30:31]
	v_fma_f64 v[32:33], v[26:27], v[9:10], v[32:33]
	v_add_f64 v[34:35], v[30:31], v[32:33]
	v_add_f64 v[36:37], v[24:25], -v[34:35]
	v_add_f64 v[28:29], v[34:35], -v[30:31]
	;; [unrolled: 1-line block ×5, first 2 shown]
	v_add_f64 v[11:12], v[11:12], v[24:25]
	v_add_f64 v[24:25], v[13:14], v[26:27]
	;; [unrolled: 1-line block ×3, first 2 shown]
	v_add_f64 v[28:29], v[24:25], -v[13:14]
	v_add_f64 v[11:12], v[36:37], v[11:12]
	v_add_f64 v[26:27], v[26:27], -v[28:29]
	v_mul_f64 v[11:12], v[13:14], v[11:12]
	v_add_f64 v[11:12], v[26:27], v[11:12]
	v_add_f64 v[13:14], v[24:25], v[11:12]
	v_ldexp_f64 v[26:27], v[13:14], -2
	v_add_f64 v[13:14], v[13:14], -v[24:25]
	v_add_f64 v[28:29], v[22:23], -v[26:27]
	;; [unrolled: 1-line block ×4, first 2 shown]
	v_ldexp_f64 v[11:12], v[11:12], -2
	v_add_f64 v[13:14], v[22:23], -v[26:27]
	v_add_f64 v[9:10], v[9:10], v[13:14]
	v_add_f64 v[9:10], v[9:10], -v[11:12]
	v_and_b32_e32 v11, 0x7fffffff, v8
	v_add_f64 v[9:10], v[28:29], v[9:10]
	v_cndmask_b32_e32 v10, v21, v10, vcc
	v_cndmask_b32_e32 v9, 0, v9, vcc
	v_cmp_lt_f64_e64 vcc, |v[7:8]|, s[22:23]
	v_cndmask_b32_e32 v7, v9, v7, vcc
	v_cndmask_b32_e32 v9, v10, v11, vcc
	v_bfi_b32 v8, s65, v9, v8
	v_add_co_u32_e32 v9, vcc, s63, v1
	v_addc_co_u32_e32 v10, vcc, 0, v2, vcc
	global_store_dwordx2 v[9:10], v[7:8], off
	s_branch .LBB123_3
.LBB123_20:
	s_cbranch_execz .LBB123_22
	s_branch .LBB123_25
.LBB123_21:
.LBB123_22:
	v_mov_b32_e32 v1, 0x10000
	v_mov_b32_e32 v2, 0
	v_cmp_lt_i64_e32 vcc, s[14:15], v[1:2]
	v_mov_b32_e32 v2, 0
	s_and_b64 s[0:1], vcc, exec
	s_cselect_b32 s1, s15, 0
	s_cselect_b32 s0, s14, 0x10000
	v_lshlrev_b32_e32 v1, 2, v0
	v_cmp_gt_i64_e32 vcc, s[0:1], v[1:2]
	s_and_saveexec_b64 s[2:3], vcc
	s_cbranch_execz .LBB123_25
; %bb.23:
	s_load_dword s2, s[4:5], 0xd3c
	v_mov_b32_e32 v1, v2
	v_lshlrev_b32_e32 v2, 5, v0
	s_mov_b32 s20, 0xfca7ab0c
	s_mov_b32 s4, 0xfefa39ef
	s_waitcnt lgkmcnt(0)
	s_and_b32 s33, s2, 0xffff
	s_add_u32 s2, s10, s12
	s_addc_u32 s3, s11, s13
	v_mov_b32_e32 v3, s3
	v_add_co_u32_e32 v2, vcc, s2, v2
	v_addc_co_u32_e32 v3, vcc, 0, v3, vcc
	s_mov_b32 s21, 0x3e928af3
	v_mov_b32_e32 v12, s20
	v_add_co_u32_e32 v10, vcc, 16, v2
	s_mov_b32 s5, 0xbfe62e42
	s_mov_b32 s8, 0x3b39803f
	;; [unrolled: 1-line block ×6, first 2 shown]
	v_mov_b32_e32 v13, s21
	s_mov_b32 s20, 0x623fde64
	s_mov_b32 s22, 0x7c89e6b0
	;; [unrolled: 1-line block ×10, first 2 shown]
	v_addc_co_u32_e32 v11, vcc, 0, v3, vcc
	s_lshl_b32 s42, s33, 5
	s_mov_b64 s[2:3], 0
	s_brev_b32 s43, -2
	s_mov_b32 s7, 0x3fe62e42
	s_mov_b32 s6, s4
	s_mov_b32 s9, 0xbc7abc9e
	s_mov_b32 s11, 0x3ff71547
	s_mov_b32 s12, 0xfefa3000
	s_mov_b32 s13, s5
	s_mov_b32 s15, 0x3d53de6a
	s_mov_b32 s17, 0x3ac9cc01
	s_mov_b32 s19, 0x3e5ade15
	s_mov_b32 s21, 0x3ec71dee
	s_mov_b32 s23, 0x3efa0199
	s_mov_b32 s25, 0x3f2a01a0
	s_mov_b32 s27, 0x3f56c16c
	s_mov_b32 s29, 0x3f811111
	s_mov_b32 s31, 0x3fa55555
	s_mov_b32 s35, 0x3fc55555
	s_mov_b32 s37, 0x3fe00000
	s_mov_b32 s39, 0x408633ce
	s_mov_b32 s41, 0x3e400000
	v_mov_b32_e32 v14, 0x7ff00000
.LBB123_24:                             ; =>This Inner Loop Header: Depth=1
	global_load_dwordx4 v[2:5], v[10:11], off
	global_load_dwordx4 v[6:9], v[10:11], off offset:-16
	s_waitcnt vmcnt(0)
	v_add_f64 v[15:16], |v[6:7]|, s[4:5]
	v_cmp_nge_f64_e64 vcc, |v[6:7]|, s[38:39]
	v_and_b32_e32 v35, 0x7fffffff, v7
	v_add_f64 v[17:18], v[15:16], -|v[6:7]|
	v_add_f64 v[19:20], v[17:18], -v[15:16]
	v_add_f64 v[17:18], v[17:18], s[6:7]
	v_add_f64 v[19:20], |v[6:7]|, v[19:20]
	v_add_f64 v[17:18], v[19:20], -v[17:18]
	v_add_f64 v[17:18], v[17:18], s[8:9]
	v_add_f64 v[19:20], v[15:16], v[17:18]
	v_add_f64 v[15:16], v[15:16], -v[19:20]
	v_add_f64 v[15:16], v[17:18], v[15:16]
	v_mul_f64 v[17:18], v[19:20], s[10:11]
	v_rndne_f64_e32 v[17:18], v[17:18]
	v_fma_f64 v[19:20], v[17:18], s[12:13], v[19:20]
	v_add_f64 v[21:22], v[15:16], v[19:20]
	v_add_f64 v[19:20], v[19:20], -v[21:22]
	v_add_f64 v[15:16], v[15:16], v[19:20]
	v_mul_f64 v[19:20], v[17:18], s[14:15]
	v_add_f64 v[23:24], v[21:22], -v[19:20]
	v_add_f64 v[21:22], v[21:22], -v[23:24]
	;; [unrolled: 1-line block ×3, first 2 shown]
	v_add_f64 v[15:16], v[15:16], v[19:20]
	v_add_f64 v[19:20], v[23:24], v[15:16]
	v_add_f64 v[21:22], v[23:24], -v[19:20]
	v_add_f64 v[15:16], v[15:16], v[21:22]
	v_mul_f64 v[21:22], v[17:18], s[16:17]
	v_add_f64 v[23:24], v[19:20], -v[21:22]
	v_add_f64 v[19:20], v[19:20], -v[23:24]
	;; [unrolled: 1-line block ×3, first 2 shown]
	v_add_f64 v[15:16], v[15:16], v[19:20]
	v_add_f64 v[19:20], v[23:24], v[15:16]
	v_add_f64 v[21:22], v[23:24], -v[19:20]
	v_mul_f64 v[23:24], v[19:20], v[19:20]
	v_add_f64 v[15:16], v[15:16], v[21:22]
	v_fma_f64 v[21:22], v[19:20], s[18:19], v[12:13]
	v_fma_f64 v[25:26], v[19:20], v[19:20], -v[23:24]
	v_add_f64 v[27:28], v[15:16], v[15:16]
	v_fma_f64 v[21:22], v[19:20], v[21:22], s[20:21]
	v_fma_f64 v[25:26], v[19:20], v[27:28], v[25:26]
	;; [unrolled: 1-line block ×3, first 2 shown]
	v_add_f64 v[27:28], v[23:24], v[25:26]
	v_fma_f64 v[21:22], v[19:20], v[21:22], s[24:25]
	v_add_f64 v[23:24], v[27:28], -v[23:24]
	v_fma_f64 v[21:22], v[19:20], v[21:22], s[26:27]
	v_add_f64 v[23:24], v[25:26], -v[23:24]
	v_fma_f64 v[21:22], v[19:20], v[21:22], s[28:29]
	v_fma_f64 v[21:22], v[19:20], v[21:22], s[30:31]
	v_fma_f64 v[21:22], v[19:20], v[21:22], s[34:35]
	v_fma_f64 v[21:22], v[19:20], v[21:22], s[36:37]
	v_mul_f64 v[25:26], v[27:28], v[21:22]
	v_fma_f64 v[27:28], v[27:28], v[21:22], -v[25:26]
	v_fma_f64 v[21:22], v[23:24], v[21:22], v[27:28]
	v_add_f64 v[23:24], v[25:26], v[21:22]
	v_add_f64 v[25:26], v[23:24], -v[25:26]
	v_add_f64 v[21:22], v[21:22], -v[25:26]
	v_add_f64 v[25:26], v[19:20], v[23:24]
	v_add_f64 v[15:16], v[15:16], v[21:22]
	v_add_f64 v[19:20], v[25:26], -v[19:20]
	v_add_f64 v[19:20], v[23:24], -v[19:20]
	v_add_f64 v[15:16], v[15:16], v[19:20]
	v_add_f64 v[19:20], v[25:26], v[15:16]
	v_add_f64 v[21:22], v[19:20], -v[25:26]
	v_add_f64 v[15:16], v[15:16], -v[21:22]
	v_add_f64 v[21:22], v[19:20], 1.0
	v_add_f64 v[23:24], v[21:22], -1.0
	v_add_f64 v[19:20], v[19:20], -v[23:24]
	v_add_f64 v[15:16], v[15:16], v[19:20]
	v_add_f64 v[19:20], v[21:22], v[15:16]
	v_add_f64 v[21:22], v[19:20], -v[21:22]
	v_add_f64 v[15:16], v[15:16], -v[21:22]
	v_cvt_i32_f64_e32 v21, v[17:18]
	v_ldexp_f64 v[17:18], v[19:20], v21
	v_ldexp_f64 v[15:16], v[15:16], v21
	v_rcp_f64_e32 v[19:20], v[17:18]
	v_fma_f64 v[21:22], -v[17:18], v[19:20], 1.0
	v_fma_f64 v[19:20], v[21:22], v[19:20], v[19:20]
	v_fma_f64 v[21:22], -v[17:18], v[19:20], 1.0
	v_fma_f64 v[19:20], v[21:22], v[19:20], v[19:20]
	v_mul_f64 v[21:22], v[17:18], v[19:20]
	v_fma_f64 v[23:24], v[19:20], v[17:18], -v[21:22]
	v_fma_f64 v[23:24], v[19:20], v[15:16], v[23:24]
	v_add_f64 v[25:26], v[21:22], v[23:24]
	v_add_f64 v[27:28], -v[25:26], 1.0
	v_add_f64 v[21:22], v[25:26], -v[21:22]
	v_add_f64 v[29:30], -v[27:28], 1.0
	v_add_f64 v[21:22], v[21:22], -v[23:24]
	v_add_f64 v[25:26], v[29:30], -v[25:26]
	v_add_f64 v[21:22], v[21:22], v[25:26]
	v_add_f64 v[23:24], v[27:28], v[21:22]
	v_add_f64 v[25:26], v[27:28], -v[23:24]
	v_add_f64 v[21:22], v[21:22], v[25:26]
	v_mul_f64 v[25:26], v[19:20], v[23:24]
	v_mul_f64 v[27:28], v[17:18], v[25:26]
	v_fma_f64 v[29:30], v[25:26], v[17:18], -v[27:28]
	v_fma_f64 v[29:30], v[25:26], v[15:16], v[29:30]
	v_add_f64 v[31:32], v[27:28], v[29:30]
	v_add_f64 v[33:34], v[23:24], -v[31:32]
	v_add_f64 v[27:28], v[31:32], -v[27:28]
	;; [unrolled: 1-line block ×4, first 2 shown]
	v_add_f64 v[21:22], v[21:22], v[23:24]
	v_add_f64 v[23:24], v[27:28], -v[29:30]
	v_add_f64 v[21:22], v[23:24], v[21:22]
	v_add_f64 v[23:24], v[19:20], v[25:26]
	;; [unrolled: 1-line block ×3, first 2 shown]
	v_mul_f64 v[21:22], v[19:20], v[21:22]
	v_add_f64 v[19:20], v[23:24], -v[19:20]
	v_add_f64 v[19:20], v[25:26], -v[19:20]
	v_add_f64 v[19:20], v[19:20], v[21:22]
	v_add_f64 v[21:22], v[23:24], v[19:20]
	v_add_f64 v[23:24], v[21:22], -v[23:24]
	v_ldexp_f64 v[21:22], v[21:22], -2
	v_add_f64 v[19:20], v[19:20], -v[23:24]
	v_add_f64 v[23:24], v[17:18], -v[21:22]
	v_ldexp_f64 v[19:20], v[19:20], -2
	v_add_f64 v[17:18], v[17:18], -v[23:24]
	v_add_f64 v[17:18], v[17:18], -v[21:22]
	v_add_f64 v[15:16], v[15:16], v[17:18]
	v_add_f64 v[15:16], v[15:16], -v[19:20]
	v_add_f64 v[15:16], v[23:24], v[15:16]
	v_cndmask_b32_e32 v16, v14, v16, vcc
	v_cndmask_b32_e32 v15, 0, v15, vcc
	v_cmp_lt_f64_e64 vcc, |v[6:7]|, s[40:41]
	v_cndmask_b32_e32 v6, v15, v6, vcc
	v_cndmask_b32_e32 v15, v16, v35, vcc
	v_add_f64 v[16:17], |v[8:9]|, s[4:5]
	v_cmp_nge_f64_e64 vcc, |v[8:9]|, s[38:39]
	v_bfi_b32 v7, s43, v15, v7
	v_and_b32_e32 v15, 0x7fffffff, v9
	v_add_f64 v[18:19], v[16:17], -|v[8:9]|
	v_add_f64 v[20:21], v[18:19], -v[16:17]
	v_add_f64 v[18:19], v[18:19], s[6:7]
	v_add_f64 v[20:21], |v[8:9]|, v[20:21]
	v_add_f64 v[18:19], v[20:21], -v[18:19]
	v_add_f64 v[18:19], v[18:19], s[8:9]
	v_add_f64 v[20:21], v[16:17], v[18:19]
	v_add_f64 v[16:17], v[16:17], -v[20:21]
	v_add_f64 v[16:17], v[18:19], v[16:17]
	v_mul_f64 v[18:19], v[20:21], s[10:11]
	v_rndne_f64_e32 v[18:19], v[18:19]
	v_fma_f64 v[20:21], v[18:19], s[12:13], v[20:21]
	v_add_f64 v[22:23], v[16:17], v[20:21]
	v_add_f64 v[20:21], v[20:21], -v[22:23]
	v_add_f64 v[16:17], v[16:17], v[20:21]
	v_mul_f64 v[20:21], v[18:19], s[14:15]
	v_add_f64 v[24:25], v[22:23], -v[20:21]
	v_add_f64 v[22:23], v[22:23], -v[24:25]
	v_add_f64 v[20:21], v[22:23], -v[20:21]
	v_add_f64 v[16:17], v[16:17], v[20:21]
	v_add_f64 v[20:21], v[24:25], v[16:17]
	v_add_f64 v[22:23], v[24:25], -v[20:21]
	v_add_f64 v[16:17], v[16:17], v[22:23]
	v_mul_f64 v[22:23], v[18:19], s[16:17]
	v_add_f64 v[24:25], v[20:21], -v[22:23]
	v_add_f64 v[20:21], v[20:21], -v[24:25]
	;; [unrolled: 1-line block ×3, first 2 shown]
	v_add_f64 v[16:17], v[16:17], v[20:21]
	v_add_f64 v[20:21], v[24:25], v[16:17]
	v_add_f64 v[22:23], v[24:25], -v[20:21]
	v_mul_f64 v[24:25], v[20:21], v[20:21]
	v_add_f64 v[16:17], v[16:17], v[22:23]
	v_fma_f64 v[22:23], v[20:21], s[18:19], v[12:13]
	v_fma_f64 v[26:27], v[20:21], v[20:21], -v[24:25]
	v_add_f64 v[28:29], v[16:17], v[16:17]
	v_fma_f64 v[22:23], v[20:21], v[22:23], s[20:21]
	v_fma_f64 v[26:27], v[20:21], v[28:29], v[26:27]
	;; [unrolled: 1-line block ×3, first 2 shown]
	v_add_f64 v[28:29], v[24:25], v[26:27]
	v_fma_f64 v[22:23], v[20:21], v[22:23], s[24:25]
	v_add_f64 v[24:25], v[28:29], -v[24:25]
	v_fma_f64 v[22:23], v[20:21], v[22:23], s[26:27]
	v_add_f64 v[24:25], v[26:27], -v[24:25]
	v_fma_f64 v[22:23], v[20:21], v[22:23], s[28:29]
	v_fma_f64 v[22:23], v[20:21], v[22:23], s[30:31]
	;; [unrolled: 1-line block ×4, first 2 shown]
	v_mul_f64 v[26:27], v[28:29], v[22:23]
	v_fma_f64 v[28:29], v[28:29], v[22:23], -v[26:27]
	v_fma_f64 v[22:23], v[24:25], v[22:23], v[28:29]
	v_add_f64 v[24:25], v[26:27], v[22:23]
	v_add_f64 v[26:27], v[24:25], -v[26:27]
	v_add_f64 v[22:23], v[22:23], -v[26:27]
	v_add_f64 v[26:27], v[20:21], v[24:25]
	v_add_f64 v[16:17], v[16:17], v[22:23]
	v_add_f64 v[20:21], v[26:27], -v[20:21]
	v_add_f64 v[20:21], v[24:25], -v[20:21]
	v_add_f64 v[16:17], v[16:17], v[20:21]
	v_add_f64 v[20:21], v[26:27], v[16:17]
	v_add_f64 v[22:23], v[20:21], -v[26:27]
	v_add_f64 v[16:17], v[16:17], -v[22:23]
	v_add_f64 v[22:23], v[20:21], 1.0
	v_add_f64 v[24:25], v[22:23], -1.0
	v_add_f64 v[20:21], v[20:21], -v[24:25]
	v_add_f64 v[16:17], v[16:17], v[20:21]
	v_add_f64 v[20:21], v[22:23], v[16:17]
	v_add_f64 v[22:23], v[20:21], -v[22:23]
	v_add_f64 v[16:17], v[16:17], -v[22:23]
	v_cvt_i32_f64_e32 v22, v[18:19]
	v_ldexp_f64 v[18:19], v[20:21], v22
	v_ldexp_f64 v[16:17], v[16:17], v22
	v_rcp_f64_e32 v[20:21], v[18:19]
	v_fma_f64 v[22:23], -v[18:19], v[20:21], 1.0
	v_fma_f64 v[20:21], v[22:23], v[20:21], v[20:21]
	v_fma_f64 v[22:23], -v[18:19], v[20:21], 1.0
	v_fma_f64 v[20:21], v[22:23], v[20:21], v[20:21]
	v_mul_f64 v[22:23], v[18:19], v[20:21]
	v_fma_f64 v[24:25], v[20:21], v[18:19], -v[22:23]
	v_fma_f64 v[24:25], v[20:21], v[16:17], v[24:25]
	v_add_f64 v[26:27], v[22:23], v[24:25]
	v_add_f64 v[28:29], -v[26:27], 1.0
	v_add_f64 v[22:23], v[26:27], -v[22:23]
	v_add_f64 v[30:31], -v[28:29], 1.0
	v_add_f64 v[22:23], v[22:23], -v[24:25]
	v_add_f64 v[26:27], v[30:31], -v[26:27]
	v_add_f64 v[22:23], v[22:23], v[26:27]
	v_add_f64 v[24:25], v[28:29], v[22:23]
	v_add_f64 v[26:27], v[28:29], -v[24:25]
	v_add_f64 v[22:23], v[22:23], v[26:27]
	v_mul_f64 v[26:27], v[20:21], v[24:25]
	v_mul_f64 v[28:29], v[18:19], v[26:27]
	v_fma_f64 v[30:31], v[26:27], v[18:19], -v[28:29]
	v_fma_f64 v[30:31], v[26:27], v[16:17], v[30:31]
	v_add_f64 v[32:33], v[28:29], v[30:31]
	v_add_f64 v[34:35], v[24:25], -v[32:33]
	v_add_f64 v[28:29], v[32:33], -v[28:29]
	;; [unrolled: 1-line block ×4, first 2 shown]
	v_add_f64 v[22:23], v[22:23], v[24:25]
	v_add_f64 v[24:25], v[28:29], -v[30:31]
	v_add_f64 v[22:23], v[24:25], v[22:23]
	v_add_f64 v[24:25], v[20:21], v[26:27]
	;; [unrolled: 1-line block ×3, first 2 shown]
	v_mul_f64 v[22:23], v[20:21], v[22:23]
	v_add_f64 v[20:21], v[24:25], -v[20:21]
	v_add_f64 v[20:21], v[26:27], -v[20:21]
	v_add_f64 v[20:21], v[20:21], v[22:23]
	v_add_f64 v[22:23], v[24:25], v[20:21]
	v_add_f64 v[24:25], v[22:23], -v[24:25]
	v_ldexp_f64 v[22:23], v[22:23], -2
	v_add_f64 v[20:21], v[20:21], -v[24:25]
	v_add_f64 v[24:25], v[18:19], -v[22:23]
	v_ldexp_f64 v[20:21], v[20:21], -2
	v_add_f64 v[18:19], v[18:19], -v[24:25]
	v_add_f64 v[18:19], v[18:19], -v[22:23]
	v_add_f64 v[16:17], v[16:17], v[18:19]
	v_add_f64 v[16:17], v[16:17], -v[20:21]
	v_add_f64 v[16:17], v[24:25], v[16:17]
	v_cndmask_b32_e32 v17, v14, v17, vcc
	v_cndmask_b32_e32 v16, 0, v16, vcc
	v_cmp_lt_f64_e64 vcc, |v[8:9]|, s[40:41]
	v_cndmask_b32_e32 v8, v16, v8, vcc
	v_cndmask_b32_e32 v15, v17, v15, vcc
	v_add_f64 v[16:17], |v[2:3]|, s[4:5]
	v_cmp_nge_f64_e64 vcc, |v[2:3]|, s[38:39]
	v_bfi_b32 v9, s43, v15, v9
	v_and_b32_e32 v15, 0x7fffffff, v3
	v_add_f64 v[18:19], v[16:17], -|v[2:3]|
	v_add_f64 v[20:21], v[18:19], -v[16:17]
	v_add_f64 v[18:19], v[18:19], s[6:7]
	v_add_f64 v[20:21], |v[2:3]|, v[20:21]
	v_add_f64 v[18:19], v[20:21], -v[18:19]
	v_add_f64 v[18:19], v[18:19], s[8:9]
	v_add_f64 v[20:21], v[16:17], v[18:19]
	v_add_f64 v[16:17], v[16:17], -v[20:21]
	v_add_f64 v[16:17], v[18:19], v[16:17]
	v_mul_f64 v[18:19], v[20:21], s[10:11]
	v_rndne_f64_e32 v[18:19], v[18:19]
	v_fma_f64 v[20:21], v[18:19], s[12:13], v[20:21]
	v_add_f64 v[22:23], v[16:17], v[20:21]
	v_add_f64 v[20:21], v[20:21], -v[22:23]
	v_add_f64 v[16:17], v[16:17], v[20:21]
	v_mul_f64 v[20:21], v[18:19], s[14:15]
	v_add_f64 v[24:25], v[22:23], -v[20:21]
	v_add_f64 v[22:23], v[22:23], -v[24:25]
	v_add_f64 v[20:21], v[22:23], -v[20:21]
	v_add_f64 v[16:17], v[16:17], v[20:21]
	v_add_f64 v[20:21], v[24:25], v[16:17]
	v_add_f64 v[22:23], v[24:25], -v[20:21]
	v_add_f64 v[16:17], v[16:17], v[22:23]
	v_mul_f64 v[22:23], v[18:19], s[16:17]
	v_add_f64 v[24:25], v[20:21], -v[22:23]
	v_add_f64 v[20:21], v[20:21], -v[24:25]
	;; [unrolled: 1-line block ×3, first 2 shown]
	v_add_f64 v[16:17], v[16:17], v[20:21]
	v_add_f64 v[20:21], v[24:25], v[16:17]
	v_add_f64 v[22:23], v[24:25], -v[20:21]
	v_mul_f64 v[24:25], v[20:21], v[20:21]
	v_add_f64 v[16:17], v[16:17], v[22:23]
	v_fma_f64 v[22:23], v[20:21], s[18:19], v[12:13]
	v_fma_f64 v[26:27], v[20:21], v[20:21], -v[24:25]
	v_add_f64 v[28:29], v[16:17], v[16:17]
	v_fma_f64 v[22:23], v[20:21], v[22:23], s[20:21]
	v_fma_f64 v[26:27], v[20:21], v[28:29], v[26:27]
	;; [unrolled: 1-line block ×3, first 2 shown]
	v_add_f64 v[28:29], v[24:25], v[26:27]
	v_fma_f64 v[22:23], v[20:21], v[22:23], s[24:25]
	v_add_f64 v[24:25], v[28:29], -v[24:25]
	v_fma_f64 v[22:23], v[20:21], v[22:23], s[26:27]
	v_add_f64 v[24:25], v[26:27], -v[24:25]
	v_fma_f64 v[22:23], v[20:21], v[22:23], s[28:29]
	v_fma_f64 v[22:23], v[20:21], v[22:23], s[30:31]
	;; [unrolled: 1-line block ×4, first 2 shown]
	v_mul_f64 v[26:27], v[28:29], v[22:23]
	v_fma_f64 v[28:29], v[28:29], v[22:23], -v[26:27]
	v_fma_f64 v[22:23], v[24:25], v[22:23], v[28:29]
	v_add_f64 v[24:25], v[26:27], v[22:23]
	v_add_f64 v[26:27], v[24:25], -v[26:27]
	v_add_f64 v[22:23], v[22:23], -v[26:27]
	v_add_f64 v[26:27], v[20:21], v[24:25]
	v_add_f64 v[16:17], v[16:17], v[22:23]
	v_add_f64 v[20:21], v[26:27], -v[20:21]
	v_add_f64 v[20:21], v[24:25], -v[20:21]
	v_add_f64 v[16:17], v[16:17], v[20:21]
	v_add_f64 v[20:21], v[26:27], v[16:17]
	v_add_f64 v[22:23], v[20:21], -v[26:27]
	v_add_f64 v[16:17], v[16:17], -v[22:23]
	v_add_f64 v[22:23], v[20:21], 1.0
	v_add_f64 v[24:25], v[22:23], -1.0
	v_add_f64 v[20:21], v[20:21], -v[24:25]
	v_add_f64 v[16:17], v[16:17], v[20:21]
	v_add_f64 v[20:21], v[22:23], v[16:17]
	v_add_f64 v[22:23], v[20:21], -v[22:23]
	v_add_f64 v[16:17], v[16:17], -v[22:23]
	v_cvt_i32_f64_e32 v22, v[18:19]
	v_ldexp_f64 v[18:19], v[20:21], v22
	v_ldexp_f64 v[16:17], v[16:17], v22
	v_rcp_f64_e32 v[20:21], v[18:19]
	v_fma_f64 v[22:23], -v[18:19], v[20:21], 1.0
	v_fma_f64 v[20:21], v[22:23], v[20:21], v[20:21]
	v_fma_f64 v[22:23], -v[18:19], v[20:21], 1.0
	v_fma_f64 v[20:21], v[22:23], v[20:21], v[20:21]
	v_mul_f64 v[22:23], v[18:19], v[20:21]
	v_fma_f64 v[24:25], v[20:21], v[18:19], -v[22:23]
	v_fma_f64 v[24:25], v[20:21], v[16:17], v[24:25]
	v_add_f64 v[26:27], v[22:23], v[24:25]
	v_add_f64 v[28:29], -v[26:27], 1.0
	v_add_f64 v[22:23], v[26:27], -v[22:23]
	v_add_f64 v[30:31], -v[28:29], 1.0
	v_add_f64 v[22:23], v[22:23], -v[24:25]
	v_add_f64 v[26:27], v[30:31], -v[26:27]
	v_add_f64 v[22:23], v[22:23], v[26:27]
	v_add_f64 v[24:25], v[28:29], v[22:23]
	v_add_f64 v[26:27], v[28:29], -v[24:25]
	v_add_f64 v[22:23], v[22:23], v[26:27]
	v_mul_f64 v[26:27], v[20:21], v[24:25]
	v_mul_f64 v[28:29], v[18:19], v[26:27]
	v_fma_f64 v[30:31], v[26:27], v[18:19], -v[28:29]
	v_fma_f64 v[30:31], v[26:27], v[16:17], v[30:31]
	v_add_f64 v[32:33], v[28:29], v[30:31]
	v_add_f64 v[34:35], v[24:25], -v[32:33]
	v_add_f64 v[28:29], v[32:33], -v[28:29]
	;; [unrolled: 1-line block ×4, first 2 shown]
	v_add_f64 v[22:23], v[22:23], v[24:25]
	v_add_f64 v[24:25], v[28:29], -v[30:31]
	v_add_f64 v[22:23], v[24:25], v[22:23]
	v_add_f64 v[24:25], v[20:21], v[26:27]
	v_add_f64 v[22:23], v[34:35], v[22:23]
	v_mul_f64 v[22:23], v[20:21], v[22:23]
	v_add_f64 v[20:21], v[24:25], -v[20:21]
	v_add_f64 v[20:21], v[26:27], -v[20:21]
	v_add_f64 v[20:21], v[20:21], v[22:23]
	v_add_f64 v[22:23], v[24:25], v[20:21]
	v_add_f64 v[24:25], v[22:23], -v[24:25]
	v_ldexp_f64 v[22:23], v[22:23], -2
	v_add_f64 v[20:21], v[20:21], -v[24:25]
	v_add_f64 v[24:25], v[18:19], -v[22:23]
	v_ldexp_f64 v[20:21], v[20:21], -2
	v_add_f64 v[18:19], v[18:19], -v[24:25]
	v_add_f64 v[18:19], v[18:19], -v[22:23]
	v_add_f64 v[16:17], v[16:17], v[18:19]
	v_add_f64 v[16:17], v[16:17], -v[20:21]
	v_add_f64 v[16:17], v[24:25], v[16:17]
	v_cndmask_b32_e32 v17, v14, v17, vcc
	v_cndmask_b32_e32 v16, 0, v16, vcc
	v_cmp_lt_f64_e64 vcc, |v[2:3]|, s[40:41]
	v_cndmask_b32_e32 v2, v16, v2, vcc
	v_cndmask_b32_e32 v15, v17, v15, vcc
	v_add_f64 v[16:17], |v[4:5]|, s[4:5]
	v_cmp_nge_f64_e64 vcc, |v[4:5]|, s[38:39]
	v_bfi_b32 v3, s43, v15, v3
	v_and_b32_e32 v15, 0x7fffffff, v5
	v_add_f64 v[18:19], v[16:17], -|v[4:5]|
	v_add_f64 v[20:21], v[18:19], -v[16:17]
	v_add_f64 v[18:19], v[18:19], s[6:7]
	v_add_f64 v[20:21], |v[4:5]|, v[20:21]
	v_add_f64 v[18:19], v[20:21], -v[18:19]
	v_add_f64 v[18:19], v[18:19], s[8:9]
	v_add_f64 v[20:21], v[16:17], v[18:19]
	v_add_f64 v[16:17], v[16:17], -v[20:21]
	v_add_f64 v[16:17], v[18:19], v[16:17]
	v_mul_f64 v[18:19], v[20:21], s[10:11]
	v_rndne_f64_e32 v[18:19], v[18:19]
	v_fma_f64 v[20:21], v[18:19], s[12:13], v[20:21]
	v_add_f64 v[22:23], v[16:17], v[20:21]
	v_add_f64 v[20:21], v[20:21], -v[22:23]
	v_add_f64 v[16:17], v[16:17], v[20:21]
	v_mul_f64 v[20:21], v[18:19], s[14:15]
	v_add_f64 v[24:25], v[22:23], -v[20:21]
	v_add_f64 v[22:23], v[22:23], -v[24:25]
	;; [unrolled: 1-line block ×3, first 2 shown]
	v_add_f64 v[16:17], v[16:17], v[20:21]
	v_add_f64 v[20:21], v[24:25], v[16:17]
	v_add_f64 v[22:23], v[24:25], -v[20:21]
	v_add_f64 v[16:17], v[16:17], v[22:23]
	v_mul_f64 v[22:23], v[18:19], s[16:17]
	v_add_f64 v[24:25], v[20:21], -v[22:23]
	v_add_f64 v[20:21], v[20:21], -v[24:25]
	;; [unrolled: 1-line block ×3, first 2 shown]
	v_add_f64 v[16:17], v[16:17], v[20:21]
	v_add_f64 v[20:21], v[24:25], v[16:17]
	v_add_f64 v[22:23], v[24:25], -v[20:21]
	v_mul_f64 v[24:25], v[20:21], v[20:21]
	v_add_f64 v[16:17], v[16:17], v[22:23]
	v_fma_f64 v[22:23], v[20:21], s[18:19], v[12:13]
	v_fma_f64 v[26:27], v[20:21], v[20:21], -v[24:25]
	v_add_f64 v[28:29], v[16:17], v[16:17]
	v_fma_f64 v[22:23], v[20:21], v[22:23], s[20:21]
	v_fma_f64 v[26:27], v[20:21], v[28:29], v[26:27]
	;; [unrolled: 1-line block ×3, first 2 shown]
	v_add_f64 v[28:29], v[24:25], v[26:27]
	v_fma_f64 v[22:23], v[20:21], v[22:23], s[24:25]
	v_add_f64 v[24:25], v[28:29], -v[24:25]
	v_fma_f64 v[22:23], v[20:21], v[22:23], s[26:27]
	v_add_f64 v[24:25], v[26:27], -v[24:25]
	v_fma_f64 v[22:23], v[20:21], v[22:23], s[28:29]
	v_fma_f64 v[22:23], v[20:21], v[22:23], s[30:31]
	v_fma_f64 v[22:23], v[20:21], v[22:23], s[34:35]
	v_fma_f64 v[22:23], v[20:21], v[22:23], s[36:37]
	v_mul_f64 v[26:27], v[28:29], v[22:23]
	v_fma_f64 v[28:29], v[28:29], v[22:23], -v[26:27]
	v_fma_f64 v[22:23], v[24:25], v[22:23], v[28:29]
	v_add_f64 v[24:25], v[26:27], v[22:23]
	v_add_f64 v[26:27], v[24:25], -v[26:27]
	v_add_f64 v[22:23], v[22:23], -v[26:27]
	v_add_f64 v[26:27], v[20:21], v[24:25]
	v_add_f64 v[16:17], v[16:17], v[22:23]
	v_add_f64 v[20:21], v[26:27], -v[20:21]
	v_add_f64 v[20:21], v[24:25], -v[20:21]
	v_add_f64 v[16:17], v[16:17], v[20:21]
	v_add_f64 v[20:21], v[26:27], v[16:17]
	v_add_f64 v[22:23], v[20:21], -v[26:27]
	v_add_f64 v[16:17], v[16:17], -v[22:23]
	v_add_f64 v[22:23], v[20:21], 1.0
	v_add_f64 v[24:25], v[22:23], -1.0
	v_add_f64 v[20:21], v[20:21], -v[24:25]
	v_add_f64 v[16:17], v[16:17], v[20:21]
	v_add_f64 v[20:21], v[22:23], v[16:17]
	v_add_f64 v[22:23], v[20:21], -v[22:23]
	v_add_f64 v[16:17], v[16:17], -v[22:23]
	v_cvt_i32_f64_e32 v22, v[18:19]
	v_ldexp_f64 v[18:19], v[20:21], v22
	v_ldexp_f64 v[16:17], v[16:17], v22
	v_rcp_f64_e32 v[20:21], v[18:19]
	v_fma_f64 v[22:23], -v[18:19], v[20:21], 1.0
	v_fma_f64 v[20:21], v[22:23], v[20:21], v[20:21]
	v_fma_f64 v[22:23], -v[18:19], v[20:21], 1.0
	v_fma_f64 v[20:21], v[22:23], v[20:21], v[20:21]
	v_mul_f64 v[22:23], v[18:19], v[20:21]
	v_fma_f64 v[24:25], v[20:21], v[18:19], -v[22:23]
	v_fma_f64 v[24:25], v[20:21], v[16:17], v[24:25]
	v_add_f64 v[26:27], v[22:23], v[24:25]
	v_add_f64 v[28:29], -v[26:27], 1.0
	v_add_f64 v[22:23], v[26:27], -v[22:23]
	v_add_f64 v[30:31], -v[28:29], 1.0
	v_add_f64 v[22:23], v[22:23], -v[24:25]
	v_add_f64 v[26:27], v[30:31], -v[26:27]
	v_add_f64 v[22:23], v[22:23], v[26:27]
	v_add_f64 v[24:25], v[28:29], v[22:23]
	v_add_f64 v[26:27], v[28:29], -v[24:25]
	v_add_f64 v[22:23], v[22:23], v[26:27]
	v_mul_f64 v[26:27], v[20:21], v[24:25]
	v_mul_f64 v[28:29], v[18:19], v[26:27]
	v_fma_f64 v[30:31], v[26:27], v[18:19], -v[28:29]
	v_fma_f64 v[30:31], v[26:27], v[16:17], v[30:31]
	v_add_f64 v[32:33], v[28:29], v[30:31]
	v_add_f64 v[34:35], v[24:25], -v[32:33]
	v_add_f64 v[28:29], v[32:33], -v[28:29]
	;; [unrolled: 1-line block ×4, first 2 shown]
	v_add_f64 v[22:23], v[22:23], v[24:25]
	v_add_f64 v[24:25], v[28:29], -v[30:31]
	v_add_f64 v[22:23], v[24:25], v[22:23]
	v_add_f64 v[24:25], v[20:21], v[26:27]
	;; [unrolled: 1-line block ×3, first 2 shown]
	v_mul_f64 v[22:23], v[20:21], v[22:23]
	v_add_f64 v[20:21], v[24:25], -v[20:21]
	v_add_f64 v[20:21], v[26:27], -v[20:21]
	v_add_f64 v[20:21], v[20:21], v[22:23]
	v_add_f64 v[22:23], v[24:25], v[20:21]
	v_add_f64 v[24:25], v[22:23], -v[24:25]
	v_ldexp_f64 v[22:23], v[22:23], -2
	v_add_f64 v[20:21], v[20:21], -v[24:25]
	v_add_f64 v[24:25], v[18:19], -v[22:23]
	v_ldexp_f64 v[20:21], v[20:21], -2
	v_add_f64 v[18:19], v[18:19], -v[24:25]
	v_add_f64 v[18:19], v[18:19], -v[22:23]
	v_add_f64 v[16:17], v[16:17], v[18:19]
	v_add_f64 v[16:17], v[16:17], -v[20:21]
	v_add_f64 v[16:17], v[24:25], v[16:17]
	v_cndmask_b32_e32 v17, v14, v17, vcc
	v_cndmask_b32_e32 v16, 0, v16, vcc
	v_cmp_lt_f64_e64 vcc, |v[4:5]|, s[40:41]
	v_cndmask_b32_e32 v4, v16, v4, vcc
	v_cndmask_b32_e32 v15, v17, v15, vcc
	v_add_co_u32_e32 v0, vcc, s33, v0
	v_addc_co_u32_e32 v1, vcc, 0, v1, vcc
	v_bfi_b32 v5, s43, v15, v5
	global_store_dwordx4 v[10:11], v[6:9], off offset:-16
	global_store_dwordx4 v[10:11], v[2:5], off
	v_add_co_u32_e32 v10, vcc, s42, v10
	v_lshlrev_b64 v[2:3], 2, v[0:1]
	v_addc_co_u32_e32 v11, vcc, 0, v11, vcc
	v_cmp_le_i64_e32 vcc, s[0:1], v[2:3]
	s_or_b64 s[2:3], vcc, s[2:3]
	s_andn2_b64 exec, exec, s[2:3]
	s_cbranch_execnz .LBB123_24
.LBB123_25:
	s_endpgm
	.section	.rodata,"a",@progbits
	.p2align	6, 0x0
	.amdhsa_kernel _ZN2at6native12_GLOBAL__N_125multi_tensor_apply_kernelINS1_18TensorListMetadataILi1EEENS1_14UnaryOpFunctorIdLi1ELi1ELi0EEEJNS0_4SinhIdEEEEEvT_T0_DpT1_
		.amdhsa_group_segment_fixed_size 0
		.amdhsa_private_segment_fixed_size 0
		.amdhsa_kernarg_size 3632
		.amdhsa_user_sgpr_count 6
		.amdhsa_user_sgpr_private_segment_buffer 1
		.amdhsa_user_sgpr_dispatch_ptr 0
		.amdhsa_user_sgpr_queue_ptr 0
		.amdhsa_user_sgpr_kernarg_segment_ptr 1
		.amdhsa_user_sgpr_dispatch_id 0
		.amdhsa_user_sgpr_flat_scratch_init 0
		.amdhsa_user_sgpr_private_segment_size 0
		.amdhsa_uses_dynamic_stack 0
		.amdhsa_system_sgpr_private_segment_wavefront_offset 0
		.amdhsa_system_sgpr_workgroup_id_x 1
		.amdhsa_system_sgpr_workgroup_id_y 0
		.amdhsa_system_sgpr_workgroup_id_z 0
		.amdhsa_system_sgpr_workgroup_info 0
		.amdhsa_system_vgpr_workitem_id 0
		.amdhsa_next_free_vgpr 44
		.amdhsa_next_free_sgpr 66
		.amdhsa_reserve_vcc 1
		.amdhsa_reserve_flat_scratch 0
		.amdhsa_float_round_mode_32 0
		.amdhsa_float_round_mode_16_64 0
		.amdhsa_float_denorm_mode_32 3
		.amdhsa_float_denorm_mode_16_64 3
		.amdhsa_dx10_clamp 1
		.amdhsa_ieee_mode 1
		.amdhsa_fp16_overflow 0
		.amdhsa_exception_fp_ieee_invalid_op 0
		.amdhsa_exception_fp_denorm_src 0
		.amdhsa_exception_fp_ieee_div_zero 0
		.amdhsa_exception_fp_ieee_overflow 0
		.amdhsa_exception_fp_ieee_underflow 0
		.amdhsa_exception_fp_ieee_inexact 0
		.amdhsa_exception_int_div_zero 0
	.end_amdhsa_kernel
	.section	.text._ZN2at6native12_GLOBAL__N_125multi_tensor_apply_kernelINS1_18TensorListMetadataILi1EEENS1_14UnaryOpFunctorIdLi1ELi1ELi0EEEJNS0_4SinhIdEEEEEvT_T0_DpT1_,"axG",@progbits,_ZN2at6native12_GLOBAL__N_125multi_tensor_apply_kernelINS1_18TensorListMetadataILi1EEENS1_14UnaryOpFunctorIdLi1ELi1ELi0EEEJNS0_4SinhIdEEEEEvT_T0_DpT1_,comdat
.Lfunc_end123:
	.size	_ZN2at6native12_GLOBAL__N_125multi_tensor_apply_kernelINS1_18TensorListMetadataILi1EEENS1_14UnaryOpFunctorIdLi1ELi1ELi0EEEJNS0_4SinhIdEEEEEvT_T0_DpT1_, .Lfunc_end123-_ZN2at6native12_GLOBAL__N_125multi_tensor_apply_kernelINS1_18TensorListMetadataILi1EEENS1_14UnaryOpFunctorIdLi1ELi1ELi0EEEJNS0_4SinhIdEEEEEvT_T0_DpT1_
                                        ; -- End function
	.set _ZN2at6native12_GLOBAL__N_125multi_tensor_apply_kernelINS1_18TensorListMetadataILi1EEENS1_14UnaryOpFunctorIdLi1ELi1ELi0EEEJNS0_4SinhIdEEEEEvT_T0_DpT1_.num_vgpr, 44
	.set _ZN2at6native12_GLOBAL__N_125multi_tensor_apply_kernelINS1_18TensorListMetadataILi1EEENS1_14UnaryOpFunctorIdLi1ELi1ELi0EEEJNS0_4SinhIdEEEEEvT_T0_DpT1_.num_agpr, 0
	.set _ZN2at6native12_GLOBAL__N_125multi_tensor_apply_kernelINS1_18TensorListMetadataILi1EEENS1_14UnaryOpFunctorIdLi1ELi1ELi0EEEJNS0_4SinhIdEEEEEvT_T0_DpT1_.numbered_sgpr, 66
	.set _ZN2at6native12_GLOBAL__N_125multi_tensor_apply_kernelINS1_18TensorListMetadataILi1EEENS1_14UnaryOpFunctorIdLi1ELi1ELi0EEEJNS0_4SinhIdEEEEEvT_T0_DpT1_.num_named_barrier, 0
	.set _ZN2at6native12_GLOBAL__N_125multi_tensor_apply_kernelINS1_18TensorListMetadataILi1EEENS1_14UnaryOpFunctorIdLi1ELi1ELi0EEEJNS0_4SinhIdEEEEEvT_T0_DpT1_.private_seg_size, 0
	.set _ZN2at6native12_GLOBAL__N_125multi_tensor_apply_kernelINS1_18TensorListMetadataILi1EEENS1_14UnaryOpFunctorIdLi1ELi1ELi0EEEJNS0_4SinhIdEEEEEvT_T0_DpT1_.uses_vcc, 1
	.set _ZN2at6native12_GLOBAL__N_125multi_tensor_apply_kernelINS1_18TensorListMetadataILi1EEENS1_14UnaryOpFunctorIdLi1ELi1ELi0EEEJNS0_4SinhIdEEEEEvT_T0_DpT1_.uses_flat_scratch, 0
	.set _ZN2at6native12_GLOBAL__N_125multi_tensor_apply_kernelINS1_18TensorListMetadataILi1EEENS1_14UnaryOpFunctorIdLi1ELi1ELi0EEEJNS0_4SinhIdEEEEEvT_T0_DpT1_.has_dyn_sized_stack, 0
	.set _ZN2at6native12_GLOBAL__N_125multi_tensor_apply_kernelINS1_18TensorListMetadataILi1EEENS1_14UnaryOpFunctorIdLi1ELi1ELi0EEEJNS0_4SinhIdEEEEEvT_T0_DpT1_.has_recursion, 0
	.set _ZN2at6native12_GLOBAL__N_125multi_tensor_apply_kernelINS1_18TensorListMetadataILi1EEENS1_14UnaryOpFunctorIdLi1ELi1ELi0EEEJNS0_4SinhIdEEEEEvT_T0_DpT1_.has_indirect_call, 0
	.section	.AMDGPU.csdata,"",@progbits
; Kernel info:
; codeLenInByte = 9548
; TotalNumSgprs: 70
; NumVgprs: 44
; ScratchSize: 0
; MemoryBound: 0
; FloatMode: 240
; IeeeMode: 1
; LDSByteSize: 0 bytes/workgroup (compile time only)
; SGPRBlocks: 8
; VGPRBlocks: 10
; NumSGPRsForWavesPerEU: 70
; NumVGPRsForWavesPerEU: 44
; Occupancy: 5
; WaveLimiterHint : 0
; COMPUTE_PGM_RSRC2:SCRATCH_EN: 0
; COMPUTE_PGM_RSRC2:USER_SGPR: 6
; COMPUTE_PGM_RSRC2:TRAP_HANDLER: 0
; COMPUTE_PGM_RSRC2:TGID_X_EN: 1
; COMPUTE_PGM_RSRC2:TGID_Y_EN: 0
; COMPUTE_PGM_RSRC2:TGID_Z_EN: 0
; COMPUTE_PGM_RSRC2:TIDIG_COMP_CNT: 0
	.section	.text._ZN2at6native12_GLOBAL__N_125multi_tensor_apply_kernelINS1_18TensorListMetadataILi1EEENS1_14UnaryOpFunctorIfLi1ELi1ELi0EEEJNS0_4SinhIfEEEEEvT_T0_DpT1_,"axG",@progbits,_ZN2at6native12_GLOBAL__N_125multi_tensor_apply_kernelINS1_18TensorListMetadataILi1EEENS1_14UnaryOpFunctorIfLi1ELi1ELi0EEEJNS0_4SinhIfEEEEEvT_T0_DpT1_,comdat
	.globl	_ZN2at6native12_GLOBAL__N_125multi_tensor_apply_kernelINS1_18TensorListMetadataILi1EEENS1_14UnaryOpFunctorIfLi1ELi1ELi0EEEJNS0_4SinhIfEEEEEvT_T0_DpT1_ ; -- Begin function _ZN2at6native12_GLOBAL__N_125multi_tensor_apply_kernelINS1_18TensorListMetadataILi1EEENS1_14UnaryOpFunctorIfLi1ELi1ELi0EEEJNS0_4SinhIfEEEEEvT_T0_DpT1_
	.p2align	8
	.type	_ZN2at6native12_GLOBAL__N_125multi_tensor_apply_kernelINS1_18TensorListMetadataILi1EEENS1_14UnaryOpFunctorIfLi1ELi1ELi0EEEJNS0_4SinhIfEEEEEvT_T0_DpT1_,@function
_ZN2at6native12_GLOBAL__N_125multi_tensor_apply_kernelINS1_18TensorListMetadataILi1EEENS1_14UnaryOpFunctorIfLi1ELi1ELi0EEEJNS0_4SinhIfEEEEEvT_T0_DpT1_: ; @_ZN2at6native12_GLOBAL__N_125multi_tensor_apply_kernelINS1_18TensorListMetadataILi1EEENS1_14UnaryOpFunctorIfLi1ELi1ELi0EEEJNS0_4SinhIfEEEEEvT_T0_DpT1_
; %bb.0:
	v_mov_b32_e32 v1, s6
	global_load_ubyte v1, v1, s[4:5] offset:1760
	s_add_u32 s0, s4, s6
	s_mul_hi_u32 s1, s6, 3
	s_mul_i32 s6, s6, 3
	s_addc_u32 s2, s5, 0
	s_add_u32 s0, s0, s6
	s_addc_u32 s1, s2, s1
	s_load_dword s0, s[0:1], 0x820
	s_mov_b32 s7, 0
	s_waitcnt vmcnt(0)
	v_readfirstlane_b32 s1, v1
	s_lshl_b32 s1, s1, 3
	s_load_dwordx2 s[2:3], s[4:5], s1 offset:0x370
	s_load_dwordx2 s[10:11], s[4:5], s1 offset:0x0
	s_waitcnt lgkmcnt(0)
	s_ashr_i32 s1, s0, 31
	s_lshl_b64 s[12:13], s[0:1], 18
	s_lshl_b64 s[0:1], s[0:1], 16
	s_and_b32 s6, s10, 15
	s_sub_u32 s14, s2, s0
	s_subb_u32 s15, s3, s1
	s_and_b32 s0, s2, 3
	s_mov_b32 s1, s7
	s_or_b64 s[0:1], s[6:7], s[0:1]
	s_cmp_eq_u64 s[0:1], 0
	s_cbranch_scc1 .LBB124_21
; %bb.1:
	v_cmp_lt_i64_e64 s[0:1], s[14:15], 1
	s_and_b64 vcc, exec, s[0:1]
	s_cbranch_vccnz .LBB124_20
; %bb.2:
	v_mov_b32_e32 v1, 0x10000
	s_load_dword s2, s[4:5], 0xd3c
	v_mov_b32_e32 v2, 0
	v_cmp_lt_i64_e32 vcc, s[14:15], v[1:2]
	s_mov_b64 s[20:21], 0
	s_and_b64 s[0:1], vcc, exec
	v_cmp_lt_u64_e32 vcc, s[14:15], v[1:2]
	s_cselect_b32 s17, s15, 0
	s_cselect_b32 s16, s14, 0x10000
	s_waitcnt lgkmcnt(0)
	s_and_b32 s2, s2, 0xffff
	s_and_b64 s[0:1], vcc, exec
	s_cselect_b32 s19, s15, 0
	s_cselect_b32 s18, s14, 0x10000
	s_lshl_b32 s3, s2, 1
	s_lshl_b32 s24, s2, 2
	s_add_u32 s6, s10, s12
	v_lshlrev_b32_e32 v1, 2, v0
	s_addc_u32 s7, s11, s13
	v_mov_b32_e32 v2, s7
	v_add_co_u32_e32 v1, vcc, s6, v1
	s_mul_i32 s0, s2, 3
	v_addc_co_u32_e32 v2, vcc, 0, v2, vcc
	v_add_co_u32_e32 v5, vcc, s0, v0
	v_addc_co_u32_e64 v6, s[0:1], 0, 0, vcc
	v_add_co_u32_e32 v7, vcc, s3, v0
	v_addc_co_u32_e64 v8, s[0:1], 0, 0, vcc
	v_add_co_u32_e32 v9, vcc, s2, v0
	v_lshlrev_b32_e32 v3, 2, v9
	v_addc_co_u32_e64 v10, s[0:1], 0, 0, vcc
	v_mov_b32_e32 v4, s7
	v_add_co_u32_e32 v3, vcc, s6, v3
	s_lshl_b32 s25, s2, 4
	s_mul_i32 s26, s2, 12
	s_lshl_b32 s27, s2, 3
	v_addc_co_u32_e32 v4, vcc, 0, v4, vcc
	s_mov_b32 s28, 0x39800000
	s_mov_b32 s29, 0xbf317218
	v_mov_b32_e32 v11, 0x3d2aadcc
	v_mov_b32_e32 v12, 0x3e2aaa47
	;; [unrolled: 1-line block ×3, first 2 shown]
	s_mov_b32 s30, 0x42b2d4fc
	s_brev_b32 s31, -2
	v_mov_b32_e32 v14, 0x7f800000
	s_branch .LBB124_4
.LBB124_3:                              ;   in Loop: Header=BB124_4 Depth=1
	s_or_b64 exec, exec, s[0:1]
	s_add_u32 s20, s20, s24
	v_add_co_u32_e32 v1, vcc, s25, v1
	s_waitcnt vmcnt(0)
	v_mov_b32_e32 v15, s16
	s_addc_u32 s21, s21, 0
	v_addc_co_u32_e32 v2, vcc, 0, v2, vcc
	v_mov_b32_e32 v16, s17
	v_cmp_lt_i64_e32 vcc, s[20:21], v[15:16]
	v_add_co_u32_e64 v3, s[0:1], s25, v3
	v_addc_co_u32_e64 v4, s[0:1], 0, v4, s[0:1]
	s_cbranch_vccz .LBB124_20
.LBB124_4:                              ; =>This Inner Loop Header: Depth=1
	v_mov_b32_e32 v16, s21
	v_add_co_u32_e32 v15, vcc, s20, v0
	v_addc_co_u32_e32 v16, vcc, 0, v16, vcc
	v_cmp_gt_u64_e64 s[6:7], s[18:19], v[15:16]
	v_mov_b32_e32 v18, 0
	s_and_saveexec_b64 s[0:1], s[6:7]
	s_cbranch_execz .LBB124_6
; %bb.5:                                ;   in Loop: Header=BB124_4 Depth=1
	global_load_dword v18, v[1:2], off
.LBB124_6:                              ;   in Loop: Header=BB124_4 Depth=1
	s_or_b64 exec, exec, s[0:1]
	v_mov_b32_e32 v16, s21
	v_add_co_u32_e32 v15, vcc, s20, v9
	v_addc_co_u32_e32 v16, vcc, v10, v16, vcc
	v_cmp_gt_u64_e64 s[2:3], s[18:19], v[15:16]
	v_mov_b32_e32 v16, 0
	v_mov_b32_e32 v17, 0
	s_and_saveexec_b64 s[0:1], s[2:3]
	s_cbranch_execz .LBB124_8
; %bb.7:                                ;   in Loop: Header=BB124_4 Depth=1
	global_load_dword v17, v[3:4], off
.LBB124_8:                              ;   in Loop: Header=BB124_4 Depth=1
	s_or_b64 exec, exec, s[0:1]
	v_mov_b32_e32 v15, s21
	v_add_co_u32_e32 v19, vcc, s20, v7
	v_addc_co_u32_e32 v20, vcc, v8, v15, vcc
	v_cmp_gt_u64_e64 s[0:1], s[18:19], v[19:20]
	s_and_saveexec_b64 s[8:9], s[0:1]
	s_cbranch_execz .LBB124_10
; %bb.9:                                ;   in Loop: Header=BB124_4 Depth=1
	v_add_co_u32_e32 v15, vcc, s27, v1
	v_addc_co_u32_e32 v16, vcc, 0, v2, vcc
	global_load_dword v16, v[15:16], off
.LBB124_10:                             ;   in Loop: Header=BB124_4 Depth=1
	s_or_b64 exec, exec, s[8:9]
	v_mov_b32_e32 v15, s21
	v_add_co_u32_e32 v19, vcc, s20, v5
	v_addc_co_u32_e32 v20, vcc, v6, v15, vcc
	v_cmp_gt_u64_e32 vcc, s[18:19], v[19:20]
	v_mov_b32_e32 v15, 0
	s_and_saveexec_b64 s[22:23], vcc
	s_cbranch_execnz .LBB124_15
; %bb.11:                               ;   in Loop: Header=BB124_4 Depth=1
	s_or_b64 exec, exec, s[22:23]
	s_and_saveexec_b64 s[8:9], s[6:7]
	s_cbranch_execnz .LBB124_16
.LBB124_12:                             ;   in Loop: Header=BB124_4 Depth=1
	s_or_b64 exec, exec, s[8:9]
	s_and_saveexec_b64 s[6:7], s[2:3]
	s_cbranch_execnz .LBB124_17
.LBB124_13:                             ;   in Loop: Header=BB124_4 Depth=1
	s_or_b64 exec, exec, s[6:7]
	s_and_saveexec_b64 s[2:3], s[0:1]
	s_cbranch_execnz .LBB124_18
.LBB124_14:                             ;   in Loop: Header=BB124_4 Depth=1
	s_or_b64 exec, exec, s[2:3]
	s_and_saveexec_b64 s[0:1], vcc
	s_cbranch_execz .LBB124_3
	s_branch .LBB124_19
.LBB124_15:                             ;   in Loop: Header=BB124_4 Depth=1
	v_add_co_u32_e64 v19, s[8:9], s26, v1
	v_addc_co_u32_e64 v20, s[8:9], 0, v2, s[8:9]
	global_load_dword v15, v[19:20], off
	s_or_b64 exec, exec, s[22:23]
	s_and_saveexec_b64 s[8:9], s[6:7]
	s_cbranch_execz .LBB124_12
.LBB124_16:                             ;   in Loop: Header=BB124_4 Depth=1
	s_waitcnt vmcnt(0)
	v_add_f32_e64 v19, |v18|, s29
	v_sub_f32_e64 v20, v19, |v18|
	v_sub_f32_e32 v21, v20, v19
	v_add_f32_e64 v21, |v18|, v21
	v_add_f32_e32 v20, 0x3f317218, v20
	v_sub_f32_e32 v20, v21, v20
	v_add_f32_e32 v20, 0x3102e308, v20
	v_add_f32_e32 v21, v19, v20
	v_sub_f32_e32 v19, v19, v21
	v_add_f32_e32 v19, v20, v19
	v_mul_f32_e32 v20, 0x3fb8aa3b, v21
	v_rndne_f32_e32 v20, v20
	v_fmac_f32_e32 v21, 0xbf317200, v20
	v_add_f32_e32 v22, v19, v21
	v_mul_f32_e32 v23, 0x35bfbc00, v20
	v_sub_f32_e32 v24, v22, v23
	v_sub_f32_e32 v21, v21, v22
	v_add_f32_e32 v19, v19, v21
	v_sub_f32_e32 v21, v22, v24
	v_sub_f32_e32 v21, v21, v23
	v_add_f32_e32 v19, v19, v21
	v_add_f32_e32 v21, v24, v19
	v_mul_f32_e32 v22, 0x2ea39ef3, v20
	v_sub_f32_e32 v23, v21, v22
	v_sub_f32_e32 v24, v24, v21
	;; [unrolled: 1-line block ×3, first 2 shown]
	v_add_f32_e32 v19, v19, v24
	v_sub_f32_e32 v21, v21, v22
	v_add_f32_e32 v19, v19, v21
	v_add_f32_e32 v21, v23, v19
	v_mov_b32_e32 v22, 0x3c091de6
	v_sub_f32_e32 v23, v23, v21
	v_fmac_f32_e32 v22, 0x3ab42872, v21
	v_mul_f32_e32 v24, v21, v21
	v_add_f32_e32 v19, v19, v23
	v_fma_f32 v22, v21, v22, v11
	v_add_f32_e32 v23, v19, v19
	v_fma_f32 v25, v21, v21, -v24
	v_fma_f32 v22, v21, v22, v12
	v_fmac_f32_e32 v25, v21, v23
	v_fma_f32 v22, v21, v22, v13
	v_add_f32_e32 v23, v24, v25
	v_mul_f32_e32 v26, v22, v23
	v_sub_f32_e32 v24, v23, v24
	v_sub_f32_e32 v24, v25, v24
	v_fma_f32 v23, v23, v22, -v26
	v_fmac_f32_e32 v23, v24, v22
	v_add_f32_e32 v22, v26, v23
	v_add_f32_e32 v24, v21, v22
	v_sub_f32_e32 v25, v22, v26
	v_sub_f32_e32 v23, v23, v25
	;; [unrolled: 1-line block ×3, first 2 shown]
	v_add_f32_e32 v19, v19, v23
	v_sub_f32_e32 v21, v22, v21
	v_add_f32_e32 v19, v19, v21
	v_add_f32_e32 v21, v24, v19
	v_add_f32_e32 v22, 1.0, v21
	v_sub_f32_e32 v23, v21, v24
	v_sub_f32_e32 v19, v19, v23
	v_add_f32_e32 v23, -1.0, v22
	v_cvt_i32_f32_e32 v20, v20
	v_sub_f32_e32 v21, v21, v23
	v_add_f32_e32 v19, v19, v21
	v_add_f32_e32 v21, v22, v19
	v_ldexp_f32 v23, v21, v20
	v_rcp_f32_e32 v24, v23
	v_sub_f32_e32 v21, v21, v22
	v_sub_f32_e32 v19, v19, v21
	v_ldexp_f32 v19, v19, v20
	v_mul_f32_e32 v25, v23, v24
	v_fma_f32 v20, v24, v23, -v25
	v_fmac_f32_e32 v20, v24, v19
	v_add_f32_e32 v21, v25, v20
	v_sub_f32_e32 v22, 1.0, v21
	v_sub_f32_e32 v25, v21, v25
	v_sub_f32_e32 v20, v25, v20
	v_sub_f32_e32 v25, 1.0, v22
	v_sub_f32_e32 v21, v25, v21
	v_add_f32_e32 v20, v20, v21
	v_add_f32_e32 v21, v22, v20
	v_mul_f32_e32 v25, v24, v21
	v_mul_f32_e32 v28, v23, v25
	v_add_f32_e32 v26, v24, v25
	v_fma_f32 v29, v25, v23, -v28
	v_sub_f32_e32 v27, v26, v24
	v_fmac_f32_e32 v29, v25, v19
	v_sub_f32_e32 v27, v25, v27
	v_add_f32_e32 v25, v28, v29
	v_sub_f32_e32 v22, v22, v21
	v_add_f32_e32 v20, v20, v22
	v_sub_f32_e32 v22, v21, v25
	v_sub_f32_e32 v21, v21, v22
	;; [unrolled: 1-line block ×5, first 2 shown]
	v_add_f32_e32 v20, v20, v21
	v_add_f32_e32 v20, v28, v20
	;; [unrolled: 1-line block ×3, first 2 shown]
	v_mul_f32_e32 v20, v24, v20
	v_add_f32_e32 v20, v27, v20
	v_add_f32_e32 v21, v26, v20
	v_ldexp_f32 v22, v21, -2
	v_sub_f32_e32 v24, v23, v22
	v_sub_f32_e32 v23, v23, v24
	;; [unrolled: 1-line block ×5, first 2 shown]
	v_add_f32_e32 v19, v19, v22
	v_ldexp_f32 v20, v20, -2
	v_sub_f32_e32 v19, v19, v20
	v_add_f32_e32 v19, v24, v19
	v_cmp_ngt_f32_e64 s[6:7], |v18|, s30
	v_cndmask_b32_e64 v19, v14, v19, s[6:7]
	v_cmp_lt_f32_e64 s[6:7], |v18|, s28
	v_cndmask_b32_e64 v19, v19, |v18|, s[6:7]
	v_bfi_b32 v18, s31, v19, v18
	global_store_dword v[1:2], v18, off
	s_or_b64 exec, exec, s[8:9]
	s_and_saveexec_b64 s[6:7], s[2:3]
	s_cbranch_execz .LBB124_13
.LBB124_17:                             ;   in Loop: Header=BB124_4 Depth=1
	s_waitcnt vmcnt(0)
	v_add_f32_e64 v18, |v17|, s29
	v_sub_f32_e64 v19, v18, |v17|
	v_sub_f32_e32 v20, v19, v18
	v_add_f32_e64 v20, |v17|, v20
	v_add_f32_e32 v19, 0x3f317218, v19
	v_sub_f32_e32 v19, v20, v19
	v_add_f32_e32 v19, 0x3102e308, v19
	v_add_f32_e32 v20, v18, v19
	v_sub_f32_e32 v18, v18, v20
	v_add_f32_e32 v18, v19, v18
	v_mul_f32_e32 v19, 0x3fb8aa3b, v20
	v_rndne_f32_e32 v19, v19
	v_fmac_f32_e32 v20, 0xbf317200, v19
	v_add_f32_e32 v21, v18, v20
	v_sub_f32_e32 v20, v20, v21
	v_add_f32_e32 v18, v18, v20
	v_mul_f32_e32 v20, 0x35bfbc00, v19
	v_sub_f32_e32 v22, v21, v20
	v_sub_f32_e32 v21, v21, v22
	;; [unrolled: 1-line block ×3, first 2 shown]
	v_add_f32_e32 v18, v18, v20
	v_add_f32_e32 v20, v22, v18
	v_sub_f32_e32 v21, v22, v20
	v_add_f32_e32 v18, v18, v21
	v_mul_f32_e32 v21, 0x2ea39ef3, v19
	v_sub_f32_e32 v22, v20, v21
	v_sub_f32_e32 v20, v20, v22
	;; [unrolled: 1-line block ×3, first 2 shown]
	v_add_f32_e32 v18, v18, v20
	v_add_f32_e32 v20, v22, v18
	v_sub_f32_e32 v22, v22, v20
	v_mov_b32_e32 v21, 0x3c091de6
	v_add_f32_e32 v18, v18, v22
	v_mul_f32_e32 v23, v20, v20
	v_fmac_f32_e32 v21, 0x3ab42872, v20
	v_add_f32_e32 v22, v18, v18
	v_fma_f32 v24, v20, v20, -v23
	v_fma_f32 v21, v20, v21, v11
	v_fmac_f32_e32 v24, v20, v22
	v_fma_f32 v21, v20, v21, v12
	v_add_f32_e32 v22, v23, v24
	v_fma_f32 v21, v20, v21, v13
	v_sub_f32_e32 v23, v22, v23
	v_sub_f32_e32 v23, v24, v23
	v_mul_f32_e32 v24, v21, v22
	v_fma_f32 v22, v22, v21, -v24
	v_fmac_f32_e32 v22, v23, v21
	v_add_f32_e32 v21, v24, v22
	v_sub_f32_e32 v23, v21, v24
	v_sub_f32_e32 v22, v22, v23
	v_add_f32_e32 v23, v20, v21
	v_sub_f32_e32 v20, v23, v20
	v_sub_f32_e32 v20, v21, v20
	v_add_f32_e32 v18, v18, v22
	v_add_f32_e32 v18, v18, v20
	;; [unrolled: 1-line block ×3, first 2 shown]
	v_sub_f32_e32 v21, v20, v23
	v_sub_f32_e32 v18, v18, v21
	v_add_f32_e32 v21, 1.0, v20
	v_add_f32_e32 v22, -1.0, v21
	v_cvt_i32_f32_e32 v19, v19
	v_sub_f32_e32 v20, v20, v22
	v_add_f32_e32 v18, v18, v20
	v_add_f32_e32 v20, v21, v18
	v_ldexp_f32 v22, v20, v19
	v_rcp_f32_e32 v23, v22
	v_sub_f32_e32 v20, v20, v21
	v_sub_f32_e32 v18, v18, v20
	v_ldexp_f32 v18, v18, v19
	v_mul_f32_e32 v19, v22, v23
	v_fma_f32 v20, v23, v22, -v19
	v_fmac_f32_e32 v20, v23, v18
	v_add_f32_e32 v21, v19, v20
	v_sub_f32_e32 v24, 1.0, v21
	v_sub_f32_e32 v25, 1.0, v24
	v_sub_f32_e32 v19, v21, v19
	v_sub_f32_e32 v25, v25, v21
	;; [unrolled: 1-line block ×3, first 2 shown]
	v_add_f32_e32 v19, v19, v25
	v_add_f32_e32 v20, v24, v19
	v_mul_f32_e32 v21, v23, v20
	v_mul_f32_e32 v25, v22, v21
	v_fma_f32 v26, v21, v22, -v25
	v_fmac_f32_e32 v26, v21, v18
	v_sub_f32_e32 v24, v24, v20
	v_add_f32_e32 v19, v19, v24
	v_add_f32_e32 v24, v25, v26
	v_sub_f32_e32 v27, v20, v24
	v_sub_f32_e32 v20, v20, v27
	;; [unrolled: 1-line block ×4, first 2 shown]
	v_add_f32_e32 v19, v19, v20
	v_sub_f32_e32 v20, v25, v26
	v_add_f32_e32 v19, v20, v19
	v_add_f32_e32 v19, v27, v19
	;; [unrolled: 1-line block ×3, first 2 shown]
	v_mul_f32_e32 v19, v23, v19
	v_sub_f32_e32 v23, v20, v23
	v_sub_f32_e32 v21, v21, v23
	v_add_f32_e32 v19, v21, v19
	v_add_f32_e32 v21, v20, v19
	v_sub_f32_e32 v20, v21, v20
	v_sub_f32_e32 v19, v19, v20
	v_ldexp_f32 v20, v21, -2
	v_sub_f32_e32 v21, v22, v20
	v_sub_f32_e32 v22, v22, v21
	;; [unrolled: 1-line block ×3, first 2 shown]
	v_ldexp_f32 v19, v19, -2
	v_add_f32_e32 v18, v18, v20
	v_sub_f32_e32 v18, v18, v19
	v_add_f32_e32 v18, v21, v18
	v_cmp_ngt_f32_e64 s[2:3], |v17|, s30
	v_cndmask_b32_e64 v18, v14, v18, s[2:3]
	v_cmp_lt_f32_e64 s[2:3], |v17|, s28
	v_cndmask_b32_e64 v18, v18, |v17|, s[2:3]
	v_bfi_b32 v17, s31, v18, v17
	global_store_dword v[3:4], v17, off
	s_or_b64 exec, exec, s[6:7]
	s_and_saveexec_b64 s[2:3], s[0:1]
	s_cbranch_execz .LBB124_14
.LBB124_18:                             ;   in Loop: Header=BB124_4 Depth=1
	s_waitcnt vmcnt(0)
	v_add_f32_e64 v17, |v16|, s29
	v_sub_f32_e64 v18, v17, |v16|
	v_sub_f32_e32 v19, v18, v17
	v_add_f32_e64 v19, |v16|, v19
	v_add_f32_e32 v18, 0x3f317218, v18
	v_sub_f32_e32 v18, v19, v18
	v_add_f32_e32 v18, 0x3102e308, v18
	v_add_f32_e32 v19, v17, v18
	v_sub_f32_e32 v17, v17, v19
	v_add_f32_e32 v17, v18, v17
	v_mul_f32_e32 v18, 0x3fb8aa3b, v19
	v_rndne_f32_e32 v18, v18
	v_fmac_f32_e32 v19, 0xbf317200, v18
	v_add_f32_e32 v20, v17, v19
	v_sub_f32_e32 v19, v19, v20
	v_add_f32_e32 v17, v17, v19
	v_mul_f32_e32 v19, 0x35bfbc00, v18
	v_sub_f32_e32 v21, v20, v19
	v_sub_f32_e32 v20, v20, v21
	;; [unrolled: 1-line block ×3, first 2 shown]
	v_add_f32_e32 v17, v17, v19
	v_add_f32_e32 v19, v21, v17
	v_sub_f32_e32 v20, v21, v19
	v_add_f32_e32 v17, v17, v20
	v_mul_f32_e32 v20, 0x2ea39ef3, v18
	v_sub_f32_e32 v21, v19, v20
	v_sub_f32_e32 v19, v19, v21
	;; [unrolled: 1-line block ×3, first 2 shown]
	v_add_f32_e32 v17, v17, v19
	v_add_f32_e32 v19, v21, v17
	v_sub_f32_e32 v21, v21, v19
	v_mov_b32_e32 v20, 0x3c091de6
	v_add_f32_e32 v17, v17, v21
	v_mul_f32_e32 v22, v19, v19
	v_fmac_f32_e32 v20, 0x3ab42872, v19
	v_add_f32_e32 v21, v17, v17
	v_fma_f32 v23, v19, v19, -v22
	v_fma_f32 v20, v19, v20, v11
	v_fmac_f32_e32 v23, v19, v21
	v_fma_f32 v20, v19, v20, v12
	v_add_f32_e32 v21, v22, v23
	v_fma_f32 v20, v19, v20, v13
	v_sub_f32_e32 v22, v21, v22
	v_sub_f32_e32 v22, v23, v22
	v_mul_f32_e32 v23, v20, v21
	v_fma_f32 v21, v21, v20, -v23
	v_fmac_f32_e32 v21, v22, v20
	v_add_f32_e32 v20, v23, v21
	v_sub_f32_e32 v22, v20, v23
	v_sub_f32_e32 v21, v21, v22
	v_add_f32_e32 v22, v19, v20
	v_sub_f32_e32 v19, v22, v19
	v_sub_f32_e32 v19, v20, v19
	v_add_f32_e32 v17, v17, v21
	v_add_f32_e32 v17, v17, v19
	v_add_f32_e32 v19, v22, v17
	v_sub_f32_e32 v20, v19, v22
	v_sub_f32_e32 v17, v17, v20
	v_add_f32_e32 v20, 1.0, v19
	v_add_f32_e32 v21, -1.0, v20
	v_cvt_i32_f32_e32 v18, v18
	v_sub_f32_e32 v19, v19, v21
	v_add_f32_e32 v17, v17, v19
	v_add_f32_e32 v19, v20, v17
	v_ldexp_f32 v21, v19, v18
	v_rcp_f32_e32 v22, v21
	v_sub_f32_e32 v19, v19, v20
	v_sub_f32_e32 v17, v17, v19
	v_ldexp_f32 v17, v17, v18
	v_mul_f32_e32 v18, v21, v22
	v_fma_f32 v19, v22, v21, -v18
	v_fmac_f32_e32 v19, v22, v17
	v_add_f32_e32 v20, v18, v19
	v_sub_f32_e32 v23, 1.0, v20
	v_sub_f32_e32 v24, 1.0, v23
	v_sub_f32_e32 v18, v20, v18
	v_sub_f32_e32 v24, v24, v20
	;; [unrolled: 1-line block ×3, first 2 shown]
	v_add_f32_e32 v18, v18, v24
	v_add_f32_e32 v19, v23, v18
	v_mul_f32_e32 v20, v22, v19
	v_mul_f32_e32 v24, v21, v20
	v_fma_f32 v25, v20, v21, -v24
	v_fmac_f32_e32 v25, v20, v17
	v_sub_f32_e32 v23, v23, v19
	v_add_f32_e32 v18, v18, v23
	v_add_f32_e32 v23, v24, v25
	v_sub_f32_e32 v26, v19, v23
	v_sub_f32_e32 v19, v19, v26
	;; [unrolled: 1-line block ×4, first 2 shown]
	v_add_f32_e32 v18, v18, v19
	v_sub_f32_e32 v19, v24, v25
	v_add_f32_e32 v18, v19, v18
	v_add_f32_e32 v18, v26, v18
	;; [unrolled: 1-line block ×3, first 2 shown]
	v_mul_f32_e32 v18, v22, v18
	v_sub_f32_e32 v22, v19, v22
	v_sub_f32_e32 v20, v20, v22
	v_add_f32_e32 v18, v20, v18
	v_add_f32_e32 v20, v19, v18
	v_sub_f32_e32 v19, v20, v19
	v_sub_f32_e32 v18, v18, v19
	v_ldexp_f32 v19, v20, -2
	v_sub_f32_e32 v20, v21, v19
	v_sub_f32_e32 v21, v21, v20
	;; [unrolled: 1-line block ×3, first 2 shown]
	v_ldexp_f32 v18, v18, -2
	v_add_f32_e32 v17, v17, v19
	v_sub_f32_e32 v17, v17, v18
	v_add_f32_e32 v17, v20, v17
	v_cmp_ngt_f32_e64 s[0:1], |v16|, s30
	v_cndmask_b32_e64 v17, v14, v17, s[0:1]
	v_cmp_lt_f32_e64 s[0:1], |v16|, s28
	v_cndmask_b32_e64 v17, v17, |v16|, s[0:1]
	v_bfi_b32 v18, s31, v17, v16
	v_add_co_u32_e64 v16, s[0:1], s27, v1
	v_addc_co_u32_e64 v17, s[0:1], 0, v2, s[0:1]
	global_store_dword v[16:17], v18, off
	s_or_b64 exec, exec, s[2:3]
	s_and_saveexec_b64 s[0:1], vcc
	s_cbranch_execz .LBB124_3
.LBB124_19:                             ;   in Loop: Header=BB124_4 Depth=1
	s_waitcnt vmcnt(0)
	v_add_f32_e64 v16, |v15|, s29
	v_sub_f32_e64 v17, v16, |v15|
	v_sub_f32_e32 v18, v17, v16
	v_add_f32_e64 v18, |v15|, v18
	v_add_f32_e32 v17, 0x3f317218, v17
	v_sub_f32_e32 v17, v18, v17
	v_add_f32_e32 v17, 0x3102e308, v17
	v_add_f32_e32 v18, v16, v17
	v_sub_f32_e32 v16, v16, v18
	v_add_f32_e32 v16, v17, v16
	v_mul_f32_e32 v17, 0x3fb8aa3b, v18
	v_rndne_f32_e32 v17, v17
	v_fmac_f32_e32 v18, 0xbf317200, v17
	v_add_f32_e32 v19, v16, v18
	v_sub_f32_e32 v18, v18, v19
	v_add_f32_e32 v16, v16, v18
	v_mul_f32_e32 v18, 0x35bfbc00, v17
	v_sub_f32_e32 v20, v19, v18
	v_sub_f32_e32 v19, v19, v20
	;; [unrolled: 1-line block ×3, first 2 shown]
	v_add_f32_e32 v16, v16, v18
	v_add_f32_e32 v18, v20, v16
	v_sub_f32_e32 v19, v20, v18
	v_add_f32_e32 v16, v16, v19
	v_mul_f32_e32 v19, 0x2ea39ef3, v17
	v_sub_f32_e32 v20, v18, v19
	v_sub_f32_e32 v18, v18, v20
	;; [unrolled: 1-line block ×3, first 2 shown]
	v_add_f32_e32 v16, v16, v18
	v_add_f32_e32 v18, v20, v16
	v_sub_f32_e32 v20, v20, v18
	v_mov_b32_e32 v19, 0x3c091de6
	v_add_f32_e32 v16, v16, v20
	v_mul_f32_e32 v21, v18, v18
	v_fmac_f32_e32 v19, 0x3ab42872, v18
	v_add_f32_e32 v20, v16, v16
	v_fma_f32 v22, v18, v18, -v21
	v_fma_f32 v19, v18, v19, v11
	v_fmac_f32_e32 v22, v18, v20
	v_fma_f32 v19, v18, v19, v12
	v_add_f32_e32 v20, v21, v22
	v_fma_f32 v19, v18, v19, v13
	v_sub_f32_e32 v21, v20, v21
	v_sub_f32_e32 v21, v22, v21
	v_mul_f32_e32 v22, v19, v20
	v_fma_f32 v20, v20, v19, -v22
	v_fmac_f32_e32 v20, v21, v19
	v_add_f32_e32 v19, v22, v20
	v_sub_f32_e32 v21, v19, v22
	v_sub_f32_e32 v20, v20, v21
	v_add_f32_e32 v21, v18, v19
	v_sub_f32_e32 v18, v21, v18
	v_sub_f32_e32 v18, v19, v18
	v_add_f32_e32 v16, v16, v20
	v_add_f32_e32 v16, v16, v18
	;; [unrolled: 1-line block ×3, first 2 shown]
	v_sub_f32_e32 v19, v18, v21
	v_sub_f32_e32 v16, v16, v19
	v_add_f32_e32 v19, 1.0, v18
	v_add_f32_e32 v20, -1.0, v19
	v_cvt_i32_f32_e32 v17, v17
	v_sub_f32_e32 v18, v18, v20
	v_add_f32_e32 v16, v16, v18
	v_add_f32_e32 v18, v19, v16
	v_ldexp_f32 v20, v18, v17
	v_rcp_f32_e32 v21, v20
	v_sub_f32_e32 v18, v18, v19
	v_sub_f32_e32 v16, v16, v18
	v_ldexp_f32 v16, v16, v17
	v_mul_f32_e32 v17, v20, v21
	v_fma_f32 v18, v21, v20, -v17
	v_fmac_f32_e32 v18, v21, v16
	v_add_f32_e32 v19, v17, v18
	v_sub_f32_e32 v22, 1.0, v19
	v_sub_f32_e32 v23, 1.0, v22
	v_sub_f32_e32 v17, v19, v17
	v_sub_f32_e32 v23, v23, v19
	;; [unrolled: 1-line block ×3, first 2 shown]
	v_add_f32_e32 v17, v17, v23
	v_add_f32_e32 v18, v22, v17
	v_mul_f32_e32 v19, v21, v18
	v_mul_f32_e32 v23, v20, v19
	v_fma_f32 v24, v19, v20, -v23
	v_fmac_f32_e32 v24, v19, v16
	v_sub_f32_e32 v22, v22, v18
	v_add_f32_e32 v17, v17, v22
	v_add_f32_e32 v22, v23, v24
	v_sub_f32_e32 v25, v18, v22
	v_sub_f32_e32 v18, v18, v25
	;; [unrolled: 1-line block ×4, first 2 shown]
	v_add_f32_e32 v17, v17, v18
	v_sub_f32_e32 v18, v23, v24
	v_add_f32_e32 v17, v18, v17
	v_add_f32_e32 v17, v25, v17
	;; [unrolled: 1-line block ×3, first 2 shown]
	v_mul_f32_e32 v17, v21, v17
	v_sub_f32_e32 v21, v18, v21
	v_sub_f32_e32 v19, v19, v21
	v_add_f32_e32 v17, v19, v17
	v_add_f32_e32 v19, v18, v17
	v_sub_f32_e32 v18, v19, v18
	v_sub_f32_e32 v17, v17, v18
	v_ldexp_f32 v18, v19, -2
	v_sub_f32_e32 v19, v20, v18
	v_sub_f32_e32 v20, v20, v19
	;; [unrolled: 1-line block ×3, first 2 shown]
	v_ldexp_f32 v17, v17, -2
	v_add_f32_e32 v16, v16, v18
	v_sub_f32_e32 v16, v16, v17
	v_add_f32_e32 v16, v19, v16
	v_cmp_ngt_f32_e64 vcc, |v15|, s30
	v_cndmask_b32_e32 v16, v14, v16, vcc
	v_cmp_lt_f32_e64 s[2:3], |v15|, s28
	v_cndmask_b32_e64 v16, v16, |v15|, s[2:3]
	v_bfi_b32 v17, s31, v16, v15
	v_add_co_u32_e32 v15, vcc, s26, v1
	v_addc_co_u32_e32 v16, vcc, 0, v2, vcc
	global_store_dword v[15:16], v17, off
	s_branch .LBB124_3
.LBB124_20:
	s_cbranch_execz .LBB124_22
	s_branch .LBB124_25
.LBB124_21:
.LBB124_22:
	v_mov_b32_e32 v1, 0x10000
	v_mov_b32_e32 v2, 0
	v_cmp_lt_i64_e32 vcc, s[14:15], v[1:2]
	v_mov_b32_e32 v2, 0
	s_and_b64 s[0:1], vcc, exec
	s_cselect_b32 s1, s15, 0
	s_cselect_b32 s0, s14, 0x10000
	v_lshlrev_b32_e32 v1, 2, v0
	v_cmp_gt_i64_e32 vcc, s[0:1], v[1:2]
	s_and_saveexec_b64 s[2:3], vcc
	s_cbranch_execz .LBB124_25
; %bb.23:
	s_load_dword s2, s[4:5], 0xd3c
	v_mov_b32_e32 v1, v2
	v_lshlrev_b32_e32 v2, 4, v0
	s_mov_b32 s6, 0xbf317218
	v_mov_b32_e32 v8, 0x3d2aadcc
	s_waitcnt lgkmcnt(0)
	s_and_b32 s4, s2, 0xffff
	s_add_u32 s2, s10, s12
	s_addc_u32 s3, s11, s13
	v_mov_b32_e32 v3, s3
	v_add_co_u32_e32 v2, vcc, s2, v2
	v_addc_co_u32_e32 v3, vcc, 0, v3, vcc
	v_add_co_u32_e32 v6, vcc, 8, v2
	v_addc_co_u32_e32 v7, vcc, 0, v3, vcc
	s_lshl_b32 s5, s4, 4
	s_mov_b64 s[2:3], 0
	v_mov_b32_e32 v9, 0x3e2aaa47
	v_mov_b32_e32 v10, 0x3efffffc
	s_mov_b32 s7, 0x42b2d4fc
	v_mov_b32_e32 v11, 0x7f800000
	s_mov_b32 s8, 0x39800000
	s_brev_b32 s9, -2
.LBB124_24:                             ; =>This Inner Loop Header: Depth=1
	global_load_dwordx4 v[2:5], v[6:7], off offset:-8
	v_mov_b32_e32 v12, 0x3c091de6
	v_mov_b32_e32 v13, 0x3c091de6
	s_waitcnt vmcnt(0)
	v_add_f32_e64 v14, |v2|, s6
	v_sub_f32_e64 v16, v14, |v2|
	v_add_f32_e64 v15, |v3|, s6
	v_sub_f32_e32 v18, v16, v14
	v_sub_f32_e64 v17, v15, |v3|
	v_add_f32_e32 v16, 0x3f317218, v16
	v_add_f32_e64 v18, |v2|, v18
	v_sub_f32_e32 v19, v17, v15
	v_sub_f32_e32 v16, v18, v16
	v_add_f32_e32 v17, 0x3f317218, v17
	v_add_f32_e64 v19, |v3|, v19
	v_add_f32_e32 v16, 0x3102e308, v16
	v_sub_f32_e32 v17, v19, v17
	v_add_f32_e32 v18, v14, v16
	v_add_f32_e32 v17, 0x3102e308, v17
	v_sub_f32_e32 v14, v14, v18
	v_mul_f32_e32 v20, 0x3fb8aa3b, v18
	v_add_f32_e32 v19, v15, v17
	v_add_f32_e32 v14, v16, v14
	v_rndne_f32_e32 v16, v20
	v_sub_f32_e32 v15, v15, v19
	v_mul_f32_e32 v21, 0x3fb8aa3b, v19
	v_fmac_f32_e32 v18, 0xbf317200, v16
	v_add_f32_e32 v15, v17, v15
	v_rndne_f32_e32 v17, v21
	v_mul_f32_e32 v20, 0x35bfbc00, v16
	v_add_f32_e32 v24, v14, v18
	v_fmac_f32_e32 v19, 0xbf317200, v17
	v_sub_f32_e32 v18, v18, v24
	v_sub_f32_e32 v26, v24, v20
	v_mul_f32_e32 v22, 0x35bfbc00, v17
	v_add_f32_e32 v25, v15, v19
	v_add_f32_e32 v14, v14, v18
	v_sub_f32_e32 v18, v24, v26
	v_sub_f32_e32 v19, v19, v25
	;; [unrolled: 1-line block ×4, first 2 shown]
	v_add_f32_e32 v15, v15, v19
	v_sub_f32_e32 v19, v25, v27
	v_add_f32_e32 v14, v14, v18
	v_mul_f32_e32 v21, 0x2ea39ef3, v16
	v_sub_f32_e32 v19, v19, v22
	v_add_f32_e32 v18, v26, v14
	v_add_f32_e32 v15, v15, v19
	v_sub_f32_e32 v22, v18, v21
	v_mul_f32_e32 v23, 0x2ea39ef3, v17
	v_add_f32_e32 v19, v27, v15
	v_sub_f32_e32 v20, v26, v18
	v_sub_f32_e32 v18, v18, v22
	;; [unrolled: 1-line block ×3, first 2 shown]
	v_add_f32_e32 v14, v14, v20
	v_sub_f32_e32 v18, v18, v21
	v_sub_f32_e32 v24, v27, v19
	;; [unrolled: 1-line block ×3, first 2 shown]
	v_add_f32_e32 v14, v14, v18
	v_add_f32_e32 v15, v15, v24
	v_sub_f32_e32 v19, v19, v23
	v_add_f32_e32 v18, v22, v14
	v_add_f32_e32 v15, v15, v19
	v_sub_f32_e32 v20, v22, v18
	v_add_f32_e32 v19, v25, v15
	v_fmac_f32_e32 v12, 0x3ab42872, v18
	v_mul_f32_e32 v21, v18, v18
	v_add_f32_e32 v14, v14, v20
	v_sub_f32_e32 v22, v25, v19
	v_fma_f32 v12, v18, v12, v8
	v_fma_f32 v20, v18, v18, -v21
	v_add_f32_e32 v24, v14, v14
	v_mul_f32_e32 v23, v19, v19
	v_add_f32_e32 v15, v15, v22
	v_fma_f32 v12, v18, v12, v9
	v_fmac_f32_e32 v20, v18, v24
	v_fma_f32 v22, v19, v19, -v23
	v_add_f32_e32 v25, v15, v15
	v_fma_f32 v12, v18, v12, v10
	v_add_f32_e32 v24, v21, v20
	v_fmac_f32_e32 v22, v19, v25
	v_sub_f32_e32 v21, v24, v21
	v_mul_f32_e32 v25, v12, v24
	v_sub_f32_e32 v20, v20, v21
	v_fma_f32 v21, v24, v12, -v25
	v_fmac_f32_e32 v21, v20, v12
	v_add_f32_e32 v12, v25, v21
	v_sub_f32_e32 v20, v12, v25
	v_add_f32_e32 v24, v18, v12
	v_sub_f32_e32 v20, v21, v20
	v_sub_f32_e32 v18, v24, v18
	;; [unrolled: 1-line block ×3, first 2 shown]
	v_add_f32_e32 v14, v14, v20
	v_add_f32_e32 v12, v14, v12
	;; [unrolled: 1-line block ×3, first 2 shown]
	v_sub_f32_e32 v18, v14, v24
	v_add_f32_e32 v20, 1.0, v14
	v_cvt_i32_f32_e32 v16, v16
	v_sub_f32_e32 v12, v12, v18
	v_add_f32_e32 v18, -1.0, v20
	v_sub_f32_e32 v14, v14, v18
	v_add_f32_e32 v12, v12, v14
	v_add_f32_e32 v14, v20, v12
	v_ldexp_f32 v18, v14, v16
	v_rcp_f32_e32 v21, v18
	v_sub_f32_e32 v14, v14, v20
	v_sub_f32_e32 v12, v12, v14
	v_ldexp_f32 v12, v12, v16
	v_mul_f32_e32 v14, v18, v21
	v_fma_f32 v16, v21, v18, -v14
	v_fmac_f32_e32 v16, v21, v12
	v_add_f32_e32 v20, v14, v16
	v_sub_f32_e32 v24, 1.0, v20
	v_sub_f32_e32 v14, v20, v14
	v_sub_f32_e32 v25, 1.0, v24
	v_sub_f32_e32 v14, v14, v16
	v_sub_f32_e32 v16, v25, v20
	v_add_f32_e32 v14, v14, v16
	v_add_f32_e32 v16, v24, v14
	v_mul_f32_e32 v20, v21, v16
	v_sub_f32_e32 v24, v24, v16
	v_mul_f32_e32 v25, v18, v20
	v_add_f32_e32 v14, v14, v24
	v_add_f32_e32 v24, v21, v20
	v_fma_f32 v26, v20, v18, -v25
	v_sub_f32_e32 v27, v24, v21
	v_fmac_f32_e32 v26, v20, v12
	v_sub_f32_e32 v20, v20, v27
	v_add_f32_e32 v27, v25, v26
	v_sub_f32_e32 v25, v27, v25
	v_sub_f32_e32 v25, v25, v26
	v_sub_f32_e32 v26, v16, v27
	v_sub_f32_e32 v16, v16, v26
	v_sub_f32_e32 v16, v16, v27
	v_add_f32_e32 v14, v14, v16
	v_add_f32_e32 v14, v25, v14
	;; [unrolled: 1-line block ×3, first 2 shown]
	v_mul_f32_e32 v14, v21, v14
	v_add_f32_e32 v14, v20, v14
	v_add_f32_e32 v16, v24, v14
	v_sub_f32_e32 v20, v16, v24
	v_ldexp_f32 v16, v16, -2
	v_sub_f32_e32 v14, v14, v20
	v_sub_f32_e32 v20, v18, v16
	;; [unrolled: 1-line block ×4, first 2 shown]
	v_ldexp_f32 v14, v14, -2
	v_add_f32_e32 v12, v12, v16
	v_sub_f32_e32 v12, v12, v14
	v_fmac_f32_e32 v13, 0x3ab42872, v19
	v_add_f32_e32 v12, v20, v12
	v_cmp_ngt_f32_e64 vcc, |v2|, s7
	v_fma_f32 v13, v19, v13, v8
	v_cndmask_b32_e32 v12, v11, v12, vcc
	v_cmp_lt_f32_e64 s[10:11], |v2|, s8
	v_fma_f32 v13, v19, v13, v9
	v_cndmask_b32_e64 v12, v12, |v2|, s[10:11]
	v_fma_f32 v13, v19, v13, v10
	v_bfi_b32 v2, s9, v12, v2
	v_add_f32_e32 v12, v23, v22
	v_sub_f32_e32 v14, v12, v23
	v_mul_f32_e32 v16, v13, v12
	v_sub_f32_e32 v14, v22, v14
	v_fma_f32 v12, v12, v13, -v16
	v_fmac_f32_e32 v12, v14, v13
	v_add_f32_e32 v13, v16, v12
	v_sub_f32_e32 v14, v13, v16
	v_sub_f32_e32 v12, v12, v14
	v_add_f32_e32 v14, v19, v13
	v_sub_f32_e32 v16, v14, v19
	v_sub_f32_e32 v13, v13, v16
	v_add_f32_e32 v12, v15, v12
	v_add_f32_e32 v12, v12, v13
	;; [unrolled: 1-line block ×3, first 2 shown]
	v_sub_f32_e32 v14, v13, v14
	v_sub_f32_e32 v12, v12, v14
	v_add_f32_e32 v14, 1.0, v13
	v_add_f32_e32 v15, -1.0, v14
	v_cvt_i32_f32_e32 v16, v17
	v_sub_f32_e32 v13, v13, v15
	v_add_f32_e32 v12, v12, v13
	v_add_f32_e32 v13, v14, v12
	v_ldexp_f32 v15, v13, v16
	v_rcp_f32_e32 v17, v15
	v_sub_f32_e32 v13, v13, v14
	v_sub_f32_e32 v12, v12, v13
	v_ldexp_f32 v12, v12, v16
	v_mul_f32_e32 v13, v15, v17
	v_fma_f32 v14, v17, v15, -v13
	v_fmac_f32_e32 v14, v17, v12
	v_add_f32_e32 v16, v13, v14
	v_sub_f32_e32 v18, 1.0, v16
	v_sub_f32_e32 v19, 1.0, v18
	v_sub_f32_e32 v13, v16, v13
	v_sub_f32_e32 v19, v19, v16
	;; [unrolled: 1-line block ×3, first 2 shown]
	v_add_f32_e32 v13, v13, v19
	v_add_f32_e32 v14, v18, v13
	v_mul_f32_e32 v16, v17, v14
	v_mul_f32_e32 v19, v15, v16
	v_fma_f32 v20, v16, v15, -v19
	v_fmac_f32_e32 v20, v16, v12
	v_sub_f32_e32 v18, v18, v14
	v_add_f32_e32 v13, v13, v18
	v_add_f32_e32 v18, v19, v20
	v_sub_f32_e32 v21, v14, v18
	v_sub_f32_e32 v14, v14, v21
	;; [unrolled: 1-line block ×4, first 2 shown]
	v_add_f32_e32 v13, v13, v14
	v_sub_f32_e32 v14, v19, v20
	v_add_f32_e32 v13, v14, v13
	v_add_f32_e32 v13, v21, v13
	;; [unrolled: 1-line block ×3, first 2 shown]
	v_mul_f32_e32 v13, v17, v13
	v_sub_f32_e32 v17, v14, v17
	v_sub_f32_e32 v16, v16, v17
	v_add_f32_e32 v13, v16, v13
	v_add_f32_e32 v16, v14, v13
	v_sub_f32_e32 v14, v16, v14
	v_sub_f32_e32 v13, v13, v14
	v_ldexp_f32 v14, v16, -2
	v_sub_f32_e32 v16, v15, v14
	v_sub_f32_e32 v15, v15, v16
	;; [unrolled: 1-line block ×3, first 2 shown]
	v_ldexp_f32 v13, v13, -2
	v_add_f32_e32 v12, v12, v14
	v_sub_f32_e32 v12, v12, v13
	v_add_f32_e32 v12, v16, v12
	v_cmp_ngt_f32_e64 vcc, |v3|, s7
	v_cndmask_b32_e32 v12, v11, v12, vcc
	v_cmp_lt_f32_e64 s[10:11], |v3|, s8
	v_cndmask_b32_e64 v12, v12, |v3|, s[10:11]
	v_bfi_b32 v3, s9, v12, v3
	v_add_f32_e64 v12, |v4|, s6
	v_sub_f32_e64 v13, v12, |v4|
	v_sub_f32_e32 v14, v13, v12
	v_add_f32_e64 v14, |v4|, v14
	v_add_f32_e32 v13, 0x3f317218, v13
	v_sub_f32_e32 v13, v14, v13
	v_add_f32_e32 v13, 0x3102e308, v13
	v_add_f32_e32 v14, v12, v13
	v_sub_f32_e32 v12, v12, v14
	v_add_f32_e32 v12, v13, v12
	v_mul_f32_e32 v13, 0x3fb8aa3b, v14
	v_rndne_f32_e32 v13, v13
	v_fmac_f32_e32 v14, 0xbf317200, v13
	v_add_f32_e32 v15, v12, v14
	v_sub_f32_e32 v14, v14, v15
	v_add_f32_e32 v12, v12, v14
	v_mul_f32_e32 v14, 0x35bfbc00, v13
	v_sub_f32_e32 v16, v15, v14
	v_sub_f32_e32 v15, v15, v16
	;; [unrolled: 1-line block ×3, first 2 shown]
	v_add_f32_e32 v12, v12, v14
	v_add_f32_e32 v14, v16, v12
	v_sub_f32_e32 v15, v16, v14
	v_add_f32_e32 v12, v12, v15
	v_mul_f32_e32 v15, 0x2ea39ef3, v13
	v_sub_f32_e32 v16, v14, v15
	v_sub_f32_e32 v14, v14, v16
	;; [unrolled: 1-line block ×3, first 2 shown]
	v_add_f32_e32 v12, v12, v14
	v_add_f32_e32 v14, v16, v12
	v_sub_f32_e32 v16, v16, v14
	v_mov_b32_e32 v15, 0x3c091de6
	v_add_f32_e32 v12, v12, v16
	v_mul_f32_e32 v17, v14, v14
	v_fmac_f32_e32 v15, 0x3ab42872, v14
	v_add_f32_e32 v16, v12, v12
	v_fma_f32 v18, v14, v14, -v17
	v_fma_f32 v15, v14, v15, v8
	v_fmac_f32_e32 v18, v14, v16
	v_fma_f32 v15, v14, v15, v9
	v_add_f32_e32 v16, v17, v18
	v_fma_f32 v15, v14, v15, v10
	v_sub_f32_e32 v17, v16, v17
	v_sub_f32_e32 v17, v18, v17
	v_mul_f32_e32 v18, v15, v16
	v_fma_f32 v16, v16, v15, -v18
	v_fmac_f32_e32 v16, v17, v15
	v_add_f32_e32 v15, v18, v16
	v_sub_f32_e32 v17, v15, v18
	v_sub_f32_e32 v16, v16, v17
	v_add_f32_e32 v17, v14, v15
	v_sub_f32_e32 v14, v17, v14
	v_sub_f32_e32 v14, v15, v14
	v_add_f32_e32 v12, v12, v16
	v_add_f32_e32 v12, v12, v14
	;; [unrolled: 1-line block ×3, first 2 shown]
	v_sub_f32_e32 v15, v14, v17
	v_sub_f32_e32 v12, v12, v15
	v_add_f32_e32 v15, 1.0, v14
	v_add_f32_e32 v16, -1.0, v15
	v_cvt_i32_f32_e32 v13, v13
	v_sub_f32_e32 v14, v14, v16
	v_add_f32_e32 v12, v12, v14
	v_add_f32_e32 v14, v15, v12
	v_ldexp_f32 v16, v14, v13
	v_rcp_f32_e32 v17, v16
	v_sub_f32_e32 v14, v14, v15
	v_sub_f32_e32 v12, v12, v14
	v_ldexp_f32 v12, v12, v13
	v_mul_f32_e32 v13, v16, v17
	v_fma_f32 v14, v17, v16, -v13
	v_fmac_f32_e32 v14, v17, v12
	v_add_f32_e32 v15, v13, v14
	v_sub_f32_e32 v18, 1.0, v15
	v_sub_f32_e32 v19, 1.0, v18
	v_sub_f32_e32 v13, v15, v13
	v_sub_f32_e32 v19, v19, v15
	;; [unrolled: 1-line block ×3, first 2 shown]
	v_add_f32_e32 v13, v13, v19
	v_add_f32_e32 v14, v18, v13
	v_mul_f32_e32 v15, v17, v14
	v_mul_f32_e32 v19, v16, v15
	v_fma_f32 v20, v15, v16, -v19
	v_fmac_f32_e32 v20, v15, v12
	v_sub_f32_e32 v18, v18, v14
	v_add_f32_e32 v13, v13, v18
	v_add_f32_e32 v18, v19, v20
	v_sub_f32_e32 v21, v14, v18
	v_sub_f32_e32 v14, v14, v21
	;; [unrolled: 1-line block ×4, first 2 shown]
	v_add_f32_e32 v13, v13, v14
	v_sub_f32_e32 v14, v19, v20
	v_add_f32_e32 v13, v14, v13
	v_add_f32_e32 v13, v21, v13
	;; [unrolled: 1-line block ×3, first 2 shown]
	v_mul_f32_e32 v13, v17, v13
	v_sub_f32_e32 v17, v14, v17
	v_sub_f32_e32 v15, v15, v17
	v_add_f32_e32 v13, v15, v13
	v_add_f32_e32 v15, v14, v13
	v_sub_f32_e32 v14, v15, v14
	v_sub_f32_e32 v13, v13, v14
	v_ldexp_f32 v14, v15, -2
	v_sub_f32_e32 v15, v16, v14
	v_sub_f32_e32 v16, v16, v15
	v_sub_f32_e32 v14, v16, v14
	v_ldexp_f32 v13, v13, -2
	v_add_f32_e32 v12, v12, v14
	v_sub_f32_e32 v12, v12, v13
	v_add_f32_e32 v12, v15, v12
	v_cmp_ngt_f32_e64 vcc, |v4|, s7
	v_cndmask_b32_e32 v12, v11, v12, vcc
	v_cmp_lt_f32_e64 s[10:11], |v4|, s8
	v_cndmask_b32_e64 v12, v12, |v4|, s[10:11]
	v_bfi_b32 v4, s9, v12, v4
	v_add_f32_e64 v12, |v5|, s6
	v_sub_f32_e64 v13, v12, |v5|
	v_sub_f32_e32 v14, v13, v12
	v_add_f32_e64 v14, |v5|, v14
	v_add_f32_e32 v13, 0x3f317218, v13
	v_sub_f32_e32 v13, v14, v13
	v_add_f32_e32 v13, 0x3102e308, v13
	v_add_f32_e32 v14, v12, v13
	v_sub_f32_e32 v12, v12, v14
	v_add_f32_e32 v13, v13, v12
	v_mul_f32_e32 v12, 0x3fb8aa3b, v14
	v_rndne_f32_e32 v12, v12
	v_fmac_f32_e32 v14, 0xbf317200, v12
	v_add_f32_e32 v15, v13, v14
	v_sub_f32_e32 v14, v14, v15
	v_add_f32_e32 v13, v13, v14
	v_mul_f32_e32 v14, 0x35bfbc00, v12
	v_sub_f32_e32 v16, v15, v14
	v_sub_f32_e32 v15, v15, v16
	;; [unrolled: 1-line block ×3, first 2 shown]
	v_add_f32_e32 v13, v13, v14
	v_add_f32_e32 v14, v16, v13
	v_sub_f32_e32 v15, v16, v14
	v_add_f32_e32 v13, v13, v15
	v_mul_f32_e32 v15, 0x2ea39ef3, v12
	v_sub_f32_e32 v16, v14, v15
	v_sub_f32_e32 v14, v14, v16
	;; [unrolled: 1-line block ×3, first 2 shown]
	v_add_f32_e32 v13, v13, v14
	v_add_f32_e32 v14, v16, v13
	v_sub_f32_e32 v16, v16, v14
	v_mov_b32_e32 v15, 0x3c091de6
	v_add_f32_e32 v13, v13, v16
	v_mul_f32_e32 v17, v14, v14
	v_fmac_f32_e32 v15, 0x3ab42872, v14
	v_add_f32_e32 v16, v13, v13
	v_fma_f32 v18, v14, v14, -v17
	v_fma_f32 v15, v14, v15, v8
	v_fmac_f32_e32 v18, v14, v16
	v_fma_f32 v15, v14, v15, v9
	v_add_f32_e32 v16, v17, v18
	v_fma_f32 v15, v14, v15, v10
	v_sub_f32_e32 v17, v16, v17
	v_sub_f32_e32 v17, v18, v17
	v_mul_f32_e32 v18, v15, v16
	v_fma_f32 v16, v16, v15, -v18
	v_fmac_f32_e32 v16, v17, v15
	v_add_f32_e32 v15, v18, v16
	v_sub_f32_e32 v17, v15, v18
	v_sub_f32_e32 v16, v16, v17
	v_add_f32_e32 v17, v14, v15
	v_sub_f32_e32 v14, v17, v14
	v_sub_f32_e32 v14, v15, v14
	v_add_f32_e32 v13, v13, v16
	v_add_f32_e32 v13, v13, v14
	;; [unrolled: 1-line block ×3, first 2 shown]
	v_sub_f32_e32 v15, v14, v17
	v_sub_f32_e32 v13, v13, v15
	v_add_f32_e32 v15, 1.0, v14
	v_add_f32_e32 v16, -1.0, v15
	v_cvt_i32_f32_e32 v12, v12
	v_sub_f32_e32 v14, v14, v16
	v_add_f32_e32 v13, v13, v14
	v_add_f32_e32 v14, v15, v13
	v_ldexp_f32 v16, v14, v12
	v_rcp_f32_e32 v17, v16
	v_sub_f32_e32 v14, v14, v15
	v_sub_f32_e32 v13, v13, v14
	v_ldexp_f32 v12, v13, v12
	v_mul_f32_e32 v13, v16, v17
	v_fma_f32 v14, v17, v16, -v13
	v_fmac_f32_e32 v14, v17, v12
	v_add_f32_e32 v15, v13, v14
	v_sub_f32_e32 v18, 1.0, v15
	v_sub_f32_e32 v19, 1.0, v18
	v_sub_f32_e32 v13, v15, v13
	v_sub_f32_e32 v19, v19, v15
	;; [unrolled: 1-line block ×3, first 2 shown]
	v_add_f32_e32 v13, v13, v19
	v_add_f32_e32 v14, v18, v13
	v_mul_f32_e32 v15, v17, v14
	v_mul_f32_e32 v19, v16, v15
	v_fma_f32 v20, v15, v16, -v19
	v_fmac_f32_e32 v20, v15, v12
	v_sub_f32_e32 v18, v18, v14
	v_add_f32_e32 v13, v13, v18
	v_add_f32_e32 v18, v19, v20
	v_sub_f32_e32 v21, v14, v18
	v_sub_f32_e32 v14, v14, v21
	;; [unrolled: 1-line block ×4, first 2 shown]
	v_add_f32_e32 v13, v13, v14
	v_sub_f32_e32 v14, v19, v20
	v_add_f32_e32 v13, v14, v13
	v_add_f32_e32 v13, v21, v13
	;; [unrolled: 1-line block ×3, first 2 shown]
	v_mul_f32_e32 v13, v17, v13
	v_sub_f32_e32 v17, v14, v17
	v_sub_f32_e32 v15, v15, v17
	v_add_f32_e32 v13, v15, v13
	v_add_f32_e32 v15, v14, v13
	v_sub_f32_e32 v14, v15, v14
	v_sub_f32_e32 v13, v13, v14
	v_ldexp_f32 v14, v15, -2
	v_sub_f32_e32 v15, v16, v14
	v_sub_f32_e32 v16, v16, v15
	;; [unrolled: 1-line block ×3, first 2 shown]
	v_ldexp_f32 v13, v13, -2
	v_add_f32_e32 v12, v12, v14
	v_sub_f32_e32 v12, v12, v13
	v_add_f32_e32 v12, v15, v12
	v_cmp_ngt_f32_e64 vcc, |v5|, s7
	v_cndmask_b32_e32 v12, v11, v12, vcc
	v_add_co_u32_e32 v0, vcc, s4, v0
	v_cmp_lt_f32_e64 s[10:11], |v5|, s8
	v_addc_co_u32_e32 v1, vcc, 0, v1, vcc
	v_cndmask_b32_e64 v14, v12, |v5|, s[10:11]
	v_lshlrev_b64 v[12:13], 2, v[0:1]
	v_bfi_b32 v5, s9, v14, v5
	v_cmp_le_i64_e32 vcc, s[0:1], v[12:13]
	global_store_dwordx4 v[6:7], v[2:5], off offset:-8
	s_or_b64 s[2:3], vcc, s[2:3]
	v_add_co_u32_e32 v6, vcc, s5, v6
	v_addc_co_u32_e32 v7, vcc, 0, v7, vcc
	s_andn2_b64 exec, exec, s[2:3]
	s_cbranch_execnz .LBB124_24
.LBB124_25:
	s_endpgm
	.section	.rodata,"a",@progbits
	.p2align	6, 0x0
	.amdhsa_kernel _ZN2at6native12_GLOBAL__N_125multi_tensor_apply_kernelINS1_18TensorListMetadataILi1EEENS1_14UnaryOpFunctorIfLi1ELi1ELi0EEEJNS0_4SinhIfEEEEEvT_T0_DpT1_
		.amdhsa_group_segment_fixed_size 0
		.amdhsa_private_segment_fixed_size 0
		.amdhsa_kernarg_size 3632
		.amdhsa_user_sgpr_count 6
		.amdhsa_user_sgpr_private_segment_buffer 1
		.amdhsa_user_sgpr_dispatch_ptr 0
		.amdhsa_user_sgpr_queue_ptr 0
		.amdhsa_user_sgpr_kernarg_segment_ptr 1
		.amdhsa_user_sgpr_dispatch_id 0
		.amdhsa_user_sgpr_flat_scratch_init 0
		.amdhsa_user_sgpr_private_segment_size 0
		.amdhsa_uses_dynamic_stack 0
		.amdhsa_system_sgpr_private_segment_wavefront_offset 0
		.amdhsa_system_sgpr_workgroup_id_x 1
		.amdhsa_system_sgpr_workgroup_id_y 0
		.amdhsa_system_sgpr_workgroup_id_z 0
		.amdhsa_system_sgpr_workgroup_info 0
		.amdhsa_system_vgpr_workitem_id 0
		.amdhsa_next_free_vgpr 30
		.amdhsa_next_free_sgpr 32
		.amdhsa_reserve_vcc 1
		.amdhsa_reserve_flat_scratch 0
		.amdhsa_float_round_mode_32 0
		.amdhsa_float_round_mode_16_64 0
		.amdhsa_float_denorm_mode_32 3
		.amdhsa_float_denorm_mode_16_64 3
		.amdhsa_dx10_clamp 1
		.amdhsa_ieee_mode 1
		.amdhsa_fp16_overflow 0
		.amdhsa_exception_fp_ieee_invalid_op 0
		.amdhsa_exception_fp_denorm_src 0
		.amdhsa_exception_fp_ieee_div_zero 0
		.amdhsa_exception_fp_ieee_overflow 0
		.amdhsa_exception_fp_ieee_underflow 0
		.amdhsa_exception_fp_ieee_inexact 0
		.amdhsa_exception_int_div_zero 0
	.end_amdhsa_kernel
	.section	.text._ZN2at6native12_GLOBAL__N_125multi_tensor_apply_kernelINS1_18TensorListMetadataILi1EEENS1_14UnaryOpFunctorIfLi1ELi1ELi0EEEJNS0_4SinhIfEEEEEvT_T0_DpT1_,"axG",@progbits,_ZN2at6native12_GLOBAL__N_125multi_tensor_apply_kernelINS1_18TensorListMetadataILi1EEENS1_14UnaryOpFunctorIfLi1ELi1ELi0EEEJNS0_4SinhIfEEEEEvT_T0_DpT1_,comdat
.Lfunc_end124:
	.size	_ZN2at6native12_GLOBAL__N_125multi_tensor_apply_kernelINS1_18TensorListMetadataILi1EEENS1_14UnaryOpFunctorIfLi1ELi1ELi0EEEJNS0_4SinhIfEEEEEvT_T0_DpT1_, .Lfunc_end124-_ZN2at6native12_GLOBAL__N_125multi_tensor_apply_kernelINS1_18TensorListMetadataILi1EEENS1_14UnaryOpFunctorIfLi1ELi1ELi0EEEJNS0_4SinhIfEEEEEvT_T0_DpT1_
                                        ; -- End function
	.set _ZN2at6native12_GLOBAL__N_125multi_tensor_apply_kernelINS1_18TensorListMetadataILi1EEENS1_14UnaryOpFunctorIfLi1ELi1ELi0EEEJNS0_4SinhIfEEEEEvT_T0_DpT1_.num_vgpr, 30
	.set _ZN2at6native12_GLOBAL__N_125multi_tensor_apply_kernelINS1_18TensorListMetadataILi1EEENS1_14UnaryOpFunctorIfLi1ELi1ELi0EEEJNS0_4SinhIfEEEEEvT_T0_DpT1_.num_agpr, 0
	.set _ZN2at6native12_GLOBAL__N_125multi_tensor_apply_kernelINS1_18TensorListMetadataILi1EEENS1_14UnaryOpFunctorIfLi1ELi1ELi0EEEJNS0_4SinhIfEEEEEvT_T0_DpT1_.numbered_sgpr, 32
	.set _ZN2at6native12_GLOBAL__N_125multi_tensor_apply_kernelINS1_18TensorListMetadataILi1EEENS1_14UnaryOpFunctorIfLi1ELi1ELi0EEEJNS0_4SinhIfEEEEEvT_T0_DpT1_.num_named_barrier, 0
	.set _ZN2at6native12_GLOBAL__N_125multi_tensor_apply_kernelINS1_18TensorListMetadataILi1EEENS1_14UnaryOpFunctorIfLi1ELi1ELi0EEEJNS0_4SinhIfEEEEEvT_T0_DpT1_.private_seg_size, 0
	.set _ZN2at6native12_GLOBAL__N_125multi_tensor_apply_kernelINS1_18TensorListMetadataILi1EEENS1_14UnaryOpFunctorIfLi1ELi1ELi0EEEJNS0_4SinhIfEEEEEvT_T0_DpT1_.uses_vcc, 1
	.set _ZN2at6native12_GLOBAL__N_125multi_tensor_apply_kernelINS1_18TensorListMetadataILi1EEENS1_14UnaryOpFunctorIfLi1ELi1ELi0EEEJNS0_4SinhIfEEEEEvT_T0_DpT1_.uses_flat_scratch, 0
	.set _ZN2at6native12_GLOBAL__N_125multi_tensor_apply_kernelINS1_18TensorListMetadataILi1EEENS1_14UnaryOpFunctorIfLi1ELi1ELi0EEEJNS0_4SinhIfEEEEEvT_T0_DpT1_.has_dyn_sized_stack, 0
	.set _ZN2at6native12_GLOBAL__N_125multi_tensor_apply_kernelINS1_18TensorListMetadataILi1EEENS1_14UnaryOpFunctorIfLi1ELi1ELi0EEEJNS0_4SinhIfEEEEEvT_T0_DpT1_.has_recursion, 0
	.set _ZN2at6native12_GLOBAL__N_125multi_tensor_apply_kernelINS1_18TensorListMetadataILi1EEENS1_14UnaryOpFunctorIfLi1ELi1ELi0EEEJNS0_4SinhIfEEEEEvT_T0_DpT1_.has_indirect_call, 0
	.section	.AMDGPU.csdata,"",@progbits
; Kernel info:
; codeLenInByte = 5608
; TotalNumSgprs: 36
; NumVgprs: 30
; ScratchSize: 0
; MemoryBound: 0
; FloatMode: 240
; IeeeMode: 1
; LDSByteSize: 0 bytes/workgroup (compile time only)
; SGPRBlocks: 4
; VGPRBlocks: 7
; NumSGPRsForWavesPerEU: 36
; NumVGPRsForWavesPerEU: 30
; Occupancy: 8
; WaveLimiterHint : 0
; COMPUTE_PGM_RSRC2:SCRATCH_EN: 0
; COMPUTE_PGM_RSRC2:USER_SGPR: 6
; COMPUTE_PGM_RSRC2:TRAP_HANDLER: 0
; COMPUTE_PGM_RSRC2:TGID_X_EN: 1
; COMPUTE_PGM_RSRC2:TGID_Y_EN: 0
; COMPUTE_PGM_RSRC2:TGID_Z_EN: 0
; COMPUTE_PGM_RSRC2:TIDIG_COMP_CNT: 0
	.section	.text._ZN2at6native12_GLOBAL__N_125multi_tensor_apply_kernelINS1_18TensorListMetadataILi1EEENS1_14UnaryOpFunctorIN3c107complexIdEELi1ELi1ELi0EEEJNS0_4SinhIS8_EEEEEvT_T0_DpT1_,"axG",@progbits,_ZN2at6native12_GLOBAL__N_125multi_tensor_apply_kernelINS1_18TensorListMetadataILi1EEENS1_14UnaryOpFunctorIN3c107complexIdEELi1ELi1ELi0EEEJNS0_4SinhIS8_EEEEEvT_T0_DpT1_,comdat
	.globl	_ZN2at6native12_GLOBAL__N_125multi_tensor_apply_kernelINS1_18TensorListMetadataILi1EEENS1_14UnaryOpFunctorIN3c107complexIdEELi1ELi1ELi0EEEJNS0_4SinhIS8_EEEEEvT_T0_DpT1_ ; -- Begin function _ZN2at6native12_GLOBAL__N_125multi_tensor_apply_kernelINS1_18TensorListMetadataILi1EEENS1_14UnaryOpFunctorIN3c107complexIdEELi1ELi1ELi0EEEJNS0_4SinhIS8_EEEEEvT_T0_DpT1_
	.p2align	8
	.type	_ZN2at6native12_GLOBAL__N_125multi_tensor_apply_kernelINS1_18TensorListMetadataILi1EEENS1_14UnaryOpFunctorIN3c107complexIdEELi1ELi1ELi0EEEJNS0_4SinhIS8_EEEEEvT_T0_DpT1_,@function
_ZN2at6native12_GLOBAL__N_125multi_tensor_apply_kernelINS1_18TensorListMetadataILi1EEENS1_14UnaryOpFunctorIN3c107complexIdEELi1ELi1ELi0EEEJNS0_4SinhIS8_EEEEEvT_T0_DpT1_: ; @_ZN2at6native12_GLOBAL__N_125multi_tensor_apply_kernelINS1_18TensorListMetadataILi1EEENS1_14UnaryOpFunctorIN3c107complexIdEELi1ELi1ELi0EEEJNS0_4SinhIS8_EEEEEvT_T0_DpT1_
; %bb.0:
	v_mov_b32_e32 v50, v0
	v_mov_b32_e32 v0, s6
	global_load_ubyte v0, v0, s[4:5] offset:1760
	s_add_u32 s0, s0, s7
	s_addc_u32 s1, s1, 0
	s_mov_b64 s[34:35], s[4:5]
	s_add_u32 s4, s34, s6
	s_mul_hi_u32 s5, s6, 3
	s_mul_i32 s6, s6, 3
	s_addc_u32 s7, s35, 0
	s_add_u32 s4, s4, s6
	s_addc_u32 s5, s7, s5
	s_load_dword s4, s[4:5], 0x820
	s_mov_b32 s9, 0
	s_mov_b32 s32, 0
	s_waitcnt vmcnt(0)
	v_readfirstlane_b32 s5, v0
	s_lshl_b32 s5, s5, 3
	s_load_dwordx2 s[46:47], s[34:35], s5 offset:0x0
	s_load_dwordx2 s[6:7], s[34:35], s5 offset:0x370
	s_waitcnt lgkmcnt(0)
	s_ashr_i32 s5, s4, 31
	s_lshl_b64 s[48:49], s[4:5], 20
	s_add_u32 s33, s46, s48
	s_addc_u32 s43, s47, s49
	s_lshl_b64 s[4:5], s[4:5], 16
	s_and_b32 s8, s33, 63
	s_sub_u32 s50, s6, s4
	s_subb_u32 s51, s7, s5
	s_and_b32 s4, s6, 3
	s_mov_b32 s5, s9
	s_or_b64 s[4:5], s[8:9], s[4:5]
	s_cmp_eq_u64 s[4:5], 0
	s_cbranch_scc1 .LBB125_21
; %bb.1:
	v_cmp_lt_i64_e64 s[4:5], s[50:51], 1
	s_and_b64 vcc, exec, s[4:5]
	s_cbranch_vccnz .LBB125_20
; %bb.2:
	v_mov_b32_e32 v0, 0x10000
	s_load_dword s6, s[34:35], 0xd3c
	v_mov_b32_e32 v1, 0
	v_cmp_lt_i64_e32 vcc, s[50:51], v[0:1]
	v_mov_b32_e32 v52, 0
	s_and_b64 s[4:5], vcc, exec
	v_cmp_lt_u64_e32 vcc, s[50:51], v[0:1]
	s_cselect_b32 s53, s51, 0
	s_cselect_b32 s52, s50, 0x10000
	s_waitcnt lgkmcnt(0)
	s_and_b32 s6, s6, 0xffff
	s_and_b64 s[4:5], vcc, exec
	s_mul_i32 s8, s6, 3
	v_add_co_u32_e32 v54, vcc, s6, v50
	v_lshlrev_b32_e32 v51, 4, v50
	v_addc_co_u32_e64 v55, s[4:5], 0, 0, vcc
	v_add_co_u32_e32 v56, vcc, s8, v50
	v_mad_u64_u32 v[52:53], s[4:5], s6, 48, v[51:52]
	v_addc_co_u32_e64 v57, s[4:5], 0, 0, vcc
	s_cselect_b32 s55, s51, 0
	s_cselect_b32 s54, s50, 0x10000
	s_lshl_b32 s4, s6, 5
	s_lshl_b32 s7, s6, 1
	v_add_co_u32_e32 v0, vcc, s4, v51
	v_addc_co_u32_e64 v59, s[4:5], 0, 0, vcc
	v_add_co_u32_e32 v61, vcc, s7, v50
	s_lshl_b32 s60, s6, 2
	s_lshl_b32 s61, s6, 6
	v_or_b32_e32 v52, 8, v52
	v_lshlrev_b32_e32 v58, 4, v54
	v_or_b32_e32 v60, 8, v0
	v_addc_co_u32_e64 v62, s[4:5], 0, 0, vcc
	s_mov_b64 s[56:57], 0
	s_branch .LBB125_4
.LBB125_3:                              ;   in Loop: Header=BB125_4 Depth=1
	s_or_b64 exec, exec, s[38:39]
	s_add_u32 s56, s56, s60
	s_waitcnt vmcnt(0)
	v_mov_b32_e32 v0, s52
	s_addc_u32 s57, s57, 0
	v_mov_b32_e32 v1, s53
	v_cmp_lt_i64_e32 vcc, s[56:57], v[0:1]
	s_add_u32 s33, s33, s61
	s_addc_u32 s43, s43, 0
	s_cbranch_vccz .LBB125_20
.LBB125_4:                              ; =>This Inner Loop Header: Depth=1
	v_mov_b32_e32 v1, s57
	v_add_co_u32_e32 v0, vcc, s56, v50
	v_addc_co_u32_e32 v1, vcc, 0, v1, vcc
	v_cmp_gt_u64_e32 vcc, s[54:55], v[0:1]
	v_mov_b32_e32 v44, 0
	v_mov_b32_e32 v2, 0
	;; [unrolled: 1-line block ×6, first 2 shown]
	s_and_saveexec_b64 s[6:7], vcc
	s_cbranch_execz .LBB125_6
; %bb.5:                                ;   in Loop: Header=BB125_4 Depth=1
	v_mov_b32_e32 v1, s43
	v_add_co_u32_e64 v0, s[4:5], s33, v51
	v_addc_co_u32_e64 v1, s[4:5], 0, v1, s[4:5]
	global_load_dwordx4 v[0:3], v[0:1], off
.LBB125_6:                              ;   in Loop: Header=BB125_4 Depth=1
	s_or_b64 exec, exec, s[6:7]
	v_mov_b32_e32 v5, s57
	v_add_co_u32_e64 v4, s[4:5], s56, v54
	v_addc_co_u32_e64 v5, s[4:5], v55, v5, s[4:5]
	v_cmp_gt_u64_e64 s[44:45], s[54:55], v[4:5]
	v_mov_b32_e32 v42, 0
	v_mov_b32_e32 v43, 0
	s_and_saveexec_b64 s[6:7], s[44:45]
	s_cbranch_execz .LBB125_8
; %bb.7:                                ;   in Loop: Header=BB125_4 Depth=1
	v_mov_b32_e32 v5, s43
	v_add_co_u32_e64 v4, s[4:5], s33, v58
	v_addc_co_u32_e64 v5, s[4:5], 0, v5, s[4:5]
	global_load_dwordx4 v[42:45], v[4:5], off
.LBB125_8:                              ;   in Loop: Header=BB125_4 Depth=1
	s_or_b64 exec, exec, s[6:7]
	v_mov_b32_e32 v5, s57
	v_add_co_u32_e64 v4, s[4:5], s56, v61
	v_addc_co_u32_e64 v5, s[4:5], v62, v5, s[4:5]
	v_cmp_gt_u64_e64 s[38:39], s[54:55], v[4:5]
	v_mov_b32_e32 v40, 0
	v_mov_b32_e32 v48, 0
	;; [unrolled: 1-line block ×6, first 2 shown]
	s_and_saveexec_b64 s[6:7], s[38:39]
	s_cbranch_execz .LBB125_10
; %bb.9:                                ;   in Loop: Header=BB125_4 Depth=1
	v_mov_b32_e32 v5, s43
	v_add_co_u32_e64 v4, s[4:5], s33, v60
	v_addc_co_u32_e64 v5, s[4:5], v5, v59, s[4:5]
	global_load_dwordx4 v[46:49], v[4:5], off offset:-8
.LBB125_10:                             ;   in Loop: Header=BB125_4 Depth=1
	s_or_b64 exec, exec, s[6:7]
	v_mov_b32_e32 v5, s57
	v_add_co_u32_e64 v4, s[4:5], s56, v56
	v_addc_co_u32_e64 v5, s[4:5], v57, v5, s[4:5]
	v_cmp_gt_u64_e64 s[36:37], s[54:55], v[4:5]
	v_mov_b32_e32 v38, 0
	v_mov_b32_e32 v39, 0
	s_and_saveexec_b64 s[6:7], s[36:37]
	s_cbranch_execnz .LBB125_15
; %bb.11:                               ;   in Loop: Header=BB125_4 Depth=1
	s_or_b64 exec, exec, s[6:7]
	s_and_saveexec_b64 s[58:59], vcc
	s_cbranch_execnz .LBB125_16
.LBB125_12:                             ;   in Loop: Header=BB125_4 Depth=1
	s_or_b64 exec, exec, s[58:59]
	s_and_saveexec_b64 s[58:59], s[44:45]
	s_cbranch_execnz .LBB125_17
.LBB125_13:                             ;   in Loop: Header=BB125_4 Depth=1
	s_or_b64 exec, exec, s[58:59]
	s_and_saveexec_b64 s[44:45], s[38:39]
	s_cbranch_execnz .LBB125_18
.LBB125_14:                             ;   in Loop: Header=BB125_4 Depth=1
	s_or_b64 exec, exec, s[44:45]
	s_and_saveexec_b64 s[38:39], s[36:37]
	s_cbranch_execz .LBB125_3
	s_branch .LBB125_19
.LBB125_15:                             ;   in Loop: Header=BB125_4 Depth=1
	v_mov_b32_e32 v5, s43
	v_add_co_u32_e64 v4, s[4:5], s33, v52
	v_addc_co_u32_e64 v5, s[4:5], v5, v53, s[4:5]
	global_load_dwordx4 v[38:41], v[4:5], off offset:-8
	s_or_b64 exec, exec, s[6:7]
	s_and_saveexec_b64 s[58:59], vcc
	s_cbranch_execz .LBB125_12
.LBB125_16:                             ;   in Loop: Header=BB125_4 Depth=1
	s_getpc_b64 s[4:5]
	s_add_u32 s4, s4, _ZN6thrust23THRUST_200600_302600_NS6detail7complex5csinhERKNS0_7complexIdEE@rel32@lo+4
	s_addc_u32 s5, s5, _ZN6thrust23THRUST_200600_302600_NS6detail7complex5csinhERKNS0_7complexIdEE@rel32@hi+12
	s_swappc_b64 s[30:31], s[4:5]
	v_mov_b32_e32 v5, s43
	v_add_co_u32_e32 v4, vcc, s33, v51
	v_addc_co_u32_e32 v5, vcc, 0, v5, vcc
	global_store_dwordx4 v[4:5], v[0:3], off
	s_or_b64 exec, exec, s[58:59]
	s_and_saveexec_b64 s[58:59], s[44:45]
	s_cbranch_execz .LBB125_13
.LBB125_17:                             ;   in Loop: Header=BB125_4 Depth=1
	s_getpc_b64 s[4:5]
	s_add_u32 s4, s4, _ZN6thrust23THRUST_200600_302600_NS6detail7complex5csinhERKNS0_7complexIdEE@rel32@lo+4
	s_addc_u32 s5, s5, _ZN6thrust23THRUST_200600_302600_NS6detail7complex5csinhERKNS0_7complexIdEE@rel32@hi+12
	s_waitcnt vmcnt(0)
	v_mov_b32_e32 v0, v42
	v_mov_b32_e32 v1, v43
	v_mov_b32_e32 v2, v44
	v_mov_b32_e32 v3, v45
	s_swappc_b64 s[30:31], s[4:5]
	v_mov_b32_e32 v5, s43
	v_add_co_u32_e32 v4, vcc, s33, v58
	v_addc_co_u32_e32 v5, vcc, 0, v5, vcc
	global_store_dwordx4 v[4:5], v[0:3], off
	s_or_b64 exec, exec, s[58:59]
	s_and_saveexec_b64 s[44:45], s[38:39]
	s_cbranch_execz .LBB125_14
.LBB125_18:                             ;   in Loop: Header=BB125_4 Depth=1
	s_getpc_b64 s[4:5]
	s_add_u32 s4, s4, _ZN6thrust23THRUST_200600_302600_NS6detail7complex5csinhERKNS0_7complexIdEE@rel32@lo+4
	s_addc_u32 s5, s5, _ZN6thrust23THRUST_200600_302600_NS6detail7complex5csinhERKNS0_7complexIdEE@rel32@hi+12
	s_waitcnt vmcnt(0)
	v_mov_b32_e32 v0, v46
	v_mov_b32_e32 v1, v47
	;; [unrolled: 1-line block ×4, first 2 shown]
	s_swappc_b64 s[30:31], s[4:5]
	v_mov_b32_e32 v5, s43
	v_add_co_u32_e32 v4, vcc, s33, v60
	v_addc_co_u32_e32 v5, vcc, v5, v59, vcc
	global_store_dwordx4 v[4:5], v[0:3], off offset:-8
	s_or_b64 exec, exec, s[44:45]
	s_and_saveexec_b64 s[38:39], s[36:37]
	s_cbranch_execz .LBB125_3
.LBB125_19:                             ;   in Loop: Header=BB125_4 Depth=1
	s_getpc_b64 s[4:5]
	s_add_u32 s4, s4, _ZN6thrust23THRUST_200600_302600_NS6detail7complex5csinhERKNS0_7complexIdEE@rel32@lo+4
	s_addc_u32 s5, s5, _ZN6thrust23THRUST_200600_302600_NS6detail7complex5csinhERKNS0_7complexIdEE@rel32@hi+12
	s_waitcnt vmcnt(0)
	v_mov_b32_e32 v0, v38
	v_mov_b32_e32 v1, v39
	;; [unrolled: 1-line block ×4, first 2 shown]
	s_swappc_b64 s[30:31], s[4:5]
	v_mov_b32_e32 v5, s43
	v_add_co_u32_e32 v4, vcc, s33, v52
	v_addc_co_u32_e32 v5, vcc, v5, v53, vcc
	global_store_dwordx4 v[4:5], v[0:3], off offset:-8
	s_branch .LBB125_3
.LBB125_20:
	s_cbranch_execz .LBB125_22
	s_branch .LBB125_25
.LBB125_21:
.LBB125_22:
	v_mov_b32_e32 v0, 0x10000
	v_mov_b32_e32 v1, 0
	v_cmp_lt_i64_e32 vcc, s[50:51], v[0:1]
	v_mov_b32_e32 v1, 0
	s_and_b64 s[4:5], vcc, exec
	s_cselect_b32 s37, s51, 0
	s_cselect_b32 s36, s50, 0x10000
	v_lshlrev_b32_e32 v0, 2, v50
	v_cmp_gt_i64_e32 vcc, s[36:37], v[0:1]
	s_and_saveexec_b64 s[4:5], vcc
	s_cbranch_execz .LBB125_25
; %bb.23:
	s_load_dword s4, s[34:35], 0xd3c
	v_lshlrev_b32_e32 v0, 6, v50
	v_mov_b32_e32 v51, v1
	s_mov_b64 s[34:35], 0
	s_waitcnt lgkmcnt(0)
	s_and_b32 s33, s4, 0xffff
	s_add_u32 s4, s46, s48
	s_addc_u32 s5, s47, s49
	v_mov_b32_e32 v1, s5
	v_add_co_u32_e32 v56, vcc, s4, v0
	v_addc_co_u32_e32 v57, vcc, 0, v1, vcc
	s_lshl_b32 s38, s33, 6
.LBB125_24:                             ; =>This Inner Loop Header: Depth=1
	global_load_dwordx4 v[0:3], v[56:57], off
	global_load_dwordx4 v[38:41], v[56:57], off offset:16
	global_load_dwordx4 v[42:45], v[56:57], off offset:48
	;; [unrolled: 1-line block ×3, first 2 shown]
	s_getpc_b64 s[44:45]
	s_add_u32 s44, s44, _ZN6thrust23THRUST_200600_302600_NS6detail7complex5csinhERKNS0_7complexIdEE@rel32@lo+4
	s_addc_u32 s45, s45, _ZN6thrust23THRUST_200600_302600_NS6detail7complex5csinhERKNS0_7complexIdEE@rel32@hi+12
	s_swappc_b64 s[30:31], s[44:45]
	v_mov_b32_e32 v52, v0
	v_mov_b32_e32 v53, v1
	v_mov_b32_e32 v54, v2
	v_mov_b32_e32 v55, v3
	v_mov_b32_e32 v0, v38
	v_mov_b32_e32 v1, v39
	v_mov_b32_e32 v2, v40
	v_mov_b32_e32 v3, v41
	s_swappc_b64 s[30:31], s[44:45]
	v_mov_b32_e32 v38, v0
	v_mov_b32_e32 v39, v1
	v_mov_b32_e32 v40, v2
	v_mov_b32_e32 v41, v3
	v_mov_b32_e32 v0, v46
	v_mov_b32_e32 v1, v47
	v_mov_b32_e32 v2, v48
	v_mov_b32_e32 v3, v49
	;; [unrolled: 9-line block ×3, first 2 shown]
	s_swappc_b64 s[30:31], s[44:45]
	v_add_co_u32_e32 v50, vcc, s33, v50
	v_addc_co_u32_e32 v51, vcc, 0, v51, vcc
	global_store_dwordx4 v[56:57], v[52:55], off
	global_store_dwordx4 v[56:57], v[38:41], off offset:16
	global_store_dwordx4 v[56:57], v[46:49], off offset:32
	;; [unrolled: 1-line block ×3, first 2 shown]
	v_add_co_u32_e32 v56, vcc, s38, v56
	v_lshlrev_b64 v[0:1], 2, v[50:51]
	v_addc_co_u32_e32 v57, vcc, 0, v57, vcc
	v_cmp_le_i64_e64 s[4:5], s[36:37], v[0:1]
	s_or_b64 s[34:35], s[4:5], s[34:35]
	s_andn2_b64 exec, exec, s[34:35]
	s_cbranch_execnz .LBB125_24
.LBB125_25:
	s_endpgm
	.section	.rodata,"a",@progbits
	.p2align	6, 0x0
	.amdhsa_kernel _ZN2at6native12_GLOBAL__N_125multi_tensor_apply_kernelINS1_18TensorListMetadataILi1EEENS1_14UnaryOpFunctorIN3c107complexIdEELi1ELi1ELi0EEEJNS0_4SinhIS8_EEEEEvT_T0_DpT1_
		.amdhsa_group_segment_fixed_size 0
		.amdhsa_private_segment_fixed_size 0
		.amdhsa_kernarg_size 3632
		.amdhsa_user_sgpr_count 6
		.amdhsa_user_sgpr_private_segment_buffer 1
		.amdhsa_user_sgpr_dispatch_ptr 0
		.amdhsa_user_sgpr_queue_ptr 0
		.amdhsa_user_sgpr_kernarg_segment_ptr 1
		.amdhsa_user_sgpr_dispatch_id 0
		.amdhsa_user_sgpr_flat_scratch_init 0
		.amdhsa_user_sgpr_private_segment_size 0
		.amdhsa_uses_dynamic_stack 0
		.amdhsa_system_sgpr_private_segment_wavefront_offset 0
		.amdhsa_system_sgpr_workgroup_id_x 1
		.amdhsa_system_sgpr_workgroup_id_y 0
		.amdhsa_system_sgpr_workgroup_id_z 0
		.amdhsa_system_sgpr_workgroup_info 0
		.amdhsa_system_vgpr_workitem_id 0
		.amdhsa_next_free_vgpr 63
		.amdhsa_next_free_sgpr 62
		.amdhsa_reserve_vcc 1
		.amdhsa_reserve_flat_scratch 0
		.amdhsa_float_round_mode_32 0
		.amdhsa_float_round_mode_16_64 0
		.amdhsa_float_denorm_mode_32 3
		.amdhsa_float_denorm_mode_16_64 3
		.amdhsa_dx10_clamp 1
		.amdhsa_ieee_mode 1
		.amdhsa_fp16_overflow 0
		.amdhsa_exception_fp_ieee_invalid_op 0
		.amdhsa_exception_fp_denorm_src 0
		.amdhsa_exception_fp_ieee_div_zero 0
		.amdhsa_exception_fp_ieee_overflow 0
		.amdhsa_exception_fp_ieee_underflow 0
		.amdhsa_exception_fp_ieee_inexact 0
		.amdhsa_exception_int_div_zero 0
	.end_amdhsa_kernel
	.section	.text._ZN2at6native12_GLOBAL__N_125multi_tensor_apply_kernelINS1_18TensorListMetadataILi1EEENS1_14UnaryOpFunctorIN3c107complexIdEELi1ELi1ELi0EEEJNS0_4SinhIS8_EEEEEvT_T0_DpT1_,"axG",@progbits,_ZN2at6native12_GLOBAL__N_125multi_tensor_apply_kernelINS1_18TensorListMetadataILi1EEENS1_14UnaryOpFunctorIN3c107complexIdEELi1ELi1ELi0EEEJNS0_4SinhIS8_EEEEEvT_T0_DpT1_,comdat
.Lfunc_end125:
	.size	_ZN2at6native12_GLOBAL__N_125multi_tensor_apply_kernelINS1_18TensorListMetadataILi1EEENS1_14UnaryOpFunctorIN3c107complexIdEELi1ELi1ELi0EEEJNS0_4SinhIS8_EEEEEvT_T0_DpT1_, .Lfunc_end125-_ZN2at6native12_GLOBAL__N_125multi_tensor_apply_kernelINS1_18TensorListMetadataILi1EEENS1_14UnaryOpFunctorIN3c107complexIdEELi1ELi1ELi0EEEJNS0_4SinhIS8_EEEEEvT_T0_DpT1_
                                        ; -- End function
	.set _ZN2at6native12_GLOBAL__N_125multi_tensor_apply_kernelINS1_18TensorListMetadataILi1EEENS1_14UnaryOpFunctorIN3c107complexIdEELi1ELi1ELi0EEEJNS0_4SinhIS8_EEEEEvT_T0_DpT1_.num_vgpr, max(63, .L_ZN6thrust23THRUST_200600_302600_NS6detail7complex5csinhERKNS0_7complexIdEE.num_vgpr)
	.set _ZN2at6native12_GLOBAL__N_125multi_tensor_apply_kernelINS1_18TensorListMetadataILi1EEENS1_14UnaryOpFunctorIN3c107complexIdEELi1ELi1ELi0EEEJNS0_4SinhIS8_EEEEEvT_T0_DpT1_.num_agpr, max(0, .L_ZN6thrust23THRUST_200600_302600_NS6detail7complex5csinhERKNS0_7complexIdEE.num_agpr)
	.set _ZN2at6native12_GLOBAL__N_125multi_tensor_apply_kernelINS1_18TensorListMetadataILi1EEENS1_14UnaryOpFunctorIN3c107complexIdEELi1ELi1ELi0EEEJNS0_4SinhIS8_EEEEEvT_T0_DpT1_.numbered_sgpr, max(62, .L_ZN6thrust23THRUST_200600_302600_NS6detail7complex5csinhERKNS0_7complexIdEE.numbered_sgpr)
	.set _ZN2at6native12_GLOBAL__N_125multi_tensor_apply_kernelINS1_18TensorListMetadataILi1EEENS1_14UnaryOpFunctorIN3c107complexIdEELi1ELi1ELi0EEEJNS0_4SinhIS8_EEEEEvT_T0_DpT1_.num_named_barrier, max(0, .L_ZN6thrust23THRUST_200600_302600_NS6detail7complex5csinhERKNS0_7complexIdEE.num_named_barrier)
	.set _ZN2at6native12_GLOBAL__N_125multi_tensor_apply_kernelINS1_18TensorListMetadataILi1EEENS1_14UnaryOpFunctorIN3c107complexIdEELi1ELi1ELi0EEEJNS0_4SinhIS8_EEEEEvT_T0_DpT1_.private_seg_size, 0+max(.L_ZN6thrust23THRUST_200600_302600_NS6detail7complex5csinhERKNS0_7complexIdEE.private_seg_size)
	.set _ZN2at6native12_GLOBAL__N_125multi_tensor_apply_kernelINS1_18TensorListMetadataILi1EEENS1_14UnaryOpFunctorIN3c107complexIdEELi1ELi1ELi0EEEJNS0_4SinhIS8_EEEEEvT_T0_DpT1_.uses_vcc, or(1, .L_ZN6thrust23THRUST_200600_302600_NS6detail7complex5csinhERKNS0_7complexIdEE.uses_vcc)
	.set _ZN2at6native12_GLOBAL__N_125multi_tensor_apply_kernelINS1_18TensorListMetadataILi1EEENS1_14UnaryOpFunctorIN3c107complexIdEELi1ELi1ELi0EEEJNS0_4SinhIS8_EEEEEvT_T0_DpT1_.uses_flat_scratch, or(0, .L_ZN6thrust23THRUST_200600_302600_NS6detail7complex5csinhERKNS0_7complexIdEE.uses_flat_scratch)
	.set _ZN2at6native12_GLOBAL__N_125multi_tensor_apply_kernelINS1_18TensorListMetadataILi1EEENS1_14UnaryOpFunctorIN3c107complexIdEELi1ELi1ELi0EEEJNS0_4SinhIS8_EEEEEvT_T0_DpT1_.has_dyn_sized_stack, or(0, .L_ZN6thrust23THRUST_200600_302600_NS6detail7complex5csinhERKNS0_7complexIdEE.has_dyn_sized_stack)
	.set _ZN2at6native12_GLOBAL__N_125multi_tensor_apply_kernelINS1_18TensorListMetadataILi1EEENS1_14UnaryOpFunctorIN3c107complexIdEELi1ELi1ELi0EEEJNS0_4SinhIS8_EEEEEvT_T0_DpT1_.has_recursion, or(0, .L_ZN6thrust23THRUST_200600_302600_NS6detail7complex5csinhERKNS0_7complexIdEE.has_recursion)
	.set _ZN2at6native12_GLOBAL__N_125multi_tensor_apply_kernelINS1_18TensorListMetadataILi1EEENS1_14UnaryOpFunctorIN3c107complexIdEELi1ELi1ELi0EEEJNS0_4SinhIS8_EEEEEvT_T0_DpT1_.has_indirect_call, or(0, .L_ZN6thrust23THRUST_200600_302600_NS6detail7complex5csinhERKNS0_7complexIdEE.has_indirect_call)
	.section	.AMDGPU.csdata,"",@progbits
; Kernel info:
; codeLenInByte = 1404
; TotalNumSgprs: 66
; NumVgprs: 63
; ScratchSize: 0
; MemoryBound: 1
; FloatMode: 240
; IeeeMode: 1
; LDSByteSize: 0 bytes/workgroup (compile time only)
; SGPRBlocks: 8
; VGPRBlocks: 15
; NumSGPRsForWavesPerEU: 66
; NumVGPRsForWavesPerEU: 63
; Occupancy: 4
; WaveLimiterHint : 0
; COMPUTE_PGM_RSRC2:SCRATCH_EN: 0
; COMPUTE_PGM_RSRC2:USER_SGPR: 6
; COMPUTE_PGM_RSRC2:TRAP_HANDLER: 0
; COMPUTE_PGM_RSRC2:TGID_X_EN: 1
; COMPUTE_PGM_RSRC2:TGID_Y_EN: 0
; COMPUTE_PGM_RSRC2:TGID_Z_EN: 0
; COMPUTE_PGM_RSRC2:TIDIG_COMP_CNT: 0
	.section	.text._ZN2at6native12_GLOBAL__N_125multi_tensor_apply_kernelINS1_18TensorListMetadataILi1EEENS1_14UnaryOpFunctorIN3c107complexIfEELi1ELi1ELi0EEEJNS0_4SinhIS8_EEEEEvT_T0_DpT1_,"axG",@progbits,_ZN2at6native12_GLOBAL__N_125multi_tensor_apply_kernelINS1_18TensorListMetadataILi1EEENS1_14UnaryOpFunctorIN3c107complexIfEELi1ELi1ELi0EEEJNS0_4SinhIS8_EEEEEvT_T0_DpT1_,comdat
	.globl	_ZN2at6native12_GLOBAL__N_125multi_tensor_apply_kernelINS1_18TensorListMetadataILi1EEENS1_14UnaryOpFunctorIN3c107complexIfEELi1ELi1ELi0EEEJNS0_4SinhIS8_EEEEEvT_T0_DpT1_ ; -- Begin function _ZN2at6native12_GLOBAL__N_125multi_tensor_apply_kernelINS1_18TensorListMetadataILi1EEENS1_14UnaryOpFunctorIN3c107complexIfEELi1ELi1ELi0EEEJNS0_4SinhIS8_EEEEEvT_T0_DpT1_
	.p2align	8
	.type	_ZN2at6native12_GLOBAL__N_125multi_tensor_apply_kernelINS1_18TensorListMetadataILi1EEENS1_14UnaryOpFunctorIN3c107complexIfEELi1ELi1ELi0EEEJNS0_4SinhIS8_EEEEEvT_T0_DpT1_,@function
_ZN2at6native12_GLOBAL__N_125multi_tensor_apply_kernelINS1_18TensorListMetadataILi1EEENS1_14UnaryOpFunctorIN3c107complexIfEELi1ELi1ELi0EEEJNS0_4SinhIS8_EEEEEvT_T0_DpT1_: ; @_ZN2at6native12_GLOBAL__N_125multi_tensor_apply_kernelINS1_18TensorListMetadataILi1EEENS1_14UnaryOpFunctorIN3c107complexIfEELi1ELi1ELi0EEEJNS0_4SinhIS8_EEEEEvT_T0_DpT1_
; %bb.0:
	v_mov_b32_e32 v19, v0
	v_mov_b32_e32 v0, s6
	global_load_ubyte v0, v0, s[4:5] offset:1760
	s_add_u32 s0, s0, s7
	s_addc_u32 s1, s1, 0
	s_mov_b64 s[26:27], s[4:5]
	s_add_u32 s4, s26, s6
	s_mul_hi_u32 s5, s6, 3
	s_mul_i32 s6, s6, 3
	s_addc_u32 s7, s27, 0
	s_add_u32 s4, s4, s6
	s_addc_u32 s5, s7, s5
	s_load_dword s4, s[4:5], 0x820
	s_mov_b32 s9, 0
	s_mov_b32 s32, 0
	s_waitcnt vmcnt(0)
	v_readfirstlane_b32 s5, v0
	s_lshl_b32 s5, s5, 3
	s_load_dwordx2 s[38:39], s[26:27], s5 offset:0x0
	s_load_dwordx2 s[6:7], s[26:27], s5 offset:0x370
	s_waitcnt lgkmcnt(0)
	s_ashr_i32 s5, s4, 31
	s_lshl_b64 s[40:41], s[4:5], 19
	s_add_u32 s33, s38, s40
	s_addc_u32 s52, s39, s41
	s_lshl_b64 s[4:5], s[4:5], 16
	s_and_b32 s8, s33, 31
	s_sub_u32 s42, s6, s4
	s_subb_u32 s43, s7, s5
	s_and_b32 s4, s6, 3
	s_mov_b32 s5, s9
	s_or_b64 s[4:5], s[8:9], s[4:5]
	s_cmp_eq_u64 s[4:5], 0
	s_cbranch_scc1 .LBB126_21
; %bb.1:
	v_cmp_lt_i64_e64 s[4:5], s[42:43], 1
	s_and_b64 vcc, exec, s[4:5]
	s_cbranch_vccnz .LBB126_20
; %bb.2:
	v_mov_b32_e32 v0, 0x10000
	s_load_dword s6, s[26:27], 0xd3c
	v_mov_b32_e32 v1, 0
	v_cmp_lt_i64_e32 vcc, s[42:43], v[0:1]
	v_mov_b32_e32 v27, 0
	s_and_b64 s[4:5], vcc, exec
	v_cmp_lt_u64_e32 vcc, s[42:43], v[0:1]
	s_cselect_b32 s45, s43, 0
	s_cselect_b32 s44, s42, 0x10000
	s_waitcnt lgkmcnt(0)
	s_and_b32 s6, s6, 0xffff
	s_and_b64 s[4:5], vcc, exec
	s_mul_i32 s8, s6, 3
	v_add_co_u32_e32 v29, vcc, s6, v19
	v_lshlrev_b32_e32 v26, 3, v19
	v_addc_co_u32_e64 v30, s[4:5], 0, 0, vcc
	v_add_co_u32_e32 v31, vcc, s8, v19
	v_mad_u64_u32 v[27:28], s[4:5], s6, 24, v[26:27]
	v_addc_co_u32_e64 v32, s[4:5], 0, 0, vcc
	s_cselect_b32 s47, s43, 0
	s_cselect_b32 s46, s42, 0x10000
	s_lshl_b32 s4, s6, 4
	s_lshl_b32 s7, s6, 1
	v_add_co_u32_e32 v0, vcc, s4, v26
	v_addc_co_u32_e64 v34, s[4:5], 0, 0, vcc
	v_add_co_u32_e32 v36, vcc, s7, v19
	s_lshl_b32 s53, s6, 2
	s_lshl_b32 s54, s6, 5
	v_or_b32_e32 v27, 4, v27
	v_lshlrev_b32_e32 v33, 3, v29
	v_or_b32_e32 v35, 4, v0
	v_addc_co_u32_e64 v37, s[4:5], 0, 0, vcc
	s_mov_b64 s[48:49], 0
	s_branch .LBB126_4
.LBB126_3:                              ;   in Loop: Header=BB126_4 Depth=1
	s_or_b64 exec, exec, s[28:29]
	s_add_u32 s48, s48, s53
	s_waitcnt vmcnt(0)
	v_mov_b32_e32 v0, s44
	s_addc_u32 s49, s49, 0
	v_mov_b32_e32 v1, s45
	v_cmp_lt_i64_e32 vcc, s[48:49], v[0:1]
	s_add_u32 s33, s33, s54
	s_addc_u32 s52, s52, 0
	s_cbranch_vccz .LBB126_20
.LBB126_4:                              ; =>This Inner Loop Header: Depth=1
	v_mov_b32_e32 v1, s49
	v_add_co_u32_e32 v0, vcc, s48, v19
	v_addc_co_u32_e32 v1, vcc, 0, v1, vcc
	v_cmp_gt_u64_e32 vcc, s[46:47], v[0:1]
	v_mov_b32_e32 v1, 0
	v_mov_b32_e32 v0, 0
	s_and_saveexec_b64 s[6:7], vcc
	s_cbranch_execz .LBB126_6
; %bb.5:                                ;   in Loop: Header=BB126_4 Depth=1
	v_mov_b32_e32 v1, s52
	v_add_co_u32_e64 v0, s[4:5], s33, v26
	v_addc_co_u32_e64 v1, s[4:5], 0, v1, s[4:5]
	global_load_dwordx2 v[0:1], v[0:1], off
.LBB126_6:                              ;   in Loop: Header=BB126_4 Depth=1
	s_or_b64 exec, exec, s[6:7]
	v_mov_b32_e32 v3, s49
	v_add_co_u32_e64 v2, s[4:5], s48, v29
	v_addc_co_u32_e64 v3, s[4:5], v30, v3, s[4:5]
	v_cmp_gt_u64_e64 s[28:29], s[46:47], v[2:3]
	v_mov_b32_e32 v21, 0
	v_mov_b32_e32 v23, 0
	;; [unrolled: 1-line block ×3, first 2 shown]
	s_and_saveexec_b64 s[6:7], s[28:29]
	s_cbranch_execz .LBB126_8
; %bb.7:                                ;   in Loop: Header=BB126_4 Depth=1
	v_mov_b32_e32 v3, s52
	v_add_co_u32_e64 v2, s[4:5], s33, v33
	v_addc_co_u32_e64 v3, s[4:5], 0, v3, s[4:5]
	global_load_dwordx2 v[22:23], v[2:3], off
.LBB126_8:                              ;   in Loop: Header=BB126_4 Depth=1
	s_or_b64 exec, exec, s[6:7]
	v_mov_b32_e32 v3, s49
	v_add_co_u32_e64 v2, s[4:5], s48, v36
	v_addc_co_u32_e64 v3, s[4:5], v37, v3, s[4:5]
	v_cmp_gt_u64_e64 s[34:35], s[46:47], v[2:3]
	v_mov_b32_e32 v20, 0
	s_and_saveexec_b64 s[6:7], s[34:35]
	s_cbranch_execz .LBB126_10
; %bb.9:                                ;   in Loop: Header=BB126_4 Depth=1
	v_mov_b32_e32 v3, s52
	v_add_co_u32_e64 v2, s[4:5], s33, v35
	v_addc_co_u32_e64 v3, s[4:5], v3, v34, s[4:5]
	global_load_dwordx2 v[20:21], v[2:3], off offset:-4
.LBB126_10:                             ;   in Loop: Header=BB126_4 Depth=1
	s_or_b64 exec, exec, s[6:7]
	v_mov_b32_e32 v3, s49
	v_add_co_u32_e64 v2, s[4:5], s48, v31
	v_addc_co_u32_e64 v3, s[4:5], v32, v3, s[4:5]
	v_cmp_gt_u64_e64 s[36:37], s[46:47], v[2:3]
	v_mov_b32_e32 v25, 0
	v_mov_b32_e32 v24, 0
	s_and_saveexec_b64 s[6:7], s[36:37]
	s_cbranch_execnz .LBB126_15
; %bb.11:                               ;   in Loop: Header=BB126_4 Depth=1
	s_or_b64 exec, exec, s[6:7]
	s_and_saveexec_b64 s[50:51], vcc
	s_cbranch_execnz .LBB126_16
.LBB126_12:                             ;   in Loop: Header=BB126_4 Depth=1
	s_or_b64 exec, exec, s[50:51]
	s_and_saveexec_b64 s[50:51], s[28:29]
	s_cbranch_execnz .LBB126_17
.LBB126_13:                             ;   in Loop: Header=BB126_4 Depth=1
	s_or_b64 exec, exec, s[50:51]
	s_and_saveexec_b64 s[28:29], s[34:35]
	s_cbranch_execnz .LBB126_18
.LBB126_14:                             ;   in Loop: Header=BB126_4 Depth=1
	s_or_b64 exec, exec, s[28:29]
	s_and_saveexec_b64 s[28:29], s[36:37]
	s_cbranch_execz .LBB126_3
	s_branch .LBB126_19
.LBB126_15:                             ;   in Loop: Header=BB126_4 Depth=1
	v_mov_b32_e32 v3, s52
	v_add_co_u32_e64 v2, s[4:5], s33, v27
	v_addc_co_u32_e64 v3, s[4:5], v3, v28, s[4:5]
	global_load_dwordx2 v[24:25], v[2:3], off offset:-4
	s_or_b64 exec, exec, s[6:7]
	s_and_saveexec_b64 s[50:51], vcc
	s_cbranch_execz .LBB126_12
.LBB126_16:                             ;   in Loop: Header=BB126_4 Depth=1
	s_getpc_b64 s[4:5]
	s_add_u32 s4, s4, _ZN6thrust23THRUST_200600_302600_NS6detail7complex6csinhfERKNS0_7complexIfEE@rel32@lo+4
	s_addc_u32 s5, s5, _ZN6thrust23THRUST_200600_302600_NS6detail7complex6csinhfERKNS0_7complexIfEE@rel32@hi+12
	s_swappc_b64 s[30:31], s[4:5]
	v_mov_b32_e32 v3, s52
	v_add_co_u32_e32 v2, vcc, s33, v26
	v_addc_co_u32_e32 v3, vcc, 0, v3, vcc
	global_store_dwordx2 v[2:3], v[0:1], off
	s_or_b64 exec, exec, s[50:51]
	s_and_saveexec_b64 s[50:51], s[28:29]
	s_cbranch_execz .LBB126_13
.LBB126_17:                             ;   in Loop: Header=BB126_4 Depth=1
	s_getpc_b64 s[4:5]
	s_add_u32 s4, s4, _ZN6thrust23THRUST_200600_302600_NS6detail7complex6csinhfERKNS0_7complexIfEE@rel32@lo+4
	s_addc_u32 s5, s5, _ZN6thrust23THRUST_200600_302600_NS6detail7complex6csinhfERKNS0_7complexIfEE@rel32@hi+12
	s_waitcnt vmcnt(0)
	v_mov_b32_e32 v0, v22
	v_mov_b32_e32 v1, v23
	s_swappc_b64 s[30:31], s[4:5]
	v_mov_b32_e32 v3, s52
	v_add_co_u32_e32 v2, vcc, s33, v33
	v_addc_co_u32_e32 v3, vcc, 0, v3, vcc
	global_store_dwordx2 v[2:3], v[0:1], off
	s_or_b64 exec, exec, s[50:51]
	s_and_saveexec_b64 s[28:29], s[34:35]
	s_cbranch_execz .LBB126_14
.LBB126_18:                             ;   in Loop: Header=BB126_4 Depth=1
	s_getpc_b64 s[4:5]
	s_add_u32 s4, s4, _ZN6thrust23THRUST_200600_302600_NS6detail7complex6csinhfERKNS0_7complexIfEE@rel32@lo+4
	s_addc_u32 s5, s5, _ZN6thrust23THRUST_200600_302600_NS6detail7complex6csinhfERKNS0_7complexIfEE@rel32@hi+12
	s_waitcnt vmcnt(0)
	v_mov_b32_e32 v0, v20
	v_mov_b32_e32 v1, v21
	s_swappc_b64 s[30:31], s[4:5]
	v_mov_b32_e32 v3, s52
	v_add_co_u32_e32 v2, vcc, s33, v35
	v_addc_co_u32_e32 v3, vcc, v3, v34, vcc
	global_store_dwordx2 v[2:3], v[0:1], off offset:-4
	s_or_b64 exec, exec, s[28:29]
	s_and_saveexec_b64 s[28:29], s[36:37]
	s_cbranch_execz .LBB126_3
.LBB126_19:                             ;   in Loop: Header=BB126_4 Depth=1
	s_getpc_b64 s[4:5]
	s_add_u32 s4, s4, _ZN6thrust23THRUST_200600_302600_NS6detail7complex6csinhfERKNS0_7complexIfEE@rel32@lo+4
	s_addc_u32 s5, s5, _ZN6thrust23THRUST_200600_302600_NS6detail7complex6csinhfERKNS0_7complexIfEE@rel32@hi+12
	s_waitcnt vmcnt(0)
	v_mov_b32_e32 v0, v24
	v_mov_b32_e32 v1, v25
	s_swappc_b64 s[30:31], s[4:5]
	v_mov_b32_e32 v3, s52
	v_add_co_u32_e32 v2, vcc, s33, v27
	v_addc_co_u32_e32 v3, vcc, v3, v28, vcc
	global_store_dwordx2 v[2:3], v[0:1], off offset:-4
	s_branch .LBB126_3
.LBB126_20:
	s_cbranch_execz .LBB126_22
	s_branch .LBB126_25
.LBB126_21:
.LBB126_22:
	v_mov_b32_e32 v0, 0x10000
	v_mov_b32_e32 v1, 0
	v_cmp_lt_i64_e32 vcc, s[42:43], v[0:1]
	v_mov_b32_e32 v1, 0
	s_and_b64 s[4:5], vcc, exec
	s_cselect_b32 s29, s43, 0
	s_cselect_b32 s28, s42, 0x10000
	v_lshlrev_b32_e32 v0, 2, v19
	v_cmp_gt_i64_e32 vcc, s[28:29], v[0:1]
	s_and_saveexec_b64 s[4:5], vcc
	s_cbranch_execz .LBB126_25
; %bb.23:
	s_load_dword s4, s[26:27], 0xd3c
	v_lshlrev_b32_e32 v0, 5, v19
	v_mov_b32_e32 v20, v1
	s_mov_b64 s[26:27], 0
	s_waitcnt lgkmcnt(0)
	s_and_b32 s33, s4, 0xffff
	s_add_u32 s4, s38, s40
	s_addc_u32 s5, s39, s41
	v_mov_b32_e32 v1, s5
	v_add_co_u32_e32 v29, vcc, s4, v0
	v_addc_co_u32_e32 v30, vcc, 0, v1, vcc
	s_lshl_b32 s34, s33, 5
.LBB126_24:                             ; =>This Inner Loop Header: Depth=1
	global_load_dwordx4 v[21:24], v[29:30], off
	global_load_dwordx4 v[25:28], v[29:30], off offset:16
	s_getpc_b64 s[36:37]
	s_add_u32 s36, s36, _ZN6thrust23THRUST_200600_302600_NS6detail7complex6csinhfERKNS0_7complexIfEE@rel32@lo+4
	s_addc_u32 s37, s37, _ZN6thrust23THRUST_200600_302600_NS6detail7complex6csinhfERKNS0_7complexIfEE@rel32@hi+12
	s_waitcnt vmcnt(1)
	v_mov_b32_e32 v0, v21
	v_mov_b32_e32 v1, v22
	s_swappc_b64 s[30:31], s[36:37]
	v_mov_b32_e32 v21, v0
	v_mov_b32_e32 v22, v1
	v_mov_b32_e32 v0, v23
	v_mov_b32_e32 v1, v24
	s_swappc_b64 s[30:31], s[36:37]
	v_mov_b32_e32 v23, v0
	v_mov_b32_e32 v24, v1
	;; [unrolled: 5-line block ×3, first 2 shown]
	v_mov_b32_e32 v0, v27
	v_mov_b32_e32 v1, v28
	s_swappc_b64 s[30:31], s[36:37]
	v_add_co_u32_e32 v19, vcc, s33, v19
	v_addc_co_u32_e32 v20, vcc, 0, v20, vcc
	v_mov_b32_e32 v27, v0
	v_mov_b32_e32 v28, v1
	v_lshlrev_b64 v[0:1], 2, v[19:20]
	global_store_dwordx4 v[29:30], v[21:24], off
	v_cmp_le_i64_e64 s[4:5], s[28:29], v[0:1]
	global_store_dwordx4 v[29:30], v[25:28], off offset:16
	v_add_co_u32_e32 v29, vcc, s34, v29
	s_or_b64 s[26:27], s[4:5], s[26:27]
	v_addc_co_u32_e32 v30, vcc, 0, v30, vcc
	s_andn2_b64 exec, exec, s[26:27]
	s_cbranch_execnz .LBB126_24
.LBB126_25:
	s_endpgm
	.section	.rodata,"a",@progbits
	.p2align	6, 0x0
	.amdhsa_kernel _ZN2at6native12_GLOBAL__N_125multi_tensor_apply_kernelINS1_18TensorListMetadataILi1EEENS1_14UnaryOpFunctorIN3c107complexIfEELi1ELi1ELi0EEEJNS0_4SinhIS8_EEEEEvT_T0_DpT1_
		.amdhsa_group_segment_fixed_size 0
		.amdhsa_private_segment_fixed_size 0
		.amdhsa_kernarg_size 3632
		.amdhsa_user_sgpr_count 6
		.amdhsa_user_sgpr_private_segment_buffer 1
		.amdhsa_user_sgpr_dispatch_ptr 0
		.amdhsa_user_sgpr_queue_ptr 0
		.amdhsa_user_sgpr_kernarg_segment_ptr 1
		.amdhsa_user_sgpr_dispatch_id 0
		.amdhsa_user_sgpr_flat_scratch_init 0
		.amdhsa_user_sgpr_private_segment_size 0
		.amdhsa_uses_dynamic_stack 0
		.amdhsa_system_sgpr_private_segment_wavefront_offset 0
		.amdhsa_system_sgpr_workgroup_id_x 1
		.amdhsa_system_sgpr_workgroup_id_y 0
		.amdhsa_system_sgpr_workgroup_id_z 0
		.amdhsa_system_sgpr_workgroup_info 0
		.amdhsa_system_vgpr_workitem_id 0
		.amdhsa_next_free_vgpr 38
		.amdhsa_next_free_sgpr 55
		.amdhsa_reserve_vcc 1
		.amdhsa_reserve_flat_scratch 0
		.amdhsa_float_round_mode_32 0
		.amdhsa_float_round_mode_16_64 0
		.amdhsa_float_denorm_mode_32 3
		.amdhsa_float_denorm_mode_16_64 3
		.amdhsa_dx10_clamp 1
		.amdhsa_ieee_mode 1
		.amdhsa_fp16_overflow 0
		.amdhsa_exception_fp_ieee_invalid_op 0
		.amdhsa_exception_fp_denorm_src 0
		.amdhsa_exception_fp_ieee_div_zero 0
		.amdhsa_exception_fp_ieee_overflow 0
		.amdhsa_exception_fp_ieee_underflow 0
		.amdhsa_exception_fp_ieee_inexact 0
		.amdhsa_exception_int_div_zero 0
	.end_amdhsa_kernel
	.section	.text._ZN2at6native12_GLOBAL__N_125multi_tensor_apply_kernelINS1_18TensorListMetadataILi1EEENS1_14UnaryOpFunctorIN3c107complexIfEELi1ELi1ELi0EEEJNS0_4SinhIS8_EEEEEvT_T0_DpT1_,"axG",@progbits,_ZN2at6native12_GLOBAL__N_125multi_tensor_apply_kernelINS1_18TensorListMetadataILi1EEENS1_14UnaryOpFunctorIN3c107complexIfEELi1ELi1ELi0EEEJNS0_4SinhIS8_EEEEEvT_T0_DpT1_,comdat
.Lfunc_end126:
	.size	_ZN2at6native12_GLOBAL__N_125multi_tensor_apply_kernelINS1_18TensorListMetadataILi1EEENS1_14UnaryOpFunctorIN3c107complexIfEELi1ELi1ELi0EEEJNS0_4SinhIS8_EEEEEvT_T0_DpT1_, .Lfunc_end126-_ZN2at6native12_GLOBAL__N_125multi_tensor_apply_kernelINS1_18TensorListMetadataILi1EEENS1_14UnaryOpFunctorIN3c107complexIfEELi1ELi1ELi0EEEJNS0_4SinhIS8_EEEEEvT_T0_DpT1_
                                        ; -- End function
	.set _ZN2at6native12_GLOBAL__N_125multi_tensor_apply_kernelINS1_18TensorListMetadataILi1EEENS1_14UnaryOpFunctorIN3c107complexIfEELi1ELi1ELi0EEEJNS0_4SinhIS8_EEEEEvT_T0_DpT1_.num_vgpr, max(38, .L_ZN6thrust23THRUST_200600_302600_NS6detail7complex6csinhfERKNS0_7complexIfEE.num_vgpr)
	.set _ZN2at6native12_GLOBAL__N_125multi_tensor_apply_kernelINS1_18TensorListMetadataILi1EEENS1_14UnaryOpFunctorIN3c107complexIfEELi1ELi1ELi0EEEJNS0_4SinhIS8_EEEEEvT_T0_DpT1_.num_agpr, max(0, .L_ZN6thrust23THRUST_200600_302600_NS6detail7complex6csinhfERKNS0_7complexIfEE.num_agpr)
	.set _ZN2at6native12_GLOBAL__N_125multi_tensor_apply_kernelINS1_18TensorListMetadataILi1EEENS1_14UnaryOpFunctorIN3c107complexIfEELi1ELi1ELi0EEEJNS0_4SinhIS8_EEEEEvT_T0_DpT1_.numbered_sgpr, max(55, .L_ZN6thrust23THRUST_200600_302600_NS6detail7complex6csinhfERKNS0_7complexIfEE.numbered_sgpr)
	.set _ZN2at6native12_GLOBAL__N_125multi_tensor_apply_kernelINS1_18TensorListMetadataILi1EEENS1_14UnaryOpFunctorIN3c107complexIfEELi1ELi1ELi0EEEJNS0_4SinhIS8_EEEEEvT_T0_DpT1_.num_named_barrier, max(0, .L_ZN6thrust23THRUST_200600_302600_NS6detail7complex6csinhfERKNS0_7complexIfEE.num_named_barrier)
	.set _ZN2at6native12_GLOBAL__N_125multi_tensor_apply_kernelINS1_18TensorListMetadataILi1EEENS1_14UnaryOpFunctorIN3c107complexIfEELi1ELi1ELi0EEEJNS0_4SinhIS8_EEEEEvT_T0_DpT1_.private_seg_size, 0+max(.L_ZN6thrust23THRUST_200600_302600_NS6detail7complex6csinhfERKNS0_7complexIfEE.private_seg_size)
	.set _ZN2at6native12_GLOBAL__N_125multi_tensor_apply_kernelINS1_18TensorListMetadataILi1EEENS1_14UnaryOpFunctorIN3c107complexIfEELi1ELi1ELi0EEEJNS0_4SinhIS8_EEEEEvT_T0_DpT1_.uses_vcc, or(1, .L_ZN6thrust23THRUST_200600_302600_NS6detail7complex6csinhfERKNS0_7complexIfEE.uses_vcc)
	.set _ZN2at6native12_GLOBAL__N_125multi_tensor_apply_kernelINS1_18TensorListMetadataILi1EEENS1_14UnaryOpFunctorIN3c107complexIfEELi1ELi1ELi0EEEJNS0_4SinhIS8_EEEEEvT_T0_DpT1_.uses_flat_scratch, or(0, .L_ZN6thrust23THRUST_200600_302600_NS6detail7complex6csinhfERKNS0_7complexIfEE.uses_flat_scratch)
	.set _ZN2at6native12_GLOBAL__N_125multi_tensor_apply_kernelINS1_18TensorListMetadataILi1EEENS1_14UnaryOpFunctorIN3c107complexIfEELi1ELi1ELi0EEEJNS0_4SinhIS8_EEEEEvT_T0_DpT1_.has_dyn_sized_stack, or(0, .L_ZN6thrust23THRUST_200600_302600_NS6detail7complex6csinhfERKNS0_7complexIfEE.has_dyn_sized_stack)
	.set _ZN2at6native12_GLOBAL__N_125multi_tensor_apply_kernelINS1_18TensorListMetadataILi1EEENS1_14UnaryOpFunctorIN3c107complexIfEELi1ELi1ELi0EEEJNS0_4SinhIS8_EEEEEvT_T0_DpT1_.has_recursion, or(0, .L_ZN6thrust23THRUST_200600_302600_NS6detail7complex6csinhfERKNS0_7complexIfEE.has_recursion)
	.set _ZN2at6native12_GLOBAL__N_125multi_tensor_apply_kernelINS1_18TensorListMetadataILi1EEENS1_14UnaryOpFunctorIN3c107complexIfEELi1ELi1ELi0EEEJNS0_4SinhIS8_EEEEEvT_T0_DpT1_.has_indirect_call, or(0, .L_ZN6thrust23THRUST_200600_302600_NS6detail7complex6csinhfERKNS0_7complexIfEE.has_indirect_call)
	.section	.AMDGPU.csdata,"",@progbits
; Kernel info:
; codeLenInByte = 1288
; TotalNumSgprs: 59
; NumVgprs: 38
; ScratchSize: 0
; MemoryBound: 0
; FloatMode: 240
; IeeeMode: 1
; LDSByteSize: 0 bytes/workgroup (compile time only)
; SGPRBlocks: 7
; VGPRBlocks: 9
; NumSGPRsForWavesPerEU: 59
; NumVGPRsForWavesPerEU: 38
; Occupancy: 6
; WaveLimiterHint : 0
; COMPUTE_PGM_RSRC2:SCRATCH_EN: 0
; COMPUTE_PGM_RSRC2:USER_SGPR: 6
; COMPUTE_PGM_RSRC2:TRAP_HANDLER: 0
; COMPUTE_PGM_RSRC2:TGID_X_EN: 1
; COMPUTE_PGM_RSRC2:TGID_Y_EN: 0
; COMPUTE_PGM_RSRC2:TGID_Z_EN: 0
; COMPUTE_PGM_RSRC2:TIDIG_COMP_CNT: 0
	.section	.text._ZN2at6native12_GLOBAL__N_125multi_tensor_apply_kernelINS1_18TensorListMetadataILi1EEENS1_14UnaryOpFunctorIN3c104HalfELi1ELi1ELi0EEEJNS0_4SinhIfEEEEEvT_T0_DpT1_,"axG",@progbits,_ZN2at6native12_GLOBAL__N_125multi_tensor_apply_kernelINS1_18TensorListMetadataILi1EEENS1_14UnaryOpFunctorIN3c104HalfELi1ELi1ELi0EEEJNS0_4SinhIfEEEEEvT_T0_DpT1_,comdat
	.globl	_ZN2at6native12_GLOBAL__N_125multi_tensor_apply_kernelINS1_18TensorListMetadataILi1EEENS1_14UnaryOpFunctorIN3c104HalfELi1ELi1ELi0EEEJNS0_4SinhIfEEEEEvT_T0_DpT1_ ; -- Begin function _ZN2at6native12_GLOBAL__N_125multi_tensor_apply_kernelINS1_18TensorListMetadataILi1EEENS1_14UnaryOpFunctorIN3c104HalfELi1ELi1ELi0EEEJNS0_4SinhIfEEEEEvT_T0_DpT1_
	.p2align	8
	.type	_ZN2at6native12_GLOBAL__N_125multi_tensor_apply_kernelINS1_18TensorListMetadataILi1EEENS1_14UnaryOpFunctorIN3c104HalfELi1ELi1ELi0EEEJNS0_4SinhIfEEEEEvT_T0_DpT1_,@function
_ZN2at6native12_GLOBAL__N_125multi_tensor_apply_kernelINS1_18TensorListMetadataILi1EEENS1_14UnaryOpFunctorIN3c104HalfELi1ELi1ELi0EEEJNS0_4SinhIfEEEEEvT_T0_DpT1_: ; @_ZN2at6native12_GLOBAL__N_125multi_tensor_apply_kernelINS1_18TensorListMetadataILi1EEENS1_14UnaryOpFunctorIN3c104HalfELi1ELi1ELi0EEEJNS0_4SinhIfEEEEEvT_T0_DpT1_
; %bb.0:
	v_mov_b32_e32 v1, s6
	global_load_ubyte v1, v1, s[4:5] offset:1760
	s_add_u32 s0, s4, s6
	s_mul_hi_u32 s1, s6, 3
	s_mul_i32 s6, s6, 3
	s_addc_u32 s2, s5, 0
	s_add_u32 s0, s0, s6
	s_addc_u32 s1, s2, s1
	s_load_dword s0, s[0:1], 0x820
	s_mov_b32 s7, 0
	s_waitcnt vmcnt(0)
	v_readfirstlane_b32 s1, v1
	s_lshl_b32 s1, s1, 3
	s_load_dwordx2 s[2:3], s[4:5], s1 offset:0x370
	s_load_dwordx2 s[10:11], s[4:5], s1 offset:0x0
	s_waitcnt lgkmcnt(0)
	s_ashr_i32 s1, s0, 31
	s_lshl_b64 s[12:13], s[0:1], 17
	s_lshl_b64 s[0:1], s[0:1], 16
	s_and_b32 s6, s10, 7
	s_sub_u32 s14, s2, s0
	s_subb_u32 s15, s3, s1
	s_and_b32 s0, s2, 3
	s_mov_b32 s1, s7
	s_or_b64 s[0:1], s[6:7], s[0:1]
	s_cmp_eq_u64 s[0:1], 0
	s_cbranch_scc1 .LBB127_21
; %bb.1:
	v_cmp_lt_i64_e64 s[0:1], s[14:15], 1
	s_and_b64 vcc, exec, s[0:1]
	s_cbranch_vccnz .LBB127_20
; %bb.2:
	v_mov_b32_e32 v1, 0x10000
	s_load_dword s2, s[4:5], 0xd3c
	v_mov_b32_e32 v2, 0
	v_cmp_lt_i64_e32 vcc, s[14:15], v[1:2]
	s_mov_b64 s[20:21], 0
	s_and_b64 s[0:1], vcc, exec
	v_cmp_lt_u64_e32 vcc, s[14:15], v[1:2]
	s_cselect_b32 s17, s15, 0
	s_cselect_b32 s16, s14, 0x10000
	s_waitcnt lgkmcnt(0)
	s_and_b32 s2, s2, 0xffff
	s_and_b64 s[0:1], vcc, exec
	s_cselect_b32 s19, s15, 0
	s_cselect_b32 s18, s14, 0x10000
	s_lshl_b32 s3, s2, 1
	s_lshl_b32 s24, s2, 2
	s_add_u32 s6, s10, s12
	v_lshlrev_b32_e32 v1, 1, v0
	s_addc_u32 s7, s11, s13
	v_mov_b32_e32 v2, s7
	v_add_co_u32_e32 v1, vcc, s6, v1
	s_mul_i32 s0, s2, 3
	v_addc_co_u32_e32 v2, vcc, 0, v2, vcc
	v_add_co_u32_e32 v5, vcc, s0, v0
	v_addc_co_u32_e64 v6, s[0:1], 0, 0, vcc
	v_add_co_u32_e32 v7, vcc, s3, v0
	v_addc_co_u32_e64 v8, s[0:1], 0, 0, vcc
	v_add_co_u32_e32 v9, vcc, s2, v0
	v_lshlrev_b32_e32 v3, 1, v9
	v_addc_co_u32_e64 v10, s[0:1], 0, 0, vcc
	v_mov_b32_e32 v4, s7
	v_add_co_u32_e32 v3, vcc, s6, v3
	s_lshl_b32 s25, s2, 3
	s_mul_i32 s26, s2, 6
	v_addc_co_u32_e32 v4, vcc, 0, v4, vcc
	s_mov_b32 s27, 0x39800000
	s_mov_b32 s28, 0xbf317218
	v_mov_b32_e32 v11, 0x3d2aadcc
	v_mov_b32_e32 v12, 0x3e2aaa47
	;; [unrolled: 1-line block ×3, first 2 shown]
	s_mov_b32 s29, 0x42b2d4fc
	s_movk_i32 s30, 0x7fff
	v_mov_b32_e32 v14, 0x7f800000
	s_branch .LBB127_4
.LBB127_3:                              ;   in Loop: Header=BB127_4 Depth=1
	s_or_b64 exec, exec, s[0:1]
	s_add_u32 s20, s20, s24
	v_add_co_u32_e32 v1, vcc, s25, v1
	v_mov_b32_e32 v15, s16
	s_addc_u32 s21, s21, 0
	v_addc_co_u32_e32 v2, vcc, 0, v2, vcc
	v_mov_b32_e32 v16, s17
	v_cmp_lt_i64_e32 vcc, s[20:21], v[15:16]
	v_add_co_u32_e64 v3, s[0:1], s25, v3
	v_addc_co_u32_e64 v4, s[0:1], 0, v4, s[0:1]
	s_cbranch_vccz .LBB127_20
.LBB127_4:                              ; =>This Inner Loop Header: Depth=1
	v_mov_b32_e32 v16, s21
	v_add_co_u32_e32 v15, vcc, s20, v0
	v_addc_co_u32_e32 v16, vcc, 0, v16, vcc
	v_cmp_gt_u64_e64 s[6:7], s[18:19], v[15:16]
	v_mov_b32_e32 v18, 0
	s_and_saveexec_b64 s[0:1], s[6:7]
	s_cbranch_execz .LBB127_6
; %bb.5:                                ;   in Loop: Header=BB127_4 Depth=1
	global_load_ushort v15, v[1:2], off
	s_waitcnt vmcnt(0)
	v_cvt_f32_f16_e32 v18, v15
.LBB127_6:                              ;   in Loop: Header=BB127_4 Depth=1
	s_or_b64 exec, exec, s[0:1]
	v_mov_b32_e32 v16, s21
	v_add_co_u32_e32 v15, vcc, s20, v9
	v_addc_co_u32_e32 v16, vcc, v10, v16, vcc
	v_cmp_gt_u64_e64 s[2:3], s[18:19], v[15:16]
	v_mov_b32_e32 v16, 0
	v_mov_b32_e32 v17, 0
	s_and_saveexec_b64 s[0:1], s[2:3]
	s_cbranch_execz .LBB127_8
; %bb.7:                                ;   in Loop: Header=BB127_4 Depth=1
	global_load_ushort v15, v[3:4], off
	s_waitcnt vmcnt(0)
	v_cvt_f32_f16_e32 v17, v15
.LBB127_8:                              ;   in Loop: Header=BB127_4 Depth=1
	s_or_b64 exec, exec, s[0:1]
	v_mov_b32_e32 v15, s21
	v_add_co_u32_e32 v19, vcc, s20, v7
	v_addc_co_u32_e32 v20, vcc, v8, v15, vcc
	v_cmp_gt_u64_e64 s[0:1], s[18:19], v[19:20]
	s_and_saveexec_b64 s[8:9], s[0:1]
	s_cbranch_execz .LBB127_10
; %bb.9:                                ;   in Loop: Header=BB127_4 Depth=1
	v_add_co_u32_e32 v15, vcc, s24, v1
	v_addc_co_u32_e32 v16, vcc, 0, v2, vcc
	global_load_ushort v15, v[15:16], off
	s_waitcnt vmcnt(0)
	v_cvt_f32_f16_e32 v16, v15
.LBB127_10:                             ;   in Loop: Header=BB127_4 Depth=1
	s_or_b64 exec, exec, s[8:9]
	v_mov_b32_e32 v15, s21
	v_add_co_u32_e32 v19, vcc, s20, v5
	v_addc_co_u32_e32 v20, vcc, v6, v15, vcc
	v_cmp_gt_u64_e32 vcc, s[18:19], v[19:20]
	v_mov_b32_e32 v15, 0
	s_and_saveexec_b64 s[22:23], vcc
	s_cbranch_execnz .LBB127_15
; %bb.11:                               ;   in Loop: Header=BB127_4 Depth=1
	s_or_b64 exec, exec, s[22:23]
	s_and_saveexec_b64 s[8:9], s[6:7]
	s_cbranch_execnz .LBB127_16
.LBB127_12:                             ;   in Loop: Header=BB127_4 Depth=1
	s_or_b64 exec, exec, s[8:9]
	s_and_saveexec_b64 s[6:7], s[2:3]
	s_cbranch_execnz .LBB127_17
.LBB127_13:                             ;   in Loop: Header=BB127_4 Depth=1
	s_or_b64 exec, exec, s[6:7]
	s_and_saveexec_b64 s[2:3], s[0:1]
	s_cbranch_execnz .LBB127_18
.LBB127_14:                             ;   in Loop: Header=BB127_4 Depth=1
	s_or_b64 exec, exec, s[2:3]
	s_and_saveexec_b64 s[0:1], vcc
	s_cbranch_execz .LBB127_3
	s_branch .LBB127_19
.LBB127_15:                             ;   in Loop: Header=BB127_4 Depth=1
	v_add_co_u32_e64 v19, s[8:9], s26, v1
	v_addc_co_u32_e64 v20, s[8:9], 0, v2, s[8:9]
	global_load_ushort v15, v[19:20], off
	s_waitcnt vmcnt(0)
	v_cvt_f32_f16_e32 v15, v15
	s_or_b64 exec, exec, s[22:23]
	s_and_saveexec_b64 s[8:9], s[6:7]
	s_cbranch_execz .LBB127_12
.LBB127_16:                             ;   in Loop: Header=BB127_4 Depth=1
	v_add_f32_e64 v19, |v18|, s28
	v_sub_f32_e64 v20, v19, |v18|
	v_sub_f32_e32 v21, v20, v19
	v_add_f32_e64 v21, |v18|, v21
	v_add_f32_e32 v20, 0x3f317218, v20
	v_sub_f32_e32 v20, v21, v20
	v_add_f32_e32 v20, 0x3102e308, v20
	v_add_f32_e32 v21, v19, v20
	v_sub_f32_e32 v19, v19, v21
	v_add_f32_e32 v19, v20, v19
	v_mul_f32_e32 v20, 0x3fb8aa3b, v21
	v_rndne_f32_e32 v20, v20
	v_fmac_f32_e32 v21, 0xbf317200, v20
	v_add_f32_e32 v22, v19, v21
	v_mul_f32_e32 v23, 0x35bfbc00, v20
	v_sub_f32_e32 v24, v22, v23
	v_sub_f32_e32 v21, v21, v22
	v_add_f32_e32 v19, v19, v21
	v_sub_f32_e32 v21, v22, v24
	v_sub_f32_e32 v21, v21, v23
	v_add_f32_e32 v19, v19, v21
	v_add_f32_e32 v21, v24, v19
	v_mul_f32_e32 v22, 0x2ea39ef3, v20
	v_sub_f32_e32 v23, v21, v22
	v_sub_f32_e32 v24, v24, v21
	;; [unrolled: 1-line block ×3, first 2 shown]
	v_add_f32_e32 v19, v19, v24
	v_sub_f32_e32 v21, v21, v22
	v_add_f32_e32 v19, v19, v21
	v_add_f32_e32 v21, v23, v19
	v_mov_b32_e32 v22, 0x3c091de6
	v_sub_f32_e32 v23, v23, v21
	v_fmac_f32_e32 v22, 0x3ab42872, v21
	v_mul_f32_e32 v24, v21, v21
	v_add_f32_e32 v19, v19, v23
	v_fma_f32 v22, v21, v22, v11
	v_add_f32_e32 v23, v19, v19
	v_fma_f32 v25, v21, v21, -v24
	v_fma_f32 v22, v21, v22, v12
	v_fmac_f32_e32 v25, v21, v23
	v_fma_f32 v22, v21, v22, v13
	v_add_f32_e32 v23, v24, v25
	v_mul_f32_e32 v26, v22, v23
	v_sub_f32_e32 v24, v23, v24
	v_sub_f32_e32 v24, v25, v24
	v_fma_f32 v23, v23, v22, -v26
	v_fmac_f32_e32 v23, v24, v22
	v_add_f32_e32 v22, v26, v23
	v_add_f32_e32 v24, v21, v22
	v_sub_f32_e32 v25, v22, v26
	v_sub_f32_e32 v23, v23, v25
	;; [unrolled: 1-line block ×3, first 2 shown]
	v_add_f32_e32 v19, v19, v23
	v_sub_f32_e32 v21, v22, v21
	v_add_f32_e32 v19, v19, v21
	v_add_f32_e32 v21, v24, v19
	v_add_f32_e32 v22, 1.0, v21
	v_sub_f32_e32 v23, v21, v24
	v_sub_f32_e32 v19, v19, v23
	v_add_f32_e32 v23, -1.0, v22
	v_cvt_i32_f32_e32 v20, v20
	v_sub_f32_e32 v21, v21, v23
	v_add_f32_e32 v19, v19, v21
	v_add_f32_e32 v21, v22, v19
	v_ldexp_f32 v23, v21, v20
	v_rcp_f32_e32 v24, v23
	v_sub_f32_e32 v21, v21, v22
	v_sub_f32_e32 v19, v19, v21
	v_ldexp_f32 v19, v19, v20
	v_mul_f32_e32 v25, v23, v24
	v_fma_f32 v20, v24, v23, -v25
	v_fmac_f32_e32 v20, v24, v19
	v_add_f32_e32 v21, v25, v20
	v_sub_f32_e32 v22, 1.0, v21
	v_sub_f32_e32 v25, v21, v25
	v_sub_f32_e32 v20, v25, v20
	v_sub_f32_e32 v25, 1.0, v22
	v_sub_f32_e32 v21, v25, v21
	v_add_f32_e32 v20, v20, v21
	v_add_f32_e32 v21, v22, v20
	v_mul_f32_e32 v25, v24, v21
	v_mul_f32_e32 v28, v23, v25
	v_add_f32_e32 v26, v24, v25
	v_fma_f32 v29, v25, v23, -v28
	v_sub_f32_e32 v27, v26, v24
	v_fmac_f32_e32 v29, v25, v19
	v_sub_f32_e32 v27, v25, v27
	v_add_f32_e32 v25, v28, v29
	v_sub_f32_e32 v22, v22, v21
	v_add_f32_e32 v20, v20, v22
	v_sub_f32_e32 v22, v21, v25
	v_sub_f32_e32 v21, v21, v22
	;; [unrolled: 1-line block ×5, first 2 shown]
	v_add_f32_e32 v20, v20, v21
	v_add_f32_e32 v20, v28, v20
	;; [unrolled: 1-line block ×3, first 2 shown]
	v_mul_f32_e32 v20, v24, v20
	v_add_f32_e32 v20, v27, v20
	v_add_f32_e32 v21, v26, v20
	v_ldexp_f32 v22, v21, -2
	v_sub_f32_e32 v24, v23, v22
	v_sub_f32_e32 v23, v23, v24
	;; [unrolled: 1-line block ×5, first 2 shown]
	v_add_f32_e32 v19, v19, v22
	v_ldexp_f32 v20, v20, -2
	v_sub_f32_e32 v19, v19, v20
	v_add_f32_e32 v19, v24, v19
	v_cmp_ngt_f32_e64 s[6:7], |v18|, s29
	v_cndmask_b32_e64 v19, v14, v19, s[6:7]
	v_cmp_lt_f32_e64 s[6:7], |v18|, s27
	v_cndmask_b32_e64 v19, v19, |v18|, s[6:7]
	v_cvt_f16_f32_e32 v19, v19
	v_lshrrev_b32_e32 v18, 16, v18
	v_bfi_b32 v18, s30, v19, v18
	global_store_short v[1:2], v18, off
	s_or_b64 exec, exec, s[8:9]
	s_and_saveexec_b64 s[6:7], s[2:3]
	s_cbranch_execz .LBB127_13
.LBB127_17:                             ;   in Loop: Header=BB127_4 Depth=1
	v_add_f32_e64 v18, |v17|, s28
	v_sub_f32_e64 v19, v18, |v17|
	v_sub_f32_e32 v20, v19, v18
	v_add_f32_e64 v20, |v17|, v20
	v_add_f32_e32 v19, 0x3f317218, v19
	v_sub_f32_e32 v19, v20, v19
	v_add_f32_e32 v19, 0x3102e308, v19
	v_add_f32_e32 v20, v18, v19
	v_sub_f32_e32 v18, v18, v20
	v_add_f32_e32 v18, v19, v18
	v_mul_f32_e32 v19, 0x3fb8aa3b, v20
	v_rndne_f32_e32 v19, v19
	v_fmac_f32_e32 v20, 0xbf317200, v19
	v_add_f32_e32 v21, v18, v20
	v_sub_f32_e32 v20, v20, v21
	v_add_f32_e32 v18, v18, v20
	v_mul_f32_e32 v20, 0x35bfbc00, v19
	v_sub_f32_e32 v22, v21, v20
	v_sub_f32_e32 v21, v21, v22
	;; [unrolled: 1-line block ×3, first 2 shown]
	v_add_f32_e32 v18, v18, v20
	v_add_f32_e32 v20, v22, v18
	v_sub_f32_e32 v21, v22, v20
	v_add_f32_e32 v18, v18, v21
	v_mul_f32_e32 v21, 0x2ea39ef3, v19
	v_sub_f32_e32 v22, v20, v21
	v_sub_f32_e32 v20, v20, v22
	;; [unrolled: 1-line block ×3, first 2 shown]
	v_add_f32_e32 v18, v18, v20
	v_add_f32_e32 v20, v22, v18
	v_sub_f32_e32 v22, v22, v20
	v_mov_b32_e32 v21, 0x3c091de6
	v_add_f32_e32 v18, v18, v22
	v_mul_f32_e32 v23, v20, v20
	v_fmac_f32_e32 v21, 0x3ab42872, v20
	v_add_f32_e32 v22, v18, v18
	v_fma_f32 v24, v20, v20, -v23
	v_fma_f32 v21, v20, v21, v11
	v_fmac_f32_e32 v24, v20, v22
	v_fma_f32 v21, v20, v21, v12
	v_add_f32_e32 v22, v23, v24
	v_fma_f32 v21, v20, v21, v13
	v_sub_f32_e32 v23, v22, v23
	v_sub_f32_e32 v23, v24, v23
	v_mul_f32_e32 v24, v21, v22
	v_fma_f32 v22, v22, v21, -v24
	v_fmac_f32_e32 v22, v23, v21
	v_add_f32_e32 v21, v24, v22
	v_sub_f32_e32 v23, v21, v24
	v_sub_f32_e32 v22, v22, v23
	v_add_f32_e32 v23, v20, v21
	v_sub_f32_e32 v20, v23, v20
	v_sub_f32_e32 v20, v21, v20
	v_add_f32_e32 v18, v18, v22
	v_add_f32_e32 v18, v18, v20
	;; [unrolled: 1-line block ×3, first 2 shown]
	v_sub_f32_e32 v21, v20, v23
	v_sub_f32_e32 v18, v18, v21
	v_add_f32_e32 v21, 1.0, v20
	v_add_f32_e32 v22, -1.0, v21
	v_cvt_i32_f32_e32 v19, v19
	v_sub_f32_e32 v20, v20, v22
	v_add_f32_e32 v18, v18, v20
	v_add_f32_e32 v20, v21, v18
	v_ldexp_f32 v22, v20, v19
	v_rcp_f32_e32 v23, v22
	v_sub_f32_e32 v20, v20, v21
	v_sub_f32_e32 v18, v18, v20
	v_ldexp_f32 v18, v18, v19
	v_mul_f32_e32 v19, v22, v23
	v_fma_f32 v20, v23, v22, -v19
	v_fmac_f32_e32 v20, v23, v18
	v_add_f32_e32 v21, v19, v20
	v_sub_f32_e32 v24, 1.0, v21
	v_sub_f32_e32 v25, 1.0, v24
	v_sub_f32_e32 v19, v21, v19
	v_sub_f32_e32 v25, v25, v21
	v_sub_f32_e32 v19, v19, v20
	v_add_f32_e32 v19, v19, v25
	v_add_f32_e32 v20, v24, v19
	v_mul_f32_e32 v21, v23, v20
	v_mul_f32_e32 v25, v22, v21
	v_fma_f32 v26, v21, v22, -v25
	v_fmac_f32_e32 v26, v21, v18
	v_sub_f32_e32 v24, v24, v20
	v_add_f32_e32 v19, v19, v24
	v_add_f32_e32 v24, v25, v26
	v_sub_f32_e32 v27, v20, v24
	v_sub_f32_e32 v20, v20, v27
	;; [unrolled: 1-line block ×4, first 2 shown]
	v_add_f32_e32 v19, v19, v20
	v_sub_f32_e32 v20, v25, v26
	v_add_f32_e32 v19, v20, v19
	v_add_f32_e32 v19, v27, v19
	;; [unrolled: 1-line block ×3, first 2 shown]
	v_mul_f32_e32 v19, v23, v19
	v_sub_f32_e32 v23, v20, v23
	v_sub_f32_e32 v21, v21, v23
	v_add_f32_e32 v19, v21, v19
	v_add_f32_e32 v21, v20, v19
	v_sub_f32_e32 v20, v21, v20
	v_sub_f32_e32 v19, v19, v20
	v_ldexp_f32 v20, v21, -2
	v_sub_f32_e32 v21, v22, v20
	v_sub_f32_e32 v22, v22, v21
	;; [unrolled: 1-line block ×3, first 2 shown]
	v_ldexp_f32 v19, v19, -2
	v_add_f32_e32 v18, v18, v20
	v_sub_f32_e32 v18, v18, v19
	v_add_f32_e32 v18, v21, v18
	v_cmp_ngt_f32_e64 s[2:3], |v17|, s29
	v_cndmask_b32_e64 v18, v14, v18, s[2:3]
	v_cmp_lt_f32_e64 s[2:3], |v17|, s27
	v_cndmask_b32_e64 v18, v18, |v17|, s[2:3]
	v_cvt_f16_f32_e32 v18, v18
	v_lshrrev_b32_e32 v17, 16, v17
	v_bfi_b32 v17, s30, v18, v17
	global_store_short v[3:4], v17, off
	s_or_b64 exec, exec, s[6:7]
	s_and_saveexec_b64 s[2:3], s[0:1]
	s_cbranch_execz .LBB127_14
.LBB127_18:                             ;   in Loop: Header=BB127_4 Depth=1
	v_add_f32_e64 v17, |v16|, s28
	v_sub_f32_e64 v18, v17, |v16|
	v_sub_f32_e32 v19, v18, v17
	v_add_f32_e64 v19, |v16|, v19
	v_add_f32_e32 v18, 0x3f317218, v18
	v_sub_f32_e32 v18, v19, v18
	v_add_f32_e32 v18, 0x3102e308, v18
	v_add_f32_e32 v19, v17, v18
	v_sub_f32_e32 v17, v17, v19
	v_add_f32_e32 v17, v18, v17
	v_mul_f32_e32 v18, 0x3fb8aa3b, v19
	v_rndne_f32_e32 v18, v18
	v_fmac_f32_e32 v19, 0xbf317200, v18
	v_add_f32_e32 v20, v17, v19
	v_sub_f32_e32 v19, v19, v20
	v_add_f32_e32 v17, v17, v19
	v_mul_f32_e32 v19, 0x35bfbc00, v18
	v_sub_f32_e32 v21, v20, v19
	v_sub_f32_e32 v20, v20, v21
	;; [unrolled: 1-line block ×3, first 2 shown]
	v_add_f32_e32 v17, v17, v19
	v_add_f32_e32 v19, v21, v17
	v_sub_f32_e32 v20, v21, v19
	v_add_f32_e32 v17, v17, v20
	v_mul_f32_e32 v20, 0x2ea39ef3, v18
	v_sub_f32_e32 v21, v19, v20
	v_sub_f32_e32 v19, v19, v21
	;; [unrolled: 1-line block ×3, first 2 shown]
	v_add_f32_e32 v17, v17, v19
	v_add_f32_e32 v19, v21, v17
	v_sub_f32_e32 v21, v21, v19
	v_mov_b32_e32 v20, 0x3c091de6
	v_add_f32_e32 v17, v17, v21
	v_mul_f32_e32 v22, v19, v19
	v_fmac_f32_e32 v20, 0x3ab42872, v19
	v_add_f32_e32 v21, v17, v17
	v_fma_f32 v23, v19, v19, -v22
	v_fma_f32 v20, v19, v20, v11
	v_fmac_f32_e32 v23, v19, v21
	v_fma_f32 v20, v19, v20, v12
	v_add_f32_e32 v21, v22, v23
	v_fma_f32 v20, v19, v20, v13
	v_sub_f32_e32 v22, v21, v22
	v_sub_f32_e32 v22, v23, v22
	v_mul_f32_e32 v23, v20, v21
	v_fma_f32 v21, v21, v20, -v23
	v_fmac_f32_e32 v21, v22, v20
	v_add_f32_e32 v20, v23, v21
	v_sub_f32_e32 v22, v20, v23
	v_sub_f32_e32 v21, v21, v22
	v_add_f32_e32 v22, v19, v20
	v_sub_f32_e32 v19, v22, v19
	v_sub_f32_e32 v19, v20, v19
	v_add_f32_e32 v17, v17, v21
	v_add_f32_e32 v17, v17, v19
	;; [unrolled: 1-line block ×3, first 2 shown]
	v_sub_f32_e32 v20, v19, v22
	v_sub_f32_e32 v17, v17, v20
	v_add_f32_e32 v20, 1.0, v19
	v_add_f32_e32 v21, -1.0, v20
	v_cvt_i32_f32_e32 v18, v18
	v_sub_f32_e32 v19, v19, v21
	v_add_f32_e32 v17, v17, v19
	v_add_f32_e32 v19, v20, v17
	v_ldexp_f32 v21, v19, v18
	v_rcp_f32_e32 v22, v21
	v_sub_f32_e32 v19, v19, v20
	v_sub_f32_e32 v17, v17, v19
	v_ldexp_f32 v17, v17, v18
	v_mul_f32_e32 v18, v21, v22
	v_fma_f32 v19, v22, v21, -v18
	v_fmac_f32_e32 v19, v22, v17
	v_add_f32_e32 v20, v18, v19
	v_sub_f32_e32 v23, 1.0, v20
	v_sub_f32_e32 v24, 1.0, v23
	v_sub_f32_e32 v18, v20, v18
	v_sub_f32_e32 v24, v24, v20
	;; [unrolled: 1-line block ×3, first 2 shown]
	v_add_f32_e32 v18, v18, v24
	v_add_f32_e32 v19, v23, v18
	v_mul_f32_e32 v20, v22, v19
	v_mul_f32_e32 v24, v21, v20
	v_fma_f32 v25, v20, v21, -v24
	v_fmac_f32_e32 v25, v20, v17
	v_sub_f32_e32 v23, v23, v19
	v_add_f32_e32 v18, v18, v23
	v_add_f32_e32 v23, v24, v25
	v_sub_f32_e32 v26, v19, v23
	v_sub_f32_e32 v19, v19, v26
	;; [unrolled: 1-line block ×4, first 2 shown]
	v_add_f32_e32 v18, v18, v19
	v_sub_f32_e32 v19, v24, v25
	v_add_f32_e32 v18, v19, v18
	v_add_f32_e32 v18, v26, v18
	;; [unrolled: 1-line block ×3, first 2 shown]
	v_mul_f32_e32 v18, v22, v18
	v_sub_f32_e32 v22, v19, v22
	v_sub_f32_e32 v20, v20, v22
	v_add_f32_e32 v18, v20, v18
	v_add_f32_e32 v20, v19, v18
	v_sub_f32_e32 v19, v20, v19
	v_sub_f32_e32 v18, v18, v19
	v_ldexp_f32 v19, v20, -2
	v_sub_f32_e32 v20, v21, v19
	v_sub_f32_e32 v21, v21, v20
	;; [unrolled: 1-line block ×3, first 2 shown]
	v_ldexp_f32 v18, v18, -2
	v_add_f32_e32 v17, v17, v19
	v_sub_f32_e32 v17, v17, v18
	v_add_f32_e32 v17, v20, v17
	v_cmp_ngt_f32_e64 s[0:1], |v16|, s29
	v_cndmask_b32_e64 v17, v14, v17, s[0:1]
	v_cmp_lt_f32_e64 s[0:1], |v16|, s27
	v_cndmask_b32_e64 v17, v17, |v16|, s[0:1]
	v_cvt_f16_f32_e32 v17, v17
	v_lshrrev_b32_e32 v16, 16, v16
	v_bfi_b32 v18, s30, v17, v16
	v_add_co_u32_e64 v16, s[0:1], s24, v1
	v_addc_co_u32_e64 v17, s[0:1], 0, v2, s[0:1]
	global_store_short v[16:17], v18, off
	s_or_b64 exec, exec, s[2:3]
	s_and_saveexec_b64 s[0:1], vcc
	s_cbranch_execz .LBB127_3
.LBB127_19:                             ;   in Loop: Header=BB127_4 Depth=1
	v_add_f32_e64 v16, |v15|, s28
	v_sub_f32_e64 v17, v16, |v15|
	v_sub_f32_e32 v18, v17, v16
	v_add_f32_e64 v18, |v15|, v18
	v_add_f32_e32 v17, 0x3f317218, v17
	v_sub_f32_e32 v17, v18, v17
	v_add_f32_e32 v17, 0x3102e308, v17
	v_add_f32_e32 v18, v16, v17
	v_sub_f32_e32 v16, v16, v18
	v_add_f32_e32 v16, v17, v16
	v_mul_f32_e32 v17, 0x3fb8aa3b, v18
	v_rndne_f32_e32 v17, v17
	v_fmac_f32_e32 v18, 0xbf317200, v17
	v_add_f32_e32 v19, v16, v18
	v_sub_f32_e32 v18, v18, v19
	v_add_f32_e32 v16, v16, v18
	v_mul_f32_e32 v18, 0x35bfbc00, v17
	v_sub_f32_e32 v20, v19, v18
	v_sub_f32_e32 v19, v19, v20
	;; [unrolled: 1-line block ×3, first 2 shown]
	v_add_f32_e32 v16, v16, v18
	v_add_f32_e32 v18, v20, v16
	v_sub_f32_e32 v19, v20, v18
	v_add_f32_e32 v16, v16, v19
	v_mul_f32_e32 v19, 0x2ea39ef3, v17
	v_sub_f32_e32 v20, v18, v19
	v_sub_f32_e32 v18, v18, v20
	v_sub_f32_e32 v18, v18, v19
	v_add_f32_e32 v16, v16, v18
	v_add_f32_e32 v18, v20, v16
	v_sub_f32_e32 v20, v20, v18
	v_mov_b32_e32 v19, 0x3c091de6
	v_add_f32_e32 v16, v16, v20
	v_mul_f32_e32 v21, v18, v18
	v_fmac_f32_e32 v19, 0x3ab42872, v18
	v_add_f32_e32 v20, v16, v16
	v_fma_f32 v22, v18, v18, -v21
	v_fma_f32 v19, v18, v19, v11
	v_fmac_f32_e32 v22, v18, v20
	v_fma_f32 v19, v18, v19, v12
	v_add_f32_e32 v20, v21, v22
	v_fma_f32 v19, v18, v19, v13
	v_sub_f32_e32 v21, v20, v21
	v_sub_f32_e32 v21, v22, v21
	v_mul_f32_e32 v22, v19, v20
	v_fma_f32 v20, v20, v19, -v22
	v_fmac_f32_e32 v20, v21, v19
	v_add_f32_e32 v19, v22, v20
	v_sub_f32_e32 v21, v19, v22
	v_sub_f32_e32 v20, v20, v21
	v_add_f32_e32 v21, v18, v19
	v_sub_f32_e32 v18, v21, v18
	v_sub_f32_e32 v18, v19, v18
	v_add_f32_e32 v16, v16, v20
	v_add_f32_e32 v16, v16, v18
	;; [unrolled: 1-line block ×3, first 2 shown]
	v_sub_f32_e32 v19, v18, v21
	v_sub_f32_e32 v16, v16, v19
	v_add_f32_e32 v19, 1.0, v18
	v_add_f32_e32 v20, -1.0, v19
	v_cvt_i32_f32_e32 v17, v17
	v_sub_f32_e32 v18, v18, v20
	v_add_f32_e32 v16, v16, v18
	v_add_f32_e32 v18, v19, v16
	v_ldexp_f32 v20, v18, v17
	v_rcp_f32_e32 v21, v20
	v_sub_f32_e32 v18, v18, v19
	v_sub_f32_e32 v16, v16, v18
	v_ldexp_f32 v16, v16, v17
	v_mul_f32_e32 v17, v20, v21
	v_fma_f32 v18, v21, v20, -v17
	v_fmac_f32_e32 v18, v21, v16
	v_add_f32_e32 v19, v17, v18
	v_sub_f32_e32 v22, 1.0, v19
	v_sub_f32_e32 v23, 1.0, v22
	v_sub_f32_e32 v17, v19, v17
	v_sub_f32_e32 v23, v23, v19
	;; [unrolled: 1-line block ×3, first 2 shown]
	v_add_f32_e32 v17, v17, v23
	v_add_f32_e32 v18, v22, v17
	v_mul_f32_e32 v19, v21, v18
	v_mul_f32_e32 v23, v20, v19
	v_fma_f32 v24, v19, v20, -v23
	v_fmac_f32_e32 v24, v19, v16
	v_sub_f32_e32 v22, v22, v18
	v_add_f32_e32 v17, v17, v22
	v_add_f32_e32 v22, v23, v24
	v_sub_f32_e32 v25, v18, v22
	v_sub_f32_e32 v18, v18, v25
	;; [unrolled: 1-line block ×4, first 2 shown]
	v_add_f32_e32 v17, v17, v18
	v_sub_f32_e32 v18, v23, v24
	v_add_f32_e32 v17, v18, v17
	v_add_f32_e32 v17, v25, v17
	;; [unrolled: 1-line block ×3, first 2 shown]
	v_mul_f32_e32 v17, v21, v17
	v_sub_f32_e32 v21, v18, v21
	v_sub_f32_e32 v19, v19, v21
	v_add_f32_e32 v17, v19, v17
	v_add_f32_e32 v19, v18, v17
	v_sub_f32_e32 v18, v19, v18
	v_sub_f32_e32 v17, v17, v18
	v_ldexp_f32 v18, v19, -2
	v_sub_f32_e32 v19, v20, v18
	v_sub_f32_e32 v20, v20, v19
	;; [unrolled: 1-line block ×3, first 2 shown]
	v_ldexp_f32 v17, v17, -2
	v_add_f32_e32 v16, v16, v18
	v_sub_f32_e32 v16, v16, v17
	v_add_f32_e32 v16, v19, v16
	v_cmp_ngt_f32_e64 vcc, |v15|, s29
	v_cndmask_b32_e32 v16, v14, v16, vcc
	v_cmp_lt_f32_e64 s[2:3], |v15|, s27
	v_cndmask_b32_e64 v16, v16, |v15|, s[2:3]
	v_cvt_f16_f32_e32 v16, v16
	v_lshrrev_b32_e32 v15, 16, v15
	v_bfi_b32 v17, s30, v16, v15
	v_add_co_u32_e32 v15, vcc, s26, v1
	v_addc_co_u32_e32 v16, vcc, 0, v2, vcc
	global_store_short v[15:16], v17, off
	s_branch .LBB127_3
.LBB127_20:
	s_cbranch_execz .LBB127_22
	s_branch .LBB127_25
.LBB127_21:
.LBB127_22:
	v_mov_b32_e32 v1, 0x10000
	v_mov_b32_e32 v2, 0
	v_cmp_lt_i64_e32 vcc, s[14:15], v[1:2]
	v_mov_b32_e32 v2, 0
	s_and_b64 s[0:1], vcc, exec
	s_cselect_b32 s1, s15, 0
	s_cselect_b32 s0, s14, 0x10000
	v_lshlrev_b32_e32 v1, 2, v0
	v_cmp_gt_i64_e32 vcc, s[0:1], v[1:2]
	s_and_saveexec_b64 s[2:3], vcc
	s_cbranch_execz .LBB127_25
; %bb.23:
	s_load_dword s2, s[4:5], 0xd3c
	v_mov_b32_e32 v1, v2
	v_lshlrev_b32_e32 v2, 3, v0
	s_mov_b32 s6, 0xbf317218
	v_mov_b32_e32 v6, 0x3d2aadcc
	s_waitcnt lgkmcnt(0)
	s_and_b32 s4, s2, 0xffff
	s_add_u32 s2, s10, s12
	s_addc_u32 s3, s11, s13
	v_mov_b32_e32 v3, s3
	v_add_co_u32_e32 v2, vcc, s2, v2
	v_addc_co_u32_e32 v3, vcc, 0, v3, vcc
	v_add_co_u32_e32 v2, vcc, 4, v2
	v_addc_co_u32_e32 v3, vcc, 0, v3, vcc
	s_lshl_b32 s5, s4, 3
	s_mov_b64 s[2:3], 0
	v_mov_b32_e32 v7, 0x3e2aaa47
	v_mov_b32_e32 v8, 0x3efffffc
	s_mov_b32 s7, 0x42b2d4fc
	v_mov_b32_e32 v9, 0x7f800000
	s_mov_b32 s8, 0x39800000
	s_movk_i32 s9, 0x7fff
.LBB127_24:                             ; =>This Inner Loop Header: Depth=1
	global_load_dwordx2 v[4:5], v[2:3], off offset:-4
	v_mov_b32_e32 v11, 0x3c091de6
	s_waitcnt vmcnt(0)
	v_cvt_f32_f16_e32 v12, v4
	v_lshrrev_b32_e32 v10, 16, v4
	v_cvt_f32_f16_e32 v13, v10
	v_add_f32_e64 v14, |v12|, s6
	v_sub_f32_e64 v15, v14, |v12|
	v_add_f32_e64 v16, |v13|, s6
	v_sub_f32_e32 v17, v15, v14
	v_add_f32_e32 v15, 0x3f317218, v15
	v_sub_f32_e64 v18, v16, |v13|
	v_add_f32_e64 v17, |v12|, v17
	v_sub_f32_e32 v19, v18, v16
	v_sub_f32_e32 v15, v17, v15
	v_add_f32_e32 v18, 0x3f317218, v18
	v_add_f32_e64 v17, |v13|, v19
	v_add_f32_e32 v15, 0x3102e308, v15
	v_sub_f32_e32 v17, v17, v18
	v_add_f32_e32 v18, v14, v15
	v_add_f32_e32 v17, 0x3102e308, v17
	v_sub_f32_e32 v14, v14, v18
	v_mul_f32_e32 v19, 0x3fb8aa3b, v18
	v_add_f32_e32 v20, v16, v17
	v_add_f32_e32 v14, v15, v14
	v_rndne_f32_e32 v15, v19
	v_sub_f32_e32 v16, v16, v20
	v_mul_f32_e32 v19, 0x3fb8aa3b, v20
	v_fmac_f32_e32 v18, 0xbf317200, v15
	v_mul_f32_e32 v21, 0x35bfbc00, v15
	v_add_f32_e32 v16, v17, v16
	v_rndne_f32_e32 v17, v19
	v_add_f32_e32 v19, v14, v18
	v_fmac_f32_e32 v20, 0xbf317200, v17
	v_sub_f32_e32 v18, v18, v19
	v_sub_f32_e32 v25, v19, v21
	v_mul_f32_e32 v23, 0x35bfbc00, v17
	v_add_f32_e32 v26, v16, v20
	v_add_f32_e32 v14, v14, v18
	v_sub_f32_e32 v18, v19, v25
	v_sub_f32_e32 v19, v20, v26
	;; [unrolled: 1-line block ×4, first 2 shown]
	v_add_f32_e32 v16, v16, v19
	v_sub_f32_e32 v19, v26, v20
	v_add_f32_e32 v14, v14, v18
	v_mul_f32_e32 v22, 0x2ea39ef3, v15
	v_sub_f32_e32 v18, v19, v23
	v_add_f32_e32 v19, v25, v14
	v_add_f32_e32 v16, v16, v18
	v_sub_f32_e32 v18, v25, v19
	v_sub_f32_e32 v21, v19, v22
	v_mul_f32_e32 v24, 0x2ea39ef3, v17
	v_add_f32_e32 v23, v20, v16
	v_add_f32_e32 v14, v14, v18
	v_sub_f32_e32 v18, v19, v21
	v_sub_f32_e32 v19, v20, v23
	;; [unrolled: 1-line block ×4, first 2 shown]
	v_add_f32_e32 v16, v16, v19
	v_sub_f32_e32 v19, v23, v20
	v_add_f32_e32 v14, v14, v18
	v_sub_f32_e32 v18, v19, v24
	v_add_f32_e32 v19, v21, v14
	v_add_f32_e32 v16, v16, v18
	v_sub_f32_e32 v18, v21, v19
	v_fmac_f32_e32 v11, 0x3ab42872, v19
	v_mul_f32_e32 v21, v19, v19
	v_add_f32_e32 v22, v20, v16
	v_add_f32_e32 v14, v14, v18
	v_fma_f32 v11, v19, v11, v6
	v_fma_f32 v18, v19, v19, -v21
	v_sub_f32_e32 v20, v20, v22
	v_add_f32_e32 v24, v14, v14
	v_mul_f32_e32 v23, v22, v22
	v_fma_f32 v11, v19, v11, v7
	v_add_f32_e32 v16, v16, v20
	v_fmac_f32_e32 v18, v19, v24
	v_fma_f32 v20, v22, v22, -v23
	v_fma_f32 v11, v19, v11, v8
	v_add_f32_e32 v24, v16, v16
	v_add_f32_e32 v25, v21, v18
	v_fmac_f32_e32 v20, v22, v24
	v_sub_f32_e32 v21, v25, v21
	v_mul_f32_e32 v24, v11, v25
	v_sub_f32_e32 v18, v18, v21
	v_fma_f32 v21, v25, v11, -v24
	v_fmac_f32_e32 v21, v18, v11
	v_add_f32_e32 v11, v24, v21
	v_sub_f32_e32 v18, v11, v24
	v_add_f32_e32 v24, v19, v11
	v_sub_f32_e32 v18, v21, v18
	v_sub_f32_e32 v19, v24, v19
	v_sub_f32_e32 v11, v11, v19
	v_add_f32_e32 v14, v14, v18
	v_add_f32_e32 v11, v14, v11
	;; [unrolled: 1-line block ×3, first 2 shown]
	v_sub_f32_e32 v18, v14, v24
	v_add_f32_e32 v19, 1.0, v14
	v_cvt_i32_f32_e32 v15, v15
	v_sub_f32_e32 v11, v11, v18
	v_add_f32_e32 v18, -1.0, v19
	v_sub_f32_e32 v14, v14, v18
	v_add_f32_e32 v11, v11, v14
	v_add_f32_e32 v14, v19, v11
	v_ldexp_f32 v18, v14, v15
	v_rcp_f32_e32 v21, v18
	v_sub_f32_e32 v14, v14, v19
	v_sub_f32_e32 v11, v11, v14
	v_ldexp_f32 v14, v11, v15
	v_mul_f32_e32 v11, v18, v21
	v_fma_f32 v15, v21, v18, -v11
	v_fmac_f32_e32 v15, v21, v14
	v_add_f32_e32 v19, v11, v15
	v_sub_f32_e32 v24, 1.0, v19
	v_sub_f32_e32 v11, v19, v11
	v_sub_f32_e32 v25, 1.0, v24
	v_sub_f32_e32 v11, v11, v15
	v_sub_f32_e32 v15, v25, v19
	v_add_f32_e32 v11, v11, v15
	v_add_f32_e32 v15, v24, v11
	v_mul_f32_e32 v19, v21, v15
	v_sub_f32_e32 v24, v24, v15
	v_mul_f32_e32 v25, v18, v19
	v_add_f32_e32 v11, v11, v24
	v_add_f32_e32 v24, v21, v19
	v_fma_f32 v26, v19, v18, -v25
	v_sub_f32_e32 v27, v24, v21
	v_fmac_f32_e32 v26, v19, v14
	v_sub_f32_e32 v19, v19, v27
	v_add_f32_e32 v27, v25, v26
	v_sub_f32_e32 v25, v27, v25
	v_sub_f32_e32 v25, v25, v26
	;; [unrolled: 1-line block ×5, first 2 shown]
	v_add_f32_e32 v15, v11, v15
	v_add_f32_e32 v15, v25, v15
	;; [unrolled: 1-line block ×3, first 2 shown]
	v_mul_f32_e32 v15, v21, v15
	v_add_f32_e32 v15, v19, v15
	v_add_f32_e32 v19, v24, v15
	v_sub_f32_e32 v21, v19, v24
	v_ldexp_f32 v19, v19, -2
	v_sub_f32_e32 v15, v15, v21
	v_sub_f32_e32 v21, v18, v19
	;; [unrolled: 1-line block ×4, first 2 shown]
	v_mov_b32_e32 v27, 0x3c091de6
	v_ldexp_f32 v15, v15, -2
	v_add_f32_e32 v14, v14, v18
	v_fmac_f32_e32 v27, 0x3ab42872, v22
	v_sub_f32_e32 v14, v14, v15
	v_fma_f32 v27, v22, v27, v6
	v_add_f32_e32 v14, v21, v14
	v_cmp_ngt_f32_e64 vcc, |v12|, s7
	v_fma_f32 v27, v22, v27, v7
	v_cndmask_b32_e32 v14, v9, v14, vcc
	v_cmp_lt_f32_e64 s[10:11], |v12|, s8
	v_fma_f32 v27, v22, v27, v8
	v_cndmask_b32_e64 v12, v14, |v12|, s[10:11]
	v_add_f32_e32 v14, v23, v20
	v_sub_f32_e32 v15, v14, v23
	v_mul_f32_e32 v18, v27, v14
	v_sub_f32_e32 v15, v20, v15
	v_fma_f32 v14, v14, v27, -v18
	v_fmac_f32_e32 v14, v15, v27
	v_add_f32_e32 v15, v18, v14
	v_sub_f32_e32 v18, v15, v18
	v_sub_f32_e32 v14, v14, v18
	v_add_f32_e32 v18, v22, v15
	v_sub_f32_e32 v19, v18, v22
	v_sub_f32_e32 v15, v15, v19
	v_add_f32_e32 v14, v16, v14
	v_add_f32_e32 v14, v14, v15
	v_add_f32_e32 v15, v18, v14
	v_sub_f32_e32 v16, v15, v18
	v_sub_f32_e32 v14, v14, v16
	v_add_f32_e32 v16, 1.0, v15
	v_add_f32_e32 v18, -1.0, v16
	v_cvt_i32_f32_e32 v17, v17
	v_sub_f32_e32 v15, v15, v18
	v_add_f32_e32 v14, v14, v15
	v_add_f32_e32 v15, v16, v14
	v_ldexp_f32 v18, v15, v17
	v_rcp_f32_e32 v19, v18
	v_sub_f32_e32 v15, v15, v16
	v_sub_f32_e32 v14, v14, v15
	v_ldexp_f32 v14, v14, v17
	v_mul_f32_e32 v15, v18, v19
	v_fma_f32 v16, v19, v18, -v15
	v_fmac_f32_e32 v16, v19, v14
	v_add_f32_e32 v17, v15, v16
	v_sub_f32_e32 v20, 1.0, v17
	v_sub_f32_e32 v21, 1.0, v20
	v_sub_f32_e32 v15, v17, v15
	v_sub_f32_e32 v21, v21, v17
	;; [unrolled: 1-line block ×3, first 2 shown]
	v_add_f32_e32 v15, v15, v21
	v_add_f32_e32 v16, v20, v15
	v_mul_f32_e32 v17, v19, v16
	v_mul_f32_e32 v21, v18, v17
	v_fma_f32 v22, v17, v18, -v21
	v_fmac_f32_e32 v22, v17, v14
	v_sub_f32_e32 v20, v20, v16
	v_add_f32_e32 v15, v15, v20
	v_add_f32_e32 v20, v21, v22
	v_sub_f32_e32 v23, v16, v20
	v_sub_f32_e32 v16, v16, v23
	;; [unrolled: 1-line block ×4, first 2 shown]
	v_add_f32_e32 v15, v15, v16
	v_sub_f32_e32 v16, v21, v22
	v_add_f32_e32 v15, v16, v15
	v_add_f32_e32 v15, v23, v15
	;; [unrolled: 1-line block ×3, first 2 shown]
	v_mul_f32_e32 v15, v19, v15
	v_sub_f32_e32 v19, v16, v19
	v_sub_f32_e32 v17, v17, v19
	v_add_f32_e32 v15, v17, v15
	v_add_f32_e32 v17, v16, v15
	v_sub_f32_e32 v16, v17, v16
	v_sub_f32_e32 v15, v15, v16
	v_ldexp_f32 v16, v17, -2
	v_sub_f32_e32 v17, v18, v16
	v_sub_f32_e32 v18, v18, v17
	;; [unrolled: 1-line block ×3, first 2 shown]
	v_ldexp_f32 v15, v15, -2
	v_add_f32_e32 v14, v14, v16
	v_cvt_f32_f16_e32 v16, v5
	v_sub_f32_e32 v14, v14, v15
	v_add_f32_e32 v14, v17, v14
	v_cmp_ngt_f32_e64 vcc, |v13|, s7
	v_cndmask_b32_e32 v14, v9, v14, vcc
	v_cmp_lt_f32_e64 s[10:11], |v13|, s8
	v_cndmask_b32_e64 v13, v14, |v13|, s[10:11]
	v_add_f32_e64 v14, |v16|, s6
	v_sub_f32_e64 v15, v14, |v16|
	v_sub_f32_e32 v17, v15, v14
	v_add_f32_e64 v17, |v16|, v17
	v_add_f32_e32 v15, 0x3f317218, v15
	v_sub_f32_e32 v15, v17, v15
	v_add_f32_e32 v15, 0x3102e308, v15
	v_add_f32_e32 v17, v14, v15
	v_sub_f32_e32 v14, v14, v17
	v_add_f32_e32 v14, v15, v14
	v_mul_f32_e32 v15, 0x3fb8aa3b, v17
	v_rndne_f32_e32 v15, v15
	v_fmac_f32_e32 v17, 0xbf317200, v15
	v_add_f32_e32 v18, v14, v17
	v_sub_f32_e32 v17, v17, v18
	v_add_f32_e32 v14, v14, v17
	v_mul_f32_e32 v17, 0x35bfbc00, v15
	v_sub_f32_e32 v19, v18, v17
	v_sub_f32_e32 v18, v18, v19
	v_sub_f32_e32 v17, v18, v17
	v_add_f32_e32 v14, v14, v17
	v_add_f32_e32 v17, v19, v14
	v_sub_f32_e32 v18, v19, v17
	v_add_f32_e32 v14, v14, v18
	v_mul_f32_e32 v18, 0x2ea39ef3, v15
	v_sub_f32_e32 v19, v17, v18
	v_sub_f32_e32 v17, v17, v19
	;; [unrolled: 1-line block ×3, first 2 shown]
	v_add_f32_e32 v14, v14, v17
	v_add_f32_e32 v17, v19, v14
	v_sub_f32_e32 v19, v19, v17
	v_mov_b32_e32 v18, 0x3c091de6
	v_add_f32_e32 v14, v14, v19
	v_mul_f32_e32 v20, v17, v17
	v_fmac_f32_e32 v18, 0x3ab42872, v17
	v_add_f32_e32 v19, v14, v14
	v_fma_f32 v21, v17, v17, -v20
	v_fma_f32 v18, v17, v18, v6
	v_fmac_f32_e32 v21, v17, v19
	v_fma_f32 v18, v17, v18, v7
	v_add_f32_e32 v19, v20, v21
	v_fma_f32 v18, v17, v18, v8
	v_sub_f32_e32 v20, v19, v20
	v_sub_f32_e32 v20, v21, v20
	v_mul_f32_e32 v21, v18, v19
	v_fma_f32 v19, v19, v18, -v21
	v_fmac_f32_e32 v19, v20, v18
	v_add_f32_e32 v18, v21, v19
	v_sub_f32_e32 v20, v18, v21
	v_sub_f32_e32 v19, v19, v20
	v_add_f32_e32 v20, v17, v18
	v_sub_f32_e32 v17, v20, v17
	v_sub_f32_e32 v17, v18, v17
	v_add_f32_e32 v14, v14, v19
	v_add_f32_e32 v14, v14, v17
	;; [unrolled: 1-line block ×3, first 2 shown]
	v_sub_f32_e32 v18, v17, v20
	v_sub_f32_e32 v14, v14, v18
	v_add_f32_e32 v18, 1.0, v17
	v_add_f32_e32 v19, -1.0, v18
	v_cvt_i32_f32_e32 v15, v15
	v_sub_f32_e32 v17, v17, v19
	v_add_f32_e32 v14, v14, v17
	v_add_f32_e32 v17, v18, v14
	v_ldexp_f32 v19, v17, v15
	v_rcp_f32_e32 v20, v19
	v_sub_f32_e32 v17, v17, v18
	v_sub_f32_e32 v14, v14, v17
	v_ldexp_f32 v14, v14, v15
	v_mul_f32_e32 v15, v19, v20
	v_fma_f32 v17, v20, v19, -v15
	v_fmac_f32_e32 v17, v20, v14
	v_add_f32_e32 v18, v15, v17
	v_sub_f32_e32 v21, 1.0, v18
	v_sub_f32_e32 v22, 1.0, v21
	v_sub_f32_e32 v15, v18, v15
	v_sub_f32_e32 v22, v22, v18
	;; [unrolled: 1-line block ×3, first 2 shown]
	v_add_f32_e32 v15, v15, v22
	v_add_f32_e32 v17, v21, v15
	v_mul_f32_e32 v18, v20, v17
	v_mul_f32_e32 v22, v19, v18
	v_fma_f32 v23, v18, v19, -v22
	v_fmac_f32_e32 v23, v18, v14
	v_sub_f32_e32 v21, v21, v17
	v_add_f32_e32 v15, v15, v21
	v_add_f32_e32 v21, v22, v23
	v_sub_f32_e32 v24, v17, v21
	v_sub_f32_e32 v17, v17, v24
	;; [unrolled: 1-line block ×4, first 2 shown]
	v_add_f32_e32 v15, v15, v17
	v_sub_f32_e32 v17, v22, v23
	v_add_f32_e32 v15, v17, v15
	v_add_f32_e32 v15, v24, v15
	;; [unrolled: 1-line block ×3, first 2 shown]
	v_mul_f32_e32 v15, v20, v15
	v_sub_f32_e32 v20, v17, v20
	v_sub_f32_e32 v18, v18, v20
	v_add_f32_e32 v15, v18, v15
	v_add_f32_e32 v18, v17, v15
	v_sub_f32_e32 v17, v18, v17
	v_sub_f32_e32 v15, v15, v17
	v_ldexp_f32 v17, v18, -2
	v_sub_f32_e32 v18, v19, v17
	v_sub_f32_e32 v19, v19, v18
	;; [unrolled: 1-line block ×3, first 2 shown]
	v_lshrrev_b32_e32 v11, 16, v5
	v_ldexp_f32 v15, v15, -2
	v_add_f32_e32 v14, v14, v17
	v_sub_f32_e32 v14, v14, v15
	v_cvt_f32_f16_e32 v15, v11
	v_add_f32_e32 v14, v18, v14
	v_cmp_ngt_f32_e64 vcc, |v16|, s7
	v_cndmask_b32_e32 v14, v9, v14, vcc
	v_cmp_lt_f32_e64 s[10:11], |v16|, s8
	v_cndmask_b32_e64 v14, v14, |v16|, s[10:11]
	v_add_f32_e64 v16, |v15|, s6
	v_sub_f32_e64 v17, v16, |v15|
	v_sub_f32_e32 v18, v17, v16
	v_add_f32_e64 v18, |v15|, v18
	v_add_f32_e32 v17, 0x3f317218, v17
	v_sub_f32_e32 v17, v18, v17
	v_add_f32_e32 v17, 0x3102e308, v17
	v_add_f32_e32 v18, v16, v17
	v_sub_f32_e32 v16, v16, v18
	v_add_f32_e32 v17, v17, v16
	v_mul_f32_e32 v16, 0x3fb8aa3b, v18
	v_rndne_f32_e32 v16, v16
	v_fmac_f32_e32 v18, 0xbf317200, v16
	v_add_f32_e32 v19, v17, v18
	v_sub_f32_e32 v18, v18, v19
	v_add_f32_e32 v17, v17, v18
	v_mul_f32_e32 v18, 0x35bfbc00, v16
	v_sub_f32_e32 v20, v19, v18
	v_sub_f32_e32 v19, v19, v20
	;; [unrolled: 1-line block ×3, first 2 shown]
	v_add_f32_e32 v17, v17, v18
	v_add_f32_e32 v18, v20, v17
	v_sub_f32_e32 v19, v20, v18
	v_add_f32_e32 v17, v17, v19
	v_mul_f32_e32 v19, 0x2ea39ef3, v16
	v_sub_f32_e32 v20, v18, v19
	v_sub_f32_e32 v18, v18, v20
	;; [unrolled: 1-line block ×3, first 2 shown]
	v_add_f32_e32 v17, v17, v18
	v_add_f32_e32 v18, v20, v17
	v_sub_f32_e32 v20, v20, v18
	v_mov_b32_e32 v19, 0x3c091de6
	v_add_f32_e32 v17, v17, v20
	v_mul_f32_e32 v21, v18, v18
	v_fmac_f32_e32 v19, 0x3ab42872, v18
	v_add_f32_e32 v20, v17, v17
	v_fma_f32 v22, v18, v18, -v21
	v_fma_f32 v19, v18, v19, v6
	v_fmac_f32_e32 v22, v18, v20
	v_fma_f32 v19, v18, v19, v7
	v_add_f32_e32 v20, v21, v22
	v_fma_f32 v19, v18, v19, v8
	v_sub_f32_e32 v21, v20, v21
	v_sub_f32_e32 v21, v22, v21
	v_mul_f32_e32 v22, v19, v20
	v_fma_f32 v20, v20, v19, -v22
	v_fmac_f32_e32 v20, v21, v19
	v_add_f32_e32 v19, v22, v20
	v_sub_f32_e32 v21, v19, v22
	v_sub_f32_e32 v20, v20, v21
	v_add_f32_e32 v21, v18, v19
	v_sub_f32_e32 v18, v21, v18
	v_sub_f32_e32 v18, v19, v18
	v_add_f32_e32 v17, v17, v20
	v_add_f32_e32 v17, v17, v18
	v_add_f32_e32 v18, v21, v17
	v_sub_f32_e32 v19, v18, v21
	v_sub_f32_e32 v17, v17, v19
	v_add_f32_e32 v19, 1.0, v18
	v_add_f32_e32 v20, -1.0, v19
	v_cvt_i32_f32_e32 v16, v16
	v_sub_f32_e32 v18, v18, v20
	v_add_f32_e32 v17, v17, v18
	v_add_f32_e32 v18, v19, v17
	v_ldexp_f32 v20, v18, v16
	v_rcp_f32_e32 v21, v20
	v_sub_f32_e32 v18, v18, v19
	v_sub_f32_e32 v17, v17, v18
	v_ldexp_f32 v16, v17, v16
	v_mul_f32_e32 v17, v20, v21
	v_fma_f32 v18, v21, v20, -v17
	v_fmac_f32_e32 v18, v21, v16
	v_add_f32_e32 v19, v17, v18
	v_sub_f32_e32 v22, 1.0, v19
	v_sub_f32_e32 v23, 1.0, v22
	v_sub_f32_e32 v17, v19, v17
	v_sub_f32_e32 v23, v23, v19
	;; [unrolled: 1-line block ×3, first 2 shown]
	v_add_f32_e32 v17, v17, v23
	v_add_f32_e32 v18, v22, v17
	v_mul_f32_e32 v19, v21, v18
	v_mul_f32_e32 v23, v20, v19
	v_fma_f32 v24, v19, v20, -v23
	v_fmac_f32_e32 v24, v19, v16
	v_sub_f32_e32 v22, v22, v18
	v_add_f32_e32 v17, v17, v22
	v_add_f32_e32 v22, v23, v24
	v_sub_f32_e32 v25, v18, v22
	v_sub_f32_e32 v18, v18, v25
	;; [unrolled: 1-line block ×4, first 2 shown]
	v_add_f32_e32 v17, v17, v18
	v_sub_f32_e32 v18, v23, v24
	v_add_f32_e32 v17, v18, v17
	v_add_f32_e32 v17, v25, v17
	;; [unrolled: 1-line block ×3, first 2 shown]
	v_mul_f32_e32 v17, v21, v17
	v_sub_f32_e32 v21, v18, v21
	v_sub_f32_e32 v19, v19, v21
	v_add_f32_e32 v17, v19, v17
	v_add_f32_e32 v19, v18, v17
	v_sub_f32_e32 v18, v19, v18
	v_sub_f32_e32 v17, v17, v18
	v_ldexp_f32 v18, v19, -2
	v_sub_f32_e32 v19, v20, v18
	v_sub_f32_e32 v20, v20, v19
	;; [unrolled: 1-line block ×3, first 2 shown]
	v_ldexp_f32 v17, v17, -2
	v_add_f32_e32 v16, v16, v18
	v_sub_f32_e32 v16, v16, v17
	v_add_f32_e32 v16, v19, v16
	v_cmp_ngt_f32_e64 vcc, |v15|, s7
	v_cndmask_b32_e32 v16, v9, v16, vcc
	v_cmp_lt_f32_e64 s[10:11], |v15|, s8
	v_cndmask_b32_e64 v15, v16, |v15|, s[10:11]
	v_cvt_f16_f32_e32 v12, v12
	v_cvt_f16_f32_e32 v13, v13
	;; [unrolled: 1-line block ×4, first 2 shown]
	v_add_co_u32_e32 v0, vcc, s4, v0
	v_bfi_b32 v4, s9, v12, v4
	v_bfi_b32 v12, s9, v13, v10
	;; [unrolled: 1-line block ×4, first 2 shown]
	v_addc_co_u32_e32 v1, vcc, 0, v1, vcc
	v_pack_b32_f16 v5, v5, v10
	v_lshlrev_b64 v[10:11], 2, v[0:1]
	v_pack_b32_f16 v4, v4, v12
	v_cmp_le_i64_e32 vcc, s[0:1], v[10:11]
	global_store_dwordx2 v[2:3], v[4:5], off offset:-4
	s_or_b64 s[2:3], vcc, s[2:3]
	v_add_co_u32_e32 v2, vcc, s5, v2
	v_addc_co_u32_e32 v3, vcc, 0, v3, vcc
	s_andn2_b64 exec, exec, s[2:3]
	s_cbranch_execnz .LBB127_24
.LBB127_25:
	s_endpgm
	.section	.rodata,"a",@progbits
	.p2align	6, 0x0
	.amdhsa_kernel _ZN2at6native12_GLOBAL__N_125multi_tensor_apply_kernelINS1_18TensorListMetadataILi1EEENS1_14UnaryOpFunctorIN3c104HalfELi1ELi1ELi0EEEJNS0_4SinhIfEEEEEvT_T0_DpT1_
		.amdhsa_group_segment_fixed_size 0
		.amdhsa_private_segment_fixed_size 0
		.amdhsa_kernarg_size 3632
		.amdhsa_user_sgpr_count 6
		.amdhsa_user_sgpr_private_segment_buffer 1
		.amdhsa_user_sgpr_dispatch_ptr 0
		.amdhsa_user_sgpr_queue_ptr 0
		.amdhsa_user_sgpr_kernarg_segment_ptr 1
		.amdhsa_user_sgpr_dispatch_id 0
		.amdhsa_user_sgpr_flat_scratch_init 0
		.amdhsa_user_sgpr_private_segment_size 0
		.amdhsa_uses_dynamic_stack 0
		.amdhsa_system_sgpr_private_segment_wavefront_offset 0
		.amdhsa_system_sgpr_workgroup_id_x 1
		.amdhsa_system_sgpr_workgroup_id_y 0
		.amdhsa_system_sgpr_workgroup_id_z 0
		.amdhsa_system_sgpr_workgroup_info 0
		.amdhsa_system_vgpr_workitem_id 0
		.amdhsa_next_free_vgpr 30
		.amdhsa_next_free_sgpr 31
		.amdhsa_reserve_vcc 1
		.amdhsa_reserve_flat_scratch 0
		.amdhsa_float_round_mode_32 0
		.amdhsa_float_round_mode_16_64 0
		.amdhsa_float_denorm_mode_32 3
		.amdhsa_float_denorm_mode_16_64 3
		.amdhsa_dx10_clamp 1
		.amdhsa_ieee_mode 1
		.amdhsa_fp16_overflow 0
		.amdhsa_exception_fp_ieee_invalid_op 0
		.amdhsa_exception_fp_denorm_src 0
		.amdhsa_exception_fp_ieee_div_zero 0
		.amdhsa_exception_fp_ieee_overflow 0
		.amdhsa_exception_fp_ieee_underflow 0
		.amdhsa_exception_fp_ieee_inexact 0
		.amdhsa_exception_int_div_zero 0
	.end_amdhsa_kernel
	.section	.text._ZN2at6native12_GLOBAL__N_125multi_tensor_apply_kernelINS1_18TensorListMetadataILi1EEENS1_14UnaryOpFunctorIN3c104HalfELi1ELi1ELi0EEEJNS0_4SinhIfEEEEEvT_T0_DpT1_,"axG",@progbits,_ZN2at6native12_GLOBAL__N_125multi_tensor_apply_kernelINS1_18TensorListMetadataILi1EEENS1_14UnaryOpFunctorIN3c104HalfELi1ELi1ELi0EEEJNS0_4SinhIfEEEEEvT_T0_DpT1_,comdat
.Lfunc_end127:
	.size	_ZN2at6native12_GLOBAL__N_125multi_tensor_apply_kernelINS1_18TensorListMetadataILi1EEENS1_14UnaryOpFunctorIN3c104HalfELi1ELi1ELi0EEEJNS0_4SinhIfEEEEEvT_T0_DpT1_, .Lfunc_end127-_ZN2at6native12_GLOBAL__N_125multi_tensor_apply_kernelINS1_18TensorListMetadataILi1EEENS1_14UnaryOpFunctorIN3c104HalfELi1ELi1ELi0EEEJNS0_4SinhIfEEEEEvT_T0_DpT1_
                                        ; -- End function
	.set _ZN2at6native12_GLOBAL__N_125multi_tensor_apply_kernelINS1_18TensorListMetadataILi1EEENS1_14UnaryOpFunctorIN3c104HalfELi1ELi1ELi0EEEJNS0_4SinhIfEEEEEvT_T0_DpT1_.num_vgpr, 30
	.set _ZN2at6native12_GLOBAL__N_125multi_tensor_apply_kernelINS1_18TensorListMetadataILi1EEENS1_14UnaryOpFunctorIN3c104HalfELi1ELi1ELi0EEEJNS0_4SinhIfEEEEEvT_T0_DpT1_.num_agpr, 0
	.set _ZN2at6native12_GLOBAL__N_125multi_tensor_apply_kernelINS1_18TensorListMetadataILi1EEENS1_14UnaryOpFunctorIN3c104HalfELi1ELi1ELi0EEEJNS0_4SinhIfEEEEEvT_T0_DpT1_.numbered_sgpr, 31
	.set _ZN2at6native12_GLOBAL__N_125multi_tensor_apply_kernelINS1_18TensorListMetadataILi1EEENS1_14UnaryOpFunctorIN3c104HalfELi1ELi1ELi0EEEJNS0_4SinhIfEEEEEvT_T0_DpT1_.num_named_barrier, 0
	.set _ZN2at6native12_GLOBAL__N_125multi_tensor_apply_kernelINS1_18TensorListMetadataILi1EEENS1_14UnaryOpFunctorIN3c104HalfELi1ELi1ELi0EEEJNS0_4SinhIfEEEEEvT_T0_DpT1_.private_seg_size, 0
	.set _ZN2at6native12_GLOBAL__N_125multi_tensor_apply_kernelINS1_18TensorListMetadataILi1EEENS1_14UnaryOpFunctorIN3c104HalfELi1ELi1ELi0EEEJNS0_4SinhIfEEEEEvT_T0_DpT1_.uses_vcc, 1
	.set _ZN2at6native12_GLOBAL__N_125multi_tensor_apply_kernelINS1_18TensorListMetadataILi1EEENS1_14UnaryOpFunctorIN3c104HalfELi1ELi1ELi0EEEJNS0_4SinhIfEEEEEvT_T0_DpT1_.uses_flat_scratch, 0
	.set _ZN2at6native12_GLOBAL__N_125multi_tensor_apply_kernelINS1_18TensorListMetadataILi1EEENS1_14UnaryOpFunctorIN3c104HalfELi1ELi1ELi0EEEJNS0_4SinhIfEEEEEvT_T0_DpT1_.has_dyn_sized_stack, 0
	.set _ZN2at6native12_GLOBAL__N_125multi_tensor_apply_kernelINS1_18TensorListMetadataILi1EEENS1_14UnaryOpFunctorIN3c104HalfELi1ELi1ELi0EEEJNS0_4SinhIfEEEEEvT_T0_DpT1_.has_recursion, 0
	.set _ZN2at6native12_GLOBAL__N_125multi_tensor_apply_kernelINS1_18TensorListMetadataILi1EEENS1_14UnaryOpFunctorIN3c104HalfELi1ELi1ELi0EEEJNS0_4SinhIfEEEEEvT_T0_DpT1_.has_indirect_call, 0
	.section	.AMDGPU.csdata,"",@progbits
; Kernel info:
; codeLenInByte = 5704
; TotalNumSgprs: 35
; NumVgprs: 30
; ScratchSize: 0
; MemoryBound: 0
; FloatMode: 240
; IeeeMode: 1
; LDSByteSize: 0 bytes/workgroup (compile time only)
; SGPRBlocks: 4
; VGPRBlocks: 7
; NumSGPRsForWavesPerEU: 35
; NumVGPRsForWavesPerEU: 30
; Occupancy: 8
; WaveLimiterHint : 0
; COMPUTE_PGM_RSRC2:SCRATCH_EN: 0
; COMPUTE_PGM_RSRC2:USER_SGPR: 6
; COMPUTE_PGM_RSRC2:TRAP_HANDLER: 0
; COMPUTE_PGM_RSRC2:TGID_X_EN: 1
; COMPUTE_PGM_RSRC2:TGID_Y_EN: 0
; COMPUTE_PGM_RSRC2:TGID_Z_EN: 0
; COMPUTE_PGM_RSRC2:TIDIG_COMP_CNT: 0
	.section	.text._ZN2at6native12_GLOBAL__N_125multi_tensor_apply_kernelINS1_18TensorListMetadataILi1EEENS1_14UnaryOpFunctorIN3c108BFloat16ELi1ELi1ELi0EEEJNS0_4SinhIfEEEEEvT_T0_DpT1_,"axG",@progbits,_ZN2at6native12_GLOBAL__N_125multi_tensor_apply_kernelINS1_18TensorListMetadataILi1EEENS1_14UnaryOpFunctorIN3c108BFloat16ELi1ELi1ELi0EEEJNS0_4SinhIfEEEEEvT_T0_DpT1_,comdat
	.globl	_ZN2at6native12_GLOBAL__N_125multi_tensor_apply_kernelINS1_18TensorListMetadataILi1EEENS1_14UnaryOpFunctorIN3c108BFloat16ELi1ELi1ELi0EEEJNS0_4SinhIfEEEEEvT_T0_DpT1_ ; -- Begin function _ZN2at6native12_GLOBAL__N_125multi_tensor_apply_kernelINS1_18TensorListMetadataILi1EEENS1_14UnaryOpFunctorIN3c108BFloat16ELi1ELi1ELi0EEEJNS0_4SinhIfEEEEEvT_T0_DpT1_
	.p2align	8
	.type	_ZN2at6native12_GLOBAL__N_125multi_tensor_apply_kernelINS1_18TensorListMetadataILi1EEENS1_14UnaryOpFunctorIN3c108BFloat16ELi1ELi1ELi0EEEJNS0_4SinhIfEEEEEvT_T0_DpT1_,@function
_ZN2at6native12_GLOBAL__N_125multi_tensor_apply_kernelINS1_18TensorListMetadataILi1EEENS1_14UnaryOpFunctorIN3c108BFloat16ELi1ELi1ELi0EEEJNS0_4SinhIfEEEEEvT_T0_DpT1_: ; @_ZN2at6native12_GLOBAL__N_125multi_tensor_apply_kernelINS1_18TensorListMetadataILi1EEENS1_14UnaryOpFunctorIN3c108BFloat16ELi1ELi1ELi0EEEJNS0_4SinhIfEEEEEvT_T0_DpT1_
; %bb.0:
	v_mov_b32_e32 v1, s6
	global_load_ubyte v1, v1, s[4:5] offset:1760
	s_add_u32 s0, s4, s6
	s_mul_hi_u32 s1, s6, 3
	s_mul_i32 s6, s6, 3
	s_addc_u32 s2, s5, 0
	s_add_u32 s0, s0, s6
	s_addc_u32 s1, s2, s1
	s_load_dword s0, s[0:1], 0x820
	s_mov_b32 s7, 0
	s_waitcnt vmcnt(0)
	v_readfirstlane_b32 s1, v1
	s_lshl_b32 s1, s1, 3
	s_load_dwordx2 s[2:3], s[4:5], s1 offset:0x370
	s_load_dwordx2 s[10:11], s[4:5], s1 offset:0x0
	s_waitcnt lgkmcnt(0)
	s_ashr_i32 s1, s0, 31
	s_lshl_b64 s[12:13], s[0:1], 17
	s_lshl_b64 s[0:1], s[0:1], 16
	s_and_b32 s6, s10, 7
	s_sub_u32 s14, s2, s0
	s_subb_u32 s15, s3, s1
	s_and_b32 s0, s2, 3
	s_mov_b32 s1, s7
	s_or_b64 s[0:1], s[6:7], s[0:1]
	s_cmp_eq_u64 s[0:1], 0
	s_cbranch_scc1 .LBB128_21
; %bb.1:
	v_cmp_lt_i64_e64 s[0:1], s[14:15], 1
	s_and_b64 vcc, exec, s[0:1]
	s_cbranch_vccnz .LBB128_20
; %bb.2:
	v_mov_b32_e32 v1, 0x10000
	s_load_dword s2, s[4:5], 0xd3c
	v_mov_b32_e32 v2, 0
	v_cmp_lt_i64_e32 vcc, s[14:15], v[1:2]
	s_mov_b64 s[20:21], 0
	s_and_b64 s[0:1], vcc, exec
	v_cmp_lt_u64_e32 vcc, s[14:15], v[1:2]
	s_cselect_b32 s17, s15, 0
	s_cselect_b32 s16, s14, 0x10000
	s_waitcnt lgkmcnt(0)
	s_and_b32 s2, s2, 0xffff
	s_and_b64 s[0:1], vcc, exec
	s_cselect_b32 s19, s15, 0
	s_cselect_b32 s18, s14, 0x10000
	s_lshl_b32 s3, s2, 1
	s_lshl_b32 s24, s2, 2
	s_add_u32 s6, s10, s12
	v_lshlrev_b32_e32 v1, 1, v0
	s_addc_u32 s7, s11, s13
	v_mov_b32_e32 v2, s7
	v_add_co_u32_e32 v1, vcc, s6, v1
	s_mul_i32 s0, s2, 3
	v_addc_co_u32_e32 v2, vcc, 0, v2, vcc
	v_add_co_u32_e32 v5, vcc, s0, v0
	v_addc_co_u32_e64 v6, s[0:1], 0, 0, vcc
	v_add_co_u32_e32 v7, vcc, s3, v0
	v_addc_co_u32_e64 v8, s[0:1], 0, 0, vcc
	v_add_co_u32_e32 v9, vcc, s2, v0
	v_lshlrev_b32_e32 v3, 1, v9
	v_addc_co_u32_e64 v10, s[0:1], 0, 0, vcc
	v_mov_b32_e32 v4, s7
	v_add_co_u32_e32 v3, vcc, s6, v3
	s_lshl_b32 s25, s2, 3
	s_mul_i32 s26, s2, 6
	v_addc_co_u32_e32 v4, vcc, 0, v4, vcc
	s_mov_b32 s27, 0x39800000
	s_mov_b32 s28, 0xbf317218
	v_mov_b32_e32 v11, 0x3d2aadcc
	v_mov_b32_e32 v12, 0x3e2aaa47
	;; [unrolled: 1-line block ×3, first 2 shown]
	s_mov_b32 s29, 0x42b2d4fc
	s_brev_b32 s30, -2
	s_movk_i32 s31, 0x7fff
	v_mov_b32_e32 v14, 0x7f800000
	v_mov_b32_e32 v15, 0x7fc0
	s_branch .LBB128_4
.LBB128_3:                              ;   in Loop: Header=BB128_4 Depth=1
	s_or_b64 exec, exec, s[2:3]
	s_add_u32 s20, s20, s24
	v_add_co_u32_e32 v1, vcc, s25, v1
	v_mov_b32_e32 v16, s16
	s_addc_u32 s21, s21, 0
	v_addc_co_u32_e32 v2, vcc, 0, v2, vcc
	v_mov_b32_e32 v17, s17
	v_cmp_lt_i64_e32 vcc, s[20:21], v[16:17]
	v_add_co_u32_e64 v3, s[0:1], s25, v3
	v_addc_co_u32_e64 v4, s[0:1], 0, v4, s[0:1]
	s_cbranch_vccz .LBB128_20
.LBB128_4:                              ; =>This Inner Loop Header: Depth=1
	v_mov_b32_e32 v17, s21
	v_add_co_u32_e32 v16, vcc, s20, v0
	v_addc_co_u32_e32 v17, vcc, 0, v17, vcc
	v_cmp_gt_u64_e32 vcc, s[18:19], v[16:17]
	v_mov_b32_e32 v19, 0
	s_and_saveexec_b64 s[0:1], vcc
	s_cbranch_execz .LBB128_6
; %bb.5:                                ;   in Loop: Header=BB128_4 Depth=1
	global_load_ushort v16, v[1:2], off
	s_waitcnt vmcnt(0)
	v_lshlrev_b32_e32 v19, 16, v16
.LBB128_6:                              ;   in Loop: Header=BB128_4 Depth=1
	s_or_b64 exec, exec, s[0:1]
	v_mov_b32_e32 v17, s21
	v_add_co_u32_e64 v16, s[0:1], s20, v9
	v_addc_co_u32_e64 v17, s[0:1], v10, v17, s[0:1]
	v_cmp_gt_u64_e64 s[6:7], s[18:19], v[16:17]
	v_mov_b32_e32 v17, 0
	v_mov_b32_e32 v18, 0
	s_and_saveexec_b64 s[0:1], s[6:7]
	s_cbranch_execz .LBB128_8
; %bb.7:                                ;   in Loop: Header=BB128_4 Depth=1
	global_load_ushort v16, v[3:4], off
	s_waitcnt vmcnt(0)
	v_lshlrev_b32_e32 v18, 16, v16
.LBB128_8:                              ;   in Loop: Header=BB128_4 Depth=1
	s_or_b64 exec, exec, s[0:1]
	v_mov_b32_e32 v16, s21
	v_add_co_u32_e64 v20, s[0:1], s20, v7
	v_addc_co_u32_e64 v21, s[0:1], v8, v16, s[0:1]
	v_cmp_gt_u64_e64 s[2:3], s[18:19], v[20:21]
	s_and_saveexec_b64 s[8:9], s[2:3]
	s_cbranch_execz .LBB128_10
; %bb.9:                                ;   in Loop: Header=BB128_4 Depth=1
	v_add_co_u32_e64 v16, s[0:1], s24, v1
	v_addc_co_u32_e64 v17, s[0:1], 0, v2, s[0:1]
	global_load_ushort v16, v[16:17], off
	s_waitcnt vmcnt(0)
	v_lshlrev_b32_e32 v17, 16, v16
.LBB128_10:                             ;   in Loop: Header=BB128_4 Depth=1
	s_or_b64 exec, exec, s[8:9]
	v_mov_b32_e32 v16, s21
	v_add_co_u32_e64 v20, s[0:1], s20, v5
	v_addc_co_u32_e64 v21, s[0:1], v6, v16, s[0:1]
	v_cmp_gt_u64_e64 s[0:1], s[18:19], v[20:21]
	v_mov_b32_e32 v16, 0
	s_and_saveexec_b64 s[22:23], s[0:1]
	s_cbranch_execnz .LBB128_15
; %bb.11:                               ;   in Loop: Header=BB128_4 Depth=1
	s_or_b64 exec, exec, s[22:23]
	s_and_saveexec_b64 s[8:9], vcc
	s_cbranch_execnz .LBB128_16
.LBB128_12:                             ;   in Loop: Header=BB128_4 Depth=1
	s_or_b64 exec, exec, s[8:9]
	s_and_saveexec_b64 s[8:9], s[6:7]
	s_cbranch_execnz .LBB128_17
.LBB128_13:                             ;   in Loop: Header=BB128_4 Depth=1
	s_or_b64 exec, exec, s[8:9]
	s_and_saveexec_b64 s[6:7], s[2:3]
	s_cbranch_execnz .LBB128_18
.LBB128_14:                             ;   in Loop: Header=BB128_4 Depth=1
	s_or_b64 exec, exec, s[6:7]
	s_and_saveexec_b64 s[2:3], s[0:1]
	s_cbranch_execz .LBB128_3
	s_branch .LBB128_19
.LBB128_15:                             ;   in Loop: Header=BB128_4 Depth=1
	v_add_co_u32_e64 v20, s[8:9], s26, v1
	v_addc_co_u32_e64 v21, s[8:9], 0, v2, s[8:9]
	global_load_ushort v16, v[20:21], off
	s_waitcnt vmcnt(0)
	v_lshlrev_b32_e32 v16, 16, v16
	s_or_b64 exec, exec, s[22:23]
	s_and_saveexec_b64 s[8:9], vcc
	s_cbranch_execz .LBB128_12
.LBB128_16:                             ;   in Loop: Header=BB128_4 Depth=1
	v_add_f32_e64 v20, |v19|, s28
	v_sub_f32_e64 v21, v20, |v19|
	v_sub_f32_e32 v22, v21, v20
	v_add_f32_e64 v22, |v19|, v22
	v_add_f32_e32 v21, 0x3f317218, v21
	v_sub_f32_e32 v21, v22, v21
	v_add_f32_e32 v21, 0x3102e308, v21
	v_add_f32_e32 v22, v20, v21
	v_sub_f32_e32 v20, v20, v22
	v_add_f32_e32 v20, v21, v20
	v_mul_f32_e32 v21, 0x3fb8aa3b, v22
	v_rndne_f32_e32 v21, v21
	v_fmac_f32_e32 v22, 0xbf317200, v21
	v_add_f32_e32 v23, v20, v22
	v_mul_f32_e32 v24, 0x35bfbc00, v21
	v_sub_f32_e32 v25, v23, v24
	v_sub_f32_e32 v22, v22, v23
	v_add_f32_e32 v20, v20, v22
	v_sub_f32_e32 v22, v23, v25
	v_sub_f32_e32 v22, v22, v24
	v_add_f32_e32 v20, v20, v22
	v_add_f32_e32 v22, v25, v20
	v_mul_f32_e32 v23, 0x2ea39ef3, v21
	v_sub_f32_e32 v24, v22, v23
	v_sub_f32_e32 v25, v25, v22
	v_sub_f32_e32 v22, v22, v24
	v_add_f32_e32 v20, v20, v25
	v_sub_f32_e32 v22, v22, v23
	v_add_f32_e32 v20, v20, v22
	v_add_f32_e32 v22, v24, v20
	v_mov_b32_e32 v23, 0x3c091de6
	v_sub_f32_e32 v24, v24, v22
	v_fmac_f32_e32 v23, 0x3ab42872, v22
	v_mul_f32_e32 v25, v22, v22
	v_add_f32_e32 v20, v20, v24
	v_fma_f32 v23, v22, v23, v11
	v_add_f32_e32 v24, v20, v20
	v_fma_f32 v26, v22, v22, -v25
	v_fma_f32 v23, v22, v23, v12
	v_fmac_f32_e32 v26, v22, v24
	v_fma_f32 v23, v22, v23, v13
	v_add_f32_e32 v24, v25, v26
	v_mul_f32_e32 v27, v23, v24
	v_sub_f32_e32 v25, v24, v25
	v_sub_f32_e32 v25, v26, v25
	v_fma_f32 v24, v24, v23, -v27
	v_fmac_f32_e32 v24, v25, v23
	v_add_f32_e32 v23, v27, v24
	v_add_f32_e32 v25, v22, v23
	v_sub_f32_e32 v26, v23, v27
	v_sub_f32_e32 v24, v24, v26
	;; [unrolled: 1-line block ×3, first 2 shown]
	v_add_f32_e32 v20, v20, v24
	v_sub_f32_e32 v22, v23, v22
	v_add_f32_e32 v20, v20, v22
	v_add_f32_e32 v22, v25, v20
	v_add_f32_e32 v23, 1.0, v22
	v_sub_f32_e32 v24, v22, v25
	v_sub_f32_e32 v20, v20, v24
	v_add_f32_e32 v24, -1.0, v23
	v_cvt_i32_f32_e32 v21, v21
	v_sub_f32_e32 v22, v22, v24
	v_add_f32_e32 v20, v20, v22
	v_add_f32_e32 v22, v23, v20
	v_ldexp_f32 v24, v22, v21
	v_rcp_f32_e32 v25, v24
	v_sub_f32_e32 v22, v22, v23
	v_sub_f32_e32 v20, v20, v22
	v_ldexp_f32 v20, v20, v21
	v_mul_f32_e32 v26, v24, v25
	v_fma_f32 v21, v25, v24, -v26
	v_fmac_f32_e32 v21, v25, v20
	v_add_f32_e32 v22, v26, v21
	v_sub_f32_e32 v23, 1.0, v22
	v_sub_f32_e32 v26, v22, v26
	v_sub_f32_e32 v21, v26, v21
	v_sub_f32_e32 v26, 1.0, v23
	v_sub_f32_e32 v22, v26, v22
	v_add_f32_e32 v21, v21, v22
	v_add_f32_e32 v22, v23, v21
	v_mul_f32_e32 v26, v25, v22
	v_mul_f32_e32 v29, v24, v26
	v_add_f32_e32 v27, v25, v26
	v_fma_f32 v30, v26, v24, -v29
	v_sub_f32_e32 v28, v27, v25
	v_fmac_f32_e32 v30, v26, v20
	v_sub_f32_e32 v28, v26, v28
	v_add_f32_e32 v26, v29, v30
	v_sub_f32_e32 v31, v22, v26
	v_sub_f32_e32 v23, v23, v22
	;; [unrolled: 1-line block ×4, first 2 shown]
	v_add_f32_e32 v21, v21, v23
	v_sub_f32_e32 v22, v22, v26
	v_sub_f32_e32 v29, v29, v30
	v_add_f32_e32 v21, v21, v22
	v_add_f32_e32 v21, v29, v21
	;; [unrolled: 1-line block ×3, first 2 shown]
	v_mul_f32_e32 v21, v25, v21
	v_add_f32_e32 v21, v28, v21
	v_add_f32_e32 v22, v27, v21
	v_ldexp_f32 v23, v22, -2
	v_sub_f32_e32 v25, v24, v23
	v_sub_f32_e32 v24, v24, v25
	v_sub_f32_e32 v22, v22, v27
	v_sub_f32_e32 v23, v24, v23
	v_sub_f32_e32 v21, v21, v22
	v_add_f32_e32 v20, v20, v23
	v_ldexp_f32 v21, v21, -2
	v_sub_f32_e32 v20, v20, v21
	v_add_f32_e32 v20, v25, v20
	v_cmp_ngt_f32_e64 vcc, |v19|, s29
	v_cndmask_b32_e32 v20, v14, v20, vcc
	v_cmp_lt_f32_e64 s[22:23], |v19|, s27
	v_cndmask_b32_e64 v20, v20, |v19|, s[22:23]
	v_bfi_b32 v19, s30, v20, v19
	v_bfe_u32 v20, v19, 16, 1
	v_add3_u32 v20, v19, v20, s31
	v_cmp_o_f32_e32 vcc, v19, v19
	v_cndmask_b32_sdwa v19, v15, v20, vcc dst_sel:DWORD dst_unused:UNUSED_PAD src0_sel:DWORD src1_sel:WORD_1
	global_store_short v[1:2], v19, off
	s_or_b64 exec, exec, s[8:9]
	s_and_saveexec_b64 s[8:9], s[6:7]
	s_cbranch_execz .LBB128_13
.LBB128_17:                             ;   in Loop: Header=BB128_4 Depth=1
	v_add_f32_e64 v19, |v18|, s28
	v_sub_f32_e64 v20, v19, |v18|
	v_sub_f32_e32 v21, v20, v19
	v_add_f32_e64 v21, |v18|, v21
	v_add_f32_e32 v20, 0x3f317218, v20
	v_sub_f32_e32 v20, v21, v20
	v_add_f32_e32 v20, 0x3102e308, v20
	v_add_f32_e32 v21, v19, v20
	v_sub_f32_e32 v19, v19, v21
	v_add_f32_e32 v19, v20, v19
	v_mul_f32_e32 v20, 0x3fb8aa3b, v21
	v_rndne_f32_e32 v20, v20
	v_fmac_f32_e32 v21, 0xbf317200, v20
	v_add_f32_e32 v22, v19, v21
	v_sub_f32_e32 v21, v21, v22
	v_add_f32_e32 v19, v19, v21
	v_mul_f32_e32 v21, 0x35bfbc00, v20
	v_sub_f32_e32 v23, v22, v21
	v_sub_f32_e32 v22, v22, v23
	;; [unrolled: 1-line block ×3, first 2 shown]
	v_add_f32_e32 v19, v19, v21
	v_add_f32_e32 v21, v23, v19
	v_sub_f32_e32 v22, v23, v21
	v_add_f32_e32 v19, v19, v22
	v_mul_f32_e32 v22, 0x2ea39ef3, v20
	v_sub_f32_e32 v23, v21, v22
	v_sub_f32_e32 v21, v21, v23
	;; [unrolled: 1-line block ×3, first 2 shown]
	v_add_f32_e32 v19, v19, v21
	v_add_f32_e32 v21, v23, v19
	v_sub_f32_e32 v23, v23, v21
	v_mov_b32_e32 v22, 0x3c091de6
	v_add_f32_e32 v19, v19, v23
	v_mul_f32_e32 v24, v21, v21
	v_fmac_f32_e32 v22, 0x3ab42872, v21
	v_add_f32_e32 v23, v19, v19
	v_fma_f32 v25, v21, v21, -v24
	v_fma_f32 v22, v21, v22, v11
	v_fmac_f32_e32 v25, v21, v23
	v_fma_f32 v22, v21, v22, v12
	v_add_f32_e32 v23, v24, v25
	v_fma_f32 v22, v21, v22, v13
	v_sub_f32_e32 v24, v23, v24
	v_sub_f32_e32 v24, v25, v24
	v_mul_f32_e32 v25, v22, v23
	v_fma_f32 v23, v23, v22, -v25
	v_fmac_f32_e32 v23, v24, v22
	v_add_f32_e32 v22, v25, v23
	v_sub_f32_e32 v24, v22, v25
	v_sub_f32_e32 v23, v23, v24
	v_add_f32_e32 v24, v21, v22
	v_sub_f32_e32 v21, v24, v21
	v_sub_f32_e32 v21, v22, v21
	v_add_f32_e32 v19, v19, v23
	v_add_f32_e32 v19, v19, v21
	;; [unrolled: 1-line block ×3, first 2 shown]
	v_sub_f32_e32 v22, v21, v24
	v_sub_f32_e32 v19, v19, v22
	v_add_f32_e32 v22, 1.0, v21
	v_add_f32_e32 v23, -1.0, v22
	v_cvt_i32_f32_e32 v20, v20
	v_sub_f32_e32 v21, v21, v23
	v_add_f32_e32 v19, v19, v21
	v_add_f32_e32 v21, v22, v19
	v_ldexp_f32 v23, v21, v20
	v_rcp_f32_e32 v24, v23
	v_sub_f32_e32 v21, v21, v22
	v_sub_f32_e32 v19, v19, v21
	v_ldexp_f32 v19, v19, v20
	v_mul_f32_e32 v20, v23, v24
	v_fma_f32 v21, v24, v23, -v20
	v_fmac_f32_e32 v21, v24, v19
	v_add_f32_e32 v22, v20, v21
	v_sub_f32_e32 v25, 1.0, v22
	v_sub_f32_e32 v26, 1.0, v25
	v_sub_f32_e32 v20, v22, v20
	v_sub_f32_e32 v26, v26, v22
	;; [unrolled: 1-line block ×3, first 2 shown]
	v_add_f32_e32 v20, v20, v26
	v_add_f32_e32 v21, v25, v20
	v_mul_f32_e32 v22, v24, v21
	v_mul_f32_e32 v26, v23, v22
	v_fma_f32 v27, v22, v23, -v26
	v_fmac_f32_e32 v27, v22, v19
	v_sub_f32_e32 v25, v25, v21
	v_add_f32_e32 v20, v20, v25
	v_add_f32_e32 v25, v26, v27
	v_sub_f32_e32 v28, v21, v25
	v_sub_f32_e32 v21, v21, v28
	;; [unrolled: 1-line block ×4, first 2 shown]
	v_add_f32_e32 v20, v20, v21
	v_sub_f32_e32 v21, v26, v27
	v_add_f32_e32 v20, v21, v20
	v_add_f32_e32 v20, v28, v20
	;; [unrolled: 1-line block ×3, first 2 shown]
	v_mul_f32_e32 v20, v24, v20
	v_sub_f32_e32 v24, v21, v24
	v_sub_f32_e32 v22, v22, v24
	v_add_f32_e32 v20, v22, v20
	v_add_f32_e32 v22, v21, v20
	v_sub_f32_e32 v21, v22, v21
	v_sub_f32_e32 v20, v20, v21
	v_ldexp_f32 v21, v22, -2
	v_sub_f32_e32 v22, v23, v21
	v_sub_f32_e32 v23, v23, v22
	;; [unrolled: 1-line block ×3, first 2 shown]
	v_ldexp_f32 v20, v20, -2
	v_add_f32_e32 v19, v19, v21
	v_sub_f32_e32 v19, v19, v20
	v_add_f32_e32 v19, v22, v19
	v_cmp_ngt_f32_e64 vcc, |v18|, s29
	v_cndmask_b32_e32 v19, v14, v19, vcc
	v_cmp_lt_f32_e64 s[6:7], |v18|, s27
	v_cndmask_b32_e64 v19, v19, |v18|, s[6:7]
	v_bfi_b32 v18, s30, v19, v18
	v_bfe_u32 v19, v18, 16, 1
	v_add3_u32 v19, v18, v19, s31
	v_cmp_o_f32_e32 vcc, v18, v18
	v_cndmask_b32_sdwa v18, v15, v19, vcc dst_sel:DWORD dst_unused:UNUSED_PAD src0_sel:DWORD src1_sel:WORD_1
	global_store_short v[3:4], v18, off
	s_or_b64 exec, exec, s[8:9]
	s_and_saveexec_b64 s[6:7], s[2:3]
	s_cbranch_execz .LBB128_14
.LBB128_18:                             ;   in Loop: Header=BB128_4 Depth=1
	v_add_f32_e64 v18, |v17|, s28
	v_sub_f32_e64 v19, v18, |v17|
	v_sub_f32_e32 v20, v19, v18
	v_add_f32_e64 v20, |v17|, v20
	v_add_f32_e32 v19, 0x3f317218, v19
	v_sub_f32_e32 v19, v20, v19
	v_add_f32_e32 v19, 0x3102e308, v19
	v_add_f32_e32 v20, v18, v19
	v_sub_f32_e32 v18, v18, v20
	v_add_f32_e32 v18, v19, v18
	v_mul_f32_e32 v19, 0x3fb8aa3b, v20
	v_rndne_f32_e32 v19, v19
	v_fmac_f32_e32 v20, 0xbf317200, v19
	v_add_f32_e32 v21, v18, v20
	v_sub_f32_e32 v20, v20, v21
	v_add_f32_e32 v18, v18, v20
	v_mul_f32_e32 v20, 0x35bfbc00, v19
	v_sub_f32_e32 v22, v21, v20
	v_sub_f32_e32 v21, v21, v22
	;; [unrolled: 1-line block ×3, first 2 shown]
	v_add_f32_e32 v18, v18, v20
	v_add_f32_e32 v20, v22, v18
	v_sub_f32_e32 v21, v22, v20
	v_add_f32_e32 v18, v18, v21
	v_mul_f32_e32 v21, 0x2ea39ef3, v19
	v_sub_f32_e32 v22, v20, v21
	v_sub_f32_e32 v20, v20, v22
	;; [unrolled: 1-line block ×3, first 2 shown]
	v_add_f32_e32 v18, v18, v20
	v_add_f32_e32 v20, v22, v18
	v_sub_f32_e32 v22, v22, v20
	v_mov_b32_e32 v21, 0x3c091de6
	v_add_f32_e32 v18, v18, v22
	v_mul_f32_e32 v23, v20, v20
	v_fmac_f32_e32 v21, 0x3ab42872, v20
	v_add_f32_e32 v22, v18, v18
	v_fma_f32 v24, v20, v20, -v23
	v_fma_f32 v21, v20, v21, v11
	v_fmac_f32_e32 v24, v20, v22
	v_fma_f32 v21, v20, v21, v12
	v_add_f32_e32 v22, v23, v24
	v_fma_f32 v21, v20, v21, v13
	v_sub_f32_e32 v23, v22, v23
	v_sub_f32_e32 v23, v24, v23
	v_mul_f32_e32 v24, v21, v22
	v_fma_f32 v22, v22, v21, -v24
	v_fmac_f32_e32 v22, v23, v21
	v_add_f32_e32 v21, v24, v22
	v_sub_f32_e32 v23, v21, v24
	v_sub_f32_e32 v22, v22, v23
	v_add_f32_e32 v23, v20, v21
	v_sub_f32_e32 v20, v23, v20
	v_sub_f32_e32 v20, v21, v20
	v_add_f32_e32 v18, v18, v22
	v_add_f32_e32 v18, v18, v20
	;; [unrolled: 1-line block ×3, first 2 shown]
	v_sub_f32_e32 v21, v20, v23
	v_sub_f32_e32 v18, v18, v21
	v_add_f32_e32 v21, 1.0, v20
	v_add_f32_e32 v22, -1.0, v21
	v_cvt_i32_f32_e32 v19, v19
	v_sub_f32_e32 v20, v20, v22
	v_add_f32_e32 v18, v18, v20
	v_add_f32_e32 v20, v21, v18
	v_ldexp_f32 v22, v20, v19
	v_rcp_f32_e32 v23, v22
	v_sub_f32_e32 v20, v20, v21
	v_sub_f32_e32 v18, v18, v20
	v_ldexp_f32 v18, v18, v19
	v_mul_f32_e32 v19, v22, v23
	v_fma_f32 v20, v23, v22, -v19
	v_fmac_f32_e32 v20, v23, v18
	v_add_f32_e32 v21, v19, v20
	v_sub_f32_e32 v24, 1.0, v21
	v_sub_f32_e32 v25, 1.0, v24
	v_sub_f32_e32 v19, v21, v19
	v_sub_f32_e32 v25, v25, v21
	;; [unrolled: 1-line block ×3, first 2 shown]
	v_add_f32_e32 v19, v19, v25
	v_add_f32_e32 v20, v24, v19
	v_mul_f32_e32 v21, v23, v20
	v_mul_f32_e32 v25, v22, v21
	v_fma_f32 v26, v21, v22, -v25
	v_fmac_f32_e32 v26, v21, v18
	v_sub_f32_e32 v24, v24, v20
	v_add_f32_e32 v19, v19, v24
	v_add_f32_e32 v24, v25, v26
	v_sub_f32_e32 v27, v20, v24
	v_sub_f32_e32 v20, v20, v27
	;; [unrolled: 1-line block ×4, first 2 shown]
	v_add_f32_e32 v19, v19, v20
	v_sub_f32_e32 v20, v25, v26
	v_add_f32_e32 v19, v20, v19
	v_add_f32_e32 v19, v27, v19
	;; [unrolled: 1-line block ×3, first 2 shown]
	v_mul_f32_e32 v19, v23, v19
	v_sub_f32_e32 v23, v20, v23
	v_sub_f32_e32 v21, v21, v23
	v_add_f32_e32 v19, v21, v19
	v_add_f32_e32 v21, v20, v19
	v_sub_f32_e32 v20, v21, v20
	v_sub_f32_e32 v19, v19, v20
	v_ldexp_f32 v20, v21, -2
	v_sub_f32_e32 v21, v22, v20
	v_sub_f32_e32 v22, v22, v21
	;; [unrolled: 1-line block ×3, first 2 shown]
	v_ldexp_f32 v19, v19, -2
	v_add_f32_e32 v18, v18, v20
	v_sub_f32_e32 v18, v18, v19
	v_add_f32_e32 v18, v21, v18
	v_cmp_ngt_f32_e64 vcc, |v17|, s29
	v_cndmask_b32_e32 v18, v14, v18, vcc
	v_cmp_lt_f32_e64 s[2:3], |v17|, s27
	v_cndmask_b32_e64 v18, v18, |v17|, s[2:3]
	v_bfi_b32 v17, s30, v18, v17
	v_bfe_u32 v18, v17, 16, 1
	v_add3_u32 v18, v17, v18, s31
	v_cmp_o_f32_e32 vcc, v17, v17
	v_cndmask_b32_sdwa v19, v15, v18, vcc dst_sel:DWORD dst_unused:UNUSED_PAD src0_sel:DWORD src1_sel:WORD_1
	v_add_co_u32_e32 v17, vcc, s24, v1
	v_addc_co_u32_e32 v18, vcc, 0, v2, vcc
	global_store_short v[17:18], v19, off
	s_or_b64 exec, exec, s[6:7]
	s_and_saveexec_b64 s[2:3], s[0:1]
	s_cbranch_execz .LBB128_3
.LBB128_19:                             ;   in Loop: Header=BB128_4 Depth=1
	v_add_f32_e64 v17, |v16|, s28
	v_sub_f32_e64 v18, v17, |v16|
	v_sub_f32_e32 v19, v18, v17
	v_add_f32_e64 v19, |v16|, v19
	v_add_f32_e32 v18, 0x3f317218, v18
	v_sub_f32_e32 v18, v19, v18
	v_add_f32_e32 v18, 0x3102e308, v18
	v_add_f32_e32 v19, v17, v18
	v_sub_f32_e32 v17, v17, v19
	v_add_f32_e32 v17, v18, v17
	v_mul_f32_e32 v18, 0x3fb8aa3b, v19
	v_rndne_f32_e32 v18, v18
	v_fmac_f32_e32 v19, 0xbf317200, v18
	v_add_f32_e32 v20, v17, v19
	v_sub_f32_e32 v19, v19, v20
	v_add_f32_e32 v17, v17, v19
	v_mul_f32_e32 v19, 0x35bfbc00, v18
	v_sub_f32_e32 v21, v20, v19
	v_sub_f32_e32 v20, v20, v21
	;; [unrolled: 1-line block ×3, first 2 shown]
	v_add_f32_e32 v17, v17, v19
	v_add_f32_e32 v19, v21, v17
	v_sub_f32_e32 v20, v21, v19
	v_add_f32_e32 v17, v17, v20
	v_mul_f32_e32 v20, 0x2ea39ef3, v18
	v_sub_f32_e32 v21, v19, v20
	v_sub_f32_e32 v19, v19, v21
	;; [unrolled: 1-line block ×3, first 2 shown]
	v_add_f32_e32 v17, v17, v19
	v_add_f32_e32 v19, v21, v17
	v_sub_f32_e32 v21, v21, v19
	v_mov_b32_e32 v20, 0x3c091de6
	v_add_f32_e32 v17, v17, v21
	v_mul_f32_e32 v22, v19, v19
	v_fmac_f32_e32 v20, 0x3ab42872, v19
	v_add_f32_e32 v21, v17, v17
	v_fma_f32 v23, v19, v19, -v22
	v_fma_f32 v20, v19, v20, v11
	v_fmac_f32_e32 v23, v19, v21
	v_fma_f32 v20, v19, v20, v12
	v_add_f32_e32 v21, v22, v23
	v_fma_f32 v20, v19, v20, v13
	v_sub_f32_e32 v22, v21, v22
	v_sub_f32_e32 v22, v23, v22
	v_mul_f32_e32 v23, v20, v21
	v_fma_f32 v21, v21, v20, -v23
	v_fmac_f32_e32 v21, v22, v20
	v_add_f32_e32 v20, v23, v21
	v_sub_f32_e32 v22, v20, v23
	v_sub_f32_e32 v21, v21, v22
	v_add_f32_e32 v22, v19, v20
	v_sub_f32_e32 v19, v22, v19
	v_sub_f32_e32 v19, v20, v19
	v_add_f32_e32 v17, v17, v21
	v_add_f32_e32 v17, v17, v19
	;; [unrolled: 1-line block ×3, first 2 shown]
	v_sub_f32_e32 v20, v19, v22
	v_sub_f32_e32 v17, v17, v20
	v_add_f32_e32 v20, 1.0, v19
	v_add_f32_e32 v21, -1.0, v20
	v_cvt_i32_f32_e32 v18, v18
	v_sub_f32_e32 v19, v19, v21
	v_add_f32_e32 v17, v17, v19
	v_add_f32_e32 v19, v20, v17
	v_ldexp_f32 v21, v19, v18
	v_rcp_f32_e32 v22, v21
	v_sub_f32_e32 v19, v19, v20
	v_sub_f32_e32 v17, v17, v19
	v_ldexp_f32 v17, v17, v18
	v_mul_f32_e32 v18, v21, v22
	v_fma_f32 v19, v22, v21, -v18
	v_fmac_f32_e32 v19, v22, v17
	v_add_f32_e32 v20, v18, v19
	v_sub_f32_e32 v23, 1.0, v20
	v_sub_f32_e32 v24, 1.0, v23
	v_sub_f32_e32 v18, v20, v18
	v_sub_f32_e32 v24, v24, v20
	;; [unrolled: 1-line block ×3, first 2 shown]
	v_add_f32_e32 v18, v18, v24
	v_add_f32_e32 v19, v23, v18
	v_mul_f32_e32 v20, v22, v19
	v_mul_f32_e32 v24, v21, v20
	v_fma_f32 v25, v20, v21, -v24
	v_fmac_f32_e32 v25, v20, v17
	v_sub_f32_e32 v23, v23, v19
	v_add_f32_e32 v18, v18, v23
	v_add_f32_e32 v23, v24, v25
	v_sub_f32_e32 v26, v19, v23
	v_sub_f32_e32 v19, v19, v26
	;; [unrolled: 1-line block ×4, first 2 shown]
	v_add_f32_e32 v18, v18, v19
	v_sub_f32_e32 v19, v24, v25
	v_add_f32_e32 v18, v19, v18
	v_add_f32_e32 v18, v26, v18
	;; [unrolled: 1-line block ×3, first 2 shown]
	v_mul_f32_e32 v18, v22, v18
	v_sub_f32_e32 v22, v19, v22
	v_sub_f32_e32 v20, v20, v22
	v_add_f32_e32 v18, v20, v18
	v_add_f32_e32 v20, v19, v18
	v_sub_f32_e32 v19, v20, v19
	v_sub_f32_e32 v18, v18, v19
	v_ldexp_f32 v19, v20, -2
	v_sub_f32_e32 v20, v21, v19
	v_sub_f32_e32 v21, v21, v20
	;; [unrolled: 1-line block ×3, first 2 shown]
	v_ldexp_f32 v18, v18, -2
	v_add_f32_e32 v17, v17, v19
	v_sub_f32_e32 v17, v17, v18
	v_add_f32_e32 v17, v20, v17
	v_cmp_ngt_f32_e64 vcc, |v16|, s29
	v_cndmask_b32_e32 v17, v14, v17, vcc
	v_cmp_lt_f32_e64 s[0:1], |v16|, s27
	v_cndmask_b32_e64 v17, v17, |v16|, s[0:1]
	v_bfi_b32 v16, s30, v17, v16
	v_bfe_u32 v17, v16, 16, 1
	v_add3_u32 v17, v16, v17, s31
	v_cmp_o_f32_e32 vcc, v16, v16
	v_cndmask_b32_sdwa v18, v15, v17, vcc dst_sel:DWORD dst_unused:UNUSED_PAD src0_sel:DWORD src1_sel:WORD_1
	v_add_co_u32_e32 v16, vcc, s26, v1
	v_addc_co_u32_e32 v17, vcc, 0, v2, vcc
	global_store_short v[16:17], v18, off
	s_branch .LBB128_3
.LBB128_20:
	s_cbranch_execz .LBB128_22
	s_branch .LBB128_25
.LBB128_21:
.LBB128_22:
	v_mov_b32_e32 v1, 0x10000
	v_mov_b32_e32 v2, 0
	v_cmp_lt_i64_e32 vcc, s[14:15], v[1:2]
	v_mov_b32_e32 v2, 0
	s_and_b64 s[0:1], vcc, exec
	s_cselect_b32 s1, s15, 0
	s_cselect_b32 s0, s14, 0x10000
	v_lshlrev_b32_e32 v1, 2, v0
	v_cmp_gt_i64_e32 vcc, s[0:1], v[1:2]
	s_and_saveexec_b64 s[2:3], vcc
	s_cbranch_execz .LBB128_25
; %bb.23:
	s_load_dword s2, s[4:5], 0xd3c
	v_mov_b32_e32 v1, v2
	v_lshlrev_b32_e32 v2, 3, v0
	s_mov_b32 s6, 0xbf317218
	v_mov_b32_e32 v6, 0x3d2aadcc
	s_waitcnt lgkmcnt(0)
	s_and_b32 s4, s2, 0xffff
	s_add_u32 s2, s10, s12
	s_addc_u32 s3, s11, s13
	v_mov_b32_e32 v3, s3
	v_add_co_u32_e32 v2, vcc, s2, v2
	v_addc_co_u32_e32 v3, vcc, 0, v3, vcc
	s_lshl_b32 s5, s4, 3
	s_mov_b64 s[2:3], 0
	v_mov_b32_e32 v7, 0x3e2aaa47
	v_mov_b32_e32 v8, 0x3efffffc
	s_mov_b32 s7, 0x42b2d4fc
	v_mov_b32_e32 v9, 0x7f800000
	s_mov_b32 s8, 0x39800000
	s_brev_b32 s9, -2
	s_movk_i32 s10, 0x7fff
	v_mov_b32_e32 v10, 0x7fc00000
	v_mov_b32_e32 v11, 0x7fc0
.LBB128_24:                             ; =>This Inner Loop Header: Depth=1
	global_load_dwordx2 v[4:5], v[2:3], off
	v_mov_b32_e32 v12, 0x3c091de6
	v_mov_b32_e32 v13, 0x3c091de6
	s_waitcnt vmcnt(0)
	v_lshlrev_b32_e32 v15, 16, v4
	v_and_b32_e32 v14, 0xffff0000, v4
	v_add_f32_e64 v16, |v15|, s6
	v_add_f32_e64 v17, |v14|, s6
	v_sub_f32_e64 v18, v16, |v15|
	v_sub_f32_e64 v19, v17, |v14|
	v_sub_f32_e32 v20, v18, v16
	v_add_f32_e32 v18, 0x3f317218, v18
	v_sub_f32_e32 v21, v19, v17
	v_add_f32_e64 v20, |v15|, v20
	v_add_f32_e32 v19, 0x3f317218, v19
	v_add_f32_e64 v21, |v14|, v21
	v_sub_f32_e32 v18, v20, v18
	v_sub_f32_e32 v19, v21, v19
	v_add_f32_e32 v18, 0x3102e308, v18
	v_add_f32_e32 v19, 0x3102e308, v19
	;; [unrolled: 1-line block ×4, first 2 shown]
	v_sub_f32_e32 v16, v16, v20
	v_mul_f32_e32 v22, 0x3fb8aa3b, v20
	v_sub_f32_e32 v17, v17, v21
	v_mul_f32_e32 v23, 0x3fb8aa3b, v21
	v_add_f32_e32 v16, v18, v16
	v_rndne_f32_e32 v18, v22
	v_add_f32_e32 v17, v19, v17
	v_rndne_f32_e32 v19, v23
	v_fmac_f32_e32 v20, 0xbf317200, v18
	v_mul_f32_e32 v22, 0x35bfbc00, v18
	v_fmac_f32_e32 v21, 0xbf317200, v19
	v_add_f32_e32 v26, v16, v20
	v_mul_f32_e32 v24, 0x35bfbc00, v19
	v_add_f32_e32 v27, v17, v21
	v_sub_f32_e32 v20, v20, v26
	v_sub_f32_e32 v28, v26, v22
	;; [unrolled: 1-line block ×4, first 2 shown]
	v_add_f32_e32 v16, v16, v20
	v_sub_f32_e32 v20, v26, v28
	v_add_f32_e32 v17, v17, v21
	v_sub_f32_e32 v21, v27, v29
	v_sub_f32_e32 v20, v20, v22
	;; [unrolled: 1-line block ×3, first 2 shown]
	v_add_f32_e32 v16, v16, v20
	v_mul_f32_e32 v23, 0x2ea39ef3, v18
	v_add_f32_e32 v17, v17, v21
	v_add_f32_e32 v20, v28, v16
	v_mul_f32_e32 v25, 0x2ea39ef3, v19
	v_add_f32_e32 v21, v29, v17
	v_sub_f32_e32 v24, v20, v23
	v_sub_f32_e32 v22, v28, v20
	;; [unrolled: 1-line block ×5, first 2 shown]
	v_add_f32_e32 v16, v16, v22
	v_sub_f32_e32 v21, v21, v27
	v_sub_f32_e32 v20, v20, v23
	v_add_f32_e32 v17, v17, v26
	v_sub_f32_e32 v21, v21, v25
	v_add_f32_e32 v16, v16, v20
	v_add_f32_e32 v17, v17, v21
	;; [unrolled: 1-line block ×4, first 2 shown]
	v_sub_f32_e32 v22, v24, v20
	v_fmac_f32_e32 v12, 0x3ab42872, v20
	v_mul_f32_e32 v23, v20, v20
	v_fmac_f32_e32 v13, 0x3ab42872, v21
	v_add_f32_e32 v16, v16, v22
	v_fma_f32 v12, v20, v12, v6
	v_fma_f32 v22, v20, v20, -v23
	v_fma_f32 v13, v21, v13, v6
	v_add_f32_e32 v26, v16, v16
	v_fma_f32 v12, v20, v12, v7
	v_fma_f32 v13, v21, v13, v7
	v_fmac_f32_e32 v22, v20, v26
	v_fma_f32 v12, v20, v12, v8
	v_fma_f32 v26, v21, v13, v8
	v_add_f32_e32 v13, v23, v22
	v_sub_f32_e32 v23, v13, v23
	v_mul_f32_e32 v28, v12, v13
	v_sub_f32_e32 v22, v22, v23
	v_fma_f32 v13, v13, v12, -v28
	v_fmac_f32_e32 v13, v22, v12
	v_add_f32_e32 v12, v28, v13
	v_sub_f32_e32 v22, v12, v28
	v_add_f32_e32 v23, v20, v12
	v_sub_f32_e32 v13, v13, v22
	v_sub_f32_e32 v20, v23, v20
	;; [unrolled: 1-line block ×3, first 2 shown]
	v_add_f32_e32 v13, v16, v13
	v_add_f32_e32 v12, v13, v12
	;; [unrolled: 1-line block ×3, first 2 shown]
	v_sub_f32_e32 v16, v13, v23
	v_add_f32_e32 v20, 1.0, v13
	v_cvt_i32_f32_e32 v18, v18
	v_sub_f32_e32 v12, v12, v16
	v_add_f32_e32 v16, -1.0, v20
	v_sub_f32_e32 v13, v13, v16
	v_add_f32_e32 v12, v12, v13
	v_add_f32_e32 v13, v20, v12
	v_ldexp_f32 v16, v13, v18
	v_rcp_f32_e32 v22, v16
	v_sub_f32_e32 v13, v13, v20
	v_sub_f32_e32 v12, v12, v13
	v_ldexp_f32 v12, v12, v18
	v_mul_f32_e32 v13, v16, v22
	v_fma_f32 v18, v22, v16, -v13
	v_fmac_f32_e32 v18, v22, v12
	v_add_f32_e32 v20, v13, v18
	v_sub_f32_e32 v23, 1.0, v20
	v_sub_f32_e32 v13, v20, v13
	v_sub_f32_e32 v28, 1.0, v23
	v_sub_f32_e32 v13, v13, v18
	v_sub_f32_e32 v18, v28, v20
	v_add_f32_e32 v13, v13, v18
	v_add_f32_e32 v18, v23, v13
	v_mul_f32_e32 v20, v22, v18
	v_sub_f32_e32 v23, v23, v18
	v_mul_f32_e32 v28, v16, v20
	v_add_f32_e32 v13, v13, v23
	v_add_f32_e32 v23, v22, v20
	v_fma_f32 v29, v20, v16, -v28
	v_sub_f32_e32 v30, v23, v22
	v_fmac_f32_e32 v29, v20, v12
	v_sub_f32_e32 v20, v20, v30
	v_add_f32_e32 v30, v28, v29
	v_sub_f32_e32 v31, v18, v30
	v_sub_f32_e32 v18, v18, v31
	v_sub_f32_e32 v28, v30, v28
	v_sub_f32_e32 v18, v18, v30
	v_sub_f32_e32 v28, v28, v29
	v_add_f32_e32 v13, v13, v18
	v_add_f32_e32 v13, v28, v13
	;; [unrolled: 1-line block ×3, first 2 shown]
	v_mul_f32_e32 v13, v22, v13
	v_add_f32_e32 v13, v20, v13
	v_add_f32_e32 v18, v23, v13
	v_sub_f32_e32 v20, v18, v23
	v_ldexp_f32 v18, v18, -2
	v_sub_f32_e32 v13, v13, v20
	v_sub_f32_e32 v20, v16, v18
	;; [unrolled: 1-line block ×4, first 2 shown]
	v_ldexp_f32 v13, v13, -2
	v_add_f32_e32 v12, v12, v16
	v_sub_f32_e32 v24, v27, v21
	v_sub_f32_e32 v12, v12, v13
	v_mul_f32_e32 v25, v21, v21
	v_add_f32_e32 v17, v17, v24
	v_add_f32_e32 v12, v20, v12
	v_cmp_ngt_f32_e64 vcc, |v15|, s7
	v_fma_f32 v24, v21, v21, -v25
	v_add_f32_e32 v27, v17, v17
	v_cndmask_b32_e32 v12, v9, v12, vcc
	v_cmp_lt_f32_e64 s[12:13], |v15|, s8
	v_cndmask_b32_e64 v12, v12, |v15|, s[12:13]
	v_fmac_f32_e32 v24, v21, v27
	v_bfi_b32 v12, s9, v12, v15
	v_add_f32_e32 v15, v25, v24
	v_sub_f32_e32 v16, v15, v25
	v_mul_f32_e32 v18, v26, v15
	v_sub_f32_e32 v16, v24, v16
	v_fma_f32 v15, v15, v26, -v18
	v_fmac_f32_e32 v15, v16, v26
	v_add_f32_e32 v16, v18, v15
	v_sub_f32_e32 v18, v16, v18
	v_sub_f32_e32 v15, v15, v18
	v_add_f32_e32 v18, v21, v16
	v_sub_f32_e32 v20, v18, v21
	v_sub_f32_e32 v16, v16, v20
	v_add_f32_e32 v15, v17, v15
	v_add_f32_e32 v15, v15, v16
	;; [unrolled: 1-line block ×3, first 2 shown]
	v_sub_f32_e32 v17, v16, v18
	v_sub_f32_e32 v15, v15, v17
	v_add_f32_e32 v17, 1.0, v16
	v_add_f32_e32 v18, -1.0, v17
	v_cvt_i32_f32_e32 v19, v19
	v_sub_f32_e32 v16, v16, v18
	v_add_f32_e32 v15, v15, v16
	v_add_f32_e32 v16, v17, v15
	v_ldexp_f32 v18, v16, v19
	v_rcp_f32_e32 v20, v18
	v_sub_f32_e32 v16, v16, v17
	v_sub_f32_e32 v15, v15, v16
	v_ldexp_f32 v15, v15, v19
	v_mul_f32_e32 v16, v18, v20
	v_fma_f32 v17, v20, v18, -v16
	v_fmac_f32_e32 v17, v20, v15
	v_add_f32_e32 v19, v16, v17
	v_sub_f32_e32 v21, 1.0, v19
	v_sub_f32_e32 v22, 1.0, v21
	v_sub_f32_e32 v16, v19, v16
	v_sub_f32_e32 v22, v22, v19
	;; [unrolled: 1-line block ×3, first 2 shown]
	v_add_f32_e32 v16, v16, v22
	v_add_f32_e32 v17, v21, v16
	v_mul_f32_e32 v19, v20, v17
	v_mul_f32_e32 v22, v18, v19
	v_fma_f32 v23, v19, v18, -v22
	v_fmac_f32_e32 v23, v19, v15
	v_sub_f32_e32 v21, v21, v17
	v_add_f32_e32 v16, v16, v21
	v_add_f32_e32 v21, v22, v23
	v_sub_f32_e32 v24, v17, v21
	v_sub_f32_e32 v17, v17, v24
	;; [unrolled: 1-line block ×4, first 2 shown]
	v_add_f32_e32 v16, v16, v17
	v_sub_f32_e32 v17, v22, v23
	v_add_f32_e32 v16, v17, v16
	v_add_f32_e32 v16, v24, v16
	;; [unrolled: 1-line block ×3, first 2 shown]
	v_mul_f32_e32 v16, v20, v16
	v_sub_f32_e32 v20, v17, v20
	v_sub_f32_e32 v19, v19, v20
	v_add_f32_e32 v16, v19, v16
	v_add_f32_e32 v19, v17, v16
	v_sub_f32_e32 v17, v19, v17
	v_sub_f32_e32 v16, v16, v17
	v_ldexp_f32 v17, v19, -2
	v_sub_f32_e32 v19, v18, v17
	v_sub_f32_e32 v18, v18, v19
	;; [unrolled: 1-line block ×3, first 2 shown]
	v_alignbit_b32 v4, v5, v4, 16
	v_ldexp_f32 v16, v16, -2
	v_add_f32_e32 v15, v15, v17
	v_and_b32_e32 v4, 0xffff0000, v4
	v_sub_f32_e32 v15, v15, v16
	v_add_f32_e64 v16, |v4|, s6
	v_sub_f32_e64 v17, v16, |v4|
	v_sub_f32_e32 v18, v17, v16
	v_add_f32_e64 v18, |v4|, v18
	v_add_f32_e32 v17, 0x3f317218, v17
	v_sub_f32_e32 v17, v18, v17
	v_add_f32_e32 v17, 0x3102e308, v17
	v_add_f32_e32 v18, v16, v17
	v_sub_f32_e32 v16, v16, v18
	v_add_f32_e32 v16, v17, v16
	v_mul_f32_e32 v17, 0x3fb8aa3b, v18
	v_rndne_f32_e32 v17, v17
	v_fmac_f32_e32 v18, 0xbf317200, v17
	v_add_f32_e32 v15, v19, v15
	v_add_f32_e32 v19, v16, v18
	v_sub_f32_e32 v18, v18, v19
	v_add_f32_e32 v16, v16, v18
	v_mul_f32_e32 v18, 0x35bfbc00, v17
	v_sub_f32_e32 v20, v19, v18
	v_sub_f32_e32 v19, v19, v20
	;; [unrolled: 1-line block ×3, first 2 shown]
	v_add_f32_e32 v16, v16, v18
	v_add_f32_e32 v18, v20, v16
	v_sub_f32_e32 v19, v20, v18
	v_add_f32_e32 v16, v16, v19
	v_mul_f32_e32 v19, 0x2ea39ef3, v17
	v_sub_f32_e32 v20, v18, v19
	v_sub_f32_e32 v18, v18, v20
	;; [unrolled: 1-line block ×3, first 2 shown]
	v_add_f32_e32 v16, v16, v18
	v_add_f32_e32 v18, v20, v16
	v_sub_f32_e32 v20, v20, v18
	v_mov_b32_e32 v19, 0x3c091de6
	v_add_f32_e32 v16, v16, v20
	v_mul_f32_e32 v21, v18, v18
	v_fmac_f32_e32 v19, 0x3ab42872, v18
	v_add_f32_e32 v20, v16, v16
	v_fma_f32 v22, v18, v18, -v21
	v_fma_f32 v19, v18, v19, v6
	v_fmac_f32_e32 v22, v18, v20
	v_fma_f32 v19, v18, v19, v7
	v_add_f32_e32 v20, v21, v22
	v_fma_f32 v19, v18, v19, v8
	v_sub_f32_e32 v21, v20, v21
	v_sub_f32_e32 v21, v22, v21
	v_mul_f32_e32 v22, v19, v20
	v_fma_f32 v20, v20, v19, -v22
	v_fmac_f32_e32 v20, v21, v19
	v_add_f32_e32 v19, v22, v20
	v_sub_f32_e32 v21, v19, v22
	v_sub_f32_e32 v20, v20, v21
	v_add_f32_e32 v21, v18, v19
	v_sub_f32_e32 v18, v21, v18
	v_sub_f32_e32 v18, v19, v18
	v_add_f32_e32 v16, v16, v20
	v_add_f32_e32 v16, v16, v18
	;; [unrolled: 1-line block ×3, first 2 shown]
	v_sub_f32_e32 v19, v18, v21
	v_sub_f32_e32 v16, v16, v19
	v_add_f32_e32 v19, 1.0, v18
	v_add_f32_e32 v20, -1.0, v19
	v_cvt_i32_f32_e32 v17, v17
	v_sub_f32_e32 v18, v18, v20
	v_add_f32_e32 v16, v16, v18
	v_add_f32_e32 v18, v19, v16
	v_ldexp_f32 v20, v18, v17
	v_rcp_f32_e32 v21, v20
	v_sub_f32_e32 v18, v18, v19
	v_sub_f32_e32 v16, v16, v18
	v_ldexp_f32 v16, v16, v17
	v_mul_f32_e32 v17, v20, v21
	v_fma_f32 v18, v21, v20, -v17
	v_fmac_f32_e32 v18, v21, v16
	v_add_f32_e32 v19, v17, v18
	v_sub_f32_e32 v22, 1.0, v19
	v_sub_f32_e32 v23, 1.0, v22
	v_sub_f32_e32 v17, v19, v17
	v_sub_f32_e32 v23, v23, v19
	;; [unrolled: 1-line block ×3, first 2 shown]
	v_add_f32_e32 v17, v17, v23
	v_add_f32_e32 v18, v22, v17
	v_mul_f32_e32 v19, v21, v18
	v_mul_f32_e32 v23, v20, v19
	v_fma_f32 v24, v19, v20, -v23
	v_fmac_f32_e32 v24, v19, v16
	v_sub_f32_e32 v22, v22, v18
	v_add_f32_e32 v17, v17, v22
	v_add_f32_e32 v22, v23, v24
	v_sub_f32_e32 v25, v18, v22
	v_sub_f32_e32 v18, v18, v25
	;; [unrolled: 1-line block ×4, first 2 shown]
	v_add_f32_e32 v17, v17, v18
	v_sub_f32_e32 v18, v23, v24
	v_add_f32_e32 v17, v18, v17
	v_add_f32_e32 v17, v25, v17
	;; [unrolled: 1-line block ×3, first 2 shown]
	v_mul_f32_e32 v17, v21, v17
	v_sub_f32_e32 v21, v18, v21
	v_sub_f32_e32 v19, v19, v21
	v_add_f32_e32 v17, v19, v17
	v_add_f32_e32 v19, v18, v17
	v_sub_f32_e32 v18, v19, v18
	v_sub_f32_e32 v17, v17, v18
	v_ldexp_f32 v18, v19, -2
	v_sub_f32_e32 v19, v20, v18
	v_sub_f32_e32 v20, v20, v19
	v_sub_f32_e32 v18, v20, v18
	v_ldexp_f32 v17, v17, -2
	v_add_f32_e32 v16, v16, v18
	v_and_b32_e32 v5, 0xffff0000, v5
	v_sub_f32_e32 v16, v16, v17
	v_add_f32_e64 v17, |v5|, s6
	v_sub_f32_e64 v18, v17, |v5|
	v_add_f32_e32 v16, v19, v16
	v_sub_f32_e32 v19, v18, v17
	v_add_f32_e64 v19, |v5|, v19
	v_add_f32_e32 v18, 0x3f317218, v18
	v_sub_f32_e32 v18, v19, v18
	v_add_f32_e32 v18, 0x3102e308, v18
	v_add_f32_e32 v19, v17, v18
	v_sub_f32_e32 v17, v17, v19
	v_add_f32_e32 v18, v18, v17
	v_mul_f32_e32 v17, 0x3fb8aa3b, v19
	v_rndne_f32_e32 v17, v17
	v_fmac_f32_e32 v19, 0xbf317200, v17
	v_add_f32_e32 v20, v18, v19
	v_sub_f32_e32 v19, v19, v20
	v_add_f32_e32 v18, v18, v19
	v_mul_f32_e32 v19, 0x35bfbc00, v17
	v_sub_f32_e32 v21, v20, v19
	v_sub_f32_e32 v20, v20, v21
	;; [unrolled: 1-line block ×3, first 2 shown]
	v_add_f32_e32 v18, v18, v19
	v_add_f32_e32 v19, v21, v18
	v_sub_f32_e32 v20, v21, v19
	v_add_f32_e32 v18, v18, v20
	v_mul_f32_e32 v20, 0x2ea39ef3, v17
	v_sub_f32_e32 v21, v19, v20
	v_sub_f32_e32 v19, v19, v21
	;; [unrolled: 1-line block ×3, first 2 shown]
	v_add_f32_e32 v18, v18, v19
	v_add_f32_e32 v19, v21, v18
	v_sub_f32_e32 v21, v21, v19
	v_mov_b32_e32 v20, 0x3c091de6
	v_add_f32_e32 v18, v18, v21
	v_mul_f32_e32 v22, v19, v19
	v_fmac_f32_e32 v20, 0x3ab42872, v19
	v_add_f32_e32 v21, v18, v18
	v_fma_f32 v23, v19, v19, -v22
	v_fma_f32 v20, v19, v20, v6
	v_fmac_f32_e32 v23, v19, v21
	v_fma_f32 v20, v19, v20, v7
	v_add_f32_e32 v21, v22, v23
	v_fma_f32 v20, v19, v20, v8
	v_sub_f32_e32 v22, v21, v22
	v_sub_f32_e32 v22, v23, v22
	v_mul_f32_e32 v23, v20, v21
	v_fma_f32 v21, v21, v20, -v23
	v_fmac_f32_e32 v21, v22, v20
	v_add_f32_e32 v20, v23, v21
	v_sub_f32_e32 v22, v20, v23
	v_sub_f32_e32 v21, v21, v22
	v_add_f32_e32 v22, v19, v20
	v_sub_f32_e32 v19, v22, v19
	v_sub_f32_e32 v19, v20, v19
	v_add_f32_e32 v18, v18, v21
	v_add_f32_e32 v18, v18, v19
	;; [unrolled: 1-line block ×3, first 2 shown]
	v_sub_f32_e32 v20, v19, v22
	v_sub_f32_e32 v18, v18, v20
	v_add_f32_e32 v20, 1.0, v19
	v_add_f32_e32 v21, -1.0, v20
	v_cvt_i32_f32_e32 v17, v17
	v_sub_f32_e32 v19, v19, v21
	v_add_f32_e32 v18, v18, v19
	v_add_f32_e32 v19, v20, v18
	v_ldexp_f32 v21, v19, v17
	v_rcp_f32_e32 v22, v21
	v_sub_f32_e32 v19, v19, v20
	v_sub_f32_e32 v18, v18, v19
	v_ldexp_f32 v17, v18, v17
	v_mul_f32_e32 v18, v21, v22
	v_fma_f32 v19, v22, v21, -v18
	v_fmac_f32_e32 v19, v22, v17
	v_add_f32_e32 v20, v18, v19
	v_sub_f32_e32 v23, 1.0, v20
	v_sub_f32_e32 v24, 1.0, v23
	v_sub_f32_e32 v18, v20, v18
	v_sub_f32_e32 v24, v24, v20
	;; [unrolled: 1-line block ×3, first 2 shown]
	v_add_f32_e32 v18, v18, v24
	v_add_f32_e32 v19, v23, v18
	v_mul_f32_e32 v20, v22, v19
	v_mul_f32_e32 v24, v21, v20
	v_fma_f32 v25, v20, v21, -v24
	v_fmac_f32_e32 v25, v20, v17
	v_sub_f32_e32 v23, v23, v19
	v_add_f32_e32 v18, v18, v23
	v_add_f32_e32 v23, v24, v25
	v_sub_f32_e32 v26, v19, v23
	v_sub_f32_e32 v19, v19, v26
	;; [unrolled: 1-line block ×4, first 2 shown]
	v_add_f32_e32 v18, v18, v19
	v_sub_f32_e32 v19, v24, v25
	v_add_f32_e32 v18, v19, v18
	v_add_f32_e32 v18, v26, v18
	v_add_f32_e32 v19, v22, v20
	v_mul_f32_e32 v18, v22, v18
	v_sub_f32_e32 v22, v19, v22
	v_sub_f32_e32 v20, v20, v22
	v_add_f32_e32 v18, v20, v18
	v_add_f32_e32 v20, v19, v18
	v_sub_f32_e32 v19, v20, v19
	v_sub_f32_e32 v18, v18, v19
	v_ldexp_f32 v19, v20, -2
	v_sub_f32_e32 v20, v21, v19
	v_sub_f32_e32 v21, v21, v20
	;; [unrolled: 1-line block ×3, first 2 shown]
	v_cmp_ngt_f32_e64 vcc, |v14|, s7
	v_ldexp_f32 v18, v18, -2
	v_add_f32_e32 v17, v17, v19
	v_cndmask_b32_e32 v15, v9, v15, vcc
	v_cmp_lt_f32_e64 s[12:13], |v14|, s8
	v_cmp_ngt_f32_e64 vcc, |v4|, s7
	v_sub_f32_e32 v17, v17, v18
	v_cndmask_b32_e64 v15, v15, |v14|, s[12:13]
	v_cndmask_b32_e32 v16, v9, v16, vcc
	v_cmp_lt_f32_e64 s[12:13], |v4|, s8
	v_add_f32_e32 v17, v20, v17
	v_cmp_ngt_f32_e64 vcc, |v5|, s7
	v_cndmask_b32_e64 v16, v16, |v4|, s[12:13]
	v_cndmask_b32_e32 v17, v9, v17, vcc
	v_cmp_lt_f32_e64 s[12:13], |v5|, s8
	v_cndmask_b32_e64 v17, v17, |v5|, s[12:13]
	v_bfi_b32 v5, s9, v17, v5
	v_bfi_b32 v4, s9, v16, v4
	v_bfe_u32 v17, v5, 16, 1
	v_bfi_b32 v14, s9, v15, v14
	v_bfe_u32 v16, v4, 16, 1
	v_add3_u32 v17, v5, v17, s10
	v_bfe_u32 v15, v14, 16, 1
	v_add3_u32 v16, v4, v16, s10
	v_and_b32_e32 v17, 0xffff0000, v17
	v_cmp_o_f32_e32 vcc, v5, v5
	v_bfe_u32 v13, v12, 16, 1
	v_add3_u32 v15, v14, v15, s10
	v_lshrrev_b32_e32 v16, 16, v16
	v_cndmask_b32_e32 v5, v10, v17, vcc
	v_cmp_o_f32_e32 vcc, v4, v4
	v_add3_u32 v13, v12, v13, s10
	v_and_b32_e32 v15, 0xffff0000, v15
	v_cndmask_b32_e32 v4, v11, v16, vcc
	v_cmp_o_f32_e32 vcc, v14, v14
	v_lshrrev_b32_e32 v13, 16, v13
	v_cndmask_b32_e32 v14, v10, v15, vcc
	v_cmp_o_f32_e32 vcc, v12, v12
	v_cndmask_b32_e32 v12, v11, v13, vcc
	v_add_co_u32_e32 v0, vcc, s4, v0
	v_addc_co_u32_e32 v1, vcc, 0, v1, vcc
	v_or_b32_e32 v14, v12, v14
	v_lshlrev_b64 v[12:13], 2, v[0:1]
	v_or3_b32 v5, 0, v4, v5
	v_cmp_le_i64_e32 vcc, s[0:1], v[12:13]
	v_or3_b32 v4, v14, 0, 0
	global_store_dwordx2 v[2:3], v[4:5], off
	s_or_b64 s[2:3], vcc, s[2:3]
	v_add_co_u32_e32 v2, vcc, s5, v2
	v_addc_co_u32_e32 v3, vcc, 0, v3, vcc
	s_andn2_b64 exec, exec, s[2:3]
	s_cbranch_execnz .LBB128_24
.LBB128_25:
	s_endpgm
	.section	.rodata,"a",@progbits
	.p2align	6, 0x0
	.amdhsa_kernel _ZN2at6native12_GLOBAL__N_125multi_tensor_apply_kernelINS1_18TensorListMetadataILi1EEENS1_14UnaryOpFunctorIN3c108BFloat16ELi1ELi1ELi0EEEJNS0_4SinhIfEEEEEvT_T0_DpT1_
		.amdhsa_group_segment_fixed_size 0
		.amdhsa_private_segment_fixed_size 0
		.amdhsa_kernarg_size 3632
		.amdhsa_user_sgpr_count 6
		.amdhsa_user_sgpr_private_segment_buffer 1
		.amdhsa_user_sgpr_dispatch_ptr 0
		.amdhsa_user_sgpr_queue_ptr 0
		.amdhsa_user_sgpr_kernarg_segment_ptr 1
		.amdhsa_user_sgpr_dispatch_id 0
		.amdhsa_user_sgpr_flat_scratch_init 0
		.amdhsa_user_sgpr_private_segment_size 0
		.amdhsa_uses_dynamic_stack 0
		.amdhsa_system_sgpr_private_segment_wavefront_offset 0
		.amdhsa_system_sgpr_workgroup_id_x 1
		.amdhsa_system_sgpr_workgroup_id_y 0
		.amdhsa_system_sgpr_workgroup_id_z 0
		.amdhsa_system_sgpr_workgroup_info 0
		.amdhsa_system_vgpr_workitem_id 0
		.amdhsa_next_free_vgpr 32
		.amdhsa_next_free_sgpr 32
		.amdhsa_reserve_vcc 1
		.amdhsa_reserve_flat_scratch 0
		.amdhsa_float_round_mode_32 0
		.amdhsa_float_round_mode_16_64 0
		.amdhsa_float_denorm_mode_32 3
		.amdhsa_float_denorm_mode_16_64 3
		.amdhsa_dx10_clamp 1
		.amdhsa_ieee_mode 1
		.amdhsa_fp16_overflow 0
		.amdhsa_exception_fp_ieee_invalid_op 0
		.amdhsa_exception_fp_denorm_src 0
		.amdhsa_exception_fp_ieee_div_zero 0
		.amdhsa_exception_fp_ieee_overflow 0
		.amdhsa_exception_fp_ieee_underflow 0
		.amdhsa_exception_fp_ieee_inexact 0
		.amdhsa_exception_int_div_zero 0
	.end_amdhsa_kernel
	.section	.text._ZN2at6native12_GLOBAL__N_125multi_tensor_apply_kernelINS1_18TensorListMetadataILi1EEENS1_14UnaryOpFunctorIN3c108BFloat16ELi1ELi1ELi0EEEJNS0_4SinhIfEEEEEvT_T0_DpT1_,"axG",@progbits,_ZN2at6native12_GLOBAL__N_125multi_tensor_apply_kernelINS1_18TensorListMetadataILi1EEENS1_14UnaryOpFunctorIN3c108BFloat16ELi1ELi1ELi0EEEJNS0_4SinhIfEEEEEvT_T0_DpT1_,comdat
.Lfunc_end128:
	.size	_ZN2at6native12_GLOBAL__N_125multi_tensor_apply_kernelINS1_18TensorListMetadataILi1EEENS1_14UnaryOpFunctorIN3c108BFloat16ELi1ELi1ELi0EEEJNS0_4SinhIfEEEEEvT_T0_DpT1_, .Lfunc_end128-_ZN2at6native12_GLOBAL__N_125multi_tensor_apply_kernelINS1_18TensorListMetadataILi1EEENS1_14UnaryOpFunctorIN3c108BFloat16ELi1ELi1ELi0EEEJNS0_4SinhIfEEEEEvT_T0_DpT1_
                                        ; -- End function
	.set _ZN2at6native12_GLOBAL__N_125multi_tensor_apply_kernelINS1_18TensorListMetadataILi1EEENS1_14UnaryOpFunctorIN3c108BFloat16ELi1ELi1ELi0EEEJNS0_4SinhIfEEEEEvT_T0_DpT1_.num_vgpr, 32
	.set _ZN2at6native12_GLOBAL__N_125multi_tensor_apply_kernelINS1_18TensorListMetadataILi1EEENS1_14UnaryOpFunctorIN3c108BFloat16ELi1ELi1ELi0EEEJNS0_4SinhIfEEEEEvT_T0_DpT1_.num_agpr, 0
	.set _ZN2at6native12_GLOBAL__N_125multi_tensor_apply_kernelINS1_18TensorListMetadataILi1EEENS1_14UnaryOpFunctorIN3c108BFloat16ELi1ELi1ELi0EEEJNS0_4SinhIfEEEEEvT_T0_DpT1_.numbered_sgpr, 32
	.set _ZN2at6native12_GLOBAL__N_125multi_tensor_apply_kernelINS1_18TensorListMetadataILi1EEENS1_14UnaryOpFunctorIN3c108BFloat16ELi1ELi1ELi0EEEJNS0_4SinhIfEEEEEvT_T0_DpT1_.num_named_barrier, 0
	.set _ZN2at6native12_GLOBAL__N_125multi_tensor_apply_kernelINS1_18TensorListMetadataILi1EEENS1_14UnaryOpFunctorIN3c108BFloat16ELi1ELi1ELi0EEEJNS0_4SinhIfEEEEEvT_T0_DpT1_.private_seg_size, 0
	.set _ZN2at6native12_GLOBAL__N_125multi_tensor_apply_kernelINS1_18TensorListMetadataILi1EEENS1_14UnaryOpFunctorIN3c108BFloat16ELi1ELi1ELi0EEEJNS0_4SinhIfEEEEEvT_T0_DpT1_.uses_vcc, 1
	.set _ZN2at6native12_GLOBAL__N_125multi_tensor_apply_kernelINS1_18TensorListMetadataILi1EEENS1_14UnaryOpFunctorIN3c108BFloat16ELi1ELi1ELi0EEEJNS0_4SinhIfEEEEEvT_T0_DpT1_.uses_flat_scratch, 0
	.set _ZN2at6native12_GLOBAL__N_125multi_tensor_apply_kernelINS1_18TensorListMetadataILi1EEENS1_14UnaryOpFunctorIN3c108BFloat16ELi1ELi1ELi0EEEJNS0_4SinhIfEEEEEvT_T0_DpT1_.has_dyn_sized_stack, 0
	.set _ZN2at6native12_GLOBAL__N_125multi_tensor_apply_kernelINS1_18TensorListMetadataILi1EEENS1_14UnaryOpFunctorIN3c108BFloat16ELi1ELi1ELi0EEEJNS0_4SinhIfEEEEEvT_T0_DpT1_.has_recursion, 0
	.set _ZN2at6native12_GLOBAL__N_125multi_tensor_apply_kernelINS1_18TensorListMetadataILi1EEENS1_14UnaryOpFunctorIN3c108BFloat16ELi1ELi1ELi0EEEJNS0_4SinhIfEEEEEvT_T0_DpT1_.has_indirect_call, 0
	.section	.AMDGPU.csdata,"",@progbits
; Kernel info:
; codeLenInByte = 5940
; TotalNumSgprs: 36
; NumVgprs: 32
; ScratchSize: 0
; MemoryBound: 0
; FloatMode: 240
; IeeeMode: 1
; LDSByteSize: 0 bytes/workgroup (compile time only)
; SGPRBlocks: 4
; VGPRBlocks: 7
; NumSGPRsForWavesPerEU: 36
; NumVGPRsForWavesPerEU: 32
; Occupancy: 8
; WaveLimiterHint : 0
; COMPUTE_PGM_RSRC2:SCRATCH_EN: 0
; COMPUTE_PGM_RSRC2:USER_SGPR: 6
; COMPUTE_PGM_RSRC2:TRAP_HANDLER: 0
; COMPUTE_PGM_RSRC2:TGID_X_EN: 1
; COMPUTE_PGM_RSRC2:TGID_Y_EN: 0
; COMPUTE_PGM_RSRC2:TGID_Z_EN: 0
; COMPUTE_PGM_RSRC2:TIDIG_COMP_CNT: 0
	.section	.text._ZN2at6native12_GLOBAL__N_125multi_tensor_apply_kernelINS1_18TensorListMetadataILi2EEENS1_14UnaryOpFunctorIdLi2ELi1ELi1EEEJNS0_3ExpIdEEEEEvT_T0_DpT1_,"axG",@progbits,_ZN2at6native12_GLOBAL__N_125multi_tensor_apply_kernelINS1_18TensorListMetadataILi2EEENS1_14UnaryOpFunctorIdLi2ELi1ELi1EEEJNS0_3ExpIdEEEEEvT_T0_DpT1_,comdat
	.globl	_ZN2at6native12_GLOBAL__N_125multi_tensor_apply_kernelINS1_18TensorListMetadataILi2EEENS1_14UnaryOpFunctorIdLi2ELi1ELi1EEEJNS0_3ExpIdEEEEEvT_T0_DpT1_ ; -- Begin function _ZN2at6native12_GLOBAL__N_125multi_tensor_apply_kernelINS1_18TensorListMetadataILi2EEENS1_14UnaryOpFunctorIdLi2ELi1ELi1EEEJNS0_3ExpIdEEEEEvT_T0_DpT1_
	.p2align	8
	.type	_ZN2at6native12_GLOBAL__N_125multi_tensor_apply_kernelINS1_18TensorListMetadataILi2EEENS1_14UnaryOpFunctorIdLi2ELi1ELi1EEEJNS0_3ExpIdEEEEEvT_T0_DpT1_,@function
_ZN2at6native12_GLOBAL__N_125multi_tensor_apply_kernelINS1_18TensorListMetadataILi2EEENS1_14UnaryOpFunctorIdLi2ELi1ELi1EEEJNS0_3ExpIdEEEEEvT_T0_DpT1_: ; @_ZN2at6native12_GLOBAL__N_125multi_tensor_apply_kernelINS1_18TensorListMetadataILi2EEENS1_14UnaryOpFunctorIdLi2ELi1ELi1EEEJNS0_3ExpIdEEEEEvT_T0_DpT1_
; %bb.0:
	v_mov_b32_e32 v1, s6
	global_load_ubyte v1, v1, s[4:5] offset:1536
	s_add_u32 s0, s4, s6
	s_mul_hi_u32 s2, s6, 3
	s_mul_i32 s6, s6, 3
	s_addc_u32 s7, s5, 0
	s_add_u32 s6, s0, s6
	s_addc_u32 s7, s7, s2
	s_load_dword s6, s[6:7], 0x740
	s_mov_b32 s1, 0
	s_mov_b32 s3, s1
	s_waitcnt lgkmcnt(0)
	s_ashr_i32 s7, s6, 31
	s_lshl_b64 s[18:19], s[6:7], 19
	s_lshl_b64 s[6:7], s[6:7], 16
	s_waitcnt vmcnt(0)
	v_readfirstlane_b32 s0, v1
	s_lshl_b32 s0, s0, 3
	s_load_dwordx2 s[8:9], s[4:5], s0 offset:0x400
	s_load_dwordx2 s[22:23], s[4:5], s0 offset:0x0
	;; [unrolled: 1-line block ×3, first 2 shown]
	s_waitcnt lgkmcnt(0)
	s_add_u32 s0, s22, s18
	s_and_b32 s2, s20, 31
	s_and_b32 s0, s0, 31
	s_sub_u32 s24, s8, s6
	s_subb_u32 s25, s9, s7
	s_and_b32 s6, s8, 3
	s_mov_b32 s7, s1
	s_or_b64 s[2:3], s[2:3], s[6:7]
	s_or_b64 s[0:1], s[2:3], s[0:1]
	s_cmp_eq_u64 s[0:1], 0
	s_mov_b64 s[0:1], -1
	s_cbranch_scc0 .LBB129_5
; %bb.1:
	v_mov_b32_e32 v1, 0x10000
	v_mov_b32_e32 v2, 0
	v_cmp_lt_i64_e32 vcc, s[24:25], v[1:2]
	v_mov_b32_e32 v2, 0
	s_and_b64 s[0:1], vcc, exec
	s_cselect_b32 s27, s25, 0
	s_cselect_b32 s26, s24, 0x10000
	v_lshlrev_b32_e32 v1, 2, v0
	v_cmp_gt_i64_e32 vcc, s[26:27], v[1:2]
	s_and_saveexec_b64 s[28:29], vcc
	s_cbranch_execz .LBB129_4
; %bb.2:
	s_load_dword s0, s[4:5], 0xc5c
	v_mov_b32_e32 v1, v2
	v_lshlrev_b32_e32 v2, 5, v0
	v_mov_b32_e32 v3, s19
	v_add_co_u32_e32 v13, vcc, s18, v2
	s_waitcnt lgkmcnt(0)
	s_and_b32 s33, s0, 0xffff
	s_mov_b32 s0, 0xfca7ab0c
	s_mov_b32 s1, 0x3e928af3
	;; [unrolled: 1-line block ×6, first 2 shown]
	v_mov_b32_e32 v10, s1
	s_mov_b32 s42, 0x623fde64
	s_mov_b32 s44, 0x7c89e6b0
	;; [unrolled: 1-line block ×10, first 2 shown]
	v_mov_b32_e32 v12, v1
	v_addc_co_u32_e32 v14, vcc, 0, v3, vcc
	s_lshl_b32 s62, s33, 5
	s_mov_b64 s[30:31], 0
	v_mov_b32_e32 v15, s23
	s_mov_b32 s35, 0x3ff71547
	s_mov_b32 s37, 0xbfe62e42
	;; [unrolled: 1-line block ×4, first 2 shown]
	v_mov_b32_e32 v9, s0
	s_mov_b32 s43, 0x3ec71dee
	s_mov_b32 s45, 0x3efa0199
	;; [unrolled: 1-line block ×9, first 2 shown]
	v_mov_b32_e32 v16, 0x7ff00000
	s_mov_b32 s61, 0xc090cc00
	v_mov_b32_e32 v17, s21
	v_mov_b32_e32 v11, v0
.LBB129_3:                              ; =>This Inner Loop Header: Depth=1
	v_add_co_u32_e32 v18, vcc, s22, v13
	v_addc_co_u32_e32 v19, vcc, v15, v14, vcc
	global_load_dwordx4 v[5:8], v[18:19], off
	global_load_dwordx4 v[1:4], v[18:19], off offset:16
	v_add_co_u32_e32 v18, vcc, s20, v13
	v_addc_co_u32_e32 v19, vcc, v17, v14, vcc
	v_add_co_u32_e32 v11, vcc, s33, v11
	v_addc_co_u32_e32 v12, vcc, 0, v12, vcc
	v_add_co_u32_e32 v13, vcc, s62, v13
	v_lshlrev_b64 v[20:21], 2, v[11:12]
	v_addc_co_u32_e32 v14, vcc, 0, v14, vcc
	v_cmp_le_i64_e32 vcc, s[26:27], v[20:21]
	s_waitcnt vmcnt(1)
	v_mul_f64 v[22:23], v[7:8], s[34:35]
	v_mul_f64 v[20:21], v[5:6], s[34:35]
	s_waitcnt vmcnt(0)
	v_mul_f64 v[24:25], v[1:2], s[34:35]
	v_mul_f64 v[26:27], v[3:4], s[34:35]
	v_cmp_nlt_f64_e64 s[0:1], s[58:59], v[7:8]
	v_cmp_ngt_f64_e64 s[12:13], s[60:61], v[7:8]
	v_cmp_nlt_f64_e64 s[2:3], s[58:59], v[1:2]
	v_cmp_ngt_f64_e64 s[14:15], s[60:61], v[1:2]
	v_rndne_f64_e32 v[22:23], v[22:23]
	v_rndne_f64_e32 v[20:21], v[20:21]
	;; [unrolled: 1-line block ×4, first 2 shown]
	v_cmp_nlt_f64_e64 s[6:7], s[58:59], v[3:4]
	v_cmp_nlt_f64_e64 s[8:9], s[58:59], v[5:6]
	v_cmp_ngt_f64_e64 s[10:11], s[60:61], v[5:6]
	v_cmp_ngt_f64_e64 s[16:17], s[60:61], v[3:4]
	v_fma_f64 v[30:31], v[22:23], s[36:37], v[7:8]
	v_fma_f64 v[28:29], v[20:21], s[36:37], v[5:6]
	;; [unrolled: 1-line block ×4, first 2 shown]
	v_cvt_i32_f64_e32 v37, v[22:23]
	v_cvt_i32_f64_e32 v36, v[20:21]
	;; [unrolled: 1-line block ×4, first 2 shown]
	v_fma_f64 v[22:23], v[22:23], s[38:39], v[30:31]
	v_fma_f64 v[20:21], v[20:21], s[38:39], v[28:29]
	;; [unrolled: 1-line block ×40, first 2 shown]
	v_fma_f64 v[30:31], v[22:23], v[30:31], 1.0
	v_fma_f64 v[28:29], v[20:21], v[28:29], 1.0
	;; [unrolled: 1-line block ×8, first 2 shown]
	v_ldexp_f64 v[22:23], v[22:23], v37
	v_ldexp_f64 v[20:21], v[20:21], v36
	;; [unrolled: 1-line block ×4, first 2 shown]
	v_cndmask_b32_e64 v5, v16, v23, s[0:1]
	s_and_b64 s[0:1], s[12:13], s[0:1]
	v_cndmask_b32_e64 v3, 0, v22, s[0:1]
	s_and_b64 s[0:1], s[14:15], s[2:3]
	v_cndmask_b32_e64 v21, v16, v21, s[8:9]
	v_cndmask_b32_e64 v6, v16, v25, s[2:3]
	;; [unrolled: 1-line block ×4, first 2 shown]
	s_and_b64 s[8:9], s[10:11], s[8:9]
	v_cndmask_b32_e64 v5, 0, v24, s[0:1]
	s_and_b64 s[0:1], s[16:17], s[6:7]
	v_cndmask_b32_e64 v2, 0, v21, s[10:11]
	v_cndmask_b32_e64 v6, 0, v6, s[14:15]
	;; [unrolled: 1-line block ×5, first 2 shown]
	s_or_b64 s[30:31], vcc, s[30:31]
	global_store_dwordx4 v[18:19], v[1:4], off
	global_store_dwordx4 v[18:19], v[5:8], off offset:16
	s_andn2_b64 exec, exec, s[30:31]
	s_cbranch_execnz .LBB129_3
.LBB129_4:
	s_or_b64 exec, exec, s[28:29]
	s_mov_b64 s[0:1], 0
.LBB129_5:
	s_andn2_b64 vcc, exec, s[0:1]
	s_cbranch_vccnz .LBB129_25
; %bb.6:
	v_cmp_lt_i64_e64 s[0:1], s[24:25], 1
	s_and_b64 vcc, exec, s[0:1]
	s_cbranch_vccnz .LBB129_25
; %bb.7:
	v_mov_b32_e32 v1, 0x10000
	s_load_dword s2, s[4:5], 0xc5c
	v_mov_b32_e32 v2, 0
	v_cmp_lt_i64_e32 vcc, s[24:25], v[1:2]
	v_mov_b32_e32 v3, 0
	s_and_b64 s[0:1], vcc, exec
	v_cmp_lt_u64_e32 vcc, s[24:25], v[1:2]
	s_cselect_b32 s13, s25, 0
	s_cselect_b32 s12, s24, 0x10000
	s_waitcnt lgkmcnt(0)
	s_and_b32 s2, s2, 0xffff
	v_lshlrev_b32_e32 v2, 3, v0
	s_and_b64 s[0:1], vcc, exec
	v_mov_b32_e32 v1, s23
	v_add_co_u32_e32 v11, vcc, s22, v2
	v_mad_u64_u32 v[3:4], s[0:1], s2, 24, v[2:3]
	v_addc_co_u32_e32 v12, vcc, 0, v1, vcc
	v_mov_b32_e32 v1, s21
	v_add_co_u32_e32 v13, vcc, s20, v2
	v_addc_co_u32_e32 v14, vcc, 0, v1, vcc
	v_mov_b32_e32 v1, s23
	v_add_co_u32_e32 v15, vcc, s22, v3
	;; [unrolled: 3-line block ×3, first 2 shown]
	s_cselect_b32 s15, s25, 0
	s_cselect_b32 s14, s24, 0x10000
	v_addc_co_u32_e32 v18, vcc, v1, v4, vcc
	s_lshl_b32 s0, s2, 4
	v_add_co_u32_e32 v1, vcc, s0, v2
	v_addc_co_u32_e64 v2, s[0:1], 0, 0, vcc
	v_mov_b32_e32 v3, s23
	v_add_co_u32_e32 v19, vcc, s22, v1
	v_addc_co_u32_e32 v20, vcc, v3, v2, vcc
	v_mov_b32_e32 v3, s21
	v_add_co_u32_e32 v21, vcc, s20, v1
	v_addc_co_u32_e32 v22, vcc, v3, v2, vcc
	v_add_co_u32_e32 v23, vcc, s2, v0
	v_lshlrev_b32_e32 v1, 3, v23
	v_addc_co_u32_e64 v24, s[0:1], 0, 0, vcc
	v_mov_b32_e32 v2, s23
	v_add_co_u32_e32 v25, vcc, s22, v1
	v_addc_co_u32_e32 v26, vcc, 0, v2, vcc
	v_mov_b32_e32 v2, s21
	v_add_co_u32_e32 v27, vcc, s20, v1
	s_mul_i32 s4, s2, 3
	v_addc_co_u32_e32 v28, vcc, 0, v2, vcc
	s_lshl_b32 s3, s2, 1
	v_add_co_u32_e32 v29, vcc, s4, v0
	s_mov_b32 s20, 0x652b82fe
	s_mov_b32 s22, 0xfefa39ef
	;; [unrolled: 1-line block ×14, first 2 shown]
	v_addc_co_u32_e64 v30, s[0:1], 0, 0, vcc
	v_add_co_u32_e32 v31, vcc, s3, v0
	s_lshl_b32 s33, s2, 2
	s_lshl_b32 s52, s2, 5
	s_mov_b64 s[16:17], 0
	s_mov_b32 s21, 0x3ff71547
	s_mov_b32 s23, 0xbfe62e42
	;; [unrolled: 1-line block ×14, first 2 shown]
	v_mov_b32_e32 v1, 0xfca7ab0c
	v_mov_b32_e32 v2, 0x3e928af3
	v_addc_co_u32_e64 v32, s[0:1], 0, 0, vcc
	v_mov_b32_e32 v33, 0x7ff00000
	s_branch .LBB129_9
.LBB129_8:                              ;   in Loop: Header=BB129_9 Depth=1
	s_or_b64 exec, exec, s[2:3]
	v_add_co_u32_e32 v11, vcc, s52, v11
	v_addc_co_u32_e32 v12, vcc, 0, v12, vcc
	v_add_co_u32_e32 v13, vcc, s52, v13
	v_addc_co_u32_e32 v14, vcc, 0, v14, vcc
	;; [unrolled: 2-line block ×6, first 2 shown]
	s_add_u32 s16, s16, s33
	v_add_co_u32_e32 v25, vcc, s52, v25
	s_waitcnt vmcnt(0)
	v_mov_b32_e32 v3, s12
	s_addc_u32 s17, s17, 0
	v_addc_co_u32_e32 v26, vcc, 0, v26, vcc
	v_mov_b32_e32 v4, s13
	v_cmp_ge_i64_e32 vcc, s[16:17], v[3:4]
	v_add_co_u32_e64 v27, s[0:1], s52, v27
	v_addc_co_u32_e64 v28, s[0:1], 0, v28, s[0:1]
	s_cbranch_vccnz .LBB129_25
.LBB129_9:                              ; =>This Inner Loop Header: Depth=1
	v_mov_b32_e32 v4, s17
	v_add_co_u32_e32 v3, vcc, s16, v0
	v_addc_co_u32_e32 v4, vcc, 0, v4, vcc
	v_cmp_gt_u64_e64 s[4:5], s[14:15], v[3:4]
	v_mov_b32_e32 v7, 0
	v_mov_b32_e32 v9, 0
	v_mov_b32_e32 v8, 0
	v_mov_b32_e32 v10, 0
	s_and_saveexec_b64 s[0:1], s[4:5]
	s_cbranch_execz .LBB129_11
; %bb.10:                               ;   in Loop: Header=BB129_9 Depth=1
	v_mov_b32_e32 v4, s19
	v_add_co_u32_e32 v3, vcc, s18, v11
	v_addc_co_u32_e32 v4, vcc, v12, v4, vcc
	global_load_dwordx2 v[9:10], v[3:4], off
.LBB129_11:                             ;   in Loop: Header=BB129_9 Depth=1
	s_or_b64 exec, exec, s[0:1]
	v_mov_b32_e32 v4, s17
	v_add_co_u32_e32 v3, vcc, s16, v23
	v_addc_co_u32_e32 v4, vcc, v24, v4, vcc
	v_cmp_gt_u64_e64 s[2:3], s[14:15], v[3:4]
	s_and_saveexec_b64 s[0:1], s[2:3]
	s_cbranch_execz .LBB129_13
; %bb.12:                               ;   in Loop: Header=BB129_9 Depth=1
	v_mov_b32_e32 v4, s19
	v_add_co_u32_e32 v3, vcc, s18, v25
	v_addc_co_u32_e32 v4, vcc, v26, v4, vcc
	global_load_dwordx2 v[7:8], v[3:4], off
.LBB129_13:                             ;   in Loop: Header=BB129_9 Depth=1
	s_or_b64 exec, exec, s[0:1]
	v_mov_b32_e32 v4, s17
	v_add_co_u32_e32 v3, vcc, s16, v31
	v_addc_co_u32_e32 v4, vcc, v32, v4, vcc
	v_cmp_gt_u64_e64 s[0:1], s[14:15], v[3:4]
	v_mov_b32_e32 v3, 0
	v_mov_b32_e32 v5, 0
	;; [unrolled: 1-line block ×4, first 2 shown]
	s_and_saveexec_b64 s[6:7], s[0:1]
	s_cbranch_execz .LBB129_15
; %bb.14:                               ;   in Loop: Header=BB129_9 Depth=1
	v_mov_b32_e32 v6, s19
	v_add_co_u32_e32 v5, vcc, s18, v19
	v_addc_co_u32_e32 v6, vcc, v20, v6, vcc
	global_load_dwordx2 v[5:6], v[5:6], off
.LBB129_15:                             ;   in Loop: Header=BB129_9 Depth=1
	s_or_b64 exec, exec, s[6:7]
	v_mov_b32_e32 v35, s17
	v_add_co_u32_e32 v34, vcc, s16, v29
	v_addc_co_u32_e32 v35, vcc, v30, v35, vcc
	v_cmp_gt_u64_e32 vcc, s[14:15], v[34:35]
	s_and_saveexec_b64 s[8:9], vcc
	s_cbranch_execnz .LBB129_20
; %bb.16:                               ;   in Loop: Header=BB129_9 Depth=1
	s_or_b64 exec, exec, s[8:9]
	s_and_saveexec_b64 s[50:51], s[4:5]
	s_cbranch_execnz .LBB129_21
.LBB129_17:                             ;   in Loop: Header=BB129_9 Depth=1
	s_or_b64 exec, exec, s[50:51]
	s_and_saveexec_b64 s[6:7], s[2:3]
	s_cbranch_execnz .LBB129_22
.LBB129_18:                             ;   in Loop: Header=BB129_9 Depth=1
	s_or_b64 exec, exec, s[6:7]
	s_and_saveexec_b64 s[4:5], s[0:1]
	s_cbranch_execnz .LBB129_23
.LBB129_19:                             ;   in Loop: Header=BB129_9 Depth=1
	s_or_b64 exec, exec, s[4:5]
	s_and_saveexec_b64 s[2:3], vcc
	s_cbranch_execz .LBB129_8
	s_branch .LBB129_24
.LBB129_20:                             ;   in Loop: Header=BB129_9 Depth=1
	v_mov_b32_e32 v4, s19
	v_add_co_u32_e64 v3, s[6:7], s18, v15
	v_addc_co_u32_e64 v4, s[6:7], v16, v4, s[6:7]
	global_load_dwordx2 v[3:4], v[3:4], off
	s_or_b64 exec, exec, s[8:9]
	s_and_saveexec_b64 s[50:51], s[4:5]
	s_cbranch_execz .LBB129_17
.LBB129_21:                             ;   in Loop: Header=BB129_9 Depth=1
	s_waitcnt vmcnt(0)
	v_mul_f64 v[34:35], v[9:10], s[20:21]
	v_cmp_nlt_f64_e64 s[4:5], s[46:47], v[9:10]
	v_cmp_ngt_f64_e64 s[6:7], s[48:49], v[9:10]
	v_rndne_f64_e32 v[34:35], v[34:35]
	s_and_b64 s[10:11], s[6:7], s[4:5]
	v_fma_f64 v[36:37], v[34:35], s[22:23], v[9:10]
	v_fma_f64 v[36:37], v[34:35], s[24:25], v[36:37]
	v_cvt_i32_f64_e32 v34, v[34:35]
	v_mov_b32_e32 v35, s19
	v_fma_f64 v[38:39], v[36:37], s[26:27], v[1:2]
	v_fma_f64 v[38:39], v[36:37], v[38:39], s[28:29]
	;; [unrolled: 1-line block ×9, first 2 shown]
	v_fma_f64 v[38:39], v[36:37], v[38:39], 1.0
	v_fma_f64 v[36:37], v[36:37], v[38:39], 1.0
	v_ldexp_f64 v[9:10], v[36:37], v34
	v_add_co_u32_e64 v34, s[8:9], s18, v13
	v_cndmask_b32_e64 v10, v33, v10, s[4:5]
	v_cndmask_b32_e64 v9, 0, v9, s[10:11]
	;; [unrolled: 1-line block ×3, first 2 shown]
	v_addc_co_u32_e64 v35, s[4:5], v14, v35, s[8:9]
	global_store_dwordx2 v[34:35], v[9:10], off
	s_or_b64 exec, exec, s[50:51]
	s_and_saveexec_b64 s[6:7], s[2:3]
	s_cbranch_execz .LBB129_18
.LBB129_22:                             ;   in Loop: Header=BB129_9 Depth=1
	s_waitcnt vmcnt(0)
	v_mul_f64 v[9:10], v[7:8], s[20:21]
	v_cmp_nlt_f64_e64 s[2:3], s[46:47], v[7:8]
	v_cmp_ngt_f64_e64 s[4:5], s[48:49], v[7:8]
	v_rndne_f64_e32 v[9:10], v[9:10]
	v_fma_f64 v[34:35], v[9:10], s[22:23], v[7:8]
	v_fma_f64 v[34:35], v[9:10], s[24:25], v[34:35]
	v_cvt_i32_f64_e32 v9, v[9:10]
	v_fma_f64 v[36:37], v[34:35], s[26:27], v[1:2]
	v_fma_f64 v[36:37], v[34:35], v[36:37], s[28:29]
	;; [unrolled: 1-line block ×9, first 2 shown]
	v_fma_f64 v[36:37], v[34:35], v[36:37], 1.0
	v_fma_f64 v[34:35], v[34:35], v[36:37], 1.0
	v_ldexp_f64 v[9:10], v[34:35], v9
	v_mov_b32_e32 v34, s19
	v_cndmask_b32_e64 v10, v33, v10, s[2:3]
	s_and_b64 s[2:3], s[4:5], s[2:3]
	v_cndmask_b32_e64 v7, 0, v9, s[2:3]
	v_add_co_u32_e64 v9, s[2:3], s18, v27
	v_cndmask_b32_e64 v8, 0, v10, s[4:5]
	v_addc_co_u32_e64 v10, s[2:3], v28, v34, s[2:3]
	global_store_dwordx2 v[9:10], v[7:8], off
	s_or_b64 exec, exec, s[6:7]
	s_and_saveexec_b64 s[4:5], s[0:1]
	s_cbranch_execz .LBB129_19
.LBB129_23:                             ;   in Loop: Header=BB129_9 Depth=1
	s_waitcnt vmcnt(0)
	v_mul_f64 v[7:8], v[5:6], s[20:21]
	v_cmp_nlt_f64_e64 s[0:1], s[46:47], v[5:6]
	v_cmp_ngt_f64_e64 s[2:3], s[48:49], v[5:6]
	v_rndne_f64_e32 v[7:8], v[7:8]
	v_fma_f64 v[9:10], v[7:8], s[22:23], v[5:6]
	v_fma_f64 v[9:10], v[7:8], s[24:25], v[9:10]
	v_cvt_i32_f64_e32 v7, v[7:8]
	v_fma_f64 v[34:35], v[9:10], s[26:27], v[1:2]
	v_fma_f64 v[34:35], v[9:10], v[34:35], s[28:29]
	;; [unrolled: 1-line block ×9, first 2 shown]
	v_fma_f64 v[34:35], v[9:10], v[34:35], 1.0
	v_fma_f64 v[9:10], v[9:10], v[34:35], 1.0
	v_ldexp_f64 v[7:8], v[9:10], v7
	v_mov_b32_e32 v9, s19
	v_cndmask_b32_e64 v8, v33, v8, s[0:1]
	s_and_b64 s[0:1], s[2:3], s[0:1]
	v_cndmask_b32_e64 v5, 0, v7, s[0:1]
	v_add_co_u32_e64 v7, s[0:1], s18, v21
	v_cndmask_b32_e64 v6, 0, v8, s[2:3]
	v_addc_co_u32_e64 v8, s[0:1], v22, v9, s[0:1]
	global_store_dwordx2 v[7:8], v[5:6], off
	s_or_b64 exec, exec, s[4:5]
	s_and_saveexec_b64 s[2:3], vcc
	s_cbranch_execz .LBB129_8
.LBB129_24:                             ;   in Loop: Header=BB129_9 Depth=1
	s_waitcnt vmcnt(0)
	v_mul_f64 v[5:6], v[3:4], s[20:21]
	v_cmp_nlt_f64_e32 vcc, s[46:47], v[3:4]
	v_cmp_ngt_f64_e64 s[0:1], s[48:49], v[3:4]
	v_rndne_f64_e32 v[5:6], v[5:6]
	v_fma_f64 v[7:8], v[5:6], s[22:23], v[3:4]
	v_fma_f64 v[7:8], v[5:6], s[24:25], v[7:8]
	v_cvt_i32_f64_e32 v5, v[5:6]
	v_fma_f64 v[9:10], v[7:8], s[26:27], v[1:2]
	v_fma_f64 v[9:10], v[7:8], v[9:10], s[28:29]
	;; [unrolled: 1-line block ×9, first 2 shown]
	v_fma_f64 v[9:10], v[7:8], v[9:10], 1.0
	v_fma_f64 v[7:8], v[7:8], v[9:10], 1.0
	v_ldexp_f64 v[5:6], v[7:8], v5
	v_mov_b32_e32 v7, s19
	v_cndmask_b32_e32 v6, v33, v6, vcc
	s_and_b64 vcc, s[0:1], vcc
	v_cndmask_b32_e32 v3, 0, v5, vcc
	v_add_co_u32_e32 v5, vcc, s18, v17
	v_cndmask_b32_e64 v4, 0, v6, s[0:1]
	v_addc_co_u32_e32 v6, vcc, v18, v7, vcc
	global_store_dwordx2 v[5:6], v[3:4], off
	s_branch .LBB129_8
.LBB129_25:
	s_endpgm
	.section	.rodata,"a",@progbits
	.p2align	6, 0x0
	.amdhsa_kernel _ZN2at6native12_GLOBAL__N_125multi_tensor_apply_kernelINS1_18TensorListMetadataILi2EEENS1_14UnaryOpFunctorIdLi2ELi1ELi1EEEJNS0_3ExpIdEEEEEvT_T0_DpT1_
		.amdhsa_group_segment_fixed_size 0
		.amdhsa_private_segment_fixed_size 0
		.amdhsa_kernarg_size 3408
		.amdhsa_user_sgpr_count 6
		.amdhsa_user_sgpr_private_segment_buffer 1
		.amdhsa_user_sgpr_dispatch_ptr 0
		.amdhsa_user_sgpr_queue_ptr 0
		.amdhsa_user_sgpr_kernarg_segment_ptr 1
		.amdhsa_user_sgpr_dispatch_id 0
		.amdhsa_user_sgpr_flat_scratch_init 0
		.amdhsa_user_sgpr_private_segment_size 0
		.amdhsa_uses_dynamic_stack 0
		.amdhsa_system_sgpr_private_segment_wavefront_offset 0
		.amdhsa_system_sgpr_workgroup_id_x 1
		.amdhsa_system_sgpr_workgroup_id_y 0
		.amdhsa_system_sgpr_workgroup_id_z 0
		.amdhsa_system_sgpr_workgroup_info 0
		.amdhsa_system_vgpr_workitem_id 0
		.amdhsa_next_free_vgpr 40
		.amdhsa_next_free_sgpr 63
		.amdhsa_reserve_vcc 1
		.amdhsa_reserve_flat_scratch 0
		.amdhsa_float_round_mode_32 0
		.amdhsa_float_round_mode_16_64 0
		.amdhsa_float_denorm_mode_32 3
		.amdhsa_float_denorm_mode_16_64 3
		.amdhsa_dx10_clamp 1
		.amdhsa_ieee_mode 1
		.amdhsa_fp16_overflow 0
		.amdhsa_exception_fp_ieee_invalid_op 0
		.amdhsa_exception_fp_denorm_src 0
		.amdhsa_exception_fp_ieee_div_zero 0
		.amdhsa_exception_fp_ieee_overflow 0
		.amdhsa_exception_fp_ieee_underflow 0
		.amdhsa_exception_fp_ieee_inexact 0
		.amdhsa_exception_int_div_zero 0
	.end_amdhsa_kernel
	.section	.text._ZN2at6native12_GLOBAL__N_125multi_tensor_apply_kernelINS1_18TensorListMetadataILi2EEENS1_14UnaryOpFunctorIdLi2ELi1ELi1EEEJNS0_3ExpIdEEEEEvT_T0_DpT1_,"axG",@progbits,_ZN2at6native12_GLOBAL__N_125multi_tensor_apply_kernelINS1_18TensorListMetadataILi2EEENS1_14UnaryOpFunctorIdLi2ELi1ELi1EEEJNS0_3ExpIdEEEEEvT_T0_DpT1_,comdat
.Lfunc_end129:
	.size	_ZN2at6native12_GLOBAL__N_125multi_tensor_apply_kernelINS1_18TensorListMetadataILi2EEENS1_14UnaryOpFunctorIdLi2ELi1ELi1EEEJNS0_3ExpIdEEEEEvT_T0_DpT1_, .Lfunc_end129-_ZN2at6native12_GLOBAL__N_125multi_tensor_apply_kernelINS1_18TensorListMetadataILi2EEENS1_14UnaryOpFunctorIdLi2ELi1ELi1EEEJNS0_3ExpIdEEEEEvT_T0_DpT1_
                                        ; -- End function
	.set _ZN2at6native12_GLOBAL__N_125multi_tensor_apply_kernelINS1_18TensorListMetadataILi2EEENS1_14UnaryOpFunctorIdLi2ELi1ELi1EEEJNS0_3ExpIdEEEEEvT_T0_DpT1_.num_vgpr, 40
	.set _ZN2at6native12_GLOBAL__N_125multi_tensor_apply_kernelINS1_18TensorListMetadataILi2EEENS1_14UnaryOpFunctorIdLi2ELi1ELi1EEEJNS0_3ExpIdEEEEEvT_T0_DpT1_.num_agpr, 0
	.set _ZN2at6native12_GLOBAL__N_125multi_tensor_apply_kernelINS1_18TensorListMetadataILi2EEENS1_14UnaryOpFunctorIdLi2ELi1ELi1EEEJNS0_3ExpIdEEEEEvT_T0_DpT1_.numbered_sgpr, 63
	.set _ZN2at6native12_GLOBAL__N_125multi_tensor_apply_kernelINS1_18TensorListMetadataILi2EEENS1_14UnaryOpFunctorIdLi2ELi1ELi1EEEJNS0_3ExpIdEEEEEvT_T0_DpT1_.num_named_barrier, 0
	.set _ZN2at6native12_GLOBAL__N_125multi_tensor_apply_kernelINS1_18TensorListMetadataILi2EEENS1_14UnaryOpFunctorIdLi2ELi1ELi1EEEJNS0_3ExpIdEEEEEvT_T0_DpT1_.private_seg_size, 0
	.set _ZN2at6native12_GLOBAL__N_125multi_tensor_apply_kernelINS1_18TensorListMetadataILi2EEENS1_14UnaryOpFunctorIdLi2ELi1ELi1EEEJNS0_3ExpIdEEEEEvT_T0_DpT1_.uses_vcc, 1
	.set _ZN2at6native12_GLOBAL__N_125multi_tensor_apply_kernelINS1_18TensorListMetadataILi2EEENS1_14UnaryOpFunctorIdLi2ELi1ELi1EEEJNS0_3ExpIdEEEEEvT_T0_DpT1_.uses_flat_scratch, 0
	.set _ZN2at6native12_GLOBAL__N_125multi_tensor_apply_kernelINS1_18TensorListMetadataILi2EEENS1_14UnaryOpFunctorIdLi2ELi1ELi1EEEJNS0_3ExpIdEEEEEvT_T0_DpT1_.has_dyn_sized_stack, 0
	.set _ZN2at6native12_GLOBAL__N_125multi_tensor_apply_kernelINS1_18TensorListMetadataILi2EEENS1_14UnaryOpFunctorIdLi2ELi1ELi1EEEJNS0_3ExpIdEEEEEvT_T0_DpT1_.has_recursion, 0
	.set _ZN2at6native12_GLOBAL__N_125multi_tensor_apply_kernelINS1_18TensorListMetadataILi2EEENS1_14UnaryOpFunctorIdLi2ELi1ELi1EEEJNS0_3ExpIdEEEEEvT_T0_DpT1_.has_indirect_call, 0
	.section	.AMDGPU.csdata,"",@progbits
; Kernel info:
; codeLenInByte = 3080
; TotalNumSgprs: 67
; NumVgprs: 40
; ScratchSize: 0
; MemoryBound: 0
; FloatMode: 240
; IeeeMode: 1
; LDSByteSize: 0 bytes/workgroup (compile time only)
; SGPRBlocks: 8
; VGPRBlocks: 9
; NumSGPRsForWavesPerEU: 67
; NumVGPRsForWavesPerEU: 40
; Occupancy: 6
; WaveLimiterHint : 0
; COMPUTE_PGM_RSRC2:SCRATCH_EN: 0
; COMPUTE_PGM_RSRC2:USER_SGPR: 6
; COMPUTE_PGM_RSRC2:TRAP_HANDLER: 0
; COMPUTE_PGM_RSRC2:TGID_X_EN: 1
; COMPUTE_PGM_RSRC2:TGID_Y_EN: 0
; COMPUTE_PGM_RSRC2:TGID_Z_EN: 0
; COMPUTE_PGM_RSRC2:TIDIG_COMP_CNT: 0
	.section	.text._ZN2at6native12_GLOBAL__N_125multi_tensor_apply_kernelINS1_18TensorListMetadataILi2EEENS1_14UnaryOpFunctorIfLi2ELi1ELi1EEEJNS0_3ExpIfEEEEEvT_T0_DpT1_,"axG",@progbits,_ZN2at6native12_GLOBAL__N_125multi_tensor_apply_kernelINS1_18TensorListMetadataILi2EEENS1_14UnaryOpFunctorIfLi2ELi1ELi1EEEJNS0_3ExpIfEEEEEvT_T0_DpT1_,comdat
	.globl	_ZN2at6native12_GLOBAL__N_125multi_tensor_apply_kernelINS1_18TensorListMetadataILi2EEENS1_14UnaryOpFunctorIfLi2ELi1ELi1EEEJNS0_3ExpIfEEEEEvT_T0_DpT1_ ; -- Begin function _ZN2at6native12_GLOBAL__N_125multi_tensor_apply_kernelINS1_18TensorListMetadataILi2EEENS1_14UnaryOpFunctorIfLi2ELi1ELi1EEEJNS0_3ExpIfEEEEEvT_T0_DpT1_
	.p2align	8
	.type	_ZN2at6native12_GLOBAL__N_125multi_tensor_apply_kernelINS1_18TensorListMetadataILi2EEENS1_14UnaryOpFunctorIfLi2ELi1ELi1EEEJNS0_3ExpIfEEEEEvT_T0_DpT1_,@function
_ZN2at6native12_GLOBAL__N_125multi_tensor_apply_kernelINS1_18TensorListMetadataILi2EEENS1_14UnaryOpFunctorIfLi2ELi1ELi1EEEJNS0_3ExpIfEEEEEvT_T0_DpT1_: ; @_ZN2at6native12_GLOBAL__N_125multi_tensor_apply_kernelINS1_18TensorListMetadataILi2EEENS1_14UnaryOpFunctorIfLi2ELi1ELi1EEEJNS0_3ExpIfEEEEEvT_T0_DpT1_
; %bb.0:
	v_mov_b32_e32 v1, s6
	global_load_ubyte v1, v1, s[4:5] offset:1536
	s_add_u32 s0, s4, s6
	s_mul_hi_u32 s2, s6, 3
	s_mul_i32 s6, s6, 3
	s_addc_u32 s7, s5, 0
	s_add_u32 s6, s0, s6
	s_addc_u32 s7, s7, s2
	s_load_dword s6, s[6:7], 0x740
	s_mov_b32 s1, 0
	s_mov_b32 s3, s1
	s_waitcnt lgkmcnt(0)
	s_ashr_i32 s7, s6, 31
	s_lshl_b64 s[8:9], s[6:7], 18
	s_lshl_b64 s[6:7], s[6:7], 16
	s_waitcnt vmcnt(0)
	v_readfirstlane_b32 s0, v1
	s_lshl_b32 s0, s0, 3
	s_load_dwordx2 s[10:11], s[4:5], s0 offset:0x400
	s_load_dwordx2 s[16:17], s[4:5], s0 offset:0x0
	;; [unrolled: 1-line block ×3, first 2 shown]
	s_waitcnt lgkmcnt(0)
	s_add_u32 s0, s16, s8
	s_and_b32 s2, s14, 15
	s_and_b32 s0, s0, 15
	s_sub_u32 s12, s10, s6
	s_subb_u32 s13, s11, s7
	s_and_b32 s6, s10, 3
	s_mov_b32 s7, s1
	s_or_b64 s[2:3], s[2:3], s[6:7]
	s_or_b64 s[0:1], s[2:3], s[0:1]
	s_cmp_eq_u64 s[0:1], 0
	s_mov_b64 s[0:1], -1
	s_cbranch_scc0 .LBB130_5
; %bb.1:
	v_mov_b32_e32 v1, 0x10000
	v_mov_b32_e32 v2, 0
	v_cmp_lt_i64_e32 vcc, s[12:13], v[1:2]
	v_mov_b32_e32 v2, 0
	s_and_b64 s[0:1], vcc, exec
	s_cselect_b32 s11, s13, 0
	s_cselect_b32 s10, s12, 0x10000
	v_lshlrev_b32_e32 v1, 2, v0
	v_cmp_gt_i64_e32 vcc, s[10:11], v[1:2]
	s_and_saveexec_b64 s[18:19], vcc
	s_cbranch_execz .LBB130_4
; %bb.2:
	s_load_dword s0, s[4:5], 0xc5c
	v_mov_b32_e32 v1, v2
	v_lshlrev_b32_e32 v2, 4, v0
	v_mov_b32_e32 v4, s9
	v_add_co_u32_e32 v3, vcc, s8, v2
	s_waitcnt lgkmcnt(0)
	s_and_b32 s22, s0, 0xffff
	v_mov_b32_e32 v2, v1
	v_addc_co_u32_e32 v4, vcc, 0, v4, vcc
	s_lshl_b32 s23, s22, 4
	s_mov_b64 s[20:21], 0
	v_mov_b32_e32 v5, s17
	s_mov_b32 s24, 0x3fb8aa3b
	s_mov_b32 s25, 0xc2ce8ed0
	;; [unrolled: 1-line block ×3, first 2 shown]
	v_mov_b32_e32 v6, 0x7f800000
	v_mov_b32_e32 v7, s15
	;; [unrolled: 1-line block ×3, first 2 shown]
.LBB130_3:                              ; =>This Inner Loop Header: Depth=1
	v_add_co_u32_e32 v8, vcc, s16, v3
	v_addc_co_u32_e32 v9, vcc, v5, v4, vcc
	global_load_dwordx4 v[8:11], v[8:9], off
	v_add_co_u32_e32 v1, vcc, s22, v1
	v_addc_co_u32_e32 v2, vcc, 0, v2, vcc
	v_add_co_u32_e32 v12, vcc, s14, v3
	v_addc_co_u32_e32 v13, vcc, v7, v4, vcc
	v_add_co_u32_e32 v3, vcc, s23, v3
	v_lshlrev_b64 v[14:15], 2, v[1:2]
	v_addc_co_u32_e32 v4, vcc, 0, v4, vcc
	v_cmp_le_i64_e32 vcc, s[10:11], v[14:15]
	s_or_b64 s[20:21], vcc, s[20:21]
	s_waitcnt vmcnt(0)
	v_mul_f32_e32 v14, 0x3fb8aa3b, v8
	v_mul_f32_e32 v15, 0x3fb8aa3b, v9
	;; [unrolled: 1-line block ×4, first 2 shown]
	v_fma_f32 v18, v8, s24, -v14
	v_rndne_f32_e32 v19, v14
	v_fma_f32 v20, v9, s24, -v15
	v_rndne_f32_e32 v21, v15
	;; [unrolled: 2-line block ×4, first 2 shown]
	v_fmac_f32_e32 v18, 0x32a5705f, v8
	v_sub_f32_e32 v14, v14, v19
	v_fmac_f32_e32 v20, 0x32a5705f, v9
	v_sub_f32_e32 v15, v15, v21
	;; [unrolled: 2-line block ×4, first 2 shown]
	v_add_f32_e32 v14, v14, v18
	v_add_f32_e32 v15, v15, v20
	;; [unrolled: 1-line block ×4, first 2 shown]
	v_cvt_i32_f32_e32 v19, v19
	v_cvt_i32_f32_e32 v21, v21
	;; [unrolled: 1-line block ×4, first 2 shown]
	v_exp_f32_e32 v14, v14
	v_exp_f32_e32 v15, v15
	;; [unrolled: 1-line block ×4, first 2 shown]
	v_ldexp_f32 v14, v14, v19
	v_ldexp_f32 v15, v15, v21
	v_cmp_ngt_f32_e32 vcc, s25, v9
	v_ldexp_f32 v16, v16, v23
	v_cmp_ngt_f32_e64 s[0:1], s25, v10
	v_ldexp_f32 v17, v17, v25
	v_cmp_ngt_f32_e64 s[2:3], s25, v11
	v_cmp_ngt_f32_e64 s[6:7], s25, v8
	v_cndmask_b32_e64 v14, 0, v14, s[6:7]
	v_cndmask_b32_e32 v15, 0, v15, vcc
	v_cmp_nlt_f32_e32 vcc, s26, v9
	v_cndmask_b32_e64 v16, 0, v16, s[0:1]
	v_cmp_nlt_f32_e64 s[0:1], s26, v10
	v_cndmask_b32_e64 v17, 0, v17, s[2:3]
	v_cmp_nlt_f32_e64 s[2:3], s26, v11
	v_cmp_nlt_f32_e64 s[6:7], s26, v8
	v_cndmask_b32_e64 v8, v6, v14, s[6:7]
	v_cndmask_b32_e32 v9, v6, v15, vcc
	v_cndmask_b32_e64 v10, v6, v16, s[0:1]
	v_cndmask_b32_e64 v11, v6, v17, s[2:3]
	global_store_dwordx4 v[12:13], v[8:11], off
	s_andn2_b64 exec, exec, s[20:21]
	s_cbranch_execnz .LBB130_3
.LBB130_4:
	s_or_b64 exec, exec, s[18:19]
	s_mov_b64 s[0:1], 0
.LBB130_5:
	s_andn2_b64 vcc, exec, s[0:1]
	s_cbranch_vccnz .LBB130_25
; %bb.6:
	v_cmp_lt_i64_e64 s[0:1], s[12:13], 1
	s_and_b64 vcc, exec, s[0:1]
	s_cbranch_vccnz .LBB130_25
; %bb.7:
	v_mov_b32_e32 v1, 0x10000
	s_load_dword s2, s[4:5], 0xc5c
	v_mov_b32_e32 v2, 0
	v_cmp_lt_i64_e32 vcc, s[12:13], v[1:2]
	v_mov_b32_e32 v10, 0
	s_and_b64 s[0:1], vcc, exec
	v_cmp_lt_u64_e32 vcc, s[12:13], v[1:2]
	s_cselect_b32 s11, s13, 0
	s_cselect_b32 s10, s12, 0x10000
	s_waitcnt lgkmcnt(0)
	s_and_b32 s2, s2, 0xffff
	v_lshlrev_b32_e32 v9, 2, v0
	s_and_b64 s[0:1], vcc, exec
	v_mov_b32_e32 v2, s17
	v_add_co_u32_e32 v1, vcc, s16, v9
	v_mad_u64_u32 v[7:8], s[0:1], s2, 12, v[9:10]
	v_addc_co_u32_e32 v2, vcc, 0, v2, vcc
	v_mov_b32_e32 v4, s15
	v_add_co_u32_e32 v3, vcc, s14, v9
	v_addc_co_u32_e32 v4, vcc, 0, v4, vcc
	v_mov_b32_e32 v6, s17
	v_add_co_u32_e32 v5, vcc, s16, v7
	;; [unrolled: 3-line block ×3, first 2 shown]
	s_cselect_b32 s13, s13, 0
	s_cselect_b32 s12, s12, 0x10000
	v_addc_co_u32_e32 v8, vcc, v10, v8, vcc
	s_lshl_b32 s0, s2, 3
	v_add_co_u32_e32 v11, vcc, s0, v9
	v_addc_co_u32_e64 v12, s[0:1], 0, 0, vcc
	v_mov_b32_e32 v10, s17
	v_add_co_u32_e32 v9, vcc, s16, v11
	v_addc_co_u32_e32 v10, vcc, v10, v12, vcc
	v_mov_b32_e32 v13, s15
	v_add_co_u32_e32 v11, vcc, s14, v11
	v_addc_co_u32_e32 v12, vcc, v13, v12, vcc
	v_add_co_u32_e32 v13, vcc, s2, v0
	v_lshlrev_b32_e32 v17, 2, v13
	v_addc_co_u32_e64 v14, s[0:1], 0, 0, vcc
	v_mov_b32_e32 v16, s17
	v_add_co_u32_e32 v15, vcc, s16, v17
	v_addc_co_u32_e32 v16, vcc, 0, v16, vcc
	v_mov_b32_e32 v18, s15
	v_add_co_u32_e32 v17, vcc, s14, v17
	s_mul_i32 s4, s2, 3
	v_addc_co_u32_e32 v18, vcc, 0, v18, vcc
	s_lshl_b32 s3, s2, 1
	v_add_co_u32_e32 v19, vcc, s4, v0
	v_addc_co_u32_e64 v20, s[0:1], 0, 0, vcc
	v_add_co_u32_e32 v21, vcc, s3, v0
	s_lshl_b32 s18, s2, 2
	s_lshl_b32 s19, s2, 4
	s_mov_b64 s[14:15], 0
	s_mov_b32 s20, 0x3fb8aa3b
	s_mov_b32 s21, 0xc2ce8ed0
	;; [unrolled: 1-line block ×3, first 2 shown]
	v_addc_co_u32_e64 v22, s[0:1], 0, 0, vcc
	v_mov_b32_e32 v23, 0x7f800000
	s_branch .LBB130_9
.LBB130_8:                              ;   in Loop: Header=BB130_9 Depth=1
	s_or_b64 exec, exec, s[0:1]
	v_add_co_u32_e32 v1, vcc, s19, v1
	v_addc_co_u32_e32 v2, vcc, 0, v2, vcc
	v_add_co_u32_e32 v3, vcc, s19, v3
	v_addc_co_u32_e32 v4, vcc, 0, v4, vcc
	;; [unrolled: 2-line block ×6, first 2 shown]
	s_add_u32 s14, s14, s18
	v_add_co_u32_e32 v15, vcc, s19, v15
	v_mov_b32_e32 v25, s11
	s_addc_u32 s15, s15, 0
	v_addc_co_u32_e32 v16, vcc, 0, v16, vcc
	v_mov_b32_e32 v24, s10
	v_cmp_ge_i64_e32 vcc, s[14:15], v[24:25]
	v_add_co_u32_e64 v17, s[0:1], s19, v17
	v_addc_co_u32_e64 v18, s[0:1], 0, v18, s[0:1]
	s_cbranch_vccnz .LBB130_25
.LBB130_9:                              ; =>This Inner Loop Header: Depth=1
	v_mov_b32_e32 v25, s15
	v_add_co_u32_e32 v24, vcc, s14, v0
	v_addc_co_u32_e32 v25, vcc, 0, v25, vcc
	v_cmp_gt_u64_e32 vcc, s[12:13], v[24:25]
	v_mov_b32_e32 v24, 1.0
	v_mov_b32_e32 v25, 1.0
	s_and_saveexec_b64 s[2:3], vcc
	s_cbranch_execz .LBB130_11
; %bb.10:                               ;   in Loop: Header=BB130_9 Depth=1
	v_mov_b32_e32 v26, s9
	v_add_co_u32_e64 v25, s[0:1], s8, v1
	v_addc_co_u32_e64 v26, s[0:1], v2, v26, s[0:1]
	global_load_dword v25, v[25:26], off
	s_waitcnt vmcnt(0)
	v_mul_f32_e32 v26, 0x3fb8aa3b, v25
	v_fma_f32 v27, v25, s20, -v26
	v_rndne_f32_e32 v28, v26
	v_fmac_f32_e32 v27, 0x32a5705f, v25
	v_sub_f32_e32 v26, v26, v28
	v_add_f32_e32 v26, v26, v27
	v_cvt_i32_f32_e32 v28, v28
	v_exp_f32_e32 v26, v26
	v_cmp_ngt_f32_e64 s[0:1], s21, v25
	v_ldexp_f32 v26, v26, v28
	v_cndmask_b32_e64 v26, 0, v26, s[0:1]
	v_cmp_nlt_f32_e64 s[0:1], s22, v25
	v_cndmask_b32_e64 v25, v23, v26, s[0:1]
.LBB130_11:                             ;   in Loop: Header=BB130_9 Depth=1
	s_or_b64 exec, exec, s[2:3]
	v_mov_b32_e32 v27, s15
	v_add_co_u32_e64 v26, s[0:1], s14, v13
	v_addc_co_u32_e64 v27, s[0:1], v14, v27, s[0:1]
	v_cmp_gt_u64_e64 s[0:1], s[12:13], v[26:27]
	s_and_saveexec_b64 s[4:5], s[0:1]
	s_cbranch_execz .LBB130_13
; %bb.12:                               ;   in Loop: Header=BB130_9 Depth=1
	v_mov_b32_e32 v24, s9
	v_add_co_u32_e64 v26, s[2:3], s8, v15
	v_addc_co_u32_e64 v27, s[2:3], v16, v24, s[2:3]
	global_load_dword v24, v[26:27], off
	s_waitcnt vmcnt(0)
	v_mul_f32_e32 v26, 0x3fb8aa3b, v24
	v_fma_f32 v27, v24, s20, -v26
	v_rndne_f32_e32 v28, v26
	v_fmac_f32_e32 v27, 0x32a5705f, v24
	v_sub_f32_e32 v26, v26, v28
	v_add_f32_e32 v26, v26, v27
	v_cvt_i32_f32_e32 v28, v28
	v_exp_f32_e32 v26, v26
	v_cmp_ngt_f32_e64 s[2:3], s21, v24
	v_ldexp_f32 v26, v26, v28
	v_cndmask_b32_e64 v26, 0, v26, s[2:3]
	v_cmp_nlt_f32_e64 s[2:3], s22, v24
	v_cndmask_b32_e64 v24, v23, v26, s[2:3]
.LBB130_13:                             ;   in Loop: Header=BB130_9 Depth=1
	s_or_b64 exec, exec, s[4:5]
	v_mov_b32_e32 v27, s15
	v_add_co_u32_e64 v26, s[2:3], s14, v21
	v_addc_co_u32_e64 v27, s[2:3], v22, v27, s[2:3]
	v_cmp_gt_u64_e64 s[2:3], s[12:13], v[26:27]
	v_mov_b32_e32 v26, 1.0
	v_mov_b32_e32 v27, 1.0
	s_and_saveexec_b64 s[6:7], s[2:3]
	s_cbranch_execz .LBB130_15
; %bb.14:                               ;   in Loop: Header=BB130_9 Depth=1
	v_mov_b32_e32 v28, s9
	v_add_co_u32_e64 v27, s[4:5], s8, v9
	v_addc_co_u32_e64 v28, s[4:5], v10, v28, s[4:5]
	global_load_dword v27, v[27:28], off
	s_waitcnt vmcnt(0)
	v_mul_f32_e32 v28, 0x3fb8aa3b, v27
	v_fma_f32 v29, v27, s20, -v28
	v_rndne_f32_e32 v30, v28
	v_fmac_f32_e32 v29, 0x32a5705f, v27
	v_sub_f32_e32 v28, v28, v30
	v_add_f32_e32 v28, v28, v29
	v_cvt_i32_f32_e32 v30, v30
	v_exp_f32_e32 v28, v28
	v_cmp_ngt_f32_e64 s[4:5], s21, v27
	v_ldexp_f32 v28, v28, v30
	v_cndmask_b32_e64 v28, 0, v28, s[4:5]
	v_cmp_nlt_f32_e64 s[4:5], s22, v27
	v_cndmask_b32_e64 v27, v23, v28, s[4:5]
.LBB130_15:                             ;   in Loop: Header=BB130_9 Depth=1
	s_or_b64 exec, exec, s[6:7]
	v_mov_b32_e32 v29, s15
	v_add_co_u32_e64 v28, s[4:5], s14, v19
	v_addc_co_u32_e64 v29, s[4:5], v20, v29, s[4:5]
	v_cmp_gt_u64_e64 s[4:5], s[12:13], v[28:29]
	s_and_saveexec_b64 s[16:17], s[4:5]
	s_cbranch_execnz .LBB130_20
; %bb.16:                               ;   in Loop: Header=BB130_9 Depth=1
	s_or_b64 exec, exec, s[16:17]
	s_and_saveexec_b64 s[6:7], vcc
	s_cbranch_execnz .LBB130_21
.LBB130_17:                             ;   in Loop: Header=BB130_9 Depth=1
	s_or_b64 exec, exec, s[6:7]
	s_and_saveexec_b64 s[6:7], s[0:1]
	s_cbranch_execnz .LBB130_22
.LBB130_18:                             ;   in Loop: Header=BB130_9 Depth=1
	s_or_b64 exec, exec, s[6:7]
	s_and_saveexec_b64 s[0:1], s[2:3]
	s_cbranch_execnz .LBB130_23
.LBB130_19:                             ;   in Loop: Header=BB130_9 Depth=1
	s_or_b64 exec, exec, s[0:1]
	s_and_saveexec_b64 s[0:1], s[4:5]
	s_cbranch_execz .LBB130_8
	s_branch .LBB130_24
.LBB130_20:                             ;   in Loop: Header=BB130_9 Depth=1
	v_mov_b32_e32 v26, s9
	v_add_co_u32_e64 v28, s[6:7], s8, v5
	v_addc_co_u32_e64 v29, s[6:7], v6, v26, s[6:7]
	global_load_dword v26, v[28:29], off
	s_waitcnt vmcnt(0)
	v_mul_f32_e32 v28, 0x3fb8aa3b, v26
	v_fma_f32 v29, v26, s20, -v28
	v_rndne_f32_e32 v30, v28
	v_fmac_f32_e32 v29, 0x32a5705f, v26
	v_sub_f32_e32 v28, v28, v30
	v_add_f32_e32 v28, v28, v29
	v_cvt_i32_f32_e32 v30, v30
	v_exp_f32_e32 v28, v28
	v_cmp_ngt_f32_e64 s[6:7], s21, v26
	v_ldexp_f32 v28, v28, v30
	v_cndmask_b32_e64 v28, 0, v28, s[6:7]
	v_cmp_nlt_f32_e64 s[6:7], s22, v26
	v_cndmask_b32_e64 v26, v23, v28, s[6:7]
	s_or_b64 exec, exec, s[16:17]
	s_and_saveexec_b64 s[6:7], vcc
	s_cbranch_execz .LBB130_17
.LBB130_21:                             ;   in Loop: Header=BB130_9 Depth=1
	v_mov_b32_e32 v29, s9
	v_add_co_u32_e32 v28, vcc, s8, v3
	v_addc_co_u32_e32 v29, vcc, v4, v29, vcc
	global_store_dword v[28:29], v25, off
	s_or_b64 exec, exec, s[6:7]
	s_and_saveexec_b64 s[6:7], s[0:1]
	s_cbranch_execz .LBB130_18
.LBB130_22:                             ;   in Loop: Header=BB130_9 Depth=1
	v_mov_b32_e32 v25, s9
	v_add_co_u32_e32 v28, vcc, s8, v17
	v_addc_co_u32_e32 v29, vcc, v18, v25, vcc
	global_store_dword v[28:29], v24, off
	s_or_b64 exec, exec, s[6:7]
	s_and_saveexec_b64 s[0:1], s[2:3]
	s_cbranch_execz .LBB130_19
.LBB130_23:                             ;   in Loop: Header=BB130_9 Depth=1
	v_mov_b32_e32 v25, s9
	v_add_co_u32_e32 v24, vcc, s8, v11
	v_addc_co_u32_e32 v25, vcc, v12, v25, vcc
	global_store_dword v[24:25], v27, off
	s_or_b64 exec, exec, s[0:1]
	s_and_saveexec_b64 s[0:1], s[4:5]
	s_cbranch_execz .LBB130_8
.LBB130_24:                             ;   in Loop: Header=BB130_9 Depth=1
	v_mov_b32_e32 v25, s9
	v_add_co_u32_e32 v24, vcc, s8, v7
	v_addc_co_u32_e32 v25, vcc, v8, v25, vcc
	global_store_dword v[24:25], v26, off
	s_branch .LBB130_8
.LBB130_25:
	s_endpgm
	.section	.rodata,"a",@progbits
	.p2align	6, 0x0
	.amdhsa_kernel _ZN2at6native12_GLOBAL__N_125multi_tensor_apply_kernelINS1_18TensorListMetadataILi2EEENS1_14UnaryOpFunctorIfLi2ELi1ELi1EEEJNS0_3ExpIfEEEEEvT_T0_DpT1_
		.amdhsa_group_segment_fixed_size 0
		.amdhsa_private_segment_fixed_size 0
		.amdhsa_kernarg_size 3408
		.amdhsa_user_sgpr_count 6
		.amdhsa_user_sgpr_private_segment_buffer 1
		.amdhsa_user_sgpr_dispatch_ptr 0
		.amdhsa_user_sgpr_queue_ptr 0
		.amdhsa_user_sgpr_kernarg_segment_ptr 1
		.amdhsa_user_sgpr_dispatch_id 0
		.amdhsa_user_sgpr_flat_scratch_init 0
		.amdhsa_user_sgpr_private_segment_size 0
		.amdhsa_uses_dynamic_stack 0
		.amdhsa_system_sgpr_private_segment_wavefront_offset 0
		.amdhsa_system_sgpr_workgroup_id_x 1
		.amdhsa_system_sgpr_workgroup_id_y 0
		.amdhsa_system_sgpr_workgroup_id_z 0
		.amdhsa_system_sgpr_workgroup_info 0
		.amdhsa_system_vgpr_workitem_id 0
		.amdhsa_next_free_vgpr 31
		.amdhsa_next_free_sgpr 27
		.amdhsa_reserve_vcc 1
		.amdhsa_reserve_flat_scratch 0
		.amdhsa_float_round_mode_32 0
		.amdhsa_float_round_mode_16_64 0
		.amdhsa_float_denorm_mode_32 3
		.amdhsa_float_denorm_mode_16_64 3
		.amdhsa_dx10_clamp 1
		.amdhsa_ieee_mode 1
		.amdhsa_fp16_overflow 0
		.amdhsa_exception_fp_ieee_invalid_op 0
		.amdhsa_exception_fp_denorm_src 0
		.amdhsa_exception_fp_ieee_div_zero 0
		.amdhsa_exception_fp_ieee_overflow 0
		.amdhsa_exception_fp_ieee_underflow 0
		.amdhsa_exception_fp_ieee_inexact 0
		.amdhsa_exception_int_div_zero 0
	.end_amdhsa_kernel
	.section	.text._ZN2at6native12_GLOBAL__N_125multi_tensor_apply_kernelINS1_18TensorListMetadataILi2EEENS1_14UnaryOpFunctorIfLi2ELi1ELi1EEEJNS0_3ExpIfEEEEEvT_T0_DpT1_,"axG",@progbits,_ZN2at6native12_GLOBAL__N_125multi_tensor_apply_kernelINS1_18TensorListMetadataILi2EEENS1_14UnaryOpFunctorIfLi2ELi1ELi1EEEJNS0_3ExpIfEEEEEvT_T0_DpT1_,comdat
.Lfunc_end130:
	.size	_ZN2at6native12_GLOBAL__N_125multi_tensor_apply_kernelINS1_18TensorListMetadataILi2EEENS1_14UnaryOpFunctorIfLi2ELi1ELi1EEEJNS0_3ExpIfEEEEEvT_T0_DpT1_, .Lfunc_end130-_ZN2at6native12_GLOBAL__N_125multi_tensor_apply_kernelINS1_18TensorListMetadataILi2EEENS1_14UnaryOpFunctorIfLi2ELi1ELi1EEEJNS0_3ExpIfEEEEEvT_T0_DpT1_
                                        ; -- End function
	.set _ZN2at6native12_GLOBAL__N_125multi_tensor_apply_kernelINS1_18TensorListMetadataILi2EEENS1_14UnaryOpFunctorIfLi2ELi1ELi1EEEJNS0_3ExpIfEEEEEvT_T0_DpT1_.num_vgpr, 31
	.set _ZN2at6native12_GLOBAL__N_125multi_tensor_apply_kernelINS1_18TensorListMetadataILi2EEENS1_14UnaryOpFunctorIfLi2ELi1ELi1EEEJNS0_3ExpIfEEEEEvT_T0_DpT1_.num_agpr, 0
	.set _ZN2at6native12_GLOBAL__N_125multi_tensor_apply_kernelINS1_18TensorListMetadataILi2EEENS1_14UnaryOpFunctorIfLi2ELi1ELi1EEEJNS0_3ExpIfEEEEEvT_T0_DpT1_.numbered_sgpr, 27
	.set _ZN2at6native12_GLOBAL__N_125multi_tensor_apply_kernelINS1_18TensorListMetadataILi2EEENS1_14UnaryOpFunctorIfLi2ELi1ELi1EEEJNS0_3ExpIfEEEEEvT_T0_DpT1_.num_named_barrier, 0
	.set _ZN2at6native12_GLOBAL__N_125multi_tensor_apply_kernelINS1_18TensorListMetadataILi2EEENS1_14UnaryOpFunctorIfLi2ELi1ELi1EEEJNS0_3ExpIfEEEEEvT_T0_DpT1_.private_seg_size, 0
	.set _ZN2at6native12_GLOBAL__N_125multi_tensor_apply_kernelINS1_18TensorListMetadataILi2EEENS1_14UnaryOpFunctorIfLi2ELi1ELi1EEEJNS0_3ExpIfEEEEEvT_T0_DpT1_.uses_vcc, 1
	.set _ZN2at6native12_GLOBAL__N_125multi_tensor_apply_kernelINS1_18TensorListMetadataILi2EEENS1_14UnaryOpFunctorIfLi2ELi1ELi1EEEJNS0_3ExpIfEEEEEvT_T0_DpT1_.uses_flat_scratch, 0
	.set _ZN2at6native12_GLOBAL__N_125multi_tensor_apply_kernelINS1_18TensorListMetadataILi2EEENS1_14UnaryOpFunctorIfLi2ELi1ELi1EEEJNS0_3ExpIfEEEEEvT_T0_DpT1_.has_dyn_sized_stack, 0
	.set _ZN2at6native12_GLOBAL__N_125multi_tensor_apply_kernelINS1_18TensorListMetadataILi2EEENS1_14UnaryOpFunctorIfLi2ELi1ELi1EEEJNS0_3ExpIfEEEEEvT_T0_DpT1_.has_recursion, 0
	.set _ZN2at6native12_GLOBAL__N_125multi_tensor_apply_kernelINS1_18TensorListMetadataILi2EEENS1_14UnaryOpFunctorIfLi2ELi1ELi1EEEJNS0_3ExpIfEEEEEvT_T0_DpT1_.has_indirect_call, 0
	.section	.AMDGPU.csdata,"",@progbits
; Kernel info:
; codeLenInByte = 1940
; TotalNumSgprs: 31
; NumVgprs: 31
; ScratchSize: 0
; MemoryBound: 0
; FloatMode: 240
; IeeeMode: 1
; LDSByteSize: 0 bytes/workgroup (compile time only)
; SGPRBlocks: 3
; VGPRBlocks: 7
; NumSGPRsForWavesPerEU: 31
; NumVGPRsForWavesPerEU: 31
; Occupancy: 8
; WaveLimiterHint : 0
; COMPUTE_PGM_RSRC2:SCRATCH_EN: 0
; COMPUTE_PGM_RSRC2:USER_SGPR: 6
; COMPUTE_PGM_RSRC2:TRAP_HANDLER: 0
; COMPUTE_PGM_RSRC2:TGID_X_EN: 1
; COMPUTE_PGM_RSRC2:TGID_Y_EN: 0
; COMPUTE_PGM_RSRC2:TGID_Z_EN: 0
; COMPUTE_PGM_RSRC2:TIDIG_COMP_CNT: 0
	.section	.text._ZN2at6native12_GLOBAL__N_125multi_tensor_apply_kernelINS1_18TensorListMetadataILi2EEENS1_14UnaryOpFunctorIN3c107complexIdEELi2ELi1ELi1EEEJNS0_3ExpIS8_EEEEEvT_T0_DpT1_,"axG",@progbits,_ZN2at6native12_GLOBAL__N_125multi_tensor_apply_kernelINS1_18TensorListMetadataILi2EEENS1_14UnaryOpFunctorIN3c107complexIdEELi2ELi1ELi1EEEJNS0_3ExpIS8_EEEEEvT_T0_DpT1_,comdat
	.globl	_ZN2at6native12_GLOBAL__N_125multi_tensor_apply_kernelINS1_18TensorListMetadataILi2EEENS1_14UnaryOpFunctorIN3c107complexIdEELi2ELi1ELi1EEEJNS0_3ExpIS8_EEEEEvT_T0_DpT1_ ; -- Begin function _ZN2at6native12_GLOBAL__N_125multi_tensor_apply_kernelINS1_18TensorListMetadataILi2EEENS1_14UnaryOpFunctorIN3c107complexIdEELi2ELi1ELi1EEEJNS0_3ExpIS8_EEEEEvT_T0_DpT1_
	.p2align	8
	.type	_ZN2at6native12_GLOBAL__N_125multi_tensor_apply_kernelINS1_18TensorListMetadataILi2EEENS1_14UnaryOpFunctorIN3c107complexIdEELi2ELi1ELi1EEEJNS0_3ExpIS8_EEEEEvT_T0_DpT1_,@function
_ZN2at6native12_GLOBAL__N_125multi_tensor_apply_kernelINS1_18TensorListMetadataILi2EEENS1_14UnaryOpFunctorIN3c107complexIdEELi2ELi1ELi1EEEJNS0_3ExpIS8_EEEEEvT_T0_DpT1_: ; @_ZN2at6native12_GLOBAL__N_125multi_tensor_apply_kernelINS1_18TensorListMetadataILi2EEENS1_14UnaryOpFunctorIN3c107complexIdEELi2ELi1ELi1EEEJNS0_3ExpIS8_EEEEEvT_T0_DpT1_
; %bb.0:
	v_mov_b32_e32 v1, s6
	global_load_ubyte v1, v1, s[4:5] offset:1536
	s_add_u32 s0, s4, s6
	s_mul_hi_u32 s2, s6, 3
	s_mul_i32 s6, s6, 3
	s_addc_u32 s7, s5, 0
	s_add_u32 s6, s0, s6
	s_addc_u32 s7, s7, s2
	s_load_dword s6, s[6:7], 0x740
	s_mov_b32 s1, 0
	s_mov_b32 s3, s1
	s_waitcnt lgkmcnt(0)
	s_ashr_i32 s7, s6, 31
	s_lshl_b64 s[16:17], s[6:7], 20
	s_waitcnt vmcnt(0)
	v_readfirstlane_b32 s0, v1
	s_lshl_b32 s0, s0, 3
	s_load_dwordx2 s[8:9], s[4:5], s0 offset:0x0
	s_load_dwordx2 s[10:11], s[4:5], s0 offset:0x400
	;; [unrolled: 1-line block ×3, first 2 shown]
	s_waitcnt lgkmcnt(0)
	s_add_u32 s12, s8, s16
	s_addc_u32 s13, s9, s17
	s_and_b32 s0, s12, 63
	s_add_u32 s22, s14, s16
	s_addc_u32 s23, s15, s17
	s_lshl_b64 s[6:7], s[6:7], 16
	s_and_b32 s2, s22, 63
	s_sub_u32 s6, s10, s6
	s_subb_u32 s7, s11, s7
	s_and_b32 s8, s10, 3
	s_mov_b32 s9, s1
	s_or_b64 s[2:3], s[2:3], s[8:9]
	s_or_b64 s[0:1], s[2:3], s[0:1]
	s_cmp_eq_u64 s[0:1], 0
	s_mov_b64 s[0:1], -1
	s_cbranch_scc0 .LBB131_181
; %bb.1:
	v_mov_b32_e32 v1, 0x10000
	v_mov_b32_e32 v2, 0
	v_cmp_lt_i64_e32 vcc, s[6:7], v[1:2]
	v_mov_b32_e32 v21, 0
	s_and_b64 s[0:1], vcc, exec
	s_cselect_b32 s9, s7, 0
	s_cselect_b32 s8, s6, 0x10000
	v_lshlrev_b32_e32 v1, 2, v0
	v_mov_b32_e32 v2, v21
	v_cmp_gt_i64_e32 vcc, s[8:9], v[1:2]
	s_mov_b64 s[0:1], exec
                                        ; implicit-def: $vgpr65 : SGPR spill to VGPR lane
	v_writelane_b32 v65, s0, 0
	v_writelane_b32 v65, s1, 1
	s_and_b64 s[0:1], s[0:1], vcc
	s_mov_b64 exec, s[0:1]
	s_cbranch_execz .LBB131_180
; %bb.2:
	s_load_dword s0, s[4:5], 0xc5c
	v_mov_b32_e32 v1, v21
	s_mov_b32 s16, 0x54442d18
	s_mov_b32 s20, 0x33145c00
	;; [unrolled: 1-line block ×3, first 2 shown]
	s_waitcnt lgkmcnt(0)
	s_and_b32 s33, s0, 0xffff
	s_mov_b32 s26, 0xfefa39ef
	s_mov_b32 s28, 0x3b39803f
	;; [unrolled: 1-line block ×20, first 2 shown]
	v_mov_b32_e32 v26, v1
	s_mov_b32 s76, 0
	s_mov_b32 s88, 0
	;; [unrolled: 1-line block ×3, first 2 shown]
	v_lshlrev_b32_e32 v37, 6, v0
	s_mov_b32 s17, 0xbff921fb
	s_lshl_b32 s74, s33, 6
	s_mov_b32 s21, 0xbc91a626
	s_mov_b32 s25, 0x3ff71547
	;; [unrolled: 1-line block ×22, first 2 shown]
	v_mov_b32_e32 v38, 0x40100000
	v_mov_b32_e32 v39, 0x3ff00000
	;; [unrolled: 1-line block ×7, first 2 shown]
	s_movk_i32 s75, 0x1f8
	s_mov_b64 s[70:71], 0
	s_mov_b32 s77, 0x7ff00000
	s_mov_b32 s79, 0x3ff921fb
	;; [unrolled: 1-line block ×9, first 2 shown]
	s_mov_b64 s[94:95], s[12:13]
	s_mov_b64 s[14:15], s[22:23]
	s_branch .LBB131_4
.LBB131_3:                              ;   in Loop: Header=BB131_4 Depth=1
	s_or_b64 exec, exec, s[2:3]
	v_mov_b32_e32 v2, s15
	v_add_co_u32_e32 v1, vcc, s14, v37
	v_addc_co_u32_e32 v2, vcc, 0, v2, vcc
	v_add_co_u32_e32 v25, vcc, s33, v25
	v_addc_co_u32_e32 v26, vcc, 0, v26, vcc
	v_lshlrev_b64 v[3:4], 2, v[25:26]
	s_add_u32 s14, s14, s74
	s_addc_u32 s15, s15, 0
	s_add_u32 s94, s94, s74
	v_cmp_le_i64_e32 vcc, s[8:9], v[3:4]
	s_addc_u32 s95, s95, 0
	s_or_b64 s[70:71], vcc, s[70:71]
	global_store_dwordx4 v[1:2], v[5:8], off
	global_store_dwordx4 v[1:2], v[13:16], off offset:16
	global_store_dwordx4 v[1:2], v[17:20], off offset:32
	;; [unrolled: 1-line block ×3, first 2 shown]
	s_andn2_b64 exec, exec, s[70:71]
	s_cbranch_execz .LBB131_180
.LBB131_4:                              ; =>This Inner Loop Header: Depth=1
	v_mov_b32_e32 v1, s95
	v_add_co_u32_e32 v5, vcc, s94, v37
	v_addc_co_u32_e32 v6, vcc, 0, v1, vcc
	global_load_dwordx4 v[13:16], v[5:6], off
	global_load_dwordx4 v[17:20], v[5:6], off offset:16
	global_load_dwordx4 v[1:4], v[5:6], off offset:48
	;; [unrolled: 1-line block ×3, first 2 shown]
	s_waitcnt vmcnt(3)
	v_and_b32_e32 v5, 0x7fffffff, v16
	v_or_b32_e32 v6, v5, v15
	v_cmp_ne_u32_e32 vcc, 0, v6
                                        ; implicit-def: $vgpr7_vgpr8
	s_and_saveexec_b64 s[0:1], vcc
	s_xor_b64 s[10:11], exec, s[0:1]
	s_cbranch_execz .LBB131_46
; %bb.5:                                ;   in Loop: Header=BB131_4 Depth=1
	v_and_b32_e32 v22, 0x7fffffff, v14
	v_or_b32_e32 v6, v22, v13
	v_cmp_ne_u32_e32 vcc, 0, v6
                                        ; implicit-def: $vgpr7_vgpr8
	s_and_saveexec_b64 s[0:1], vcc
	s_xor_b64 s[18:19], exec, s[0:1]
	s_cbranch_execz .LBB131_35
; %bb.6:                                ;   in Loop: Header=BB131_4 Depth=1
	s_mov_b32 s0, 0x7ff00000
	v_cmp_gt_u32_e32 vcc, s0, v5
                                        ; implicit-def: $vgpr7_vgpr8
	s_and_saveexec_b64 s[0:1], vcc
	s_xor_b64 s[68:69], exec, s[0:1]
	s_cbranch_execz .LBB131_28
; %bb.7:                                ;   in Loop: Header=BB131_4 Depth=1
	v_add_u32_e32 v5, 0xbf79d1be, v14
	s_mov_b32 s0, 0x108aa2
	v_cmp_lt_u32_e32 vcc, s0, v5
                                        ; implicit-def: $vgpr7_vgpr8
	s_and_saveexec_b64 s[0:1], vcc
	s_xor_b64 s[2:3], exec, s[0:1]
	s_cbranch_execz .LBB131_17
; %bb.8:                                ;   in Loop: Header=BB131_4 Depth=1
	s_mov_b32 s0, 0
	s_mov_b32 s1, 0x41d00000
	v_cmp_nlt_f64_e64 s[0:1], |v[15:16]|, s[0:1]
                                        ; implicit-def: $vgpr33
                                        ; implicit-def: $vgpr5_vgpr6
                                        ; implicit-def: $vgpr31_vgpr32
	s_and_saveexec_b64 s[72:73], s[0:1]
	s_xor_b64 s[72:73], exec, s[72:73]
	s_cbranch_execz .LBB131_10
; %bb.9:                                ;   in Loop: Header=BB131_4 Depth=1
	v_trig_preop_f64 v[5:6], |v[15:16]|, 0
	s_mov_b32 vcc_lo, 0
	s_movk_i32 s78, 0xff80
	s_mov_b32 vcc_hi, 0x7b000000
	v_ldexp_f64 v[7:8], |v[15:16]|, s78
	v_cmp_ge_f64_e64 vcc, |v[15:16]|, vcc
	v_trig_preop_f64 v[27:28], |v[15:16]|, 1
	v_and_b32_e32 v22, 0x7fffffff, v16
	v_trig_preop_f64 v[35:36], |v[15:16]|, 2
	s_mov_b32 s78, s16
	s_mov_b32 s83, s81
	v_cndmask_b32_e32 v8, v22, v8, vcc
	v_cndmask_b32_e32 v7, v15, v7, vcc
	v_mul_f64 v[29:30], v[5:6], v[7:8]
	v_mul_f64 v[31:32], v[27:28], v[7:8]
	;; [unrolled: 1-line block ×3, first 2 shown]
	v_fma_f64 v[5:6], v[5:6], v[7:8], -v[29:30]
	v_fma_f64 v[27:28], v[27:28], v[7:8], -v[31:32]
	;; [unrolled: 1-line block ×3, first 2 shown]
	v_add_f64 v[33:34], v[31:32], v[5:6]
	v_add_f64 v[42:43], v[33:34], -v[31:32]
	v_add_f64 v[48:49], v[29:30], v[33:34]
	v_add_f64 v[44:45], v[33:34], -v[42:43]
	v_add_f64 v[5:6], v[5:6], -v[42:43]
	v_add_f64 v[42:43], v[46:47], v[27:28]
	v_add_f64 v[29:30], v[48:49], -v[29:30]
	v_add_f64 v[31:32], v[31:32], -v[44:45]
	v_ldexp_f64 v[44:45], v[48:49], -2
	v_add_f64 v[50:51], v[42:43], -v[46:47]
	v_add_f64 v[29:30], v[33:34], -v[29:30]
	v_add_f64 v[5:6], v[5:6], v[31:32]
	v_fract_f64_e32 v[31:32], v[44:45]
	v_cmp_neq_f64_e64 vcc, |v[44:45]|, s[76:77]
	v_add_f64 v[27:28], v[27:28], -v[50:51]
	v_add_f64 v[33:34], v[42:43], v[5:6]
	v_ldexp_f64 v[31:32], v[31:32], 2
	v_add_f64 v[44:45], v[29:30], v[33:34]
	v_cndmask_b32_e32 v32, 0, v32, vcc
	v_cndmask_b32_e32 v31, 0, v31, vcc
	v_add_f64 v[52:53], v[33:34], -v[42:43]
	v_add_f64 v[48:49], v[44:45], v[31:32]
	v_add_f64 v[29:30], v[44:45], -v[29:30]
	v_add_f64 v[54:55], v[33:34], -v[52:53]
	;; [unrolled: 1-line block ×3, first 2 shown]
	v_cmp_gt_f64_e32 vcc, 0, v[48:49]
	v_add_f64 v[48:49], v[42:43], -v[50:51]
	v_add_f64 v[29:30], v[33:34], -v[29:30]
	;; [unrolled: 1-line block ×3, first 2 shown]
	v_cndmask_b32_e32 v22, 0, v38, vcc
	v_add_f64 v[31:32], v[31:32], v[21:22]
	v_add_f64 v[48:49], v[46:47], -v[48:49]
	v_add_f64 v[5:6], v[5:6], v[42:43]
	v_add_f64 v[56:57], v[44:45], v[31:32]
	;; [unrolled: 1-line block ×3, first 2 shown]
	v_cvt_i32_f64_e32 v52, v[56:57]
	v_add_f64 v[5:6], v[27:28], v[5:6]
	v_cvt_f64_i32_e32 v[50:51], v52
	v_add_f64 v[31:32], v[31:32], -v[50:51]
	v_add_f64 v[5:6], v[7:8], v[5:6]
	v_add_f64 v[27:28], v[44:45], v[31:32]
	;; [unrolled: 1-line block ×3, first 2 shown]
	v_add_f64 v[7:8], v[27:28], -v[31:32]
	v_cmp_le_f64_e32 vcc, 0.5, v[27:28]
	v_add_f64 v[7:8], v[44:45], -v[7:8]
	v_cndmask_b32_e32 v22, 0, v39, vcc
	v_addc_co_u32_e32 v33, vcc, 0, v52, vcc
	v_add_f64 v[5:6], v[5:6], v[7:8]
	v_add_f64 v[7:8], v[27:28], -v[21:22]
	v_add_f64 v[27:28], v[7:8], v[5:6]
	v_mul_f64 v[29:30], v[27:28], s[78:79]
	v_add_f64 v[7:8], v[27:28], -v[7:8]
	v_fma_f64 v[31:32], v[27:28], s[78:79], -v[29:30]
	v_add_f64 v[5:6], v[5:6], -v[7:8]
	v_fma_f64 v[7:8], v[27:28], s[82:83], v[31:32]
	v_fma_f64 v[7:8], v[5:6], s[78:79], v[7:8]
	v_add_f64 v[5:6], v[29:30], v[7:8]
	v_add_f64 v[27:28], v[5:6], -v[29:30]
	v_add_f64 v[31:32], v[7:8], -v[27:28]
	s_andn2_saveexec_b64 s[72:73], s[72:73]
	s_cbranch_execz .LBB131_12
	s_branch .LBB131_11
.LBB131_10:                             ;   in Loop: Header=BB131_4 Depth=1
	s_andn2_saveexec_b64 s[72:73], s[72:73]
	s_cbranch_execz .LBB131_12
.LBB131_11:                             ;   in Loop: Header=BB131_4 Depth=1
	s_mov_b32 vcc_lo, 0x6dc9c883
	s_mov_b32 vcc_hi, 0x3fe45f30
	v_mul_f64 v[5:6], |v[15:16]|, vcc
	s_mov_b32 s80, s20
	s_mov_b32 vcc_lo, 0x252049c0
	s_mov_b32 vcc_hi, 0xb97b839a
	v_rndne_f64_e32 v[7:8], v[5:6]
	v_fma_f64 v[5:6], v[7:8], s[16:17], |v[15:16]|
	v_mul_f64 v[27:28], v[7:8], s[20:21]
	v_fma_f64 v[33:34], v[7:8], s[20:21], v[5:6]
	v_add_f64 v[29:30], v[5:6], v[27:28]
	v_add_f64 v[31:32], v[5:6], -v[29:30]
	v_add_f64 v[29:30], v[29:30], -v[33:34]
	v_add_f64 v[5:6], v[31:32], v[27:28]
	v_fma_f64 v[27:28], v[7:8], s[80:81], v[27:28]
	v_add_f64 v[5:6], v[29:30], v[5:6]
	v_add_f64 v[5:6], v[5:6], -v[27:28]
	v_fma_f64 v[27:28], v[7:8], vcc, v[5:6]
	v_add_f64 v[5:6], v[33:34], v[27:28]
	v_add_f64 v[29:30], v[5:6], -v[33:34]
	v_cvt_i32_f64_e32 v33, v[7:8]
	v_add_f64 v[31:32], v[27:28], -v[29:30]
.LBB131_12:                             ;   in Loop: Header=BB131_4 Depth=1
	s_or_b64 exec, exec, s[72:73]
                                        ; implicit-def: $vgpr22
                                        ; implicit-def: $vgpr27_vgpr28
                                        ; implicit-def: $vgpr29_vgpr30
	s_and_saveexec_b64 s[72:73], s[0:1]
	s_xor_b64 s[0:1], exec, s[72:73]
	s_cbranch_execz .LBB131_14
; %bb.13:                               ;   in Loop: Header=BB131_4 Depth=1
	v_trig_preop_f64 v[7:8], |v[15:16]|, 0
	s_movk_i32 s72, 0xff80
	v_ldexp_f64 v[27:28], |v[15:16]|, s72
	s_mov_b32 s72, 0
	s_mov_b32 s73, 0x7b000000
	v_cmp_ge_f64_e64 vcc, |v[15:16]|, s[72:73]
	v_trig_preop_f64 v[29:30], |v[15:16]|, 1
	v_and_b32_e32 v22, 0x7fffffff, v16
	v_trig_preop_f64 v[46:47], |v[15:16]|, 2
	s_mov_b32 s78, s16
	s_mov_b32 s83, s81
	v_cndmask_b32_e32 v28, v22, v28, vcc
	v_cndmask_b32_e32 v27, v15, v27, vcc
	v_mul_f64 v[34:35], v[7:8], v[27:28]
	v_mul_f64 v[42:43], v[29:30], v[27:28]
	;; [unrolled: 1-line block ×3, first 2 shown]
	v_fma_f64 v[7:8], v[7:8], v[27:28], -v[34:35]
	v_fma_f64 v[29:30], v[29:30], v[27:28], -v[42:43]
	v_fma_f64 v[27:28], v[46:47], v[27:28], -v[52:53]
	v_add_f64 v[44:45], v[42:43], v[7:8]
	v_add_f64 v[48:49], v[44:45], -v[42:43]
	v_add_f64 v[54:55], v[34:35], v[44:45]
	v_add_f64 v[50:51], v[44:45], -v[48:49]
	v_add_f64 v[7:8], v[7:8], -v[48:49]
	v_add_f64 v[48:49], v[52:53], v[29:30]
	v_add_f64 v[34:35], v[54:55], -v[34:35]
	v_add_f64 v[42:43], v[42:43], -v[50:51]
	v_ldexp_f64 v[50:51], v[54:55], -2
	v_add_f64 v[56:57], v[48:49], -v[52:53]
	v_add_f64 v[34:35], v[44:45], -v[34:35]
	v_add_f64 v[7:8], v[7:8], v[42:43]
	v_fract_f64_e32 v[42:43], v[50:51]
	v_cmp_neq_f64_e64 vcc, |v[50:51]|, s[76:77]
	v_add_f64 v[29:30], v[29:30], -v[56:57]
	v_add_f64 v[44:45], v[48:49], v[7:8]
	v_ldexp_f64 v[42:43], v[42:43], 2
	v_add_f64 v[50:51], v[34:35], v[44:45]
	v_cndmask_b32_e32 v43, 0, v43, vcc
	v_cndmask_b32_e32 v42, 0, v42, vcc
	v_add_f64 v[58:59], v[44:45], -v[48:49]
	v_add_f64 v[54:55], v[50:51], v[42:43]
	v_add_f64 v[34:35], v[50:51], -v[34:35]
	v_add_f64 v[60:61], v[44:45], -v[58:59]
	;; [unrolled: 1-line block ×3, first 2 shown]
	v_cmp_gt_f64_e32 vcc, 0, v[54:55]
	v_add_f64 v[54:55], v[48:49], -v[56:57]
	v_add_f64 v[34:35], v[44:45], -v[34:35]
	;; [unrolled: 1-line block ×3, first 2 shown]
	v_cndmask_b32_e32 v22, 0, v38, vcc
	v_add_f64 v[42:43], v[42:43], v[21:22]
	v_add_f64 v[54:55], v[52:53], -v[54:55]
	v_add_f64 v[7:8], v[7:8], v[48:49]
	v_add_f64 v[62:63], v[50:51], v[42:43]
	;; [unrolled: 1-line block ×3, first 2 shown]
	v_cvt_i32_f64_e32 v36, v[62:63]
	v_add_f64 v[7:8], v[29:30], v[7:8]
	v_cvt_f64_i32_e32 v[56:57], v36
	v_add_f64 v[42:43], v[42:43], -v[56:57]
	v_add_f64 v[7:8], v[27:28], v[7:8]
	v_add_f64 v[29:30], v[50:51], v[42:43]
	;; [unrolled: 1-line block ×3, first 2 shown]
	v_add_f64 v[27:28], v[29:30], -v[42:43]
	v_cmp_le_f64_e32 vcc, 0.5, v[29:30]
	v_add_f64 v[27:28], v[50:51], -v[27:28]
	v_cndmask_b32_e32 v22, 0, v39, vcc
	v_add_f64 v[7:8], v[7:8], v[27:28]
	v_add_f64 v[27:28], v[29:30], -v[21:22]
	v_addc_co_u32_e32 v22, vcc, 0, v36, vcc
	v_add_f64 v[29:30], v[27:28], v[7:8]
	v_mul_f64 v[34:35], v[29:30], s[78:79]
	v_add_f64 v[27:28], v[29:30], -v[27:28]
	v_fma_f64 v[42:43], v[29:30], s[78:79], -v[34:35]
	v_add_f64 v[7:8], v[7:8], -v[27:28]
	v_fma_f64 v[27:28], v[29:30], s[82:83], v[42:43]
	v_fma_f64 v[7:8], v[7:8], s[78:79], v[27:28]
	v_add_f64 v[27:28], v[34:35], v[7:8]
	v_add_f64 v[29:30], v[27:28], -v[34:35]
	v_add_f64 v[29:30], v[7:8], -v[29:30]
	s_andn2_saveexec_b64 s[0:1], s[0:1]
	s_cbranch_execnz .LBB131_15
	s_branch .LBB131_16
.LBB131_14:                             ;   in Loop: Header=BB131_4 Depth=1
	s_andn2_saveexec_b64 s[0:1], s[0:1]
	s_cbranch_execz .LBB131_16
.LBB131_15:                             ;   in Loop: Header=BB131_4 Depth=1
	s_mov_b32 s72, 0x6dc9c883
	s_mov_b32 s73, 0x3fe45f30
	v_mul_f64 v[7:8], |v[15:16]|, s[72:73]
	s_mov_b32 s80, s20
	s_mov_b32 s72, 0x252049c0
	;; [unrolled: 1-line block ×3, first 2 shown]
	v_rndne_f64_e32 v[7:8], v[7:8]
	v_fma_f64 v[27:28], v[7:8], s[16:17], |v[15:16]|
	v_mul_f64 v[29:30], v[7:8], s[20:21]
	v_cvt_i32_f64_e32 v22, v[7:8]
	v_fma_f64 v[44:45], v[7:8], s[20:21], v[27:28]
	v_add_f64 v[34:35], v[27:28], v[29:30]
	v_add_f64 v[42:43], v[27:28], -v[34:35]
	v_add_f64 v[34:35], v[34:35], -v[44:45]
	v_add_f64 v[27:28], v[42:43], v[29:30]
	v_fma_f64 v[29:30], v[7:8], s[80:81], v[29:30]
	v_add_f64 v[27:28], v[34:35], v[27:28]
	v_add_f64 v[27:28], v[27:28], -v[29:30]
	v_fma_f64 v[29:30], v[7:8], s[72:73], v[27:28]
	v_add_f64 v[27:28], v[44:45], v[29:30]
	v_add_f64 v[34:35], v[27:28], -v[44:45]
	v_add_f64 v[29:30], v[29:30], -v[34:35]
.LBB131_16:                             ;   in Loop: Header=BB131_4 Depth=1
	s_or_b64 exec, exec, s[0:1]
	v_mul_f64 v[7:8], v[13:14], s[24:25]
	s_mov_b32 s85, s43
	s_mov_b32 s87, s45
	v_cmp_nlt_f64_e32 vcc, s[88:89], v[13:14]
	v_cmp_ngt_f64_e64 s[0:1], s[90:91], v[13:14]
	v_mov_b32_e32 v46, s50
	v_mov_b32_e32 v47, s51
	v_mul_f64 v[50:51], v[31:32], 0.5
	v_rndne_f64_e32 v[7:8], v[7:8]
	s_mov_b32 s92, s44
	v_fma_f64 v[34:35], v[7:8], s[26:27], v[13:14]
	v_mul_f64 v[13:14], v[5:6], v[5:6]
	v_fma_f64 v[34:35], v[7:8], s[28:29], v[34:35]
	v_cvt_i32_f64_e32 v7, v[7:8]
	v_fma_f64 v[48:49], v[13:14], s[52:53], v[46:47]
	v_fma_f64 v[42:43], v[34:35], s[30:31], v[23:24]
	;; [unrolled: 1-line block ×14, first 2 shown]
	v_fma_f64 v[42:43], v[34:35], v[42:43], 1.0
	v_fma_f64 v[34:35], v[34:35], v[42:43], 1.0
	v_ldexp_f64 v[7:8], v[34:35], v7
	v_mul_f64 v[34:35], v[13:14], 0.5
	v_cndmask_b32_e32 v8, v40, v8, vcc
	v_add_f64 v[42:43], -v[34:35], 1.0
	s_and_b64 vcc, s[0:1], vcc
	v_cndmask_b32_e32 v7, 0, v7, vcc
	v_cndmask_b32_e64 v8, 0, v8, s[0:1]
	v_add_f64 v[44:45], -v[42:43], 1.0
	v_add_f64 v[34:35], v[44:45], -v[34:35]
	v_mul_f64 v[44:45], v[13:14], v[13:14]
	v_fma_f64 v[34:35], v[5:6], -v[31:32], v[34:35]
	v_fma_f64 v[34:35], v[44:45], v[48:49], v[34:35]
	v_mul_f64 v[48:49], v[5:6], -v[13:14]
	v_add_f64 v[34:35], v[42:43], v[34:35]
	v_mov_b32_e32 v42, s60
	v_mov_b32_e32 v43, s61
	v_fma_f64 v[44:45], v[13:14], s[62:63], v[42:43]
	v_fma_f64 v[44:45], v[13:14], v[44:45], s[64:65]
	v_fma_f64 v[44:45], v[13:14], v[44:45], s[66:67]
	v_fma_f64 v[44:45], v[13:14], v[44:45], s[42:43]
	v_fma_f64 v[44:45], v[48:49], v[44:45], v[50:51]
	v_fma_f64 v[13:14], v[13:14], v[44:45], -v[31:32]
	v_fma_f64 v[13:14], v[48:49], s[92:93], v[13:14]
	v_add_f64 v[5:6], v[5:6], -v[13:14]
	v_and_b32_e32 v13, 1, v33
	v_cmp_eq_u32_e32 vcc, 0, v13
	v_lshlrev_b32_e32 v13, 30, v33
	v_and_b32_e32 v13, 0x80000000, v13
	v_xor_b32_e32 v6, 0x80000000, v6
	v_cndmask_b32_e32 v6, v6, v35, vcc
	v_xor_b32_e32 v6, v6, v13
	v_mul_f64 v[13:14], v[27:28], v[27:28]
	v_cndmask_b32_e32 v5, v5, v34, vcc
	v_cmp_class_f64_e64 vcc, v[15:16], s75
	v_and_b32_e32 v15, 1, v22
	v_cmp_eq_u32_e64 s[0:1], 0, v15
	v_lshlrev_b32_e32 v15, 30, v22
	v_xor_b32_e32 v15, v15, v16
	v_and_b32_e32 v15, 0x80000000, v15
	v_mul_f64 v[31:32], v[13:14], 0.5
	v_fma_f64 v[44:45], v[13:14], s[52:53], v[46:47]
	v_cndmask_b32_e32 v5, 0, v5, vcc
	v_cndmask_b32_e32 v6, v41, v6, vcc
	v_mul_f64 v[5:6], v[7:8], v[5:6]
	v_add_f64 v[33:34], -v[31:32], 1.0
	v_fma_f64 v[44:45], v[13:14], v[44:45], s[54:55]
	v_add_f64 v[35:36], -v[33:34], 1.0
	v_fma_f64 v[44:45], v[13:14], v[44:45], s[56:57]
	v_add_f64 v[31:32], v[35:36], -v[31:32]
	v_fma_f64 v[44:45], v[13:14], v[44:45], s[58:59]
	v_mul_f64 v[35:36], v[13:14], v[13:14]
	v_fma_f64 v[31:32], v[27:28], -v[29:30], v[31:32]
	v_fma_f64 v[44:45], v[13:14], v[44:45], s[44:45]
	v_fma_f64 v[31:32], v[35:36], v[44:45], v[31:32]
	v_mul_f64 v[35:36], v[27:28], -v[13:14]
	v_add_f64 v[31:32], v[33:34], v[31:32]
	v_fma_f64 v[33:34], v[13:14], s[62:63], v[42:43]
	v_mul_f64 v[42:43], v[29:30], 0.5
	v_fma_f64 v[33:34], v[13:14], v[33:34], s[64:65]
	v_fma_f64 v[33:34], v[13:14], v[33:34], s[66:67]
	;; [unrolled: 1-line block ×4, first 2 shown]
	v_fma_f64 v[13:14], v[13:14], v[33:34], -v[29:30]
	v_fma_f64 v[13:14], v[35:36], s[92:93], v[13:14]
	v_add_f64 v[13:14], v[27:28], -v[13:14]
	v_cndmask_b32_e64 v14, v32, v14, s[0:1]
	v_cndmask_b32_e64 v13, v31, v13, s[0:1]
	v_xor_b32_e32 v14, v14, v15
	v_cndmask_b32_e32 v13, 0, v13, vcc
	v_cndmask_b32_e32 v14, v41, v14, vcc
	v_mul_f64 v[7:8], v[7:8], v[13:14]
                                        ; implicit-def: $vgpr15_vgpr16
.LBB131_17:                             ;   in Loop: Header=BB131_4 Depth=1
	s_andn2_saveexec_b64 s[72:73], s[2:3]
	s_cbranch_execz .LBB131_20
; %bb.18:                               ;   in Loop: Header=BB131_4 Depth=1
	s_mov_b32 s0, 0
	s_mov_b32 s1, 0x41d00000
	v_cmp_nlt_f64_e64 s[0:1], |v[15:16]|, s[0:1]
                                        ; implicit-def: $vgpr36
                                        ; implicit-def: $vgpr5_vgpr6
                                        ; implicit-def: $vgpr29_vgpr30
	s_and_saveexec_b64 s[2:3], s[0:1]
	s_xor_b64 s[2:3], exec, s[2:3]
	s_cbranch_execz .LBB131_21
; %bb.19:                               ;   in Loop: Header=BB131_4 Depth=1
	v_trig_preop_f64 v[5:6], |v[15:16]|, 0
	s_mov_b32 vcc_lo, 0
	s_movk_i32 s78, 0xff80
	s_mov_b32 vcc_hi, 0x7b000000
	v_ldexp_f64 v[7:8], |v[15:16]|, s78
	v_cmp_ge_f64_e64 vcc, |v[15:16]|, vcc
	v_trig_preop_f64 v[27:28], |v[15:16]|, 1
	v_and_b32_e32 v22, 0x7fffffff, v16
	v_trig_preop_f64 v[35:36], |v[15:16]|, 2
	s_mov_b32 s78, s16
	s_mov_b32 s83, s81
	v_cndmask_b32_e32 v8, v22, v8, vcc
	v_cndmask_b32_e32 v7, v15, v7, vcc
	v_mul_f64 v[29:30], v[5:6], v[7:8]
	v_mul_f64 v[31:32], v[27:28], v[7:8]
	;; [unrolled: 1-line block ×3, first 2 shown]
	v_fma_f64 v[5:6], v[5:6], v[7:8], -v[29:30]
	v_fma_f64 v[27:28], v[27:28], v[7:8], -v[31:32]
	;; [unrolled: 1-line block ×3, first 2 shown]
	v_add_f64 v[33:34], v[31:32], v[5:6]
	v_add_f64 v[42:43], v[33:34], -v[31:32]
	v_add_f64 v[48:49], v[29:30], v[33:34]
	v_add_f64 v[44:45], v[33:34], -v[42:43]
	v_add_f64 v[5:6], v[5:6], -v[42:43]
	v_add_f64 v[42:43], v[46:47], v[27:28]
	v_add_f64 v[29:30], v[48:49], -v[29:30]
	v_add_f64 v[31:32], v[31:32], -v[44:45]
	v_ldexp_f64 v[44:45], v[48:49], -2
	v_add_f64 v[50:51], v[42:43], -v[46:47]
	v_add_f64 v[29:30], v[33:34], -v[29:30]
	v_add_f64 v[5:6], v[5:6], v[31:32]
	v_fract_f64_e32 v[31:32], v[44:45]
	v_cmp_neq_f64_e64 vcc, |v[44:45]|, s[76:77]
	v_add_f64 v[27:28], v[27:28], -v[50:51]
	v_add_f64 v[33:34], v[42:43], v[5:6]
	v_ldexp_f64 v[31:32], v[31:32], 2
	v_add_f64 v[44:45], v[29:30], v[33:34]
	v_cndmask_b32_e32 v32, 0, v32, vcc
	v_cndmask_b32_e32 v31, 0, v31, vcc
	v_add_f64 v[52:53], v[33:34], -v[42:43]
	v_add_f64 v[48:49], v[44:45], v[31:32]
	v_add_f64 v[29:30], v[44:45], -v[29:30]
	v_add_f64 v[54:55], v[33:34], -v[52:53]
	;; [unrolled: 1-line block ×3, first 2 shown]
	v_cmp_gt_f64_e32 vcc, 0, v[48:49]
	v_add_f64 v[48:49], v[42:43], -v[50:51]
	v_add_f64 v[29:30], v[33:34], -v[29:30]
	;; [unrolled: 1-line block ×3, first 2 shown]
	v_cndmask_b32_e32 v22, 0, v38, vcc
	v_add_f64 v[31:32], v[31:32], v[21:22]
	v_add_f64 v[48:49], v[46:47], -v[48:49]
	v_add_f64 v[5:6], v[5:6], v[42:43]
	v_add_f64 v[56:57], v[44:45], v[31:32]
	;; [unrolled: 1-line block ×3, first 2 shown]
	v_cvt_i32_f64_e32 v52, v[56:57]
	v_add_f64 v[5:6], v[27:28], v[5:6]
	v_cvt_f64_i32_e32 v[50:51], v52
	v_add_f64 v[31:32], v[31:32], -v[50:51]
	v_add_f64 v[5:6], v[7:8], v[5:6]
	v_add_f64 v[27:28], v[44:45], v[31:32]
	;; [unrolled: 1-line block ×3, first 2 shown]
	v_add_f64 v[7:8], v[27:28], -v[31:32]
	v_cmp_le_f64_e32 vcc, 0.5, v[27:28]
	v_add_f64 v[7:8], v[44:45], -v[7:8]
	v_cndmask_b32_e32 v22, 0, v39, vcc
	v_addc_co_u32_e32 v36, vcc, 0, v52, vcc
	v_add_f64 v[5:6], v[5:6], v[7:8]
	v_add_f64 v[7:8], v[27:28], -v[21:22]
	v_add_f64 v[27:28], v[7:8], v[5:6]
	v_mul_f64 v[29:30], v[27:28], s[78:79]
	v_add_f64 v[7:8], v[27:28], -v[7:8]
	v_fma_f64 v[31:32], v[27:28], s[78:79], -v[29:30]
	v_add_f64 v[5:6], v[5:6], -v[7:8]
	v_fma_f64 v[7:8], v[27:28], s[82:83], v[31:32]
	v_fma_f64 v[7:8], v[5:6], s[78:79], v[7:8]
	v_add_f64 v[5:6], v[29:30], v[7:8]
	v_add_f64 v[27:28], v[5:6], -v[29:30]
	v_add_f64 v[29:30], v[7:8], -v[27:28]
	s_andn2_saveexec_b64 s[2:3], s[2:3]
	s_cbranch_execz .LBB131_23
	s_branch .LBB131_22
.LBB131_20:                             ;   in Loop: Header=BB131_4 Depth=1
	s_or_b64 exec, exec, s[72:73]
                                        ; implicit-def: $vgpr13_vgpr14
                                        ; implicit-def: $vgpr22
	s_andn2_saveexec_b64 s[2:3], s[68:69]
	s_cbranch_execnz .LBB131_29
	s_branch .LBB131_34
.LBB131_21:                             ;   in Loop: Header=BB131_4 Depth=1
	s_andn2_saveexec_b64 s[2:3], s[2:3]
	s_cbranch_execz .LBB131_23
.LBB131_22:                             ;   in Loop: Header=BB131_4 Depth=1
	s_mov_b32 vcc_lo, 0x6dc9c883
	s_mov_b32 vcc_hi, 0x3fe45f30
	v_mul_f64 v[5:6], |v[15:16]|, vcc
	s_mov_b32 s80, s20
	s_mov_b32 vcc_lo, 0x252049c0
	s_mov_b32 vcc_hi, 0xb97b839a
	v_rndne_f64_e32 v[7:8], v[5:6]
	v_fma_f64 v[5:6], v[7:8], s[16:17], |v[15:16]|
	v_mul_f64 v[27:28], v[7:8], s[20:21]
	v_cvt_i32_f64_e32 v36, v[7:8]
	v_fma_f64 v[33:34], v[7:8], s[20:21], v[5:6]
	v_add_f64 v[29:30], v[5:6], v[27:28]
	v_add_f64 v[31:32], v[5:6], -v[29:30]
	v_add_f64 v[29:30], v[29:30], -v[33:34]
	v_add_f64 v[5:6], v[31:32], v[27:28]
	v_fma_f64 v[27:28], v[7:8], s[80:81], v[27:28]
	v_add_f64 v[5:6], v[29:30], v[5:6]
	v_add_f64 v[5:6], v[5:6], -v[27:28]
	v_fma_f64 v[27:28], v[7:8], vcc, v[5:6]
	v_add_f64 v[5:6], v[33:34], v[27:28]
	v_add_f64 v[29:30], v[5:6], -v[33:34]
	v_add_f64 v[29:30], v[27:28], -v[29:30]
.LBB131_23:                             ;   in Loop: Header=BB131_4 Depth=1
	s_or_b64 exec, exec, s[2:3]
                                        ; implicit-def: $vgpr35
                                        ; implicit-def: $vgpr7_vgpr8
                                        ; implicit-def: $vgpr27_vgpr28
	s_and_saveexec_b64 s[2:3], s[0:1]
	s_xor_b64 s[0:1], exec, s[2:3]
	s_cbranch_execz .LBB131_25
; %bb.24:                               ;   in Loop: Header=BB131_4 Depth=1
	v_trig_preop_f64 v[7:8], |v[15:16]|, 0
	s_movk_i32 s2, 0xff80
	v_ldexp_f64 v[27:28], |v[15:16]|, s2
	s_mov_b32 s2, 0
	s_mov_b32 s3, 0x7b000000
	v_cmp_ge_f64_e64 vcc, |v[15:16]|, s[2:3]
	v_trig_preop_f64 v[31:32], |v[15:16]|, 1
	v_and_b32_e32 v22, 0x7fffffff, v16
	v_trig_preop_f64 v[46:47], |v[15:16]|, 2
	s_mov_b32 s78, s16
	s_mov_b32 s83, s81
	v_cndmask_b32_e32 v28, v22, v28, vcc
	v_cndmask_b32_e32 v27, v15, v27, vcc
	v_mul_f64 v[33:34], v[7:8], v[27:28]
	v_mul_f64 v[42:43], v[31:32], v[27:28]
	;; [unrolled: 1-line block ×3, first 2 shown]
	v_fma_f64 v[7:8], v[7:8], v[27:28], -v[33:34]
	v_fma_f64 v[31:32], v[31:32], v[27:28], -v[42:43]
	;; [unrolled: 1-line block ×3, first 2 shown]
	v_add_f64 v[44:45], v[42:43], v[7:8]
	v_add_f64 v[48:49], v[44:45], -v[42:43]
	v_add_f64 v[54:55], v[33:34], v[44:45]
	v_add_f64 v[50:51], v[44:45], -v[48:49]
	v_add_f64 v[7:8], v[7:8], -v[48:49]
	v_add_f64 v[48:49], v[52:53], v[31:32]
	v_add_f64 v[33:34], v[54:55], -v[33:34]
	v_add_f64 v[42:43], v[42:43], -v[50:51]
	v_ldexp_f64 v[50:51], v[54:55], -2
	v_add_f64 v[56:57], v[48:49], -v[52:53]
	v_add_f64 v[33:34], v[44:45], -v[33:34]
	v_add_f64 v[7:8], v[7:8], v[42:43]
	v_fract_f64_e32 v[42:43], v[50:51]
	v_cmp_neq_f64_e64 vcc, |v[50:51]|, s[76:77]
	v_add_f64 v[31:32], v[31:32], -v[56:57]
	v_add_f64 v[44:45], v[48:49], v[7:8]
	v_ldexp_f64 v[42:43], v[42:43], 2
	v_add_f64 v[50:51], v[33:34], v[44:45]
	v_cndmask_b32_e32 v43, 0, v43, vcc
	v_cndmask_b32_e32 v42, 0, v42, vcc
	v_add_f64 v[58:59], v[44:45], -v[48:49]
	v_add_f64 v[54:55], v[50:51], v[42:43]
	v_add_f64 v[33:34], v[50:51], -v[33:34]
	v_add_f64 v[60:61], v[44:45], -v[58:59]
	;; [unrolled: 1-line block ×3, first 2 shown]
	v_cmp_gt_f64_e32 vcc, 0, v[54:55]
	v_add_f64 v[54:55], v[48:49], -v[56:57]
	v_add_f64 v[33:34], v[44:45], -v[33:34]
	;; [unrolled: 1-line block ×3, first 2 shown]
	v_cndmask_b32_e32 v22, 0, v38, vcc
	v_add_f64 v[42:43], v[42:43], v[21:22]
	v_add_f64 v[54:55], v[52:53], -v[54:55]
	v_add_f64 v[7:8], v[7:8], v[48:49]
	v_add_f64 v[62:63], v[50:51], v[42:43]
	;; [unrolled: 1-line block ×3, first 2 shown]
	v_cvt_i32_f64_e32 v35, v[62:63]
	v_add_f64 v[7:8], v[31:32], v[7:8]
	v_cvt_f64_i32_e32 v[56:57], v35
	v_add_f64 v[42:43], v[42:43], -v[56:57]
	v_add_f64 v[7:8], v[27:28], v[7:8]
	v_add_f64 v[31:32], v[50:51], v[42:43]
	;; [unrolled: 1-line block ×3, first 2 shown]
	v_add_f64 v[27:28], v[31:32], -v[42:43]
	v_cmp_le_f64_e32 vcc, 0.5, v[31:32]
	v_add_f64 v[27:28], v[50:51], -v[27:28]
	v_cndmask_b32_e32 v22, 0, v39, vcc
	v_addc_co_u32_e32 v35, vcc, 0, v35, vcc
	v_add_f64 v[7:8], v[7:8], v[27:28]
	v_add_f64 v[27:28], v[31:32], -v[21:22]
	v_add_f64 v[31:32], v[27:28], v[7:8]
	v_mul_f64 v[33:34], v[31:32], s[78:79]
	v_add_f64 v[27:28], v[31:32], -v[27:28]
	v_fma_f64 v[42:43], v[31:32], s[78:79], -v[33:34]
	v_add_f64 v[7:8], v[7:8], -v[27:28]
	v_fma_f64 v[27:28], v[31:32], s[82:83], v[42:43]
	v_fma_f64 v[27:28], v[7:8], s[78:79], v[27:28]
	v_add_f64 v[7:8], v[33:34], v[27:28]
	v_add_f64 v[31:32], v[7:8], -v[33:34]
	v_add_f64 v[27:28], v[27:28], -v[31:32]
	s_andn2_saveexec_b64 s[0:1], s[0:1]
	s_cbranch_execnz .LBB131_26
	s_branch .LBB131_27
.LBB131_25:                             ;   in Loop: Header=BB131_4 Depth=1
	s_andn2_saveexec_b64 s[0:1], s[0:1]
	s_cbranch_execz .LBB131_27
.LBB131_26:                             ;   in Loop: Header=BB131_4 Depth=1
	s_mov_b32 s2, 0x6dc9c883
	s_mov_b32 s3, 0x3fe45f30
	v_mul_f64 v[7:8], |v[15:16]|, s[2:3]
	s_mov_b32 s80, s20
	s_mov_b32 s2, 0x252049c0
	;; [unrolled: 1-line block ×3, first 2 shown]
	v_rndne_f64_e32 v[31:32], v[7:8]
	v_fma_f64 v[7:8], v[31:32], s[16:17], |v[15:16]|
	v_mul_f64 v[27:28], v[31:32], s[20:21]
	v_cvt_i32_f64_e32 v35, v[31:32]
	v_fma_f64 v[44:45], v[31:32], s[20:21], v[7:8]
	v_add_f64 v[33:34], v[7:8], v[27:28]
	v_add_f64 v[42:43], v[7:8], -v[33:34]
	v_add_f64 v[33:34], v[33:34], -v[44:45]
	v_add_f64 v[7:8], v[42:43], v[27:28]
	v_fma_f64 v[27:28], v[31:32], s[80:81], v[27:28]
	v_add_f64 v[7:8], v[33:34], v[7:8]
	v_add_f64 v[7:8], v[7:8], -v[27:28]
	v_fma_f64 v[27:28], v[31:32], s[2:3], v[7:8]
	v_add_f64 v[7:8], v[44:45], v[27:28]
	v_add_f64 v[33:34], v[7:8], -v[44:45]
	v_add_f64 v[27:28], v[27:28], -v[33:34]
.LBB131_27:                             ;   in Loop: Header=BB131_4 Depth=1
	s_or_b64 exec, exec, s[0:1]
	v_mul_f64 v[42:43], v[5:6], v[5:6]
	v_mov_b32_e32 v33, s50
	v_mov_b32_e32 v34, s51
	s_mov_b32 s92, s44
	v_cmp_class_f64_e64 vcc, v[15:16], s75
	v_and_b32_e32 v15, 1, v36
	v_cmp_eq_u32_e64 s[0:1], 0, v15
	s_mov_b32 s85, s43
	v_mul_f64 v[31:32], v[42:43], 0.5
	v_fma_f64 v[48:49], v[42:43], s[52:53], v[33:34]
	v_mul_f64 v[46:47], v[42:43], v[42:43]
	s_mov_b32 s87, s45
	v_lshlrev_b32_e32 v15, 30, v36
	v_and_b32_e32 v15, 0x80000000, v15
	v_add_f64 v[44:45], -v[31:32], 1.0
	v_fma_f64 v[48:49], v[42:43], v[48:49], s[54:55]
	v_add_f64 v[50:51], -v[44:45], 1.0
	v_fma_f64 v[48:49], v[42:43], v[48:49], s[56:57]
	v_add_f64 v[31:32], v[50:51], -v[31:32]
	v_fma_f64 v[48:49], v[42:43], v[48:49], s[58:59]
	v_mul_f64 v[50:51], v[29:30], 0.5
	v_fma_f64 v[31:32], v[5:6], -v[29:30], v[31:32]
	v_fma_f64 v[48:49], v[42:43], v[48:49], s[44:45]
	v_fma_f64 v[31:32], v[46:47], v[48:49], v[31:32]
	v_mul_f64 v[46:47], v[5:6], -v[42:43]
	v_add_f64 v[44:45], v[44:45], v[31:32]
	v_mov_b32_e32 v31, s60
	v_mov_b32_e32 v32, s61
	v_fma_f64 v[48:49], v[42:43], s[62:63], v[31:32]
	v_fma_f64 v[48:49], v[42:43], v[48:49], s[64:65]
	;; [unrolled: 1-line block ×5, first 2 shown]
	v_fma_f64 v[29:30], v[42:43], v[48:49], -v[29:30]
	v_fma_f64 v[29:30], v[46:47], s[92:93], v[29:30]
	v_add_f64 v[5:6], v[5:6], -v[29:30]
	v_xor_b32_e32 v6, 0x80000000, v6
	v_cndmask_b32_e64 v5, v5, v44, s[0:1]
	v_cndmask_b32_e64 v6, v6, v45, s[0:1]
	s_mov_b32 s0, 0x19ba0da4
	s_mov_b32 s1, 0xc0937be3
	v_add_f64 v[13:14], v[13:14], s[0:1]
	v_xor_b32_e32 v6, v6, v15
	v_cndmask_b32_e32 v5, 0, v5, vcc
	v_cndmask_b32_e32 v6, v41, v6, vcc
	v_mul_f64 v[29:30], v[13:14], s[24:25]
	v_cmp_nlt_f64_e64 s[0:1], s[88:89], v[13:14]
	v_cmp_ngt_f64_e64 s[2:3], s[90:91], v[13:14]
	v_rndne_f64_e32 v[29:30], v[29:30]
	v_fma_f64 v[42:43], v[29:30], s[26:27], v[13:14]
	v_cvt_i32_f64_e32 v15, v[29:30]
	v_fma_f64 v[42:43], v[29:30], s[28:29], v[42:43]
	v_fma_f64 v[44:45], v[42:43], s[30:31], v[23:24]
	;; [unrolled: 1-line block ×10, first 2 shown]
	v_fma_f64 v[44:45], v[42:43], v[44:45], 1.0
	v_fma_f64 v[42:43], v[42:43], v[44:45], 1.0
	v_ldexp_f64 v[29:30], v[42:43], v15
	v_mul_f64 v[42:43], v[7:8], v[7:8]
	v_cndmask_b32_e64 v15, v40, v30, s[0:1]
	v_mul_f64 v[44:45], v[42:43], 0.5
	v_fma_f64 v[33:34], v[42:43], s[52:53], v[33:34]
	v_fma_f64 v[31:32], v[42:43], s[62:63], v[31:32]
	s_and_b64 s[0:1], s[2:3], s[0:1]
	v_cndmask_b32_e64 v13, 0, v15, s[2:3]
	v_and_b32_e32 v15, 1, v35
	v_cndmask_b32_e64 v29, 0, v29, s[0:1]
	v_cmp_eq_u32_e64 s[0:1], 0, v15
	v_add_f64 v[46:47], -v[44:45], 1.0
	v_fma_f64 v[33:34], v[42:43], v[33:34], s[54:55]
	v_fma_f64 v[31:32], v[42:43], v[31:32], s[64:65]
	v_lshlrev_b32_e32 v15, 30, v35
	v_xor_b32_e32 v15, v15, v16
	v_and_b32_e32 v15, 0x80000000, v15
	v_and_b32_e32 v14, 0xfffff, v13
	v_or_b32_e32 v30, 0x7fe00000, v14
	v_add_f64 v[48:49], -v[46:47], 1.0
	v_fma_f64 v[33:34], v[42:43], v[33:34], s[56:57]
	v_fma_f64 v[31:32], v[42:43], v[31:32], s[66:67]
	v_mul_f64 v[5:6], v[29:30], v[5:6]
	v_lshrrev_b32_e32 v13, 20, v13
	v_add_u32_e32 v13, 0xffffff09, v13
	v_lshrrev_b16_e32 v14, 15, v13
	v_add_u16_e32 v14, v13, v14
	v_add_f64 v[44:45], v[48:49], -v[44:45]
	v_fma_f64 v[33:34], v[42:43], v[33:34], s[58:59]
	v_mul_f64 v[48:49], v[42:43], v[42:43]
	v_fma_f64 v[31:32], v[42:43], v[31:32], s[42:43]
	v_ashrrev_i16_e32 v14, 1, v14
	v_bfe_i32 v14, v14, 0, 16
	v_lshl_add_u32 v22, v14, 20, v39
	v_mul_f64 v[5:6], v[5:6], v[21:22]
	v_fma_f64 v[44:45], v[7:8], -v[27:28], v[44:45]
	v_fma_f64 v[33:34], v[42:43], v[33:34], s[44:45]
	v_sub_u32_e32 v13, v13, v14
	v_lshl_add_u32 v14, v13, 20, v39
	v_mov_b32_e32 v13, v21
	v_mul_f64 v[5:6], v[5:6], v[13:14]
	v_fma_f64 v[33:34], v[48:49], v[33:34], v[44:45]
	v_mul_f64 v[44:45], v[7:8], -v[42:43]
	v_add_f64 v[33:34], v[46:47], v[33:34]
	v_mul_f64 v[46:47], v[27:28], 0.5
	v_fma_f64 v[31:32], v[44:45], v[31:32], v[46:47]
	v_fma_f64 v[27:28], v[42:43], v[31:32], -v[27:28]
	v_fma_f64 v[27:28], v[44:45], s[92:93], v[27:28]
	v_add_f64 v[7:8], v[7:8], -v[27:28]
	v_cndmask_b32_e64 v8, v34, v8, s[0:1]
	v_cndmask_b32_e64 v7, v33, v7, s[0:1]
	v_xor_b32_e32 v8, v8, v15
	v_cndmask_b32_e32 v7, 0, v7, vcc
	v_cndmask_b32_e32 v8, v41, v8, vcc
	v_mul_f64 v[7:8], v[29:30], v[7:8]
	v_mul_f64 v[7:8], v[7:8], v[21:22]
	;; [unrolled: 1-line block ×3, first 2 shown]
	s_or_b64 exec, exec, s[72:73]
                                        ; implicit-def: $vgpr13_vgpr14
                                        ; implicit-def: $vgpr22
.LBB131_28:                             ;   in Loop: Header=BB131_4 Depth=1
	s_andn2_saveexec_b64 s[2:3], s[68:69]
	s_cbranch_execz .LBB131_34
.LBB131_29:                             ;   in Loop: Header=BB131_4 Depth=1
	v_add_f64 v[7:8], v[15:16], -v[15:16]
	s_mov_b32 s0, 0x7ff00000
	v_cmp_ne_u32_e32 vcc, 0, v13
	v_cmp_ne_u32_e64 s[0:1], s0, v22
	s_or_b64 s[0:1], vcc, s[0:1]
	s_and_saveexec_b64 s[68:69], s[0:1]
	s_xor_b64 s[0:1], exec, s[68:69]
; %bb.30:                               ;   in Loop: Header=BB131_4 Depth=1
                                        ; implicit-def: $vgpr13_vgpr14
; %bb.31:                               ;   in Loop: Header=BB131_4 Depth=1
	s_or_saveexec_b64 s[0:1], s[0:1]
	v_mov_b32_e32 v5, v7
	v_mov_b32_e32 v6, v8
	s_xor_b64 exec, exec, s[0:1]
; %bb.32:                               ;   in Loop: Header=BB131_4 Depth=1
	v_cmp_lt_i64_e32 vcc, -1, v[13:14]
	v_cndmask_b32_e32 v6, 0, v14, vcc
	v_cndmask_b32_e32 v5, 0, v13, vcc
	v_cndmask_b32_e32 v8, 0, v8, vcc
	v_cndmask_b32_e32 v7, 0, v7, vcc
; %bb.33:                               ;   in Loop: Header=BB131_4 Depth=1
	s_or_b64 exec, exec, s[0:1]
.LBB131_34:                             ;   in Loop: Header=BB131_4 Depth=1
	s_or_b64 exec, exec, s[2:3]
                                        ; implicit-def: $vgpr15_vgpr16
.LBB131_35:                             ;   in Loop: Header=BB131_4 Depth=1
	s_andn2_saveexec_b64 s[2:3], s[18:19]
	s_cbranch_execz .LBB131_45
; %bb.36:                               ;   in Loop: Header=BB131_4 Depth=1
	v_trig_preop_f64 v[13:14], |v[15:16]|, 0
	v_trig_preop_f64 v[7:8], |v[15:16]|, 1
	v_trig_preop_f64 v[5:6], |v[15:16]|, 2
	s_mov_b32 s0, 0
	s_mov_b32 s1, 0x41d00000
	s_movk_i32 s18, 0xff80
	v_cmp_nlt_f64_e64 s[0:1], |v[15:16]|, s[0:1]
	v_ldexp_f64 v[29:30], |v[15:16]|, s18
	v_and_b32_e32 v44, 0x7fffffff, v16
                                        ; implicit-def: $vgpr43
                                        ; implicit-def: $vgpr27_vgpr28
                                        ; implicit-def: $vgpr31_vgpr32
	s_and_saveexec_b64 s[18:19], s[0:1]
	s_xor_b64 s[18:19], exec, s[18:19]
	s_cbranch_execz .LBB131_38
; %bb.37:                               ;   in Loop: Header=BB131_4 Depth=1
	s_mov_b32 s68, 0
	s_mov_b32 s69, 0x7b000000
	v_cmp_ge_f64_e64 vcc, |v[15:16]|, s[68:69]
	s_mov_b32 s78, s16
	s_mov_b32 s83, s81
	v_cndmask_b32_e32 v28, v44, v30, vcc
	v_cndmask_b32_e32 v27, v15, v29, vcc
	v_mul_f64 v[31:32], v[13:14], v[27:28]
	v_mul_f64 v[33:34], v[7:8], v[27:28]
	;; [unrolled: 1-line block ×3, first 2 shown]
	v_fma_f64 v[35:36], v[13:14], v[27:28], -v[31:32]
	v_fma_f64 v[51:52], v[7:8], v[27:28], -v[33:34]
	;; [unrolled: 1-line block ×3, first 2 shown]
	v_add_f64 v[42:43], v[33:34], v[35:36]
	v_add_f64 v[45:46], v[42:43], -v[33:34]
	v_add_f64 v[53:54], v[31:32], v[42:43]
	v_add_f64 v[47:48], v[42:43], -v[45:46]
	v_add_f64 v[35:36], v[35:36], -v[45:46]
	v_add_f64 v[45:46], v[49:50], v[51:52]
	v_add_f64 v[31:32], v[53:54], -v[31:32]
	v_add_f64 v[33:34], v[33:34], -v[47:48]
	v_ldexp_f64 v[47:48], v[53:54], -2
	v_add_f64 v[55:56], v[45:46], -v[49:50]
	v_add_f64 v[31:32], v[42:43], -v[31:32]
	v_add_f64 v[33:34], v[35:36], v[33:34]
	v_fract_f64_e32 v[35:36], v[47:48]
	v_cmp_neq_f64_e64 vcc, |v[47:48]|, s[76:77]
	v_add_f64 v[51:52], v[51:52], -v[55:56]
	v_add_f64 v[42:43], v[45:46], v[33:34]
	v_ldexp_f64 v[35:36], v[35:36], 2
	v_add_f64 v[47:48], v[31:32], v[42:43]
	v_cndmask_b32_e32 v36, 0, v36, vcc
	v_cndmask_b32_e32 v35, 0, v35, vcc
	v_add_f64 v[57:58], v[42:43], -v[45:46]
	v_add_f64 v[53:54], v[47:48], v[35:36]
	v_add_f64 v[31:32], v[47:48], -v[31:32]
	v_add_f64 v[59:60], v[42:43], -v[57:58]
	;; [unrolled: 1-line block ×3, first 2 shown]
	v_cmp_gt_f64_e32 vcc, 0, v[53:54]
	v_add_f64 v[53:54], v[45:46], -v[55:56]
	v_add_f64 v[31:32], v[42:43], -v[31:32]
	;; [unrolled: 1-line block ×3, first 2 shown]
	v_cndmask_b32_e32 v22, 0, v38, vcc
	v_add_f64 v[35:36], v[35:36], v[21:22]
	v_add_f64 v[53:54], v[49:50], -v[53:54]
	v_add_f64 v[33:34], v[33:34], v[45:46]
	v_add_f64 v[61:62], v[47:48], v[35:36]
	;; [unrolled: 1-line block ×3, first 2 shown]
	v_cvt_i32_f64_e32 v57, v[61:62]
	v_add_f64 v[33:34], v[51:52], v[33:34]
	v_cvt_f64_i32_e32 v[55:56], v57
	v_add_f64 v[35:36], v[35:36], -v[55:56]
	v_add_f64 v[27:28], v[27:28], v[33:34]
	v_add_f64 v[45:46], v[47:48], v[35:36]
	;; [unrolled: 1-line block ×3, first 2 shown]
	v_add_f64 v[33:34], v[45:46], -v[35:36]
	v_cmp_le_f64_e32 vcc, 0.5, v[45:46]
	v_add_f64 v[31:32], v[47:48], -v[33:34]
	v_cndmask_b32_e32 v22, 0, v39, vcc
	v_add_f64 v[27:28], v[27:28], v[31:32]
	v_add_f64 v[31:32], v[45:46], -v[21:22]
	v_add_f64 v[33:34], v[31:32], v[27:28]
	v_mul_f64 v[35:36], v[33:34], s[78:79]
	v_add_f64 v[31:32], v[33:34], -v[31:32]
	v_fma_f64 v[42:43], v[33:34], s[78:79], -v[35:36]
	v_add_f64 v[27:28], v[27:28], -v[31:32]
	v_fma_f64 v[31:32], v[33:34], s[82:83], v[42:43]
	v_addc_co_u32_e32 v43, vcc, 0, v57, vcc
	v_fma_f64 v[31:32], v[27:28], s[78:79], v[31:32]
	v_add_f64 v[27:28], v[35:36], v[31:32]
	v_add_f64 v[33:34], v[27:28], -v[35:36]
	v_add_f64 v[31:32], v[31:32], -v[33:34]
	s_andn2_saveexec_b64 s[18:19], s[18:19]
	s_cbranch_execz .LBB131_40
	s_branch .LBB131_39
.LBB131_38:                             ;   in Loop: Header=BB131_4 Depth=1
	s_andn2_saveexec_b64 s[18:19], s[18:19]
	s_cbranch_execz .LBB131_40
.LBB131_39:                             ;   in Loop: Header=BB131_4 Depth=1
	s_mov_b32 s68, 0x6dc9c883
	s_mov_b32 s69, 0x3fe45f30
	v_mul_f64 v[27:28], |v[15:16]|, s[68:69]
	s_mov_b32 s80, s20
	s_mov_b32 s68, 0x252049c0
	;; [unrolled: 1-line block ×3, first 2 shown]
	v_rndne_f64_e32 v[33:34], v[27:28]
	v_fma_f64 v[27:28], v[33:34], s[16:17], |v[15:16]|
	v_mul_f64 v[31:32], v[33:34], s[20:21]
	v_fma_f64 v[45:46], v[33:34], s[20:21], v[27:28]
	v_add_f64 v[35:36], v[27:28], v[31:32]
	v_add_f64 v[42:43], v[27:28], -v[35:36]
	v_add_f64 v[35:36], v[35:36], -v[45:46]
	v_add_f64 v[27:28], v[42:43], v[31:32]
	v_fma_f64 v[31:32], v[33:34], s[80:81], v[31:32]
	v_cvt_i32_f64_e32 v43, v[33:34]
	v_add_f64 v[27:28], v[35:36], v[27:28]
	v_add_f64 v[27:28], v[27:28], -v[31:32]
	v_fma_f64 v[31:32], v[33:34], s[68:69], v[27:28]
	v_add_f64 v[27:28], v[45:46], v[31:32]
	v_add_f64 v[35:36], v[27:28], -v[45:46]
	v_add_f64 v[31:32], v[31:32], -v[35:36]
.LBB131_40:                             ;   in Loop: Header=BB131_4 Depth=1
	s_or_b64 exec, exec, s[18:19]
                                        ; implicit-def: $vgpr42
                                        ; implicit-def: $vgpr33_vgpr34
                                        ; implicit-def: $vgpr35_vgpr36
	s_and_saveexec_b64 s[18:19], s[0:1]
	s_xor_b64 s[18:19], exec, s[18:19]
	s_cbranch_execz .LBB131_42
; %bb.41:                               ;   in Loop: Header=BB131_4 Depth=1
	s_mov_b32 s0, 0
	s_mov_b32 s1, 0x7b000000
	v_cmp_ge_f64_e64 vcc, |v[15:16]|, s[0:1]
	s_mov_b32 s78, s16
	s_mov_b32 s83, s81
	v_cndmask_b32_e32 v30, v44, v30, vcc
	v_cndmask_b32_e32 v29, v15, v29, vcc
	v_mul_f64 v[33:34], v[13:14], v[29:30]
	v_mul_f64 v[35:36], v[7:8], v[29:30]
	;; [unrolled: 1-line block ×3, first 2 shown]
	v_fma_f64 v[13:14], v[13:14], v[29:30], -v[33:34]
	v_fma_f64 v[7:8], v[7:8], v[29:30], -v[35:36]
	;; [unrolled: 1-line block ×3, first 2 shown]
	v_add_f64 v[44:45], v[35:36], v[13:14]
	v_add_f64 v[46:47], v[44:45], -v[35:36]
	v_add_f64 v[52:53], v[33:34], v[44:45]
	v_add_f64 v[48:49], v[44:45], -v[46:47]
	v_add_f64 v[13:14], v[13:14], -v[46:47]
	v_add_f64 v[46:47], v[50:51], v[7:8]
	v_add_f64 v[33:34], v[52:53], -v[33:34]
	v_add_f64 v[35:36], v[35:36], -v[48:49]
	v_ldexp_f64 v[48:49], v[52:53], -2
	v_add_f64 v[54:55], v[46:47], -v[50:51]
	v_add_f64 v[33:34], v[44:45], -v[33:34]
	v_add_f64 v[13:14], v[13:14], v[35:36]
	v_fract_f64_e32 v[35:36], v[48:49]
	v_cmp_neq_f64_e64 vcc, |v[48:49]|, s[76:77]
	v_add_f64 v[7:8], v[7:8], -v[54:55]
	v_add_f64 v[44:45], v[46:47], v[13:14]
	v_ldexp_f64 v[35:36], v[35:36], 2
	v_add_f64 v[48:49], v[33:34], v[44:45]
	v_cndmask_b32_e32 v36, 0, v36, vcc
	v_cndmask_b32_e32 v35, 0, v35, vcc
	v_add_f64 v[56:57], v[44:45], -v[46:47]
	v_add_f64 v[52:53], v[48:49], v[35:36]
	v_add_f64 v[29:30], v[48:49], -v[33:34]
	v_add_f64 v[58:59], v[44:45], -v[56:57]
	;; [unrolled: 1-line block ×3, first 2 shown]
	v_cmp_gt_f64_e32 vcc, 0, v[52:53]
	v_add_f64 v[52:53], v[46:47], -v[54:55]
	v_add_f64 v[29:30], v[44:45], -v[29:30]
	;; [unrolled: 1-line block ×3, first 2 shown]
	v_cndmask_b32_e32 v22, 0, v38, vcc
	v_add_f64 v[35:36], v[35:36], v[21:22]
	v_add_f64 v[52:53], v[50:51], -v[52:53]
	v_add_f64 v[13:14], v[13:14], v[46:47]
	v_add_f64 v[60:61], v[48:49], v[35:36]
	;; [unrolled: 1-line block ×3, first 2 shown]
	v_cvt_i32_f64_e32 v22, v[60:61]
	v_add_f64 v[7:8], v[7:8], v[13:14]
	v_cvt_f64_i32_e32 v[54:55], v22
	v_add_f64 v[35:36], v[35:36], -v[54:55]
	v_add_f64 v[5:6], v[5:6], v[7:8]
	v_add_f64 v[13:14], v[48:49], v[35:36]
	;; [unrolled: 1-line block ×3, first 2 shown]
	v_add_f64 v[7:8], v[13:14], -v[35:36]
	v_cmp_le_f64_e32 vcc, 0.5, v[13:14]
	v_add_f64 v[7:8], v[48:49], -v[7:8]
	v_addc_co_u32_e64 v42, s[0:1], 0, v22, vcc
	v_cndmask_b32_e32 v22, 0, v39, vcc
	v_add_f64 v[5:6], v[5:6], v[7:8]
	v_add_f64 v[7:8], v[13:14], -v[21:22]
	v_add_f64 v[13:14], v[7:8], v[5:6]
	v_mul_f64 v[29:30], v[13:14], s[78:79]
	v_add_f64 v[7:8], v[13:14], -v[7:8]
	v_fma_f64 v[33:34], v[13:14], s[78:79], -v[29:30]
	v_add_f64 v[5:6], v[5:6], -v[7:8]
	v_fma_f64 v[7:8], v[13:14], s[82:83], v[33:34]
	v_fma_f64 v[5:6], v[5:6], s[78:79], v[7:8]
	v_add_f64 v[33:34], v[29:30], v[5:6]
	v_add_f64 v[7:8], v[33:34], -v[29:30]
	v_add_f64 v[35:36], v[5:6], -v[7:8]
	s_andn2_saveexec_b64 s[0:1], s[18:19]
	s_cbranch_execnz .LBB131_43
	s_branch .LBB131_44
.LBB131_42:                             ;   in Loop: Header=BB131_4 Depth=1
	s_andn2_saveexec_b64 s[0:1], s[18:19]
	s_cbranch_execz .LBB131_44
.LBB131_43:                             ;   in Loop: Header=BB131_4 Depth=1
	s_mov_b32 s18, 0x6dc9c883
	s_mov_b32 s19, 0x3fe45f30
	v_mul_f64 v[5:6], |v[15:16]|, s[18:19]
	s_mov_b32 s80, s20
	s_mov_b32 s18, 0x252049c0
	;; [unrolled: 1-line block ×3, first 2 shown]
	v_rndne_f64_e32 v[5:6], v[5:6]
	v_fma_f64 v[7:8], v[5:6], s[16:17], |v[15:16]|
	v_mul_f64 v[13:14], v[5:6], s[20:21]
	v_cvt_i32_f64_e32 v42, v[5:6]
	v_add_f64 v[29:30], v[7:8], v[13:14]
	v_add_f64 v[33:34], v[7:8], -v[29:30]
	v_fma_f64 v[7:8], v[5:6], s[20:21], v[7:8]
	v_add_f64 v[33:34], v[33:34], v[13:14]
	v_add_f64 v[29:30], v[29:30], -v[7:8]
	v_fma_f64 v[13:14], v[5:6], s[80:81], v[13:14]
	;; [unrolled: 3-line block ×3, first 2 shown]
	v_add_f64 v[33:34], v[7:8], v[13:14]
	v_add_f64 v[7:8], v[33:34], -v[7:8]
	v_add_f64 v[35:36], v[13:14], -v[7:8]
.LBB131_44:                             ;   in Loop: Header=BB131_4 Depth=1
	s_or_b64 exec, exec, s[0:1]
	v_mul_f64 v[5:6], v[27:28], v[27:28]
	v_mov_b32_e32 v44, s50
	v_mov_b32_e32 v45, s51
	v_mul_f64 v[48:49], v[31:32], 0.5
	s_mov_b32 s92, s44
	v_and_b32_e32 v22, 1, v43
	v_cmp_eq_u32_e32 vcc, 0, v22
	v_mul_f64 v[7:8], v[5:6], 0.5
	v_fma_f64 v[46:47], v[5:6], s[52:53], v[44:45]
	v_add_f64 v[13:14], -v[7:8], 1.0
	v_fma_f64 v[46:47], v[5:6], v[46:47], s[54:55]
	v_add_f64 v[29:30], -v[13:14], 1.0
	v_fma_f64 v[46:47], v[5:6], v[46:47], s[56:57]
	v_add_f64 v[7:8], v[29:30], -v[7:8]
	v_fma_f64 v[46:47], v[5:6], v[46:47], s[58:59]
	v_mul_f64 v[29:30], v[5:6], v[5:6]
	v_fma_f64 v[7:8], v[27:28], -v[31:32], v[7:8]
	v_fma_f64 v[46:47], v[5:6], v[46:47], s[44:45]
	v_fma_f64 v[7:8], v[29:30], v[46:47], v[7:8]
	v_mul_f64 v[46:47], v[27:28], -v[5:6]
	v_add_f64 v[7:8], v[13:14], v[7:8]
	v_mov_b32_e32 v13, s60
	v_mov_b32_e32 v14, s61
	v_fma_f64 v[29:30], v[5:6], s[62:63], v[13:14]
	v_fma_f64 v[29:30], v[5:6], v[29:30], s[64:65]
	;; [unrolled: 1-line block ×5, first 2 shown]
	v_fma_f64 v[5:6], v[5:6], v[29:30], -v[31:32]
	v_fma_f64 v[5:6], v[46:47], s[92:93], v[5:6]
	v_add_f64 v[5:6], v[27:28], -v[5:6]
	v_xor_b32_e32 v6, 0x80000000, v6
	v_cndmask_b32_e32 v5, v5, v7, vcc
	v_lshlrev_b32_e32 v7, 30, v43
	v_cndmask_b32_e32 v6, v6, v8, vcc
	v_and_b32_e32 v7, 0x80000000, v7
	v_xor_b32_e32 v6, v6, v7
	v_mul_f64 v[7:8], v[33:34], v[33:34]
	v_cmp_class_f64_e64 vcc, v[15:16], s75
	v_mul_f64 v[27:28], v[7:8], 0.5
	v_fma_f64 v[43:44], v[7:8], s[52:53], v[44:45]
	v_fma_f64 v[13:14], v[7:8], s[62:63], v[13:14]
	v_cndmask_b32_e32 v5, 0, v5, vcc
	v_cndmask_b32_e32 v6, v41, v6, vcc
	v_add_f64 v[29:30], -v[27:28], 1.0
	v_fma_f64 v[43:44], v[7:8], v[43:44], s[54:55]
	v_fma_f64 v[13:14], v[7:8], v[13:14], s[64:65]
	v_add_f64 v[31:32], -v[29:30], 1.0
	v_fma_f64 v[43:44], v[7:8], v[43:44], s[56:57]
	v_fma_f64 v[13:14], v[7:8], v[13:14], s[66:67]
	v_add_f64 v[27:28], v[31:32], -v[27:28]
	v_fma_f64 v[43:44], v[7:8], v[43:44], s[58:59]
	v_mul_f64 v[31:32], v[7:8], v[7:8]
	v_fma_f64 v[13:14], v[7:8], v[13:14], s[42:43]
	v_fma_f64 v[27:28], v[33:34], -v[35:36], v[27:28]
	v_fma_f64 v[43:44], v[7:8], v[43:44], s[44:45]
	v_fma_f64 v[27:28], v[31:32], v[43:44], v[27:28]
	v_mul_f64 v[31:32], v[35:36], 0.5
	v_add_f64 v[27:28], v[29:30], v[27:28]
	v_mul_f64 v[29:30], v[33:34], -v[7:8]
	v_fma_f64 v[13:14], v[29:30], v[13:14], v[31:32]
	v_fma_f64 v[7:8], v[7:8], v[13:14], -v[35:36]
	v_and_b32_e32 v13, 1, v42
	v_cmp_eq_u32_e64 s[0:1], 0, v13
	v_lshlrev_b32_e32 v13, 30, v42
	v_xor_b32_e32 v13, v13, v16
	v_and_b32_e32 v13, 0x80000000, v13
	v_fma_f64 v[7:8], v[29:30], s[92:93], v[7:8]
	v_add_f64 v[7:8], v[33:34], -v[7:8]
	v_cndmask_b32_e64 v8, v28, v8, s[0:1]
	v_cndmask_b32_e64 v7, v27, v7, s[0:1]
	v_xor_b32_e32 v8, v8, v13
	v_cndmask_b32_e32 v7, 0, v7, vcc
	v_cndmask_b32_e32 v8, v41, v8, vcc
.LBB131_45:                             ;   in Loop: Header=BB131_4 Depth=1
	s_or_b64 exec, exec, s[2:3]
                                        ; implicit-def: $vgpr13_vgpr14
.LBB131_46:                             ;   in Loop: Header=BB131_4 Depth=1
	s_andn2_saveexec_b64 s[2:3], s[10:11]
	s_cbranch_execz .LBB131_48
; %bb.47:                               ;   in Loop: Header=BB131_4 Depth=1
	v_mul_f64 v[5:6], v[13:14], s[24:25]
	s_mov_b32 s85, s43
	s_mov_b32 s87, s45
	v_cmp_nlt_f64_e32 vcc, s[88:89], v[13:14]
	v_cmp_ngt_f64_e64 s[0:1], s[90:91], v[13:14]
	v_rndne_f64_e32 v[5:6], v[5:6]
	v_fma_f64 v[7:8], v[5:6], s[26:27], v[13:14]
	v_fma_f64 v[7:8], v[5:6], s[28:29], v[7:8]
	v_cvt_i32_f64_e32 v5, v[5:6]
	v_fma_f64 v[27:28], v[7:8], s[30:31], v[23:24]
	v_fma_f64 v[27:28], v[7:8], v[27:28], s[34:35]
	;; [unrolled: 1-line block ×9, first 2 shown]
	v_fma_f64 v[27:28], v[7:8], v[27:28], 1.0
	v_fma_f64 v[7:8], v[7:8], v[27:28], 1.0
	v_ldexp_f64 v[5:6], v[7:8], v5
	v_mov_b32_e32 v7, v15
	v_mov_b32_e32 v8, v16
	v_cndmask_b32_e32 v6, v40, v6, vcc
	s_and_b64 vcc, s[0:1], vcc
	v_cndmask_b32_e64 v6, 0, v6, s[0:1]
	v_cndmask_b32_e32 v5, 0, v5, vcc
.LBB131_48:                             ;   in Loop: Header=BB131_4 Depth=1
	s_or_b64 exec, exec, s[2:3]
	s_waitcnt vmcnt(2)
	v_and_b32_e32 v13, 0x7fffffff, v20
	v_or_b32_e32 v14, v13, v19
	v_cmp_ne_u32_e32 vcc, 0, v14
                                        ; implicit-def: $vgpr15_vgpr16
	s_and_saveexec_b64 s[0:1], vcc
	s_xor_b64 s[10:11], exec, s[0:1]
	s_cbranch_execz .LBB131_90
; %bb.49:                               ;   in Loop: Header=BB131_4 Depth=1
	v_and_b32_e32 v22, 0x7fffffff, v18
	v_or_b32_e32 v14, v22, v17
	v_cmp_ne_u32_e32 vcc, 0, v14
                                        ; implicit-def: $vgpr15_vgpr16
	s_and_saveexec_b64 s[0:1], vcc
	s_xor_b64 s[18:19], exec, s[0:1]
	s_cbranch_execz .LBB131_79
; %bb.50:                               ;   in Loop: Header=BB131_4 Depth=1
	s_mov_b32 s0, 0x7ff00000
	v_cmp_gt_u32_e32 vcc, s0, v13
                                        ; implicit-def: $vgpr15_vgpr16
	s_and_saveexec_b64 s[0:1], vcc
	s_xor_b64 s[68:69], exec, s[0:1]
	s_cbranch_execz .LBB131_72
; %bb.51:                               ;   in Loop: Header=BB131_4 Depth=1
	v_add_u32_e32 v13, 0xbf79d1be, v18
	s_mov_b32 s0, 0x108aa2
	v_cmp_lt_u32_e32 vcc, s0, v13
                                        ; implicit-def: $vgpr15_vgpr16
	s_and_saveexec_b64 s[0:1], vcc
	s_xor_b64 s[2:3], exec, s[0:1]
	s_cbranch_execz .LBB131_61
; %bb.52:                               ;   in Loop: Header=BB131_4 Depth=1
	s_mov_b32 s0, 0
	s_mov_b32 s1, 0x41d00000
	v_cmp_nlt_f64_e64 s[0:1], |v[19:20]|, s[0:1]
                                        ; implicit-def: $vgpr33
                                        ; implicit-def: $vgpr13_vgpr14
                                        ; implicit-def: $vgpr31_vgpr32
	s_and_saveexec_b64 s[72:73], s[0:1]
	s_xor_b64 s[72:73], exec, s[72:73]
	s_cbranch_execz .LBB131_54
; %bb.53:                               ;   in Loop: Header=BB131_4 Depth=1
	v_trig_preop_f64 v[13:14], |v[19:20]|, 0
	s_mov_b32 vcc_lo, 0
	s_movk_i32 s78, 0xff80
	s_mov_b32 vcc_hi, 0x7b000000
	v_ldexp_f64 v[15:16], |v[19:20]|, s78
	v_cmp_ge_f64_e64 vcc, |v[19:20]|, vcc
	v_trig_preop_f64 v[27:28], |v[19:20]|, 1
	v_and_b32_e32 v22, 0x7fffffff, v20
	v_trig_preop_f64 v[35:36], |v[19:20]|, 2
	s_mov_b32 s78, s16
	s_mov_b32 s83, s81
	v_cndmask_b32_e32 v16, v22, v16, vcc
	v_cndmask_b32_e32 v15, v19, v15, vcc
	v_mul_f64 v[29:30], v[13:14], v[15:16]
	v_mul_f64 v[31:32], v[27:28], v[15:16]
	;; [unrolled: 1-line block ×3, first 2 shown]
	v_fma_f64 v[13:14], v[13:14], v[15:16], -v[29:30]
	v_fma_f64 v[27:28], v[27:28], v[15:16], -v[31:32]
	;; [unrolled: 1-line block ×3, first 2 shown]
	v_add_f64 v[33:34], v[31:32], v[13:14]
	v_add_f64 v[42:43], v[33:34], -v[31:32]
	v_add_f64 v[48:49], v[29:30], v[33:34]
	v_add_f64 v[44:45], v[33:34], -v[42:43]
	v_add_f64 v[13:14], v[13:14], -v[42:43]
	v_add_f64 v[42:43], v[46:47], v[27:28]
	v_add_f64 v[29:30], v[48:49], -v[29:30]
	v_add_f64 v[31:32], v[31:32], -v[44:45]
	v_ldexp_f64 v[44:45], v[48:49], -2
	v_add_f64 v[50:51], v[42:43], -v[46:47]
	v_add_f64 v[29:30], v[33:34], -v[29:30]
	v_add_f64 v[13:14], v[13:14], v[31:32]
	v_fract_f64_e32 v[31:32], v[44:45]
	v_cmp_neq_f64_e64 vcc, |v[44:45]|, s[76:77]
	v_add_f64 v[27:28], v[27:28], -v[50:51]
	v_add_f64 v[33:34], v[42:43], v[13:14]
	v_ldexp_f64 v[31:32], v[31:32], 2
	v_add_f64 v[44:45], v[29:30], v[33:34]
	v_cndmask_b32_e32 v32, 0, v32, vcc
	v_cndmask_b32_e32 v31, 0, v31, vcc
	v_add_f64 v[52:53], v[33:34], -v[42:43]
	v_add_f64 v[48:49], v[44:45], v[31:32]
	v_add_f64 v[29:30], v[44:45], -v[29:30]
	v_add_f64 v[54:55], v[33:34], -v[52:53]
	;; [unrolled: 1-line block ×3, first 2 shown]
	v_cmp_gt_f64_e32 vcc, 0, v[48:49]
	v_add_f64 v[48:49], v[42:43], -v[50:51]
	v_add_f64 v[29:30], v[33:34], -v[29:30]
	;; [unrolled: 1-line block ×3, first 2 shown]
	v_cndmask_b32_e32 v22, 0, v38, vcc
	v_add_f64 v[31:32], v[31:32], v[21:22]
	v_add_f64 v[48:49], v[46:47], -v[48:49]
	v_add_f64 v[13:14], v[13:14], v[42:43]
	v_add_f64 v[56:57], v[44:45], v[31:32]
	;; [unrolled: 1-line block ×3, first 2 shown]
	v_cvt_i32_f64_e32 v52, v[56:57]
	v_add_f64 v[13:14], v[27:28], v[13:14]
	v_cvt_f64_i32_e32 v[50:51], v52
	v_add_f64 v[31:32], v[31:32], -v[50:51]
	v_add_f64 v[13:14], v[15:16], v[13:14]
	v_add_f64 v[27:28], v[44:45], v[31:32]
	;; [unrolled: 1-line block ×3, first 2 shown]
	v_add_f64 v[15:16], v[27:28], -v[31:32]
	v_cmp_le_f64_e32 vcc, 0.5, v[27:28]
	v_add_f64 v[15:16], v[44:45], -v[15:16]
	v_cndmask_b32_e32 v22, 0, v39, vcc
	v_addc_co_u32_e32 v33, vcc, 0, v52, vcc
	v_add_f64 v[13:14], v[13:14], v[15:16]
	v_add_f64 v[15:16], v[27:28], -v[21:22]
	v_add_f64 v[27:28], v[15:16], v[13:14]
	v_mul_f64 v[29:30], v[27:28], s[78:79]
	v_add_f64 v[15:16], v[27:28], -v[15:16]
	v_fma_f64 v[31:32], v[27:28], s[78:79], -v[29:30]
	v_add_f64 v[13:14], v[13:14], -v[15:16]
	v_fma_f64 v[15:16], v[27:28], s[82:83], v[31:32]
	v_fma_f64 v[15:16], v[13:14], s[78:79], v[15:16]
	v_add_f64 v[13:14], v[29:30], v[15:16]
	v_add_f64 v[27:28], v[13:14], -v[29:30]
	v_add_f64 v[31:32], v[15:16], -v[27:28]
	s_andn2_saveexec_b64 s[72:73], s[72:73]
	s_cbranch_execz .LBB131_56
	s_branch .LBB131_55
.LBB131_54:                             ;   in Loop: Header=BB131_4 Depth=1
	s_andn2_saveexec_b64 s[72:73], s[72:73]
	s_cbranch_execz .LBB131_56
.LBB131_55:                             ;   in Loop: Header=BB131_4 Depth=1
	s_mov_b32 vcc_lo, 0x6dc9c883
	s_mov_b32 vcc_hi, 0x3fe45f30
	v_mul_f64 v[13:14], |v[19:20]|, vcc
	s_mov_b32 s80, s20
	s_mov_b32 vcc_lo, 0x252049c0
	s_mov_b32 vcc_hi, 0xb97b839a
	v_rndne_f64_e32 v[15:16], v[13:14]
	v_fma_f64 v[13:14], v[15:16], s[16:17], |v[19:20]|
	v_mul_f64 v[27:28], v[15:16], s[20:21]
	v_fma_f64 v[33:34], v[15:16], s[20:21], v[13:14]
	v_add_f64 v[29:30], v[13:14], v[27:28]
	v_add_f64 v[31:32], v[13:14], -v[29:30]
	v_add_f64 v[29:30], v[29:30], -v[33:34]
	v_add_f64 v[13:14], v[31:32], v[27:28]
	v_fma_f64 v[27:28], v[15:16], s[80:81], v[27:28]
	v_add_f64 v[13:14], v[29:30], v[13:14]
	v_add_f64 v[13:14], v[13:14], -v[27:28]
	v_fma_f64 v[27:28], v[15:16], vcc, v[13:14]
	v_add_f64 v[13:14], v[33:34], v[27:28]
	v_add_f64 v[29:30], v[13:14], -v[33:34]
	v_cvt_i32_f64_e32 v33, v[15:16]
	v_add_f64 v[31:32], v[27:28], -v[29:30]
.LBB131_56:                             ;   in Loop: Header=BB131_4 Depth=1
	s_or_b64 exec, exec, s[72:73]
                                        ; implicit-def: $vgpr22
                                        ; implicit-def: $vgpr27_vgpr28
                                        ; implicit-def: $vgpr29_vgpr30
	s_and_saveexec_b64 s[72:73], s[0:1]
	s_xor_b64 s[0:1], exec, s[72:73]
	s_cbranch_execz .LBB131_58
; %bb.57:                               ;   in Loop: Header=BB131_4 Depth=1
	v_trig_preop_f64 v[15:16], |v[19:20]|, 0
	s_movk_i32 s72, 0xff80
	v_ldexp_f64 v[27:28], |v[19:20]|, s72
	s_mov_b32 s72, 0
	s_mov_b32 s73, 0x7b000000
	v_cmp_ge_f64_e64 vcc, |v[19:20]|, s[72:73]
	v_trig_preop_f64 v[29:30], |v[19:20]|, 1
	v_and_b32_e32 v22, 0x7fffffff, v20
	v_trig_preop_f64 v[46:47], |v[19:20]|, 2
	s_mov_b32 s78, s16
	s_mov_b32 s83, s81
	v_cndmask_b32_e32 v28, v22, v28, vcc
	v_cndmask_b32_e32 v27, v19, v27, vcc
	v_mul_f64 v[34:35], v[15:16], v[27:28]
	v_mul_f64 v[42:43], v[29:30], v[27:28]
	v_mul_f64 v[52:53], v[46:47], v[27:28]
	v_fma_f64 v[15:16], v[15:16], v[27:28], -v[34:35]
	v_fma_f64 v[29:30], v[29:30], v[27:28], -v[42:43]
	;; [unrolled: 1-line block ×3, first 2 shown]
	v_add_f64 v[44:45], v[42:43], v[15:16]
	v_add_f64 v[48:49], v[44:45], -v[42:43]
	v_add_f64 v[54:55], v[34:35], v[44:45]
	v_add_f64 v[50:51], v[44:45], -v[48:49]
	v_add_f64 v[15:16], v[15:16], -v[48:49]
	v_add_f64 v[48:49], v[52:53], v[29:30]
	v_add_f64 v[34:35], v[54:55], -v[34:35]
	v_add_f64 v[42:43], v[42:43], -v[50:51]
	v_ldexp_f64 v[50:51], v[54:55], -2
	v_add_f64 v[56:57], v[48:49], -v[52:53]
	v_add_f64 v[34:35], v[44:45], -v[34:35]
	v_add_f64 v[15:16], v[15:16], v[42:43]
	v_fract_f64_e32 v[42:43], v[50:51]
	v_cmp_neq_f64_e64 vcc, |v[50:51]|, s[76:77]
	v_add_f64 v[29:30], v[29:30], -v[56:57]
	v_add_f64 v[44:45], v[48:49], v[15:16]
	v_ldexp_f64 v[42:43], v[42:43], 2
	v_add_f64 v[50:51], v[34:35], v[44:45]
	v_cndmask_b32_e32 v43, 0, v43, vcc
	v_cndmask_b32_e32 v42, 0, v42, vcc
	v_add_f64 v[58:59], v[44:45], -v[48:49]
	v_add_f64 v[54:55], v[50:51], v[42:43]
	v_add_f64 v[34:35], v[50:51], -v[34:35]
	v_add_f64 v[60:61], v[44:45], -v[58:59]
	;; [unrolled: 1-line block ×3, first 2 shown]
	v_cmp_gt_f64_e32 vcc, 0, v[54:55]
	v_add_f64 v[54:55], v[48:49], -v[56:57]
	v_add_f64 v[34:35], v[44:45], -v[34:35]
	;; [unrolled: 1-line block ×3, first 2 shown]
	v_cndmask_b32_e32 v22, 0, v38, vcc
	v_add_f64 v[42:43], v[42:43], v[21:22]
	v_add_f64 v[54:55], v[52:53], -v[54:55]
	v_add_f64 v[15:16], v[15:16], v[48:49]
	v_add_f64 v[62:63], v[50:51], v[42:43]
	;; [unrolled: 1-line block ×3, first 2 shown]
	v_cvt_i32_f64_e32 v36, v[62:63]
	v_add_f64 v[15:16], v[29:30], v[15:16]
	v_cvt_f64_i32_e32 v[56:57], v36
	v_add_f64 v[42:43], v[42:43], -v[56:57]
	v_add_f64 v[15:16], v[27:28], v[15:16]
	v_add_f64 v[29:30], v[50:51], v[42:43]
	;; [unrolled: 1-line block ×3, first 2 shown]
	v_add_f64 v[27:28], v[29:30], -v[42:43]
	v_cmp_le_f64_e32 vcc, 0.5, v[29:30]
	v_add_f64 v[27:28], v[50:51], -v[27:28]
	v_cndmask_b32_e32 v22, 0, v39, vcc
	v_add_f64 v[15:16], v[15:16], v[27:28]
	v_add_f64 v[27:28], v[29:30], -v[21:22]
	v_addc_co_u32_e32 v22, vcc, 0, v36, vcc
	v_add_f64 v[29:30], v[27:28], v[15:16]
	v_mul_f64 v[34:35], v[29:30], s[78:79]
	v_add_f64 v[27:28], v[29:30], -v[27:28]
	v_fma_f64 v[42:43], v[29:30], s[78:79], -v[34:35]
	v_add_f64 v[15:16], v[15:16], -v[27:28]
	v_fma_f64 v[27:28], v[29:30], s[82:83], v[42:43]
	v_fma_f64 v[15:16], v[15:16], s[78:79], v[27:28]
	v_add_f64 v[27:28], v[34:35], v[15:16]
	v_add_f64 v[29:30], v[27:28], -v[34:35]
	v_add_f64 v[29:30], v[15:16], -v[29:30]
	s_andn2_saveexec_b64 s[0:1], s[0:1]
	s_cbranch_execnz .LBB131_59
	s_branch .LBB131_60
.LBB131_58:                             ;   in Loop: Header=BB131_4 Depth=1
	s_andn2_saveexec_b64 s[0:1], s[0:1]
	s_cbranch_execz .LBB131_60
.LBB131_59:                             ;   in Loop: Header=BB131_4 Depth=1
	s_mov_b32 s72, 0x6dc9c883
	s_mov_b32 s73, 0x3fe45f30
	v_mul_f64 v[15:16], |v[19:20]|, s[72:73]
	s_mov_b32 s80, s20
	s_mov_b32 s72, 0x252049c0
	s_mov_b32 s73, 0xb97b839a
	v_rndne_f64_e32 v[15:16], v[15:16]
	v_fma_f64 v[27:28], v[15:16], s[16:17], |v[19:20]|
	v_mul_f64 v[29:30], v[15:16], s[20:21]
	v_cvt_i32_f64_e32 v22, v[15:16]
	v_fma_f64 v[44:45], v[15:16], s[20:21], v[27:28]
	v_add_f64 v[34:35], v[27:28], v[29:30]
	v_add_f64 v[42:43], v[27:28], -v[34:35]
	v_add_f64 v[34:35], v[34:35], -v[44:45]
	v_add_f64 v[27:28], v[42:43], v[29:30]
	v_fma_f64 v[29:30], v[15:16], s[80:81], v[29:30]
	v_add_f64 v[27:28], v[34:35], v[27:28]
	v_add_f64 v[27:28], v[27:28], -v[29:30]
	v_fma_f64 v[29:30], v[15:16], s[72:73], v[27:28]
	v_add_f64 v[27:28], v[44:45], v[29:30]
	v_add_f64 v[34:35], v[27:28], -v[44:45]
	v_add_f64 v[29:30], v[29:30], -v[34:35]
.LBB131_60:                             ;   in Loop: Header=BB131_4 Depth=1
	s_or_b64 exec, exec, s[0:1]
	v_mul_f64 v[15:16], v[17:18], s[24:25]
	s_mov_b32 s85, s43
	s_mov_b32 s87, s45
	v_cmp_nlt_f64_e32 vcc, s[88:89], v[17:18]
	v_cmp_ngt_f64_e64 s[0:1], s[90:91], v[17:18]
	v_mov_b32_e32 v46, s50
	v_mov_b32_e32 v47, s51
	v_mul_f64 v[50:51], v[31:32], 0.5
	v_rndne_f64_e32 v[15:16], v[15:16]
	s_mov_b32 s92, s44
	v_fma_f64 v[34:35], v[15:16], s[26:27], v[17:18]
	v_mul_f64 v[17:18], v[13:14], v[13:14]
	v_fma_f64 v[34:35], v[15:16], s[28:29], v[34:35]
	v_cvt_i32_f64_e32 v15, v[15:16]
	v_fma_f64 v[48:49], v[17:18], s[52:53], v[46:47]
	v_fma_f64 v[42:43], v[34:35], s[30:31], v[23:24]
	v_fma_f64 v[48:49], v[17:18], v[48:49], s[54:55]
	v_fma_f64 v[42:43], v[34:35], v[42:43], s[34:35]
	v_fma_f64 v[48:49], v[17:18], v[48:49], s[56:57]
	v_fma_f64 v[42:43], v[34:35], v[42:43], s[36:37]
	v_fma_f64 v[48:49], v[17:18], v[48:49], s[58:59]
	v_fma_f64 v[42:43], v[34:35], v[42:43], s[38:39]
	v_fma_f64 v[48:49], v[17:18], v[48:49], s[44:45]
	v_fma_f64 v[42:43], v[34:35], v[42:43], s[40:41]
	v_fma_f64 v[42:43], v[34:35], v[42:43], s[84:85]
	v_fma_f64 v[42:43], v[34:35], v[42:43], s[86:87]
	v_fma_f64 v[42:43], v[34:35], v[42:43], s[46:47]
	v_fma_f64 v[42:43], v[34:35], v[42:43], s[48:49]
	v_fma_f64 v[42:43], v[34:35], v[42:43], 1.0
	v_fma_f64 v[34:35], v[34:35], v[42:43], 1.0
	v_ldexp_f64 v[15:16], v[34:35], v15
	v_mul_f64 v[34:35], v[17:18], 0.5
	v_cndmask_b32_e32 v16, v40, v16, vcc
	v_add_f64 v[42:43], -v[34:35], 1.0
	s_and_b64 vcc, s[0:1], vcc
	v_cndmask_b32_e32 v15, 0, v15, vcc
	v_cndmask_b32_e64 v16, 0, v16, s[0:1]
	v_add_f64 v[44:45], -v[42:43], 1.0
	v_add_f64 v[34:35], v[44:45], -v[34:35]
	v_mul_f64 v[44:45], v[17:18], v[17:18]
	v_fma_f64 v[34:35], v[13:14], -v[31:32], v[34:35]
	v_fma_f64 v[34:35], v[44:45], v[48:49], v[34:35]
	v_mul_f64 v[48:49], v[13:14], -v[17:18]
	v_add_f64 v[34:35], v[42:43], v[34:35]
	v_mov_b32_e32 v42, s60
	v_mov_b32_e32 v43, s61
	v_fma_f64 v[44:45], v[17:18], s[62:63], v[42:43]
	v_fma_f64 v[44:45], v[17:18], v[44:45], s[64:65]
	;; [unrolled: 1-line block ×5, first 2 shown]
	v_fma_f64 v[17:18], v[17:18], v[44:45], -v[31:32]
	v_fma_f64 v[17:18], v[48:49], s[92:93], v[17:18]
	v_add_f64 v[13:14], v[13:14], -v[17:18]
	v_and_b32_e32 v17, 1, v33
	v_cmp_eq_u32_e32 vcc, 0, v17
	v_lshlrev_b32_e32 v17, 30, v33
	v_and_b32_e32 v17, 0x80000000, v17
	v_xor_b32_e32 v14, 0x80000000, v14
	v_cndmask_b32_e32 v14, v14, v35, vcc
	v_xor_b32_e32 v14, v14, v17
	v_mul_f64 v[17:18], v[27:28], v[27:28]
	v_cndmask_b32_e32 v13, v13, v34, vcc
	v_cmp_class_f64_e64 vcc, v[19:20], s75
	v_and_b32_e32 v19, 1, v22
	v_cmp_eq_u32_e64 s[0:1], 0, v19
	v_lshlrev_b32_e32 v19, 30, v22
	v_xor_b32_e32 v19, v19, v20
	v_and_b32_e32 v19, 0x80000000, v19
	v_mul_f64 v[31:32], v[17:18], 0.5
	v_fma_f64 v[44:45], v[17:18], s[52:53], v[46:47]
	v_cndmask_b32_e32 v13, 0, v13, vcc
	v_cndmask_b32_e32 v14, v41, v14, vcc
	v_mul_f64 v[13:14], v[15:16], v[13:14]
	v_add_f64 v[33:34], -v[31:32], 1.0
	v_fma_f64 v[44:45], v[17:18], v[44:45], s[54:55]
	v_add_f64 v[35:36], -v[33:34], 1.0
	v_fma_f64 v[44:45], v[17:18], v[44:45], s[56:57]
	v_add_f64 v[31:32], v[35:36], -v[31:32]
	v_fma_f64 v[44:45], v[17:18], v[44:45], s[58:59]
	v_mul_f64 v[35:36], v[17:18], v[17:18]
	v_fma_f64 v[31:32], v[27:28], -v[29:30], v[31:32]
	v_fma_f64 v[44:45], v[17:18], v[44:45], s[44:45]
	v_fma_f64 v[31:32], v[35:36], v[44:45], v[31:32]
	v_mul_f64 v[35:36], v[27:28], -v[17:18]
	v_add_f64 v[31:32], v[33:34], v[31:32]
	v_fma_f64 v[33:34], v[17:18], s[62:63], v[42:43]
	v_mul_f64 v[42:43], v[29:30], 0.5
	v_fma_f64 v[33:34], v[17:18], v[33:34], s[64:65]
	v_fma_f64 v[33:34], v[17:18], v[33:34], s[66:67]
	;; [unrolled: 1-line block ×4, first 2 shown]
	v_fma_f64 v[17:18], v[17:18], v[33:34], -v[29:30]
	v_fma_f64 v[17:18], v[35:36], s[92:93], v[17:18]
	v_add_f64 v[17:18], v[27:28], -v[17:18]
	v_cndmask_b32_e64 v18, v32, v18, s[0:1]
	v_cndmask_b32_e64 v17, v31, v17, s[0:1]
	v_xor_b32_e32 v18, v18, v19
	v_cndmask_b32_e32 v17, 0, v17, vcc
	v_cndmask_b32_e32 v18, v41, v18, vcc
	v_mul_f64 v[15:16], v[15:16], v[17:18]
                                        ; implicit-def: $vgpr19_vgpr20
.LBB131_61:                             ;   in Loop: Header=BB131_4 Depth=1
	s_andn2_saveexec_b64 s[72:73], s[2:3]
	s_cbranch_execz .LBB131_71
; %bb.62:                               ;   in Loop: Header=BB131_4 Depth=1
	s_mov_b32 s0, 0
	s_mov_b32 s1, 0x41d00000
	v_cmp_nlt_f64_e64 s[0:1], |v[19:20]|, s[0:1]
                                        ; implicit-def: $vgpr36
                                        ; implicit-def: $vgpr13_vgpr14
                                        ; implicit-def: $vgpr29_vgpr30
	s_and_saveexec_b64 s[2:3], s[0:1]
	s_xor_b64 s[2:3], exec, s[2:3]
	s_cbranch_execz .LBB131_64
; %bb.63:                               ;   in Loop: Header=BB131_4 Depth=1
	v_trig_preop_f64 v[13:14], |v[19:20]|, 0
	s_mov_b32 vcc_lo, 0
	s_movk_i32 s78, 0xff80
	s_mov_b32 vcc_hi, 0x7b000000
	v_ldexp_f64 v[15:16], |v[19:20]|, s78
	v_cmp_ge_f64_e64 vcc, |v[19:20]|, vcc
	v_trig_preop_f64 v[27:28], |v[19:20]|, 1
	v_and_b32_e32 v22, 0x7fffffff, v20
	v_trig_preop_f64 v[35:36], |v[19:20]|, 2
	s_mov_b32 s78, s16
	s_mov_b32 s83, s81
	v_cndmask_b32_e32 v16, v22, v16, vcc
	v_cndmask_b32_e32 v15, v19, v15, vcc
	v_mul_f64 v[29:30], v[13:14], v[15:16]
	v_mul_f64 v[31:32], v[27:28], v[15:16]
	;; [unrolled: 1-line block ×3, first 2 shown]
	v_fma_f64 v[13:14], v[13:14], v[15:16], -v[29:30]
	v_fma_f64 v[27:28], v[27:28], v[15:16], -v[31:32]
	;; [unrolled: 1-line block ×3, first 2 shown]
	v_add_f64 v[33:34], v[31:32], v[13:14]
	v_add_f64 v[42:43], v[33:34], -v[31:32]
	v_add_f64 v[48:49], v[29:30], v[33:34]
	v_add_f64 v[44:45], v[33:34], -v[42:43]
	v_add_f64 v[13:14], v[13:14], -v[42:43]
	v_add_f64 v[42:43], v[46:47], v[27:28]
	v_add_f64 v[29:30], v[48:49], -v[29:30]
	v_add_f64 v[31:32], v[31:32], -v[44:45]
	v_ldexp_f64 v[44:45], v[48:49], -2
	v_add_f64 v[50:51], v[42:43], -v[46:47]
	v_add_f64 v[29:30], v[33:34], -v[29:30]
	v_add_f64 v[13:14], v[13:14], v[31:32]
	v_fract_f64_e32 v[31:32], v[44:45]
	v_cmp_neq_f64_e64 vcc, |v[44:45]|, s[76:77]
	v_add_f64 v[27:28], v[27:28], -v[50:51]
	v_add_f64 v[33:34], v[42:43], v[13:14]
	v_ldexp_f64 v[31:32], v[31:32], 2
	v_add_f64 v[44:45], v[29:30], v[33:34]
	v_cndmask_b32_e32 v32, 0, v32, vcc
	v_cndmask_b32_e32 v31, 0, v31, vcc
	v_add_f64 v[52:53], v[33:34], -v[42:43]
	v_add_f64 v[48:49], v[44:45], v[31:32]
	v_add_f64 v[29:30], v[44:45], -v[29:30]
	v_add_f64 v[54:55], v[33:34], -v[52:53]
	;; [unrolled: 1-line block ×3, first 2 shown]
	v_cmp_gt_f64_e32 vcc, 0, v[48:49]
	v_add_f64 v[48:49], v[42:43], -v[50:51]
	v_add_f64 v[29:30], v[33:34], -v[29:30]
	;; [unrolled: 1-line block ×3, first 2 shown]
	v_cndmask_b32_e32 v22, 0, v38, vcc
	v_add_f64 v[31:32], v[31:32], v[21:22]
	v_add_f64 v[48:49], v[46:47], -v[48:49]
	v_add_f64 v[13:14], v[13:14], v[42:43]
	v_add_f64 v[56:57], v[44:45], v[31:32]
	;; [unrolled: 1-line block ×3, first 2 shown]
	v_cvt_i32_f64_e32 v52, v[56:57]
	v_add_f64 v[13:14], v[27:28], v[13:14]
	v_cvt_f64_i32_e32 v[50:51], v52
	v_add_f64 v[31:32], v[31:32], -v[50:51]
	v_add_f64 v[13:14], v[15:16], v[13:14]
	v_add_f64 v[27:28], v[44:45], v[31:32]
	;; [unrolled: 1-line block ×3, first 2 shown]
	v_add_f64 v[15:16], v[27:28], -v[31:32]
	v_cmp_le_f64_e32 vcc, 0.5, v[27:28]
	v_add_f64 v[15:16], v[44:45], -v[15:16]
	v_cndmask_b32_e32 v22, 0, v39, vcc
	v_addc_co_u32_e32 v36, vcc, 0, v52, vcc
	v_add_f64 v[13:14], v[13:14], v[15:16]
	v_add_f64 v[15:16], v[27:28], -v[21:22]
	v_add_f64 v[27:28], v[15:16], v[13:14]
	v_mul_f64 v[29:30], v[27:28], s[78:79]
	v_add_f64 v[15:16], v[27:28], -v[15:16]
	v_fma_f64 v[31:32], v[27:28], s[78:79], -v[29:30]
	v_add_f64 v[13:14], v[13:14], -v[15:16]
	v_fma_f64 v[15:16], v[27:28], s[82:83], v[31:32]
	v_fma_f64 v[15:16], v[13:14], s[78:79], v[15:16]
	v_add_f64 v[13:14], v[29:30], v[15:16]
	v_add_f64 v[27:28], v[13:14], -v[29:30]
	v_add_f64 v[29:30], v[15:16], -v[27:28]
	s_andn2_saveexec_b64 s[2:3], s[2:3]
	s_cbranch_execz .LBB131_66
	s_branch .LBB131_65
.LBB131_64:                             ;   in Loop: Header=BB131_4 Depth=1
	s_andn2_saveexec_b64 s[2:3], s[2:3]
	s_cbranch_execz .LBB131_66
.LBB131_65:                             ;   in Loop: Header=BB131_4 Depth=1
	s_mov_b32 vcc_lo, 0x6dc9c883
	s_mov_b32 vcc_hi, 0x3fe45f30
	v_mul_f64 v[13:14], |v[19:20]|, vcc
	s_mov_b32 s80, s20
	s_mov_b32 vcc_lo, 0x252049c0
	s_mov_b32 vcc_hi, 0xb97b839a
	v_rndne_f64_e32 v[15:16], v[13:14]
	v_fma_f64 v[13:14], v[15:16], s[16:17], |v[19:20]|
	v_mul_f64 v[27:28], v[15:16], s[20:21]
	v_cvt_i32_f64_e32 v36, v[15:16]
	v_fma_f64 v[33:34], v[15:16], s[20:21], v[13:14]
	v_add_f64 v[29:30], v[13:14], v[27:28]
	v_add_f64 v[31:32], v[13:14], -v[29:30]
	v_add_f64 v[29:30], v[29:30], -v[33:34]
	v_add_f64 v[13:14], v[31:32], v[27:28]
	v_fma_f64 v[27:28], v[15:16], s[80:81], v[27:28]
	v_add_f64 v[13:14], v[29:30], v[13:14]
	v_add_f64 v[13:14], v[13:14], -v[27:28]
	v_fma_f64 v[27:28], v[15:16], vcc, v[13:14]
	v_add_f64 v[13:14], v[33:34], v[27:28]
	v_add_f64 v[29:30], v[13:14], -v[33:34]
	v_add_f64 v[29:30], v[27:28], -v[29:30]
.LBB131_66:                             ;   in Loop: Header=BB131_4 Depth=1
	s_or_b64 exec, exec, s[2:3]
                                        ; implicit-def: $vgpr35
                                        ; implicit-def: $vgpr15_vgpr16
                                        ; implicit-def: $vgpr27_vgpr28
	s_and_saveexec_b64 s[2:3], s[0:1]
	s_xor_b64 s[0:1], exec, s[2:3]
	s_cbranch_execz .LBB131_68
; %bb.67:                               ;   in Loop: Header=BB131_4 Depth=1
	v_trig_preop_f64 v[15:16], |v[19:20]|, 0
	s_movk_i32 s2, 0xff80
	v_ldexp_f64 v[27:28], |v[19:20]|, s2
	s_mov_b32 s2, 0
	s_mov_b32 s3, 0x7b000000
	v_cmp_ge_f64_e64 vcc, |v[19:20]|, s[2:3]
	v_trig_preop_f64 v[31:32], |v[19:20]|, 1
	v_and_b32_e32 v22, 0x7fffffff, v20
	v_trig_preop_f64 v[46:47], |v[19:20]|, 2
	s_mov_b32 s78, s16
	s_mov_b32 s83, s81
	v_cndmask_b32_e32 v28, v22, v28, vcc
	v_cndmask_b32_e32 v27, v19, v27, vcc
	v_mul_f64 v[33:34], v[15:16], v[27:28]
	v_mul_f64 v[42:43], v[31:32], v[27:28]
	;; [unrolled: 1-line block ×3, first 2 shown]
	v_fma_f64 v[15:16], v[15:16], v[27:28], -v[33:34]
	v_fma_f64 v[31:32], v[31:32], v[27:28], -v[42:43]
	v_fma_f64 v[27:28], v[46:47], v[27:28], -v[52:53]
	v_add_f64 v[44:45], v[42:43], v[15:16]
	v_add_f64 v[48:49], v[44:45], -v[42:43]
	v_add_f64 v[54:55], v[33:34], v[44:45]
	v_add_f64 v[50:51], v[44:45], -v[48:49]
	v_add_f64 v[15:16], v[15:16], -v[48:49]
	v_add_f64 v[48:49], v[52:53], v[31:32]
	v_add_f64 v[33:34], v[54:55], -v[33:34]
	v_add_f64 v[42:43], v[42:43], -v[50:51]
	v_ldexp_f64 v[50:51], v[54:55], -2
	v_add_f64 v[56:57], v[48:49], -v[52:53]
	v_add_f64 v[33:34], v[44:45], -v[33:34]
	v_add_f64 v[15:16], v[15:16], v[42:43]
	v_fract_f64_e32 v[42:43], v[50:51]
	v_cmp_neq_f64_e64 vcc, |v[50:51]|, s[76:77]
	v_add_f64 v[31:32], v[31:32], -v[56:57]
	v_add_f64 v[44:45], v[48:49], v[15:16]
	v_ldexp_f64 v[42:43], v[42:43], 2
	v_add_f64 v[50:51], v[33:34], v[44:45]
	v_cndmask_b32_e32 v43, 0, v43, vcc
	v_cndmask_b32_e32 v42, 0, v42, vcc
	v_add_f64 v[58:59], v[44:45], -v[48:49]
	v_add_f64 v[54:55], v[50:51], v[42:43]
	v_add_f64 v[33:34], v[50:51], -v[33:34]
	v_add_f64 v[60:61], v[44:45], -v[58:59]
	;; [unrolled: 1-line block ×3, first 2 shown]
	v_cmp_gt_f64_e32 vcc, 0, v[54:55]
	v_add_f64 v[54:55], v[48:49], -v[56:57]
	v_add_f64 v[33:34], v[44:45], -v[33:34]
	;; [unrolled: 1-line block ×3, first 2 shown]
	v_cndmask_b32_e32 v22, 0, v38, vcc
	v_add_f64 v[42:43], v[42:43], v[21:22]
	v_add_f64 v[54:55], v[52:53], -v[54:55]
	v_add_f64 v[15:16], v[15:16], v[48:49]
	v_add_f64 v[62:63], v[50:51], v[42:43]
	;; [unrolled: 1-line block ×3, first 2 shown]
	v_cvt_i32_f64_e32 v35, v[62:63]
	v_add_f64 v[15:16], v[31:32], v[15:16]
	v_cvt_f64_i32_e32 v[56:57], v35
	v_add_f64 v[42:43], v[42:43], -v[56:57]
	v_add_f64 v[15:16], v[27:28], v[15:16]
	v_add_f64 v[31:32], v[50:51], v[42:43]
	;; [unrolled: 1-line block ×3, first 2 shown]
	v_add_f64 v[27:28], v[31:32], -v[42:43]
	v_cmp_le_f64_e32 vcc, 0.5, v[31:32]
	v_add_f64 v[27:28], v[50:51], -v[27:28]
	v_cndmask_b32_e32 v22, 0, v39, vcc
	v_addc_co_u32_e32 v35, vcc, 0, v35, vcc
	v_add_f64 v[15:16], v[15:16], v[27:28]
	v_add_f64 v[27:28], v[31:32], -v[21:22]
	v_add_f64 v[31:32], v[27:28], v[15:16]
	v_mul_f64 v[33:34], v[31:32], s[78:79]
	v_add_f64 v[27:28], v[31:32], -v[27:28]
	v_fma_f64 v[42:43], v[31:32], s[78:79], -v[33:34]
	v_add_f64 v[15:16], v[15:16], -v[27:28]
	v_fma_f64 v[27:28], v[31:32], s[82:83], v[42:43]
	v_fma_f64 v[27:28], v[15:16], s[78:79], v[27:28]
	v_add_f64 v[15:16], v[33:34], v[27:28]
	v_add_f64 v[31:32], v[15:16], -v[33:34]
	v_add_f64 v[27:28], v[27:28], -v[31:32]
	s_andn2_saveexec_b64 s[0:1], s[0:1]
	s_cbranch_execnz .LBB131_69
	s_branch .LBB131_70
.LBB131_68:                             ;   in Loop: Header=BB131_4 Depth=1
	s_andn2_saveexec_b64 s[0:1], s[0:1]
	s_cbranch_execz .LBB131_70
.LBB131_69:                             ;   in Loop: Header=BB131_4 Depth=1
	s_mov_b32 s2, 0x6dc9c883
	s_mov_b32 s3, 0x3fe45f30
	v_mul_f64 v[15:16], |v[19:20]|, s[2:3]
	s_mov_b32 s80, s20
	s_mov_b32 s2, 0x252049c0
	s_mov_b32 s3, 0xb97b839a
	v_rndne_f64_e32 v[31:32], v[15:16]
	v_fma_f64 v[15:16], v[31:32], s[16:17], |v[19:20]|
	v_mul_f64 v[27:28], v[31:32], s[20:21]
	v_cvt_i32_f64_e32 v35, v[31:32]
	v_fma_f64 v[44:45], v[31:32], s[20:21], v[15:16]
	v_add_f64 v[33:34], v[15:16], v[27:28]
	v_add_f64 v[42:43], v[15:16], -v[33:34]
	v_add_f64 v[33:34], v[33:34], -v[44:45]
	v_add_f64 v[15:16], v[42:43], v[27:28]
	v_fma_f64 v[27:28], v[31:32], s[80:81], v[27:28]
	v_add_f64 v[15:16], v[33:34], v[15:16]
	v_add_f64 v[15:16], v[15:16], -v[27:28]
	v_fma_f64 v[27:28], v[31:32], s[2:3], v[15:16]
	v_add_f64 v[15:16], v[44:45], v[27:28]
	v_add_f64 v[33:34], v[15:16], -v[44:45]
	v_add_f64 v[27:28], v[27:28], -v[33:34]
.LBB131_70:                             ;   in Loop: Header=BB131_4 Depth=1
	s_or_b64 exec, exec, s[0:1]
	v_mul_f64 v[42:43], v[13:14], v[13:14]
	v_mov_b32_e32 v33, s50
	v_mov_b32_e32 v34, s51
	s_mov_b32 s92, s44
	v_cmp_class_f64_e64 vcc, v[19:20], s75
	v_and_b32_e32 v19, 1, v36
	v_cmp_eq_u32_e64 s[0:1], 0, v19
	s_mov_b32 s85, s43
	v_mul_f64 v[31:32], v[42:43], 0.5
	v_fma_f64 v[48:49], v[42:43], s[52:53], v[33:34]
	v_mul_f64 v[46:47], v[42:43], v[42:43]
	s_mov_b32 s87, s45
	v_lshlrev_b32_e32 v19, 30, v36
	v_and_b32_e32 v19, 0x80000000, v19
	v_add_f64 v[44:45], -v[31:32], 1.0
	v_fma_f64 v[48:49], v[42:43], v[48:49], s[54:55]
	v_add_f64 v[50:51], -v[44:45], 1.0
	v_fma_f64 v[48:49], v[42:43], v[48:49], s[56:57]
	v_add_f64 v[31:32], v[50:51], -v[31:32]
	v_fma_f64 v[48:49], v[42:43], v[48:49], s[58:59]
	v_mul_f64 v[50:51], v[29:30], 0.5
	v_fma_f64 v[31:32], v[13:14], -v[29:30], v[31:32]
	v_fma_f64 v[48:49], v[42:43], v[48:49], s[44:45]
	v_fma_f64 v[31:32], v[46:47], v[48:49], v[31:32]
	v_mul_f64 v[46:47], v[13:14], -v[42:43]
	v_add_f64 v[44:45], v[44:45], v[31:32]
	v_mov_b32_e32 v31, s60
	v_mov_b32_e32 v32, s61
	v_fma_f64 v[48:49], v[42:43], s[62:63], v[31:32]
	v_fma_f64 v[48:49], v[42:43], v[48:49], s[64:65]
	;; [unrolled: 1-line block ×5, first 2 shown]
	v_fma_f64 v[29:30], v[42:43], v[48:49], -v[29:30]
	v_fma_f64 v[29:30], v[46:47], s[92:93], v[29:30]
	v_add_f64 v[13:14], v[13:14], -v[29:30]
	v_xor_b32_e32 v14, 0x80000000, v14
	v_cndmask_b32_e64 v13, v13, v44, s[0:1]
	v_cndmask_b32_e64 v14, v14, v45, s[0:1]
	s_mov_b32 s0, 0x19ba0da4
	s_mov_b32 s1, 0xc0937be3
	v_add_f64 v[17:18], v[17:18], s[0:1]
	v_xor_b32_e32 v14, v14, v19
	v_cndmask_b32_e32 v13, 0, v13, vcc
	v_cndmask_b32_e32 v14, v41, v14, vcc
	v_mul_f64 v[29:30], v[17:18], s[24:25]
	v_cmp_nlt_f64_e64 s[0:1], s[88:89], v[17:18]
	v_cmp_ngt_f64_e64 s[2:3], s[90:91], v[17:18]
	v_rndne_f64_e32 v[29:30], v[29:30]
	v_fma_f64 v[42:43], v[29:30], s[26:27], v[17:18]
	v_cvt_i32_f64_e32 v19, v[29:30]
	v_fma_f64 v[42:43], v[29:30], s[28:29], v[42:43]
	v_fma_f64 v[44:45], v[42:43], s[30:31], v[23:24]
	;; [unrolled: 1-line block ×10, first 2 shown]
	v_fma_f64 v[44:45], v[42:43], v[44:45], 1.0
	v_fma_f64 v[42:43], v[42:43], v[44:45], 1.0
	v_ldexp_f64 v[29:30], v[42:43], v19
	v_mul_f64 v[42:43], v[15:16], v[15:16]
	v_cndmask_b32_e64 v19, v40, v30, s[0:1]
	v_mul_f64 v[44:45], v[42:43], 0.5
	v_fma_f64 v[33:34], v[42:43], s[52:53], v[33:34]
	v_fma_f64 v[31:32], v[42:43], s[62:63], v[31:32]
	s_and_b64 s[0:1], s[2:3], s[0:1]
	v_cndmask_b32_e64 v17, 0, v19, s[2:3]
	v_and_b32_e32 v19, 1, v35
	v_cndmask_b32_e64 v29, 0, v29, s[0:1]
	v_cmp_eq_u32_e64 s[0:1], 0, v19
	v_add_f64 v[46:47], -v[44:45], 1.0
	v_fma_f64 v[33:34], v[42:43], v[33:34], s[54:55]
	v_fma_f64 v[31:32], v[42:43], v[31:32], s[64:65]
	v_lshlrev_b32_e32 v19, 30, v35
	v_xor_b32_e32 v19, v19, v20
	v_and_b32_e32 v19, 0x80000000, v19
	v_and_b32_e32 v18, 0xfffff, v17
	v_or_b32_e32 v30, 0x7fe00000, v18
	v_add_f64 v[48:49], -v[46:47], 1.0
	v_fma_f64 v[33:34], v[42:43], v[33:34], s[56:57]
	v_fma_f64 v[31:32], v[42:43], v[31:32], s[66:67]
	v_mul_f64 v[13:14], v[29:30], v[13:14]
	v_lshrrev_b32_e32 v17, 20, v17
	v_add_u32_e32 v17, 0xffffff09, v17
	v_lshrrev_b16_e32 v18, 15, v17
	v_add_u16_e32 v18, v17, v18
	v_add_f64 v[44:45], v[48:49], -v[44:45]
	v_fma_f64 v[33:34], v[42:43], v[33:34], s[58:59]
	v_mul_f64 v[48:49], v[42:43], v[42:43]
	v_fma_f64 v[31:32], v[42:43], v[31:32], s[42:43]
	v_ashrrev_i16_e32 v18, 1, v18
	v_bfe_i32 v18, v18, 0, 16
	v_lshl_add_u32 v22, v18, 20, v39
	v_mul_f64 v[13:14], v[13:14], v[21:22]
	v_fma_f64 v[44:45], v[15:16], -v[27:28], v[44:45]
	v_fma_f64 v[33:34], v[42:43], v[33:34], s[44:45]
	v_sub_u32_e32 v17, v17, v18
	v_lshl_add_u32 v18, v17, 20, v39
	v_mov_b32_e32 v17, v21
	v_mul_f64 v[13:14], v[13:14], v[17:18]
	v_fma_f64 v[33:34], v[48:49], v[33:34], v[44:45]
	v_mul_f64 v[44:45], v[15:16], -v[42:43]
	v_add_f64 v[33:34], v[46:47], v[33:34]
	v_mul_f64 v[46:47], v[27:28], 0.5
	v_fma_f64 v[31:32], v[44:45], v[31:32], v[46:47]
	v_fma_f64 v[27:28], v[42:43], v[31:32], -v[27:28]
	v_fma_f64 v[27:28], v[44:45], s[92:93], v[27:28]
	v_add_f64 v[15:16], v[15:16], -v[27:28]
	v_cndmask_b32_e64 v16, v34, v16, s[0:1]
	v_cndmask_b32_e64 v15, v33, v15, s[0:1]
	v_xor_b32_e32 v16, v16, v19
	v_cndmask_b32_e32 v15, 0, v15, vcc
	v_cndmask_b32_e32 v16, v41, v16, vcc
	v_mul_f64 v[15:16], v[29:30], v[15:16]
	v_mul_f64 v[15:16], v[15:16], v[21:22]
	;; [unrolled: 1-line block ×3, first 2 shown]
.LBB131_71:                             ;   in Loop: Header=BB131_4 Depth=1
	s_or_b64 exec, exec, s[72:73]
                                        ; implicit-def: $vgpr17_vgpr18
                                        ; implicit-def: $vgpr22
.LBB131_72:                             ;   in Loop: Header=BB131_4 Depth=1
	s_andn2_saveexec_b64 s[2:3], s[68:69]
	s_cbranch_execz .LBB131_78
; %bb.73:                               ;   in Loop: Header=BB131_4 Depth=1
	v_add_f64 v[15:16], v[19:20], -v[19:20]
	s_mov_b32 s0, 0x7ff00000
	v_cmp_ne_u32_e32 vcc, 0, v17
	v_cmp_ne_u32_e64 s[0:1], s0, v22
	s_or_b64 s[0:1], vcc, s[0:1]
	s_and_saveexec_b64 s[68:69], s[0:1]
	s_xor_b64 s[0:1], exec, s[68:69]
; %bb.74:                               ;   in Loop: Header=BB131_4 Depth=1
                                        ; implicit-def: $vgpr17_vgpr18
; %bb.75:                               ;   in Loop: Header=BB131_4 Depth=1
	s_or_saveexec_b64 s[0:1], s[0:1]
	v_mov_b32_e32 v13, v15
	v_mov_b32_e32 v14, v16
	s_xor_b64 exec, exec, s[0:1]
; %bb.76:                               ;   in Loop: Header=BB131_4 Depth=1
	v_cmp_lt_i64_e32 vcc, -1, v[17:18]
	v_cndmask_b32_e32 v14, 0, v18, vcc
	v_cndmask_b32_e32 v13, 0, v17, vcc
	;; [unrolled: 1-line block ×4, first 2 shown]
; %bb.77:                               ;   in Loop: Header=BB131_4 Depth=1
	s_or_b64 exec, exec, s[0:1]
.LBB131_78:                             ;   in Loop: Header=BB131_4 Depth=1
	s_or_b64 exec, exec, s[2:3]
                                        ; implicit-def: $vgpr19_vgpr20
.LBB131_79:                             ;   in Loop: Header=BB131_4 Depth=1
	s_andn2_saveexec_b64 s[2:3], s[18:19]
	s_cbranch_execz .LBB131_89
; %bb.80:                               ;   in Loop: Header=BB131_4 Depth=1
	v_trig_preop_f64 v[31:32], |v[19:20]|, 0
	v_trig_preop_f64 v[27:28], |v[19:20]|, 1
	;; [unrolled: 1-line block ×3, first 2 shown]
	s_mov_b32 s0, 0
	s_mov_b32 s1, 0x41d00000
	s_movk_i32 s18, 0xff80
	v_cmp_nlt_f64_e64 s[0:1], |v[19:20]|, s[0:1]
	v_ldexp_f64 v[35:36], |v[19:20]|, s18
	v_and_b32_e32 v44, 0x7fffffff, v20
                                        ; implicit-def: $vgpr43
                                        ; implicit-def: $vgpr15_vgpr16
                                        ; implicit-def: $vgpr17_vgpr18
	s_and_saveexec_b64 s[18:19], s[0:1]
	s_xor_b64 s[18:19], exec, s[18:19]
	s_cbranch_execz .LBB131_82
; %bb.81:                               ;   in Loop: Header=BB131_4 Depth=1
	s_mov_b32 s68, 0
	s_mov_b32 s69, 0x7b000000
	v_cmp_ge_f64_e64 vcc, |v[19:20]|, s[68:69]
	s_mov_b32 s78, s16
	s_mov_b32 s83, s81
	v_cndmask_b32_e32 v16, v44, v36, vcc
	v_cndmask_b32_e32 v15, v19, v35, vcc
	v_mul_f64 v[17:18], v[31:32], v[15:16]
	v_mul_f64 v[29:30], v[27:28], v[15:16]
	;; [unrolled: 1-line block ×3, first 2 shown]
	v_fma_f64 v[33:34], v[31:32], v[15:16], -v[17:18]
	v_fma_f64 v[51:52], v[27:28], v[15:16], -v[29:30]
	;; [unrolled: 1-line block ×3, first 2 shown]
	v_add_f64 v[42:43], v[29:30], v[33:34]
	v_add_f64 v[45:46], v[42:43], -v[29:30]
	v_add_f64 v[53:54], v[17:18], v[42:43]
	v_add_f64 v[47:48], v[42:43], -v[45:46]
	v_add_f64 v[33:34], v[33:34], -v[45:46]
	v_add_f64 v[45:46], v[49:50], v[51:52]
	v_add_f64 v[17:18], v[53:54], -v[17:18]
	v_add_f64 v[29:30], v[29:30], -v[47:48]
	v_ldexp_f64 v[47:48], v[53:54], -2
	v_add_f64 v[55:56], v[45:46], -v[49:50]
	v_add_f64 v[17:18], v[42:43], -v[17:18]
	v_add_f64 v[29:30], v[33:34], v[29:30]
	v_fract_f64_e32 v[33:34], v[47:48]
	v_cmp_neq_f64_e64 vcc, |v[47:48]|, s[76:77]
	v_add_f64 v[51:52], v[51:52], -v[55:56]
	v_add_f64 v[42:43], v[45:46], v[29:30]
	v_ldexp_f64 v[33:34], v[33:34], 2
	v_add_f64 v[47:48], v[17:18], v[42:43]
	v_cndmask_b32_e32 v34, 0, v34, vcc
	v_cndmask_b32_e32 v33, 0, v33, vcc
	v_add_f64 v[57:58], v[42:43], -v[45:46]
	v_add_f64 v[53:54], v[47:48], v[33:34]
	v_add_f64 v[17:18], v[47:48], -v[17:18]
	v_add_f64 v[59:60], v[42:43], -v[57:58]
	;; [unrolled: 1-line block ×3, first 2 shown]
	v_cmp_gt_f64_e32 vcc, 0, v[53:54]
	v_add_f64 v[53:54], v[45:46], -v[55:56]
	v_add_f64 v[17:18], v[42:43], -v[17:18]
	;; [unrolled: 1-line block ×3, first 2 shown]
	v_cndmask_b32_e32 v22, 0, v38, vcc
	v_add_f64 v[33:34], v[33:34], v[21:22]
	v_add_f64 v[53:54], v[49:50], -v[53:54]
	v_add_f64 v[29:30], v[29:30], v[45:46]
	v_add_f64 v[61:62], v[47:48], v[33:34]
	;; [unrolled: 1-line block ×3, first 2 shown]
	v_cvt_i32_f64_e32 v57, v[61:62]
	v_add_f64 v[29:30], v[51:52], v[29:30]
	v_cvt_f64_i32_e32 v[55:56], v57
	v_add_f64 v[33:34], v[33:34], -v[55:56]
	v_add_f64 v[15:16], v[15:16], v[29:30]
	v_add_f64 v[45:46], v[47:48], v[33:34]
	;; [unrolled: 1-line block ×3, first 2 shown]
	v_add_f64 v[29:30], v[45:46], -v[33:34]
	v_cmp_le_f64_e32 vcc, 0.5, v[45:46]
	v_add_f64 v[17:18], v[47:48], -v[29:30]
	v_cndmask_b32_e32 v22, 0, v39, vcc
	v_add_f64 v[15:16], v[15:16], v[17:18]
	v_add_f64 v[17:18], v[45:46], -v[21:22]
	v_add_f64 v[29:30], v[17:18], v[15:16]
	v_mul_f64 v[33:34], v[29:30], s[78:79]
	v_add_f64 v[17:18], v[29:30], -v[17:18]
	v_fma_f64 v[42:43], v[29:30], s[78:79], -v[33:34]
	v_add_f64 v[15:16], v[15:16], -v[17:18]
	v_fma_f64 v[17:18], v[29:30], s[82:83], v[42:43]
	v_addc_co_u32_e32 v43, vcc, 0, v57, vcc
	v_fma_f64 v[17:18], v[15:16], s[78:79], v[17:18]
	v_add_f64 v[15:16], v[33:34], v[17:18]
	v_add_f64 v[29:30], v[15:16], -v[33:34]
	v_add_f64 v[17:18], v[17:18], -v[29:30]
	s_andn2_saveexec_b64 s[18:19], s[18:19]
	s_cbranch_execz .LBB131_84
	s_branch .LBB131_83
.LBB131_82:                             ;   in Loop: Header=BB131_4 Depth=1
	s_andn2_saveexec_b64 s[18:19], s[18:19]
	s_cbranch_execz .LBB131_84
.LBB131_83:                             ;   in Loop: Header=BB131_4 Depth=1
	s_mov_b32 s68, 0x6dc9c883
	s_mov_b32 s69, 0x3fe45f30
	v_mul_f64 v[15:16], |v[19:20]|, s[68:69]
	s_mov_b32 s80, s20
	s_mov_b32 s68, 0x252049c0
	;; [unrolled: 1-line block ×3, first 2 shown]
	v_rndne_f64_e32 v[29:30], v[15:16]
	v_fma_f64 v[15:16], v[29:30], s[16:17], |v[19:20]|
	v_mul_f64 v[17:18], v[29:30], s[20:21]
	v_fma_f64 v[45:46], v[29:30], s[20:21], v[15:16]
	v_add_f64 v[33:34], v[15:16], v[17:18]
	v_add_f64 v[42:43], v[15:16], -v[33:34]
	v_add_f64 v[33:34], v[33:34], -v[45:46]
	v_add_f64 v[15:16], v[42:43], v[17:18]
	v_fma_f64 v[17:18], v[29:30], s[80:81], v[17:18]
	v_cvt_i32_f64_e32 v43, v[29:30]
	v_add_f64 v[15:16], v[33:34], v[15:16]
	v_add_f64 v[15:16], v[15:16], -v[17:18]
	v_fma_f64 v[17:18], v[29:30], s[68:69], v[15:16]
	v_add_f64 v[15:16], v[45:46], v[17:18]
	v_add_f64 v[33:34], v[15:16], -v[45:46]
	v_add_f64 v[17:18], v[17:18], -v[33:34]
.LBB131_84:                             ;   in Loop: Header=BB131_4 Depth=1
	s_or_b64 exec, exec, s[18:19]
                                        ; implicit-def: $vgpr42
                                        ; implicit-def: $vgpr29_vgpr30
                                        ; implicit-def: $vgpr33_vgpr34
	s_and_saveexec_b64 s[18:19], s[0:1]
	s_xor_b64 s[18:19], exec, s[18:19]
	s_cbranch_execz .LBB131_86
; %bb.85:                               ;   in Loop: Header=BB131_4 Depth=1
	s_mov_b32 s0, 0
	s_mov_b32 s1, 0x7b000000
	v_cmp_ge_f64_e64 vcc, |v[19:20]|, s[0:1]
	s_mov_b32 s78, s16
	s_mov_b32 s83, s81
	v_cndmask_b32_e32 v30, v44, v36, vcc
	v_cndmask_b32_e32 v29, v19, v35, vcc
	v_mul_f64 v[33:34], v[31:32], v[29:30]
	v_mul_f64 v[35:36], v[27:28], v[29:30]
	;; [unrolled: 1-line block ×3, first 2 shown]
	v_fma_f64 v[31:32], v[31:32], v[29:30], -v[33:34]
	v_fma_f64 v[27:28], v[27:28], v[29:30], -v[35:36]
	;; [unrolled: 1-line block ×3, first 2 shown]
	v_add_f64 v[44:45], v[35:36], v[31:32]
	v_add_f64 v[46:47], v[44:45], -v[35:36]
	v_add_f64 v[52:53], v[33:34], v[44:45]
	v_add_f64 v[48:49], v[44:45], -v[46:47]
	v_add_f64 v[31:32], v[31:32], -v[46:47]
	v_add_f64 v[46:47], v[50:51], v[27:28]
	v_add_f64 v[33:34], v[52:53], -v[33:34]
	v_add_f64 v[35:36], v[35:36], -v[48:49]
	v_ldexp_f64 v[48:49], v[52:53], -2
	v_add_f64 v[54:55], v[46:47], -v[50:51]
	v_add_f64 v[33:34], v[44:45], -v[33:34]
	v_add_f64 v[31:32], v[31:32], v[35:36]
	v_fract_f64_e32 v[35:36], v[48:49]
	v_cmp_neq_f64_e64 vcc, |v[48:49]|, s[76:77]
	v_add_f64 v[27:28], v[27:28], -v[54:55]
	v_add_f64 v[44:45], v[46:47], v[31:32]
	v_ldexp_f64 v[35:36], v[35:36], 2
	v_add_f64 v[48:49], v[33:34], v[44:45]
	v_cndmask_b32_e32 v36, 0, v36, vcc
	v_cndmask_b32_e32 v35, 0, v35, vcc
	v_add_f64 v[56:57], v[44:45], -v[46:47]
	v_add_f64 v[52:53], v[48:49], v[35:36]
	v_add_f64 v[29:30], v[48:49], -v[33:34]
	v_add_f64 v[58:59], v[44:45], -v[56:57]
	;; [unrolled: 1-line block ×3, first 2 shown]
	v_cmp_gt_f64_e32 vcc, 0, v[52:53]
	v_add_f64 v[52:53], v[46:47], -v[54:55]
	v_add_f64 v[29:30], v[44:45], -v[29:30]
	;; [unrolled: 1-line block ×3, first 2 shown]
	v_cndmask_b32_e32 v22, 0, v38, vcc
	v_add_f64 v[35:36], v[35:36], v[21:22]
	v_add_f64 v[52:53], v[50:51], -v[52:53]
	v_add_f64 v[31:32], v[31:32], v[46:47]
	v_add_f64 v[60:61], v[48:49], v[35:36]
	;; [unrolled: 1-line block ×3, first 2 shown]
	v_cvt_i32_f64_e32 v22, v[60:61]
	v_add_f64 v[27:28], v[27:28], v[31:32]
	v_cvt_f64_i32_e32 v[54:55], v22
	v_add_f64 v[35:36], v[35:36], -v[54:55]
	v_add_f64 v[13:14], v[13:14], v[27:28]
	v_add_f64 v[31:32], v[48:49], v[35:36]
	;; [unrolled: 1-line block ×3, first 2 shown]
	v_add_f64 v[27:28], v[31:32], -v[35:36]
	v_cmp_le_f64_e32 vcc, 0.5, v[31:32]
	v_add_f64 v[27:28], v[48:49], -v[27:28]
	v_addc_co_u32_e64 v42, s[0:1], 0, v22, vcc
	v_cndmask_b32_e32 v22, 0, v39, vcc
	v_add_f64 v[13:14], v[13:14], v[27:28]
	v_add_f64 v[27:28], v[31:32], -v[21:22]
	v_add_f64 v[29:30], v[27:28], v[13:14]
	v_mul_f64 v[31:32], v[29:30], s[78:79]
	v_add_f64 v[27:28], v[29:30], -v[27:28]
	v_fma_f64 v[33:34], v[29:30], s[78:79], -v[31:32]
	v_add_f64 v[13:14], v[13:14], -v[27:28]
	v_fma_f64 v[27:28], v[29:30], s[82:83], v[33:34]
	v_fma_f64 v[13:14], v[13:14], s[78:79], v[27:28]
	v_add_f64 v[29:30], v[31:32], v[13:14]
	v_add_f64 v[27:28], v[29:30], -v[31:32]
	v_add_f64 v[33:34], v[13:14], -v[27:28]
	s_andn2_saveexec_b64 s[0:1], s[18:19]
	s_cbranch_execnz .LBB131_87
	s_branch .LBB131_88
.LBB131_86:                             ;   in Loop: Header=BB131_4 Depth=1
	s_andn2_saveexec_b64 s[0:1], s[18:19]
	s_cbranch_execz .LBB131_88
.LBB131_87:                             ;   in Loop: Header=BB131_4 Depth=1
	s_mov_b32 s18, 0x6dc9c883
	s_mov_b32 s19, 0x3fe45f30
	v_mul_f64 v[13:14], |v[19:20]|, s[18:19]
	s_mov_b32 s80, s20
	s_mov_b32 s18, 0x252049c0
	;; [unrolled: 1-line block ×3, first 2 shown]
	v_rndne_f64_e32 v[13:14], v[13:14]
	v_fma_f64 v[27:28], v[13:14], s[16:17], |v[19:20]|
	v_mul_f64 v[29:30], v[13:14], s[20:21]
	v_cvt_i32_f64_e32 v42, v[13:14]
	v_add_f64 v[31:32], v[27:28], v[29:30]
	v_add_f64 v[33:34], v[27:28], -v[31:32]
	v_fma_f64 v[27:28], v[13:14], s[20:21], v[27:28]
	v_add_f64 v[33:34], v[33:34], v[29:30]
	v_add_f64 v[31:32], v[31:32], -v[27:28]
	v_fma_f64 v[29:30], v[13:14], s[80:81], v[29:30]
	;; [unrolled: 3-line block ×3, first 2 shown]
	v_add_f64 v[29:30], v[27:28], v[31:32]
	v_add_f64 v[27:28], v[29:30], -v[27:28]
	v_add_f64 v[33:34], v[31:32], -v[27:28]
.LBB131_88:                             ;   in Loop: Header=BB131_4 Depth=1
	s_or_b64 exec, exec, s[0:1]
	v_mul_f64 v[13:14], v[15:16], v[15:16]
	v_mov_b32_e32 v44, s50
	v_mov_b32_e32 v45, s51
	v_mul_f64 v[48:49], v[17:18], 0.5
	s_mov_b32 s92, s44
	v_mul_f64 v[27:28], v[13:14], 0.5
	v_fma_f64 v[46:47], v[13:14], s[52:53], v[44:45]
	v_add_f64 v[31:32], -v[27:28], 1.0
	v_fma_f64 v[46:47], v[13:14], v[46:47], s[54:55]
	v_add_f64 v[35:36], -v[31:32], 1.0
	v_fma_f64 v[46:47], v[13:14], v[46:47], s[56:57]
	v_add_f64 v[27:28], v[35:36], -v[27:28]
	v_fma_f64 v[46:47], v[13:14], v[46:47], s[58:59]
	v_mul_f64 v[35:36], v[13:14], v[13:14]
	v_fma_f64 v[27:28], v[15:16], -v[17:18], v[27:28]
	v_fma_f64 v[46:47], v[13:14], v[46:47], s[44:45]
	v_fma_f64 v[27:28], v[35:36], v[46:47], v[27:28]
	v_mul_f64 v[46:47], v[15:16], -v[13:14]
	v_add_f64 v[27:28], v[31:32], v[27:28]
	v_mov_b32_e32 v31, s60
	v_mov_b32_e32 v32, s61
	v_fma_f64 v[35:36], v[13:14], s[62:63], v[31:32]
	v_fma_f64 v[35:36], v[13:14], v[35:36], s[64:65]
	v_fma_f64 v[35:36], v[13:14], v[35:36], s[66:67]
	v_fma_f64 v[35:36], v[13:14], v[35:36], s[42:43]
	v_fma_f64 v[35:36], v[46:47], v[35:36], v[48:49]
	v_fma_f64 v[13:14], v[13:14], v[35:36], -v[17:18]
	v_fma_f64 v[13:14], v[46:47], s[92:93], v[13:14]
	v_add_f64 v[13:14], v[15:16], -v[13:14]
	v_and_b32_e32 v15, 1, v43
	v_cmp_eq_u32_e32 vcc, 0, v15
	v_lshlrev_b32_e32 v15, 30, v43
	v_and_b32_e32 v15, 0x80000000, v15
	v_xor_b32_e32 v14, 0x80000000, v14
	v_cndmask_b32_e32 v14, v14, v28, vcc
	v_xor_b32_e32 v14, v14, v15
	v_mul_f64 v[15:16], v[29:30], v[29:30]
	v_cndmask_b32_e32 v13, v13, v27, vcc
	v_cmp_class_f64_e64 vcc, v[19:20], s75
	v_and_b32_e32 v19, 1, v42
	v_cmp_eq_u32_e64 s[0:1], 0, v19
	v_mul_f64 v[17:18], v[15:16], 0.5
	v_fma_f64 v[43:44], v[15:16], s[52:53], v[44:45]
	v_cndmask_b32_e32 v13, 0, v13, vcc
	v_cndmask_b32_e32 v14, v41, v14, vcc
	v_add_f64 v[27:28], -v[17:18], 1.0
	v_fma_f64 v[43:44], v[15:16], v[43:44], s[54:55]
	v_add_f64 v[35:36], -v[27:28], 1.0
	v_fma_f64 v[43:44], v[15:16], v[43:44], s[56:57]
	v_add_f64 v[17:18], v[35:36], -v[17:18]
	v_fma_f64 v[43:44], v[15:16], v[43:44], s[58:59]
	v_mul_f64 v[35:36], v[15:16], v[15:16]
	v_fma_f64 v[17:18], v[29:30], -v[33:34], v[17:18]
	v_fma_f64 v[43:44], v[15:16], v[43:44], s[44:45]
	v_fma_f64 v[17:18], v[35:36], v[43:44], v[17:18]
	v_mul_f64 v[35:36], v[33:34], 0.5
	v_add_f64 v[17:18], v[27:28], v[17:18]
	v_fma_f64 v[27:28], v[15:16], s[62:63], v[31:32]
	v_mul_f64 v[31:32], v[29:30], -v[15:16]
	v_fma_f64 v[27:28], v[15:16], v[27:28], s[64:65]
	v_fma_f64 v[27:28], v[15:16], v[27:28], s[66:67]
	;; [unrolled: 1-line block ×4, first 2 shown]
	v_fma_f64 v[15:16], v[15:16], v[27:28], -v[33:34]
	v_fma_f64 v[15:16], v[31:32], s[92:93], v[15:16]
	v_add_f64 v[15:16], v[29:30], -v[15:16]
	v_cndmask_b32_e64 v15, v17, v15, s[0:1]
	v_lshlrev_b32_e32 v17, 30, v42
	v_xor_b32_e32 v17, v17, v20
	v_cndmask_b32_e64 v16, v18, v16, s[0:1]
	v_and_b32_e32 v17, 0x80000000, v17
	v_xor_b32_e32 v16, v16, v17
	v_cndmask_b32_e32 v15, 0, v15, vcc
	v_cndmask_b32_e32 v16, v41, v16, vcc
.LBB131_89:                             ;   in Loop: Header=BB131_4 Depth=1
	s_or_b64 exec, exec, s[2:3]
                                        ; implicit-def: $vgpr17_vgpr18
.LBB131_90:                             ;   in Loop: Header=BB131_4 Depth=1
	s_andn2_saveexec_b64 s[2:3], s[10:11]
	s_cbranch_execz .LBB131_92
; %bb.91:                               ;   in Loop: Header=BB131_4 Depth=1
	v_mul_f64 v[13:14], v[17:18], s[24:25]
	s_mov_b32 s85, s43
	s_mov_b32 s87, s45
	v_cmp_nlt_f64_e32 vcc, s[88:89], v[17:18]
	v_cmp_ngt_f64_e64 s[0:1], s[90:91], v[17:18]
	v_rndne_f64_e32 v[13:14], v[13:14]
	v_fma_f64 v[15:16], v[13:14], s[26:27], v[17:18]
	v_fma_f64 v[15:16], v[13:14], s[28:29], v[15:16]
	v_cvt_i32_f64_e32 v13, v[13:14]
	v_fma_f64 v[27:28], v[15:16], s[30:31], v[23:24]
	v_fma_f64 v[27:28], v[15:16], v[27:28], s[34:35]
	;; [unrolled: 1-line block ×9, first 2 shown]
	v_fma_f64 v[27:28], v[15:16], v[27:28], 1.0
	v_fma_f64 v[15:16], v[15:16], v[27:28], 1.0
	v_ldexp_f64 v[13:14], v[15:16], v13
	v_mov_b32_e32 v15, v19
	v_mov_b32_e32 v16, v20
	v_cndmask_b32_e32 v14, v40, v14, vcc
	s_and_b64 vcc, s[0:1], vcc
	v_cndmask_b32_e64 v14, 0, v14, s[0:1]
	v_cndmask_b32_e32 v13, 0, v13, vcc
.LBB131_92:                             ;   in Loop: Header=BB131_4 Depth=1
	s_or_b64 exec, exec, s[2:3]
	s_waitcnt vmcnt(0)
	v_and_b32_e32 v17, 0x7fffffff, v12
	v_or_b32_e32 v18, v17, v11
	v_cmp_ne_u32_e32 vcc, 0, v18
                                        ; implicit-def: $vgpr19_vgpr20
	s_and_saveexec_b64 s[0:1], vcc
	s_xor_b64 s[10:11], exec, s[0:1]
	s_cbranch_execz .LBB131_134
; %bb.93:                               ;   in Loop: Header=BB131_4 Depth=1
	v_and_b32_e32 v22, 0x7fffffff, v10
	v_or_b32_e32 v18, v22, v9
	v_cmp_ne_u32_e32 vcc, 0, v18
                                        ; implicit-def: $vgpr19_vgpr20
	s_and_saveexec_b64 s[0:1], vcc
	s_xor_b64 s[18:19], exec, s[0:1]
	s_cbranch_execz .LBB131_123
; %bb.94:                               ;   in Loop: Header=BB131_4 Depth=1
	s_mov_b32 s0, 0x7ff00000
	v_cmp_gt_u32_e32 vcc, s0, v17
                                        ; implicit-def: $vgpr19_vgpr20
	s_and_saveexec_b64 s[0:1], vcc
	s_xor_b64 s[68:69], exec, s[0:1]
	s_cbranch_execz .LBB131_116
; %bb.95:                               ;   in Loop: Header=BB131_4 Depth=1
	v_add_u32_e32 v17, 0xbf79d1be, v10
	s_mov_b32 s0, 0x108aa2
	v_cmp_lt_u32_e32 vcc, s0, v17
                                        ; implicit-def: $vgpr19_vgpr20
	s_and_saveexec_b64 s[0:1], vcc
	s_xor_b64 s[2:3], exec, s[0:1]
	s_cbranch_execz .LBB131_105
; %bb.96:                               ;   in Loop: Header=BB131_4 Depth=1
	s_mov_b32 s0, 0
	s_mov_b32 s1, 0x41d00000
	v_cmp_nlt_f64_e64 s[0:1], |v[11:12]|, s[0:1]
                                        ; implicit-def: $vgpr31
                                        ; implicit-def: $vgpr17_vgpr18
                                        ; implicit-def: $vgpr29_vgpr30
	s_and_saveexec_b64 s[72:73], s[0:1]
	s_xor_b64 s[72:73], exec, s[72:73]
	s_cbranch_execz .LBB131_98
; %bb.97:                               ;   in Loop: Header=BB131_4 Depth=1
	v_trig_preop_f64 v[17:18], |v[11:12]|, 0
	s_mov_b32 vcc_lo, 0
	s_movk_i32 s78, 0xff80
	s_mov_b32 vcc_hi, 0x7b000000
	v_ldexp_f64 v[19:20], |v[11:12]|, s78
	v_cmp_ge_f64_e64 vcc, |v[11:12]|, vcc
	v_trig_preop_f64 v[27:28], |v[11:12]|, 1
	v_and_b32_e32 v22, 0x7fffffff, v12
	v_trig_preop_f64 v[35:36], |v[11:12]|, 2
	s_mov_b32 s78, s16
	s_mov_b32 s83, s81
	v_cndmask_b32_e32 v20, v22, v20, vcc
	v_cndmask_b32_e32 v19, v11, v19, vcc
	v_mul_f64 v[29:30], v[17:18], v[19:20]
	v_mul_f64 v[31:32], v[27:28], v[19:20]
	;; [unrolled: 1-line block ×3, first 2 shown]
	v_fma_f64 v[17:18], v[17:18], v[19:20], -v[29:30]
	v_fma_f64 v[27:28], v[27:28], v[19:20], -v[31:32]
	;; [unrolled: 1-line block ×3, first 2 shown]
	v_add_f64 v[33:34], v[31:32], v[17:18]
	v_add_f64 v[42:43], v[33:34], -v[31:32]
	v_add_f64 v[48:49], v[29:30], v[33:34]
	v_add_f64 v[44:45], v[33:34], -v[42:43]
	v_add_f64 v[17:18], v[17:18], -v[42:43]
	v_add_f64 v[42:43], v[46:47], v[27:28]
	v_add_f64 v[29:30], v[48:49], -v[29:30]
	v_add_f64 v[31:32], v[31:32], -v[44:45]
	v_ldexp_f64 v[44:45], v[48:49], -2
	v_add_f64 v[50:51], v[42:43], -v[46:47]
	v_add_f64 v[29:30], v[33:34], -v[29:30]
	v_add_f64 v[17:18], v[17:18], v[31:32]
	v_fract_f64_e32 v[31:32], v[44:45]
	v_cmp_neq_f64_e64 vcc, |v[44:45]|, s[76:77]
	v_add_f64 v[27:28], v[27:28], -v[50:51]
	v_add_f64 v[33:34], v[42:43], v[17:18]
	v_ldexp_f64 v[31:32], v[31:32], 2
	v_add_f64 v[44:45], v[29:30], v[33:34]
	v_cndmask_b32_e32 v32, 0, v32, vcc
	v_cndmask_b32_e32 v31, 0, v31, vcc
	v_add_f64 v[52:53], v[33:34], -v[42:43]
	v_add_f64 v[48:49], v[44:45], v[31:32]
	v_add_f64 v[29:30], v[44:45], -v[29:30]
	v_add_f64 v[54:55], v[33:34], -v[52:53]
	v_add_f64 v[17:18], v[17:18], -v[52:53]
	v_cmp_gt_f64_e32 vcc, 0, v[48:49]
	v_add_f64 v[48:49], v[42:43], -v[50:51]
	v_add_f64 v[29:30], v[33:34], -v[29:30]
	;; [unrolled: 1-line block ×3, first 2 shown]
	v_cndmask_b32_e32 v22, 0, v38, vcc
	v_add_f64 v[31:32], v[31:32], v[21:22]
	v_add_f64 v[48:49], v[46:47], -v[48:49]
	v_add_f64 v[17:18], v[17:18], v[42:43]
	v_add_f64 v[56:57], v[44:45], v[31:32]
	;; [unrolled: 1-line block ×3, first 2 shown]
	v_cvt_i32_f64_e32 v52, v[56:57]
	v_add_f64 v[17:18], v[27:28], v[17:18]
	v_cvt_f64_i32_e32 v[50:51], v52
	v_add_f64 v[31:32], v[31:32], -v[50:51]
	v_add_f64 v[17:18], v[19:20], v[17:18]
	v_add_f64 v[27:28], v[44:45], v[31:32]
	;; [unrolled: 1-line block ×3, first 2 shown]
	v_add_f64 v[19:20], v[27:28], -v[31:32]
	v_cmp_le_f64_e32 vcc, 0.5, v[27:28]
	v_add_f64 v[19:20], v[44:45], -v[19:20]
	v_cndmask_b32_e32 v22, 0, v39, vcc
	v_add_f64 v[17:18], v[17:18], v[19:20]
	v_add_f64 v[19:20], v[27:28], -v[21:22]
	v_add_f64 v[27:28], v[19:20], v[17:18]
	v_mul_f64 v[29:30], v[27:28], s[78:79]
	v_add_f64 v[19:20], v[27:28], -v[19:20]
	v_fma_f64 v[31:32], v[27:28], s[78:79], -v[29:30]
	v_add_f64 v[17:18], v[17:18], -v[19:20]
	v_fma_f64 v[19:20], v[27:28], s[82:83], v[31:32]
	v_addc_co_u32_e32 v31, vcc, 0, v52, vcc
	v_fma_f64 v[19:20], v[17:18], s[78:79], v[19:20]
	v_add_f64 v[17:18], v[29:30], v[19:20]
	v_add_f64 v[27:28], v[17:18], -v[29:30]
	v_add_f64 v[29:30], v[19:20], -v[27:28]
	s_andn2_saveexec_b64 s[72:73], s[72:73]
	s_cbranch_execz .LBB131_100
	s_branch .LBB131_99
.LBB131_98:                             ;   in Loop: Header=BB131_4 Depth=1
	s_andn2_saveexec_b64 s[72:73], s[72:73]
	s_cbranch_execz .LBB131_100
.LBB131_99:                             ;   in Loop: Header=BB131_4 Depth=1
	s_mov_b32 vcc_lo, 0x6dc9c883
	s_mov_b32 vcc_hi, 0x3fe45f30
	v_mul_f64 v[17:18], |v[11:12]|, vcc
	s_mov_b32 s80, s20
	s_mov_b32 vcc_lo, 0x252049c0
	s_mov_b32 vcc_hi, 0xb97b839a
	v_rndne_f64_e32 v[19:20], v[17:18]
	v_fma_f64 v[17:18], v[19:20], s[16:17], |v[11:12]|
	v_mul_f64 v[27:28], v[19:20], s[20:21]
	v_fma_f64 v[33:34], v[19:20], s[20:21], v[17:18]
	v_add_f64 v[29:30], v[17:18], v[27:28]
	v_add_f64 v[31:32], v[17:18], -v[29:30]
	v_add_f64 v[29:30], v[29:30], -v[33:34]
	v_add_f64 v[17:18], v[31:32], v[27:28]
	v_fma_f64 v[27:28], v[19:20], s[80:81], v[27:28]
	v_cvt_i32_f64_e32 v31, v[19:20]
	v_add_f64 v[17:18], v[29:30], v[17:18]
	v_add_f64 v[17:18], v[17:18], -v[27:28]
	v_fma_f64 v[27:28], v[19:20], vcc, v[17:18]
	v_add_f64 v[17:18], v[33:34], v[27:28]
	v_add_f64 v[29:30], v[17:18], -v[33:34]
	v_add_f64 v[29:30], v[27:28], -v[29:30]
.LBB131_100:                            ;   in Loop: Header=BB131_4 Depth=1
	s_or_b64 exec, exec, s[72:73]
                                        ; implicit-def: $vgpr22
                                        ; implicit-def: $vgpr19_vgpr20
                                        ; implicit-def: $vgpr27_vgpr28
	s_and_saveexec_b64 s[72:73], s[0:1]
	s_xor_b64 s[0:1], exec, s[72:73]
	s_cbranch_execz .LBB131_102
; %bb.101:                              ;   in Loop: Header=BB131_4 Depth=1
	v_trig_preop_f64 v[19:20], |v[11:12]|, 0
	s_movk_i32 s72, 0xff80
	v_ldexp_f64 v[27:28], |v[11:12]|, s72
	s_mov_b32 s72, 0
	s_mov_b32 s73, 0x7b000000
	v_cmp_ge_f64_e64 vcc, |v[11:12]|, s[72:73]
	v_trig_preop_f64 v[32:33], |v[11:12]|, 1
	v_and_b32_e32 v22, 0x7fffffff, v12
	v_trig_preop_f64 v[46:47], |v[11:12]|, 2
	s_mov_b32 s78, s16
	s_mov_b32 s83, s81
	v_cndmask_b32_e32 v28, v22, v28, vcc
	v_cndmask_b32_e32 v27, v11, v27, vcc
	v_mul_f64 v[34:35], v[19:20], v[27:28]
	v_mul_f64 v[42:43], v[32:33], v[27:28]
	;; [unrolled: 1-line block ×3, first 2 shown]
	v_fma_f64 v[19:20], v[19:20], v[27:28], -v[34:35]
	v_fma_f64 v[32:33], v[32:33], v[27:28], -v[42:43]
	;; [unrolled: 1-line block ×3, first 2 shown]
	v_add_f64 v[44:45], v[42:43], v[19:20]
	v_add_f64 v[48:49], v[44:45], -v[42:43]
	v_add_f64 v[54:55], v[34:35], v[44:45]
	v_add_f64 v[50:51], v[44:45], -v[48:49]
	v_add_f64 v[19:20], v[19:20], -v[48:49]
	v_add_f64 v[48:49], v[52:53], v[32:33]
	v_add_f64 v[34:35], v[54:55], -v[34:35]
	v_add_f64 v[42:43], v[42:43], -v[50:51]
	v_ldexp_f64 v[50:51], v[54:55], -2
	v_add_f64 v[56:57], v[48:49], -v[52:53]
	v_add_f64 v[34:35], v[44:45], -v[34:35]
	v_add_f64 v[19:20], v[19:20], v[42:43]
	v_fract_f64_e32 v[42:43], v[50:51]
	v_cmp_neq_f64_e64 vcc, |v[50:51]|, s[76:77]
	v_add_f64 v[32:33], v[32:33], -v[56:57]
	v_add_f64 v[44:45], v[48:49], v[19:20]
	v_ldexp_f64 v[42:43], v[42:43], 2
	v_add_f64 v[50:51], v[34:35], v[44:45]
	v_cndmask_b32_e32 v43, 0, v43, vcc
	v_cndmask_b32_e32 v42, 0, v42, vcc
	v_add_f64 v[58:59], v[44:45], -v[48:49]
	v_add_f64 v[54:55], v[50:51], v[42:43]
	v_add_f64 v[34:35], v[50:51], -v[34:35]
	v_add_f64 v[60:61], v[44:45], -v[58:59]
	;; [unrolled: 1-line block ×3, first 2 shown]
	v_cmp_gt_f64_e32 vcc, 0, v[54:55]
	v_add_f64 v[54:55], v[48:49], -v[56:57]
	v_add_f64 v[34:35], v[44:45], -v[34:35]
	;; [unrolled: 1-line block ×3, first 2 shown]
	v_cndmask_b32_e32 v22, 0, v38, vcc
	v_add_f64 v[42:43], v[42:43], v[21:22]
	v_add_f64 v[54:55], v[52:53], -v[54:55]
	v_add_f64 v[19:20], v[19:20], v[48:49]
	v_add_f64 v[62:63], v[50:51], v[42:43]
	;; [unrolled: 1-line block ×3, first 2 shown]
	v_cvt_i32_f64_e32 v36, v[62:63]
	v_add_f64 v[19:20], v[32:33], v[19:20]
	v_cvt_f64_i32_e32 v[56:57], v36
	v_add_f64 v[42:43], v[42:43], -v[56:57]
	v_add_f64 v[19:20], v[27:28], v[19:20]
	v_add_f64 v[32:33], v[50:51], v[42:43]
	;; [unrolled: 1-line block ×3, first 2 shown]
	v_add_f64 v[27:28], v[32:33], -v[42:43]
	v_cmp_le_f64_e32 vcc, 0.5, v[32:33]
	v_add_f64 v[27:28], v[50:51], -v[27:28]
	v_cndmask_b32_e32 v22, 0, v39, vcc
	v_add_f64 v[19:20], v[19:20], v[27:28]
	v_add_f64 v[27:28], v[32:33], -v[21:22]
	v_addc_co_u32_e32 v22, vcc, 0, v36, vcc
	v_add_f64 v[32:33], v[27:28], v[19:20]
	v_mul_f64 v[34:35], v[32:33], s[78:79]
	v_add_f64 v[27:28], v[32:33], -v[27:28]
	v_fma_f64 v[42:43], v[32:33], s[78:79], -v[34:35]
	v_add_f64 v[19:20], v[19:20], -v[27:28]
	v_fma_f64 v[27:28], v[32:33], s[82:83], v[42:43]
	v_fma_f64 v[27:28], v[19:20], s[78:79], v[27:28]
	v_add_f64 v[19:20], v[34:35], v[27:28]
	v_add_f64 v[32:33], v[19:20], -v[34:35]
	v_add_f64 v[27:28], v[27:28], -v[32:33]
	s_andn2_saveexec_b64 s[0:1], s[0:1]
	s_cbranch_execnz .LBB131_103
	s_branch .LBB131_104
.LBB131_102:                            ;   in Loop: Header=BB131_4 Depth=1
	s_andn2_saveexec_b64 s[0:1], s[0:1]
	s_cbranch_execz .LBB131_104
.LBB131_103:                            ;   in Loop: Header=BB131_4 Depth=1
	s_mov_b32 s72, 0x6dc9c883
	s_mov_b32 s73, 0x3fe45f30
	v_mul_f64 v[19:20], |v[11:12]|, s[72:73]
	s_mov_b32 s80, s20
	s_mov_b32 s72, 0x252049c0
	;; [unrolled: 1-line block ×3, first 2 shown]
	v_rndne_f64_e32 v[32:33], v[19:20]
	v_fma_f64 v[19:20], v[32:33], s[16:17], |v[11:12]|
	v_mul_f64 v[27:28], v[32:33], s[20:21]
	v_cvt_i32_f64_e32 v22, v[32:33]
	v_fma_f64 v[44:45], v[32:33], s[20:21], v[19:20]
	v_add_f64 v[34:35], v[19:20], v[27:28]
	v_add_f64 v[42:43], v[19:20], -v[34:35]
	v_add_f64 v[34:35], v[34:35], -v[44:45]
	v_add_f64 v[19:20], v[42:43], v[27:28]
	v_fma_f64 v[27:28], v[32:33], s[80:81], v[27:28]
	v_add_f64 v[19:20], v[34:35], v[19:20]
	v_add_f64 v[19:20], v[19:20], -v[27:28]
	v_fma_f64 v[27:28], v[32:33], s[72:73], v[19:20]
	v_add_f64 v[19:20], v[44:45], v[27:28]
	v_add_f64 v[34:35], v[19:20], -v[44:45]
	v_add_f64 v[27:28], v[27:28], -v[34:35]
.LBB131_104:                            ;   in Loop: Header=BB131_4 Depth=1
	s_or_b64 exec, exec, s[0:1]
	v_mul_f64 v[32:33], v[9:10], s[24:25]
	s_mov_b32 s85, s43
	s_mov_b32 s87, s45
	v_cmp_nlt_f64_e32 vcc, s[88:89], v[9:10]
	v_cmp_ngt_f64_e64 s[0:1], s[90:91], v[9:10]
	v_mov_b32_e32 v46, s50
	v_mov_b32_e32 v47, s51
	v_mul_f64 v[50:51], v[29:30], 0.5
	v_rndne_f64_e32 v[32:33], v[32:33]
	s_mov_b32 s92, s44
	v_fma_f64 v[34:35], v[32:33], s[26:27], v[9:10]
	v_fma_f64 v[34:35], v[32:33], s[28:29], v[34:35]
	v_cvt_i32_f64_e32 v32, v[32:33]
	v_fma_f64 v[42:43], v[34:35], s[30:31], v[23:24]
	v_fma_f64 v[42:43], v[34:35], v[42:43], s[34:35]
	;; [unrolled: 1-line block ×9, first 2 shown]
	v_fma_f64 v[42:43], v[34:35], v[42:43], 1.0
	v_fma_f64 v[34:35], v[34:35], v[42:43], 1.0
	v_ldexp_f64 v[32:33], v[34:35], v32
	v_cndmask_b32_e32 v33, v40, v33, vcc
	s_and_b64 vcc, s[0:1], vcc
	v_cndmask_b32_e32 v9, 0, v32, vcc
	v_cndmask_b32_e64 v10, 0, v33, s[0:1]
	v_mul_f64 v[32:33], v[17:18], v[17:18]
	v_mul_f64 v[34:35], v[32:33], 0.5
	v_fma_f64 v[48:49], v[32:33], s[52:53], v[46:47]
	v_add_f64 v[42:43], -v[34:35], 1.0
	v_fma_f64 v[48:49], v[32:33], v[48:49], s[54:55]
	v_add_f64 v[44:45], -v[42:43], 1.0
	v_fma_f64 v[48:49], v[32:33], v[48:49], s[56:57]
	v_add_f64 v[34:35], v[44:45], -v[34:35]
	v_fma_f64 v[48:49], v[32:33], v[48:49], s[58:59]
	v_mul_f64 v[44:45], v[32:33], v[32:33]
	v_fma_f64 v[34:35], v[17:18], -v[29:30], v[34:35]
	v_fma_f64 v[48:49], v[32:33], v[48:49], s[44:45]
	v_fma_f64 v[34:35], v[44:45], v[48:49], v[34:35]
	v_mul_f64 v[48:49], v[17:18], -v[32:33]
	v_add_f64 v[34:35], v[42:43], v[34:35]
	v_mov_b32_e32 v42, s60
	v_mov_b32_e32 v43, s61
	v_fma_f64 v[44:45], v[32:33], s[62:63], v[42:43]
	v_fma_f64 v[44:45], v[32:33], v[44:45], s[64:65]
	v_fma_f64 v[44:45], v[32:33], v[44:45], s[66:67]
	v_fma_f64 v[44:45], v[32:33], v[44:45], s[42:43]
	v_fma_f64 v[44:45], v[48:49], v[44:45], v[50:51]
	v_fma_f64 v[29:30], v[32:33], v[44:45], -v[29:30]
	v_fma_f64 v[29:30], v[48:49], s[92:93], v[29:30]
	v_add_f64 v[17:18], v[17:18], -v[29:30]
	v_and_b32_e32 v29, 1, v31
	v_cmp_eq_u32_e32 vcc, 0, v29
	v_lshlrev_b32_e32 v29, 30, v31
	v_and_b32_e32 v29, 0x80000000, v29
	v_xor_b32_e32 v18, 0x80000000, v18
	v_cndmask_b32_e32 v18, v18, v35, vcc
	v_xor_b32_e32 v18, v18, v29
	v_mul_f64 v[29:30], v[19:20], v[19:20]
	v_cndmask_b32_e32 v17, v17, v34, vcc
	v_cmp_class_f64_e64 vcc, v[11:12], s75
	v_and_b32_e32 v11, 1, v22
	v_cmp_eq_u32_e64 s[0:1], 0, v11
	v_mul_f64 v[31:32], v[29:30], 0.5
	v_fma_f64 v[44:45], v[29:30], s[52:53], v[46:47]
	v_cndmask_b32_e32 v17, 0, v17, vcc
	v_cndmask_b32_e32 v18, v41, v18, vcc
	v_mul_f64 v[17:18], v[9:10], v[17:18]
	v_add_f64 v[33:34], -v[31:32], 1.0
	v_fma_f64 v[44:45], v[29:30], v[44:45], s[54:55]
	v_add_f64 v[35:36], -v[33:34], 1.0
	v_fma_f64 v[44:45], v[29:30], v[44:45], s[56:57]
	v_add_f64 v[31:32], v[35:36], -v[31:32]
	v_fma_f64 v[44:45], v[29:30], v[44:45], s[58:59]
	v_mul_f64 v[35:36], v[29:30], v[29:30]
	v_fma_f64 v[31:32], v[19:20], -v[27:28], v[31:32]
	v_fma_f64 v[44:45], v[29:30], v[44:45], s[44:45]
	v_fma_f64 v[31:32], v[35:36], v[44:45], v[31:32]
	v_mul_f64 v[35:36], v[19:20], -v[29:30]
	v_add_f64 v[31:32], v[33:34], v[31:32]
	v_fma_f64 v[33:34], v[29:30], s[62:63], v[42:43]
	v_mul_f64 v[42:43], v[27:28], 0.5
	v_fma_f64 v[33:34], v[29:30], v[33:34], s[64:65]
	v_fma_f64 v[33:34], v[29:30], v[33:34], s[66:67]
	;; [unrolled: 1-line block ×4, first 2 shown]
	v_fma_f64 v[27:28], v[29:30], v[33:34], -v[27:28]
	v_fma_f64 v[27:28], v[35:36], s[92:93], v[27:28]
	v_add_f64 v[19:20], v[19:20], -v[27:28]
	v_cndmask_b32_e64 v11, v31, v19, s[0:1]
	v_cndmask_b32_e64 v19, v32, v20, s[0:1]
	v_lshlrev_b32_e32 v20, 30, v22
	v_xor_b32_e32 v12, v20, v12
	v_and_b32_e32 v12, 0x80000000, v12
	v_xor_b32_e32 v12, v19, v12
	v_cndmask_b32_e32 v11, 0, v11, vcc
	v_cndmask_b32_e32 v12, v41, v12, vcc
	v_mul_f64 v[19:20], v[9:10], v[11:12]
                                        ; implicit-def: $vgpr11_vgpr12
.LBB131_105:                            ;   in Loop: Header=BB131_4 Depth=1
	s_andn2_saveexec_b64 s[72:73], s[2:3]
	s_cbranch_execz .LBB131_115
; %bb.106:                              ;   in Loop: Header=BB131_4 Depth=1
	s_mov_b32 s0, 0
	s_mov_b32 s1, 0x41d00000
	v_cmp_nlt_f64_e64 s[0:1], |v[11:12]|, s[0:1]
                                        ; implicit-def: $vgpr36
                                        ; implicit-def: $vgpr17_vgpr18
                                        ; implicit-def: $vgpr29_vgpr30
	s_and_saveexec_b64 s[2:3], s[0:1]
	s_xor_b64 s[2:3], exec, s[2:3]
	s_cbranch_execz .LBB131_108
; %bb.107:                              ;   in Loop: Header=BB131_4 Depth=1
	v_trig_preop_f64 v[17:18], |v[11:12]|, 0
	s_mov_b32 vcc_lo, 0
	s_movk_i32 s78, 0xff80
	s_mov_b32 vcc_hi, 0x7b000000
	v_ldexp_f64 v[19:20], |v[11:12]|, s78
	v_cmp_ge_f64_e64 vcc, |v[11:12]|, vcc
	v_trig_preop_f64 v[27:28], |v[11:12]|, 1
	v_and_b32_e32 v22, 0x7fffffff, v12
	v_trig_preop_f64 v[35:36], |v[11:12]|, 2
	s_mov_b32 s78, s16
	s_mov_b32 s83, s81
	v_cndmask_b32_e32 v20, v22, v20, vcc
	v_cndmask_b32_e32 v19, v11, v19, vcc
	v_mul_f64 v[29:30], v[17:18], v[19:20]
	v_mul_f64 v[31:32], v[27:28], v[19:20]
	;; [unrolled: 1-line block ×3, first 2 shown]
	v_fma_f64 v[17:18], v[17:18], v[19:20], -v[29:30]
	v_fma_f64 v[27:28], v[27:28], v[19:20], -v[31:32]
	;; [unrolled: 1-line block ×3, first 2 shown]
	v_add_f64 v[33:34], v[31:32], v[17:18]
	v_add_f64 v[42:43], v[33:34], -v[31:32]
	v_add_f64 v[48:49], v[29:30], v[33:34]
	v_add_f64 v[44:45], v[33:34], -v[42:43]
	v_add_f64 v[17:18], v[17:18], -v[42:43]
	v_add_f64 v[42:43], v[46:47], v[27:28]
	v_add_f64 v[29:30], v[48:49], -v[29:30]
	v_add_f64 v[31:32], v[31:32], -v[44:45]
	v_ldexp_f64 v[44:45], v[48:49], -2
	v_add_f64 v[50:51], v[42:43], -v[46:47]
	v_add_f64 v[29:30], v[33:34], -v[29:30]
	v_add_f64 v[17:18], v[17:18], v[31:32]
	v_fract_f64_e32 v[31:32], v[44:45]
	v_cmp_neq_f64_e64 vcc, |v[44:45]|, s[76:77]
	v_add_f64 v[27:28], v[27:28], -v[50:51]
	v_add_f64 v[33:34], v[42:43], v[17:18]
	v_ldexp_f64 v[31:32], v[31:32], 2
	v_add_f64 v[44:45], v[29:30], v[33:34]
	v_cndmask_b32_e32 v32, 0, v32, vcc
	v_cndmask_b32_e32 v31, 0, v31, vcc
	v_add_f64 v[52:53], v[33:34], -v[42:43]
	v_add_f64 v[48:49], v[44:45], v[31:32]
	v_add_f64 v[29:30], v[44:45], -v[29:30]
	v_add_f64 v[54:55], v[33:34], -v[52:53]
	;; [unrolled: 1-line block ×3, first 2 shown]
	v_cmp_gt_f64_e32 vcc, 0, v[48:49]
	v_add_f64 v[48:49], v[42:43], -v[50:51]
	v_add_f64 v[29:30], v[33:34], -v[29:30]
	;; [unrolled: 1-line block ×3, first 2 shown]
	v_cndmask_b32_e32 v22, 0, v38, vcc
	v_add_f64 v[31:32], v[31:32], v[21:22]
	v_add_f64 v[48:49], v[46:47], -v[48:49]
	v_add_f64 v[17:18], v[17:18], v[42:43]
	v_add_f64 v[56:57], v[44:45], v[31:32]
	;; [unrolled: 1-line block ×3, first 2 shown]
	v_cvt_i32_f64_e32 v52, v[56:57]
	v_add_f64 v[17:18], v[27:28], v[17:18]
	v_cvt_f64_i32_e32 v[50:51], v52
	v_add_f64 v[31:32], v[31:32], -v[50:51]
	v_add_f64 v[17:18], v[19:20], v[17:18]
	v_add_f64 v[27:28], v[44:45], v[31:32]
	;; [unrolled: 1-line block ×3, first 2 shown]
	v_add_f64 v[19:20], v[27:28], -v[31:32]
	v_cmp_le_f64_e32 vcc, 0.5, v[27:28]
	v_add_f64 v[19:20], v[44:45], -v[19:20]
	v_cndmask_b32_e32 v22, 0, v39, vcc
	v_addc_co_u32_e32 v36, vcc, 0, v52, vcc
	v_add_f64 v[17:18], v[17:18], v[19:20]
	v_add_f64 v[19:20], v[27:28], -v[21:22]
	v_add_f64 v[27:28], v[19:20], v[17:18]
	v_mul_f64 v[29:30], v[27:28], s[78:79]
	v_add_f64 v[19:20], v[27:28], -v[19:20]
	v_fma_f64 v[31:32], v[27:28], s[78:79], -v[29:30]
	v_add_f64 v[17:18], v[17:18], -v[19:20]
	v_fma_f64 v[19:20], v[27:28], s[82:83], v[31:32]
	v_fma_f64 v[19:20], v[17:18], s[78:79], v[19:20]
	v_add_f64 v[17:18], v[29:30], v[19:20]
	v_add_f64 v[27:28], v[17:18], -v[29:30]
	v_add_f64 v[29:30], v[19:20], -v[27:28]
	s_andn2_saveexec_b64 s[2:3], s[2:3]
	s_cbranch_execz .LBB131_110
	s_branch .LBB131_109
.LBB131_108:                            ;   in Loop: Header=BB131_4 Depth=1
	s_andn2_saveexec_b64 s[2:3], s[2:3]
	s_cbranch_execz .LBB131_110
.LBB131_109:                            ;   in Loop: Header=BB131_4 Depth=1
	s_mov_b32 vcc_lo, 0x6dc9c883
	s_mov_b32 vcc_hi, 0x3fe45f30
	v_mul_f64 v[17:18], |v[11:12]|, vcc
	s_mov_b32 s80, s20
	s_mov_b32 vcc_lo, 0x252049c0
	s_mov_b32 vcc_hi, 0xb97b839a
	v_rndne_f64_e32 v[19:20], v[17:18]
	v_fma_f64 v[17:18], v[19:20], s[16:17], |v[11:12]|
	v_mul_f64 v[27:28], v[19:20], s[20:21]
	v_cvt_i32_f64_e32 v36, v[19:20]
	v_fma_f64 v[33:34], v[19:20], s[20:21], v[17:18]
	v_add_f64 v[29:30], v[17:18], v[27:28]
	v_add_f64 v[31:32], v[17:18], -v[29:30]
	v_add_f64 v[29:30], v[29:30], -v[33:34]
	v_add_f64 v[17:18], v[31:32], v[27:28]
	v_fma_f64 v[27:28], v[19:20], s[80:81], v[27:28]
	v_add_f64 v[17:18], v[29:30], v[17:18]
	v_add_f64 v[17:18], v[17:18], -v[27:28]
	v_fma_f64 v[27:28], v[19:20], vcc, v[17:18]
	v_add_f64 v[17:18], v[33:34], v[27:28]
	v_add_f64 v[29:30], v[17:18], -v[33:34]
	v_add_f64 v[29:30], v[27:28], -v[29:30]
.LBB131_110:                            ;   in Loop: Header=BB131_4 Depth=1
	s_or_b64 exec, exec, s[2:3]
                                        ; implicit-def: $vgpr35
                                        ; implicit-def: $vgpr19_vgpr20
                                        ; implicit-def: $vgpr27_vgpr28
	s_and_saveexec_b64 s[2:3], s[0:1]
	s_xor_b64 s[0:1], exec, s[2:3]
	s_cbranch_execz .LBB131_112
; %bb.111:                              ;   in Loop: Header=BB131_4 Depth=1
	v_trig_preop_f64 v[19:20], |v[11:12]|, 0
	s_movk_i32 s2, 0xff80
	v_ldexp_f64 v[27:28], |v[11:12]|, s2
	s_mov_b32 s2, 0
	s_mov_b32 s3, 0x7b000000
	v_cmp_ge_f64_e64 vcc, |v[11:12]|, s[2:3]
	v_trig_preop_f64 v[31:32], |v[11:12]|, 1
	v_and_b32_e32 v22, 0x7fffffff, v12
	v_trig_preop_f64 v[46:47], |v[11:12]|, 2
	s_mov_b32 s78, s16
	s_mov_b32 s83, s81
	v_cndmask_b32_e32 v28, v22, v28, vcc
	v_cndmask_b32_e32 v27, v11, v27, vcc
	v_mul_f64 v[33:34], v[19:20], v[27:28]
	v_mul_f64 v[42:43], v[31:32], v[27:28]
	;; [unrolled: 1-line block ×3, first 2 shown]
	v_fma_f64 v[19:20], v[19:20], v[27:28], -v[33:34]
	v_fma_f64 v[31:32], v[31:32], v[27:28], -v[42:43]
	;; [unrolled: 1-line block ×3, first 2 shown]
	v_add_f64 v[44:45], v[42:43], v[19:20]
	v_add_f64 v[48:49], v[44:45], -v[42:43]
	v_add_f64 v[54:55], v[33:34], v[44:45]
	v_add_f64 v[50:51], v[44:45], -v[48:49]
	v_add_f64 v[19:20], v[19:20], -v[48:49]
	v_add_f64 v[48:49], v[52:53], v[31:32]
	v_add_f64 v[33:34], v[54:55], -v[33:34]
	v_add_f64 v[42:43], v[42:43], -v[50:51]
	v_ldexp_f64 v[50:51], v[54:55], -2
	v_add_f64 v[56:57], v[48:49], -v[52:53]
	v_add_f64 v[33:34], v[44:45], -v[33:34]
	v_add_f64 v[19:20], v[19:20], v[42:43]
	v_fract_f64_e32 v[42:43], v[50:51]
	v_cmp_neq_f64_e64 vcc, |v[50:51]|, s[76:77]
	v_add_f64 v[31:32], v[31:32], -v[56:57]
	v_add_f64 v[44:45], v[48:49], v[19:20]
	v_ldexp_f64 v[42:43], v[42:43], 2
	v_add_f64 v[50:51], v[33:34], v[44:45]
	v_cndmask_b32_e32 v43, 0, v43, vcc
	v_cndmask_b32_e32 v42, 0, v42, vcc
	v_add_f64 v[58:59], v[44:45], -v[48:49]
	v_add_f64 v[54:55], v[50:51], v[42:43]
	v_add_f64 v[33:34], v[50:51], -v[33:34]
	v_add_f64 v[60:61], v[44:45], -v[58:59]
	;; [unrolled: 1-line block ×3, first 2 shown]
	v_cmp_gt_f64_e32 vcc, 0, v[54:55]
	v_add_f64 v[54:55], v[48:49], -v[56:57]
	v_add_f64 v[33:34], v[44:45], -v[33:34]
	;; [unrolled: 1-line block ×3, first 2 shown]
	v_cndmask_b32_e32 v22, 0, v38, vcc
	v_add_f64 v[42:43], v[42:43], v[21:22]
	v_add_f64 v[54:55], v[52:53], -v[54:55]
	v_add_f64 v[19:20], v[19:20], v[48:49]
	v_add_f64 v[62:63], v[50:51], v[42:43]
	;; [unrolled: 1-line block ×3, first 2 shown]
	v_cvt_i32_f64_e32 v35, v[62:63]
	v_add_f64 v[19:20], v[31:32], v[19:20]
	v_cvt_f64_i32_e32 v[56:57], v35
	v_add_f64 v[42:43], v[42:43], -v[56:57]
	v_add_f64 v[19:20], v[27:28], v[19:20]
	v_add_f64 v[31:32], v[50:51], v[42:43]
	;; [unrolled: 1-line block ×3, first 2 shown]
	v_add_f64 v[27:28], v[31:32], -v[42:43]
	v_cmp_le_f64_e32 vcc, 0.5, v[31:32]
	v_add_f64 v[27:28], v[50:51], -v[27:28]
	v_cndmask_b32_e32 v22, 0, v39, vcc
	v_addc_co_u32_e32 v35, vcc, 0, v35, vcc
	v_add_f64 v[19:20], v[19:20], v[27:28]
	v_add_f64 v[27:28], v[31:32], -v[21:22]
	v_add_f64 v[31:32], v[27:28], v[19:20]
	v_mul_f64 v[33:34], v[31:32], s[78:79]
	v_add_f64 v[27:28], v[31:32], -v[27:28]
	v_fma_f64 v[42:43], v[31:32], s[78:79], -v[33:34]
	v_add_f64 v[19:20], v[19:20], -v[27:28]
	v_fma_f64 v[27:28], v[31:32], s[82:83], v[42:43]
	v_fma_f64 v[27:28], v[19:20], s[78:79], v[27:28]
	v_add_f64 v[19:20], v[33:34], v[27:28]
	v_add_f64 v[31:32], v[19:20], -v[33:34]
	v_add_f64 v[27:28], v[27:28], -v[31:32]
	s_andn2_saveexec_b64 s[0:1], s[0:1]
	s_cbranch_execnz .LBB131_113
	s_branch .LBB131_114
.LBB131_112:                            ;   in Loop: Header=BB131_4 Depth=1
	s_andn2_saveexec_b64 s[0:1], s[0:1]
	s_cbranch_execz .LBB131_114
.LBB131_113:                            ;   in Loop: Header=BB131_4 Depth=1
	s_mov_b32 s2, 0x6dc9c883
	s_mov_b32 s3, 0x3fe45f30
	v_mul_f64 v[19:20], |v[11:12]|, s[2:3]
	s_mov_b32 s80, s20
	s_mov_b32 s2, 0x252049c0
	s_mov_b32 s3, 0xb97b839a
	v_rndne_f64_e32 v[31:32], v[19:20]
	v_fma_f64 v[19:20], v[31:32], s[16:17], |v[11:12]|
	v_mul_f64 v[27:28], v[31:32], s[20:21]
	v_cvt_i32_f64_e32 v35, v[31:32]
	v_fma_f64 v[44:45], v[31:32], s[20:21], v[19:20]
	v_add_f64 v[33:34], v[19:20], v[27:28]
	v_add_f64 v[42:43], v[19:20], -v[33:34]
	v_add_f64 v[33:34], v[33:34], -v[44:45]
	v_add_f64 v[19:20], v[42:43], v[27:28]
	v_fma_f64 v[27:28], v[31:32], s[80:81], v[27:28]
	v_add_f64 v[19:20], v[33:34], v[19:20]
	v_add_f64 v[19:20], v[19:20], -v[27:28]
	v_fma_f64 v[27:28], v[31:32], s[2:3], v[19:20]
	v_add_f64 v[19:20], v[44:45], v[27:28]
	v_add_f64 v[33:34], v[19:20], -v[44:45]
	v_add_f64 v[27:28], v[27:28], -v[33:34]
.LBB131_114:                            ;   in Loop: Header=BB131_4 Depth=1
	s_or_b64 exec, exec, s[0:1]
	v_mul_f64 v[42:43], v[17:18], v[17:18]
	v_mov_b32_e32 v33, s50
	v_mov_b32_e32 v34, s51
	s_mov_b32 s92, s44
	v_cmp_class_f64_e64 vcc, v[11:12], s75
	v_and_b32_e32 v11, 1, v36
	v_cmp_eq_u32_e64 s[0:1], 0, v11
	s_mov_b32 s85, s43
	v_mul_f64 v[31:32], v[42:43], 0.5
	v_fma_f64 v[48:49], v[42:43], s[52:53], v[33:34]
	v_mul_f64 v[46:47], v[42:43], v[42:43]
	s_mov_b32 s87, s45
	v_add_f64 v[44:45], -v[31:32], 1.0
	v_fma_f64 v[48:49], v[42:43], v[48:49], s[54:55]
	v_add_f64 v[50:51], -v[44:45], 1.0
	v_fma_f64 v[48:49], v[42:43], v[48:49], s[56:57]
	v_add_f64 v[31:32], v[50:51], -v[31:32]
	v_fma_f64 v[48:49], v[42:43], v[48:49], s[58:59]
	v_mul_f64 v[50:51], v[29:30], 0.5
	v_fma_f64 v[31:32], v[17:18], -v[29:30], v[31:32]
	v_fma_f64 v[48:49], v[42:43], v[48:49], s[44:45]
	v_fma_f64 v[31:32], v[46:47], v[48:49], v[31:32]
	v_mul_f64 v[46:47], v[17:18], -v[42:43]
	v_add_f64 v[44:45], v[44:45], v[31:32]
	v_mov_b32_e32 v31, s60
	v_mov_b32_e32 v32, s61
	v_fma_f64 v[48:49], v[42:43], s[62:63], v[31:32]
	v_fma_f64 v[48:49], v[42:43], v[48:49], s[64:65]
	;; [unrolled: 1-line block ×5, first 2 shown]
	v_fma_f64 v[29:30], v[42:43], v[48:49], -v[29:30]
	v_fma_f64 v[29:30], v[46:47], s[92:93], v[29:30]
	v_add_f64 v[17:18], v[17:18], -v[29:30]
	v_xor_b32_e32 v11, 0x80000000, v18
	v_cndmask_b32_e64 v17, v17, v44, s[0:1]
	v_cndmask_b32_e64 v11, v11, v45, s[0:1]
	s_mov_b32 s0, 0x19ba0da4
	s_mov_b32 s1, 0xc0937be3
	v_add_f64 v[9:10], v[9:10], s[0:1]
	v_lshlrev_b32_e32 v18, 30, v36
	v_and_b32_e32 v18, 0x80000000, v18
	v_xor_b32_e32 v11, v11, v18
	v_cndmask_b32_e32 v18, v41, v11, vcc
	v_cndmask_b32_e32 v17, 0, v17, vcc
	v_mul_f64 v[29:30], v[9:10], s[24:25]
	v_cmp_nlt_f64_e64 s[0:1], s[88:89], v[9:10]
	v_cmp_ngt_f64_e64 s[2:3], s[90:91], v[9:10]
	v_rndne_f64_e32 v[29:30], v[29:30]
	v_fma_f64 v[42:43], v[29:30], s[26:27], v[9:10]
	v_cvt_i32_f64_e32 v11, v[29:30]
	v_fma_f64 v[42:43], v[29:30], s[28:29], v[42:43]
	v_fma_f64 v[44:45], v[42:43], s[30:31], v[23:24]
	;; [unrolled: 1-line block ×10, first 2 shown]
	v_fma_f64 v[44:45], v[42:43], v[44:45], 1.0
	v_fma_f64 v[42:43], v[42:43], v[44:45], 1.0
	v_ldexp_f64 v[29:30], v[42:43], v11
	v_mul_f64 v[42:43], v[19:20], v[19:20]
	v_cndmask_b32_e64 v11, v40, v30, s[0:1]
	v_mul_f64 v[44:45], v[42:43], 0.5
	v_fma_f64 v[33:34], v[42:43], s[52:53], v[33:34]
	v_fma_f64 v[31:32], v[42:43], s[62:63], v[31:32]
	v_cndmask_b32_e64 v11, 0, v11, s[2:3]
	s_and_b64 s[0:1], s[2:3], s[0:1]
	v_and_b32_e32 v9, 0xfffff, v11
	v_cndmask_b32_e64 v29, 0, v29, s[0:1]
	v_or_b32_e32 v30, 0x7fe00000, v9
	v_add_f64 v[46:47], -v[44:45], 1.0
	v_fma_f64 v[33:34], v[42:43], v[33:34], s[54:55]
	v_fma_f64 v[31:32], v[42:43], v[31:32], s[64:65]
	v_mul_f64 v[9:10], v[29:30], v[17:18]
	v_lshrrev_b32_e32 v11, 20, v11
	v_add_u32_e32 v11, 0xffffff09, v11
	v_lshrrev_b16_e32 v17, 15, v11
	v_add_u16_e32 v17, v11, v17
	v_add_f64 v[48:49], -v[46:47], 1.0
	v_fma_f64 v[33:34], v[42:43], v[33:34], s[56:57]
	v_fma_f64 v[31:32], v[42:43], v[31:32], s[66:67]
	v_ashrrev_i16_e32 v17, 1, v17
	v_bfe_i32 v36, v17, 0, 16
	v_lshl_add_u32 v22, v36, 20, v39
	v_mul_f64 v[17:18], v[9:10], v[21:22]
	v_sub_u32_e32 v9, v11, v36
	v_add_f64 v[44:45], v[48:49], -v[44:45]
	v_fma_f64 v[33:34], v[42:43], v[33:34], s[58:59]
	v_mul_f64 v[48:49], v[42:43], v[42:43]
	v_fma_f64 v[31:32], v[42:43], v[31:32], s[42:43]
	v_and_b32_e32 v11, 1, v35
	v_cmp_eq_u32_e64 s[0:1], 0, v11
	v_lshl_add_u32 v10, v9, 20, v39
	v_mov_b32_e32 v9, v21
	v_fma_f64 v[44:45], v[19:20], -v[27:28], v[44:45]
	v_fma_f64 v[33:34], v[42:43], v[33:34], s[44:45]
	v_mul_f64 v[17:18], v[17:18], v[9:10]
	v_fma_f64 v[33:34], v[48:49], v[33:34], v[44:45]
	v_mul_f64 v[44:45], v[19:20], -v[42:43]
	v_add_f64 v[33:34], v[46:47], v[33:34]
	v_mul_f64 v[46:47], v[27:28], 0.5
	v_fma_f64 v[31:32], v[44:45], v[31:32], v[46:47]
	v_fma_f64 v[27:28], v[42:43], v[31:32], -v[27:28]
	v_fma_f64 v[27:28], v[44:45], s[92:93], v[27:28]
	v_add_f64 v[19:20], v[19:20], -v[27:28]
	v_cndmask_b32_e64 v11, v33, v19, s[0:1]
	v_cndmask_b32_e64 v19, v34, v20, s[0:1]
	v_lshlrev_b32_e32 v20, 30, v35
	v_xor_b32_e32 v12, v20, v12
	v_and_b32_e32 v12, 0x80000000, v12
	v_xor_b32_e32 v12, v19, v12
	v_cndmask_b32_e32 v11, 0, v11, vcc
	v_cndmask_b32_e32 v12, v41, v12, vcc
	v_mul_f64 v[11:12], v[29:30], v[11:12]
	v_mul_f64 v[11:12], v[11:12], v[21:22]
	;; [unrolled: 1-line block ×3, first 2 shown]
.LBB131_115:                            ;   in Loop: Header=BB131_4 Depth=1
	s_or_b64 exec, exec, s[72:73]
                                        ; implicit-def: $vgpr9_vgpr10
                                        ; implicit-def: $vgpr22
.LBB131_116:                            ;   in Loop: Header=BB131_4 Depth=1
	s_andn2_saveexec_b64 s[2:3], s[68:69]
	s_cbranch_execz .LBB131_122
; %bb.117:                              ;   in Loop: Header=BB131_4 Depth=1
	v_add_f64 v[19:20], v[11:12], -v[11:12]
	s_mov_b32 s0, 0x7ff00000
	v_cmp_ne_u32_e32 vcc, 0, v9
	v_cmp_ne_u32_e64 s[0:1], s0, v22
	s_or_b64 s[0:1], vcc, s[0:1]
	s_and_saveexec_b64 s[68:69], s[0:1]
	s_xor_b64 s[0:1], exec, s[68:69]
; %bb.118:                              ;   in Loop: Header=BB131_4 Depth=1
                                        ; implicit-def: $vgpr9_vgpr10
; %bb.119:                              ;   in Loop: Header=BB131_4 Depth=1
	s_or_saveexec_b64 s[0:1], s[0:1]
	v_mov_b32_e32 v17, v19
	v_mov_b32_e32 v18, v20
	s_xor_b64 exec, exec, s[0:1]
; %bb.120:                              ;   in Loop: Header=BB131_4 Depth=1
	v_cmp_lt_i64_e32 vcc, -1, v[9:10]
	v_cndmask_b32_e32 v18, 0, v10, vcc
	v_cndmask_b32_e32 v17, 0, v9, vcc
	;; [unrolled: 1-line block ×4, first 2 shown]
; %bb.121:                              ;   in Loop: Header=BB131_4 Depth=1
	s_or_b64 exec, exec, s[0:1]
.LBB131_122:                            ;   in Loop: Header=BB131_4 Depth=1
	s_or_b64 exec, exec, s[2:3]
                                        ; implicit-def: $vgpr11_vgpr12
.LBB131_123:                            ;   in Loop: Header=BB131_4 Depth=1
	s_andn2_saveexec_b64 s[2:3], s[18:19]
	s_cbranch_execz .LBB131_133
; %bb.124:                              ;   in Loop: Header=BB131_4 Depth=1
	v_trig_preop_f64 v[31:32], |v[11:12]|, 0
	v_trig_preop_f64 v[27:28], |v[11:12]|, 1
	;; [unrolled: 1-line block ×3, first 2 shown]
	s_mov_b32 s0, 0
	s_mov_b32 s1, 0x41d00000
	s_movk_i32 s18, 0xff80
	v_cmp_nlt_f64_e64 s[0:1], |v[11:12]|, s[0:1]
	v_ldexp_f64 v[35:36], |v[11:12]|, s18
	v_and_b32_e32 v44, 0x7fffffff, v12
                                        ; implicit-def: $vgpr43
                                        ; implicit-def: $vgpr17_vgpr18
                                        ; implicit-def: $vgpr19_vgpr20
	s_and_saveexec_b64 s[18:19], s[0:1]
	s_xor_b64 s[18:19], exec, s[18:19]
	s_cbranch_execz .LBB131_126
; %bb.125:                              ;   in Loop: Header=BB131_4 Depth=1
	s_mov_b32 s68, 0
	s_mov_b32 s69, 0x7b000000
	v_cmp_ge_f64_e64 vcc, |v[11:12]|, s[68:69]
	s_mov_b32 s78, s16
	s_mov_b32 s83, s81
	v_cndmask_b32_e32 v18, v44, v36, vcc
	v_cndmask_b32_e32 v17, v11, v35, vcc
	v_mul_f64 v[19:20], v[31:32], v[17:18]
	v_mul_f64 v[29:30], v[27:28], v[17:18]
	;; [unrolled: 1-line block ×3, first 2 shown]
	v_fma_f64 v[33:34], v[31:32], v[17:18], -v[19:20]
	v_fma_f64 v[51:52], v[27:28], v[17:18], -v[29:30]
	;; [unrolled: 1-line block ×3, first 2 shown]
	v_add_f64 v[42:43], v[29:30], v[33:34]
	v_add_f64 v[45:46], v[42:43], -v[29:30]
	v_add_f64 v[53:54], v[19:20], v[42:43]
	v_add_f64 v[47:48], v[42:43], -v[45:46]
	v_add_f64 v[33:34], v[33:34], -v[45:46]
	v_add_f64 v[45:46], v[49:50], v[51:52]
	v_add_f64 v[19:20], v[53:54], -v[19:20]
	v_add_f64 v[29:30], v[29:30], -v[47:48]
	v_ldexp_f64 v[47:48], v[53:54], -2
	v_add_f64 v[55:56], v[45:46], -v[49:50]
	v_add_f64 v[19:20], v[42:43], -v[19:20]
	v_add_f64 v[29:30], v[33:34], v[29:30]
	v_fract_f64_e32 v[33:34], v[47:48]
	v_cmp_neq_f64_e64 vcc, |v[47:48]|, s[76:77]
	v_add_f64 v[51:52], v[51:52], -v[55:56]
	v_add_f64 v[42:43], v[45:46], v[29:30]
	v_ldexp_f64 v[33:34], v[33:34], 2
	v_add_f64 v[47:48], v[19:20], v[42:43]
	v_cndmask_b32_e32 v34, 0, v34, vcc
	v_cndmask_b32_e32 v33, 0, v33, vcc
	v_add_f64 v[57:58], v[42:43], -v[45:46]
	v_add_f64 v[53:54], v[47:48], v[33:34]
	v_add_f64 v[19:20], v[47:48], -v[19:20]
	v_add_f64 v[59:60], v[42:43], -v[57:58]
	;; [unrolled: 1-line block ×3, first 2 shown]
	v_cmp_gt_f64_e32 vcc, 0, v[53:54]
	v_add_f64 v[53:54], v[45:46], -v[55:56]
	v_add_f64 v[19:20], v[42:43], -v[19:20]
	;; [unrolled: 1-line block ×3, first 2 shown]
	v_cndmask_b32_e32 v22, 0, v38, vcc
	v_add_f64 v[33:34], v[33:34], v[21:22]
	v_add_f64 v[53:54], v[49:50], -v[53:54]
	v_add_f64 v[29:30], v[29:30], v[45:46]
	v_add_f64 v[61:62], v[47:48], v[33:34]
	v_add_f64 v[51:52], v[51:52], v[53:54]
	v_cvt_i32_f64_e32 v57, v[61:62]
	v_add_f64 v[29:30], v[51:52], v[29:30]
	v_cvt_f64_i32_e32 v[55:56], v57
	v_add_f64 v[33:34], v[33:34], -v[55:56]
	v_add_f64 v[17:18], v[17:18], v[29:30]
	v_add_f64 v[45:46], v[47:48], v[33:34]
	;; [unrolled: 1-line block ×3, first 2 shown]
	v_add_f64 v[29:30], v[45:46], -v[33:34]
	v_cmp_le_f64_e32 vcc, 0.5, v[45:46]
	v_add_f64 v[19:20], v[47:48], -v[29:30]
	v_cndmask_b32_e32 v22, 0, v39, vcc
	v_add_f64 v[17:18], v[17:18], v[19:20]
	v_add_f64 v[19:20], v[45:46], -v[21:22]
	v_add_f64 v[29:30], v[19:20], v[17:18]
	v_mul_f64 v[33:34], v[29:30], s[78:79]
	v_add_f64 v[19:20], v[29:30], -v[19:20]
	v_fma_f64 v[42:43], v[29:30], s[78:79], -v[33:34]
	v_add_f64 v[17:18], v[17:18], -v[19:20]
	v_fma_f64 v[19:20], v[29:30], s[82:83], v[42:43]
	v_addc_co_u32_e32 v43, vcc, 0, v57, vcc
	v_fma_f64 v[19:20], v[17:18], s[78:79], v[19:20]
	v_add_f64 v[17:18], v[33:34], v[19:20]
	v_add_f64 v[29:30], v[17:18], -v[33:34]
	v_add_f64 v[19:20], v[19:20], -v[29:30]
	s_andn2_saveexec_b64 s[18:19], s[18:19]
	s_cbranch_execz .LBB131_128
	s_branch .LBB131_127
.LBB131_126:                            ;   in Loop: Header=BB131_4 Depth=1
	s_andn2_saveexec_b64 s[18:19], s[18:19]
	s_cbranch_execz .LBB131_128
.LBB131_127:                            ;   in Loop: Header=BB131_4 Depth=1
	s_mov_b32 s68, 0x6dc9c883
	s_mov_b32 s69, 0x3fe45f30
	v_mul_f64 v[17:18], |v[11:12]|, s[68:69]
	s_mov_b32 s80, s20
	s_mov_b32 s68, 0x252049c0
	;; [unrolled: 1-line block ×3, first 2 shown]
	v_rndne_f64_e32 v[29:30], v[17:18]
	v_fma_f64 v[17:18], v[29:30], s[16:17], |v[11:12]|
	v_mul_f64 v[19:20], v[29:30], s[20:21]
	v_fma_f64 v[45:46], v[29:30], s[20:21], v[17:18]
	v_add_f64 v[33:34], v[17:18], v[19:20]
	v_add_f64 v[42:43], v[17:18], -v[33:34]
	v_add_f64 v[33:34], v[33:34], -v[45:46]
	v_add_f64 v[17:18], v[42:43], v[19:20]
	v_fma_f64 v[19:20], v[29:30], s[80:81], v[19:20]
	v_cvt_i32_f64_e32 v43, v[29:30]
	v_add_f64 v[17:18], v[33:34], v[17:18]
	v_add_f64 v[17:18], v[17:18], -v[19:20]
	v_fma_f64 v[19:20], v[29:30], s[68:69], v[17:18]
	v_add_f64 v[17:18], v[45:46], v[19:20]
	v_add_f64 v[33:34], v[17:18], -v[45:46]
	v_add_f64 v[19:20], v[19:20], -v[33:34]
.LBB131_128:                            ;   in Loop: Header=BB131_4 Depth=1
	s_or_b64 exec, exec, s[18:19]
                                        ; implicit-def: $vgpr42
                                        ; implicit-def: $vgpr29_vgpr30
                                        ; implicit-def: $vgpr33_vgpr34
	s_and_saveexec_b64 s[18:19], s[0:1]
	s_xor_b64 s[18:19], exec, s[18:19]
	s_cbranch_execz .LBB131_130
; %bb.129:                              ;   in Loop: Header=BB131_4 Depth=1
	s_mov_b32 s0, 0
	s_mov_b32 s1, 0x7b000000
	v_cmp_ge_f64_e64 vcc, |v[11:12]|, s[0:1]
	s_mov_b32 s78, s16
	s_mov_b32 s83, s81
	v_cndmask_b32_e32 v30, v44, v36, vcc
	v_cndmask_b32_e32 v29, v11, v35, vcc
	v_mul_f64 v[33:34], v[31:32], v[29:30]
	v_mul_f64 v[35:36], v[27:28], v[29:30]
	;; [unrolled: 1-line block ×3, first 2 shown]
	v_fma_f64 v[31:32], v[31:32], v[29:30], -v[33:34]
	v_fma_f64 v[27:28], v[27:28], v[29:30], -v[35:36]
	v_fma_f64 v[9:10], v[9:10], v[29:30], -v[50:51]
	v_add_f64 v[44:45], v[35:36], v[31:32]
	v_add_f64 v[46:47], v[44:45], -v[35:36]
	v_add_f64 v[52:53], v[33:34], v[44:45]
	v_add_f64 v[48:49], v[44:45], -v[46:47]
	v_add_f64 v[31:32], v[31:32], -v[46:47]
	v_add_f64 v[46:47], v[50:51], v[27:28]
	v_add_f64 v[33:34], v[52:53], -v[33:34]
	v_add_f64 v[35:36], v[35:36], -v[48:49]
	v_ldexp_f64 v[48:49], v[52:53], -2
	v_add_f64 v[54:55], v[46:47], -v[50:51]
	v_add_f64 v[33:34], v[44:45], -v[33:34]
	v_add_f64 v[31:32], v[31:32], v[35:36]
	v_fract_f64_e32 v[35:36], v[48:49]
	v_cmp_neq_f64_e64 vcc, |v[48:49]|, s[76:77]
	v_add_f64 v[27:28], v[27:28], -v[54:55]
	v_add_f64 v[44:45], v[46:47], v[31:32]
	v_ldexp_f64 v[35:36], v[35:36], 2
	v_add_f64 v[48:49], v[33:34], v[44:45]
	v_cndmask_b32_e32 v36, 0, v36, vcc
	v_cndmask_b32_e32 v35, 0, v35, vcc
	v_add_f64 v[56:57], v[44:45], -v[46:47]
	v_add_f64 v[52:53], v[48:49], v[35:36]
	v_add_f64 v[29:30], v[48:49], -v[33:34]
	v_add_f64 v[58:59], v[44:45], -v[56:57]
	;; [unrolled: 1-line block ×3, first 2 shown]
	v_cmp_gt_f64_e32 vcc, 0, v[52:53]
	v_add_f64 v[52:53], v[46:47], -v[54:55]
	v_add_f64 v[29:30], v[44:45], -v[29:30]
	;; [unrolled: 1-line block ×3, first 2 shown]
	v_cndmask_b32_e32 v22, 0, v38, vcc
	v_add_f64 v[35:36], v[35:36], v[21:22]
	v_add_f64 v[52:53], v[50:51], -v[52:53]
	v_add_f64 v[31:32], v[31:32], v[46:47]
	v_add_f64 v[60:61], v[48:49], v[35:36]
	;; [unrolled: 1-line block ×3, first 2 shown]
	v_cvt_i32_f64_e32 v22, v[60:61]
	v_add_f64 v[27:28], v[27:28], v[31:32]
	v_cvt_f64_i32_e32 v[54:55], v22
	v_add_f64 v[35:36], v[35:36], -v[54:55]
	v_add_f64 v[9:10], v[9:10], v[27:28]
	v_add_f64 v[31:32], v[48:49], v[35:36]
	;; [unrolled: 1-line block ×3, first 2 shown]
	v_add_f64 v[27:28], v[31:32], -v[35:36]
	v_cmp_le_f64_e32 vcc, 0.5, v[31:32]
	v_add_f64 v[27:28], v[48:49], -v[27:28]
	v_addc_co_u32_e64 v42, s[0:1], 0, v22, vcc
	v_cndmask_b32_e32 v22, 0, v39, vcc
	v_add_f64 v[9:10], v[9:10], v[27:28]
	v_add_f64 v[27:28], v[31:32], -v[21:22]
	v_add_f64 v[29:30], v[27:28], v[9:10]
	v_mul_f64 v[31:32], v[29:30], s[78:79]
	v_add_f64 v[27:28], v[29:30], -v[27:28]
	v_fma_f64 v[33:34], v[29:30], s[78:79], -v[31:32]
	v_add_f64 v[9:10], v[9:10], -v[27:28]
	v_fma_f64 v[27:28], v[29:30], s[82:83], v[33:34]
	v_fma_f64 v[9:10], v[9:10], s[78:79], v[27:28]
	v_add_f64 v[29:30], v[31:32], v[9:10]
	v_add_f64 v[27:28], v[29:30], -v[31:32]
	v_add_f64 v[33:34], v[9:10], -v[27:28]
	s_andn2_saveexec_b64 s[0:1], s[18:19]
	s_cbranch_execnz .LBB131_131
	s_branch .LBB131_132
.LBB131_130:                            ;   in Loop: Header=BB131_4 Depth=1
	s_andn2_saveexec_b64 s[0:1], s[18:19]
	s_cbranch_execz .LBB131_132
.LBB131_131:                            ;   in Loop: Header=BB131_4 Depth=1
	s_mov_b32 s18, 0x6dc9c883
	s_mov_b32 s19, 0x3fe45f30
	v_mul_f64 v[9:10], |v[11:12]|, s[18:19]
	s_mov_b32 s80, s20
	s_mov_b32 s18, 0x252049c0
	;; [unrolled: 1-line block ×3, first 2 shown]
	v_rndne_f64_e32 v[9:10], v[9:10]
	v_fma_f64 v[27:28], v[9:10], s[16:17], |v[11:12]|
	v_mul_f64 v[29:30], v[9:10], s[20:21]
	v_cvt_i32_f64_e32 v42, v[9:10]
	v_add_f64 v[31:32], v[27:28], v[29:30]
	v_add_f64 v[33:34], v[27:28], -v[31:32]
	v_fma_f64 v[27:28], v[9:10], s[20:21], v[27:28]
	v_add_f64 v[33:34], v[33:34], v[29:30]
	v_add_f64 v[31:32], v[31:32], -v[27:28]
	v_fma_f64 v[29:30], v[9:10], s[80:81], v[29:30]
	;; [unrolled: 3-line block ×3, first 2 shown]
	v_add_f64 v[29:30], v[27:28], v[31:32]
	v_add_f64 v[27:28], v[29:30], -v[27:28]
	v_add_f64 v[33:34], v[31:32], -v[27:28]
.LBB131_132:                            ;   in Loop: Header=BB131_4 Depth=1
	s_or_b64 exec, exec, s[0:1]
	v_mul_f64 v[9:10], v[17:18], v[17:18]
	v_mov_b32_e32 v44, s50
	v_mov_b32_e32 v45, s51
	v_mul_f64 v[48:49], v[19:20], 0.5
	s_mov_b32 s92, s44
	v_mul_f64 v[27:28], v[9:10], 0.5
	v_fma_f64 v[46:47], v[9:10], s[52:53], v[44:45]
	v_add_f64 v[31:32], -v[27:28], 1.0
	v_fma_f64 v[46:47], v[9:10], v[46:47], s[54:55]
	v_add_f64 v[35:36], -v[31:32], 1.0
	v_fma_f64 v[46:47], v[9:10], v[46:47], s[56:57]
	v_add_f64 v[27:28], v[35:36], -v[27:28]
	v_fma_f64 v[46:47], v[9:10], v[46:47], s[58:59]
	v_mul_f64 v[35:36], v[9:10], v[9:10]
	v_fma_f64 v[27:28], v[17:18], -v[19:20], v[27:28]
	v_fma_f64 v[46:47], v[9:10], v[46:47], s[44:45]
	v_fma_f64 v[27:28], v[35:36], v[46:47], v[27:28]
	v_mul_f64 v[46:47], v[17:18], -v[9:10]
	v_add_f64 v[27:28], v[31:32], v[27:28]
	v_mov_b32_e32 v31, s60
	v_mov_b32_e32 v32, s61
	v_fma_f64 v[35:36], v[9:10], s[62:63], v[31:32]
	v_fma_f64 v[35:36], v[9:10], v[35:36], s[64:65]
	;; [unrolled: 1-line block ×5, first 2 shown]
	v_fma_f64 v[9:10], v[9:10], v[35:36], -v[19:20]
	v_fma_f64 v[9:10], v[46:47], s[92:93], v[9:10]
	v_add_f64 v[9:10], v[17:18], -v[9:10]
	v_and_b32_e32 v17, 1, v43
	v_cmp_eq_u32_e32 vcc, 0, v17
	v_lshlrev_b32_e32 v17, 30, v43
	v_and_b32_e32 v17, 0x80000000, v17
	v_xor_b32_e32 v10, 0x80000000, v10
	v_cndmask_b32_e32 v9, v9, v27, vcc
	v_cndmask_b32_e32 v10, v10, v28, vcc
	v_cmp_class_f64_e64 vcc, v[11:12], s75
	v_xor_b32_e32 v10, v10, v17
	v_and_b32_e32 v11, 1, v42
	v_cmp_eq_u32_e64 s[0:1], 0, v11
	v_lshlrev_b32_e32 v11, 30, v42
	v_xor_b32_e32 v11, v11, v12
	v_and_b32_e32 v11, 0x80000000, v11
	v_cndmask_b32_e32 v17, 0, v9, vcc
	v_cndmask_b32_e32 v18, v41, v10, vcc
	v_mul_f64 v[9:10], v[29:30], v[29:30]
	v_mul_f64 v[19:20], v[9:10], 0.5
	v_fma_f64 v[43:44], v[9:10], s[52:53], v[44:45]
	v_add_f64 v[27:28], -v[19:20], 1.0
	v_fma_f64 v[43:44], v[9:10], v[43:44], s[54:55]
	v_add_f64 v[35:36], -v[27:28], 1.0
	v_fma_f64 v[43:44], v[9:10], v[43:44], s[56:57]
	v_add_f64 v[19:20], v[35:36], -v[19:20]
	v_fma_f64 v[43:44], v[9:10], v[43:44], s[58:59]
	v_mul_f64 v[35:36], v[9:10], v[9:10]
	v_fma_f64 v[19:20], v[29:30], -v[33:34], v[19:20]
	v_fma_f64 v[43:44], v[9:10], v[43:44], s[44:45]
	v_fma_f64 v[19:20], v[35:36], v[43:44], v[19:20]
	v_mul_f64 v[35:36], v[33:34], 0.5
	v_add_f64 v[19:20], v[27:28], v[19:20]
	v_fma_f64 v[27:28], v[9:10], s[62:63], v[31:32]
	v_mul_f64 v[31:32], v[29:30], -v[9:10]
	v_fma_f64 v[27:28], v[9:10], v[27:28], s[64:65]
	v_fma_f64 v[27:28], v[9:10], v[27:28], s[66:67]
	v_fma_f64 v[27:28], v[9:10], v[27:28], s[42:43]
	v_fma_f64 v[27:28], v[31:32], v[27:28], v[35:36]
	v_fma_f64 v[9:10], v[9:10], v[27:28], -v[33:34]
	v_fma_f64 v[9:10], v[31:32], s[92:93], v[9:10]
	v_add_f64 v[9:10], v[29:30], -v[9:10]
	v_cndmask_b32_e64 v10, v20, v10, s[0:1]
	v_cndmask_b32_e64 v9, v19, v9, s[0:1]
	v_xor_b32_e32 v10, v10, v11
	v_cndmask_b32_e32 v19, 0, v9, vcc
	v_cndmask_b32_e32 v20, v41, v10, vcc
.LBB131_133:                            ;   in Loop: Header=BB131_4 Depth=1
	s_or_b64 exec, exec, s[2:3]
                                        ; implicit-def: $vgpr9_vgpr10
.LBB131_134:                            ;   in Loop: Header=BB131_4 Depth=1
	s_andn2_saveexec_b64 s[2:3], s[10:11]
	s_cbranch_execz .LBB131_136
; %bb.135:                              ;   in Loop: Header=BB131_4 Depth=1
	v_mul_f64 v[17:18], v[9:10], s[24:25]
	s_mov_b32 s85, s43
	s_mov_b32 s87, s45
	v_cmp_nlt_f64_e32 vcc, s[88:89], v[9:10]
	v_cmp_ngt_f64_e64 s[0:1], s[90:91], v[9:10]
	v_rndne_f64_e32 v[17:18], v[17:18]
	v_fma_f64 v[19:20], v[17:18], s[26:27], v[9:10]
	v_fma_f64 v[19:20], v[17:18], s[28:29], v[19:20]
	v_cvt_i32_f64_e32 v17, v[17:18]
	v_fma_f64 v[27:28], v[19:20], s[30:31], v[23:24]
	v_fma_f64 v[27:28], v[19:20], v[27:28], s[34:35]
	v_fma_f64 v[27:28], v[19:20], v[27:28], s[36:37]
	v_fma_f64 v[27:28], v[19:20], v[27:28], s[38:39]
	v_fma_f64 v[27:28], v[19:20], v[27:28], s[40:41]
	v_fma_f64 v[27:28], v[19:20], v[27:28], s[84:85]
	v_fma_f64 v[27:28], v[19:20], v[27:28], s[86:87]
	v_fma_f64 v[27:28], v[19:20], v[27:28], s[46:47]
	v_fma_f64 v[27:28], v[19:20], v[27:28], s[48:49]
	v_fma_f64 v[27:28], v[19:20], v[27:28], 1.0
	v_fma_f64 v[19:20], v[19:20], v[27:28], 1.0
	v_ldexp_f64 v[17:18], v[19:20], v17
	v_mov_b32_e32 v20, v12
	v_mov_b32_e32 v19, v11
	v_cndmask_b32_e32 v18, v40, v18, vcc
	s_and_b64 vcc, s[0:1], vcc
	v_cndmask_b32_e64 v18, 0, v18, s[0:1]
	v_cndmask_b32_e32 v17, 0, v17, vcc
.LBB131_136:                            ;   in Loop: Header=BB131_4 Depth=1
	s_or_b64 exec, exec, s[2:3]
	v_and_b32_e32 v9, 0x7fffffff, v4
	v_or_b32_e32 v10, v9, v3
	v_cmp_ne_u32_e32 vcc, 0, v10
                                        ; implicit-def: $vgpr11_vgpr12
	s_and_saveexec_b64 s[0:1], vcc
	s_xor_b64 s[10:11], exec, s[0:1]
	s_cbranch_execz .LBB131_178
; %bb.137:                              ;   in Loop: Header=BB131_4 Depth=1
	v_and_b32_e32 v22, 0x7fffffff, v2
	v_or_b32_e32 v10, v22, v1
	v_cmp_ne_u32_e32 vcc, 0, v10
                                        ; implicit-def: $vgpr11_vgpr12
	s_and_saveexec_b64 s[0:1], vcc
	s_xor_b64 s[18:19], exec, s[0:1]
	s_cbranch_execz .LBB131_167
; %bb.138:                              ;   in Loop: Header=BB131_4 Depth=1
	s_mov_b32 s0, 0x7ff00000
	v_cmp_gt_u32_e32 vcc, s0, v9
                                        ; implicit-def: $vgpr11_vgpr12
	s_and_saveexec_b64 s[0:1], vcc
	s_xor_b64 s[68:69], exec, s[0:1]
	s_cbranch_execz .LBB131_160
; %bb.139:                              ;   in Loop: Header=BB131_4 Depth=1
	v_add_u32_e32 v9, 0xbf79d1be, v2
	s_mov_b32 s0, 0x108aa2
	v_cmp_lt_u32_e32 vcc, s0, v9
                                        ; implicit-def: $vgpr11_vgpr12
	s_and_saveexec_b64 s[0:1], vcc
	s_xor_b64 s[2:3], exec, s[0:1]
	s_cbranch_execz .LBB131_149
; %bb.140:                              ;   in Loop: Header=BB131_4 Depth=1
	s_mov_b32 s0, 0
	s_mov_b32 s1, 0x41d00000
	v_cmp_nlt_f64_e64 s[0:1], |v[3:4]|, s[0:1]
                                        ; implicit-def: $vgpr31
                                        ; implicit-def: $vgpr9_vgpr10
                                        ; implicit-def: $vgpr29_vgpr30
	s_and_saveexec_b64 s[72:73], s[0:1]
	s_xor_b64 s[72:73], exec, s[72:73]
	s_cbranch_execz .LBB131_142
; %bb.141:                              ;   in Loop: Header=BB131_4 Depth=1
	v_trig_preop_f64 v[9:10], |v[3:4]|, 0
	s_mov_b32 vcc_lo, 0
	s_movk_i32 s78, 0xff80
	s_mov_b32 vcc_hi, 0x7b000000
	v_ldexp_f64 v[11:12], |v[3:4]|, s78
	v_cmp_ge_f64_e64 vcc, |v[3:4]|, vcc
	v_trig_preop_f64 v[27:28], |v[3:4]|, 1
	v_and_b32_e32 v22, 0x7fffffff, v4
	v_trig_preop_f64 v[35:36], |v[3:4]|, 2
	s_mov_b32 s78, s16
	s_mov_b32 s83, s81
	v_cndmask_b32_e32 v12, v22, v12, vcc
	v_cndmask_b32_e32 v11, v3, v11, vcc
	v_mul_f64 v[29:30], v[9:10], v[11:12]
	v_mul_f64 v[31:32], v[27:28], v[11:12]
	;; [unrolled: 1-line block ×3, first 2 shown]
	v_fma_f64 v[9:10], v[9:10], v[11:12], -v[29:30]
	v_fma_f64 v[27:28], v[27:28], v[11:12], -v[31:32]
	;; [unrolled: 1-line block ×3, first 2 shown]
	v_add_f64 v[33:34], v[31:32], v[9:10]
	v_add_f64 v[42:43], v[33:34], -v[31:32]
	v_add_f64 v[48:49], v[29:30], v[33:34]
	v_add_f64 v[44:45], v[33:34], -v[42:43]
	v_add_f64 v[9:10], v[9:10], -v[42:43]
	v_add_f64 v[42:43], v[46:47], v[27:28]
	v_add_f64 v[29:30], v[48:49], -v[29:30]
	v_add_f64 v[31:32], v[31:32], -v[44:45]
	v_ldexp_f64 v[44:45], v[48:49], -2
	v_add_f64 v[50:51], v[42:43], -v[46:47]
	v_add_f64 v[29:30], v[33:34], -v[29:30]
	v_add_f64 v[9:10], v[9:10], v[31:32]
	v_fract_f64_e32 v[31:32], v[44:45]
	v_cmp_neq_f64_e64 vcc, |v[44:45]|, s[76:77]
	v_add_f64 v[27:28], v[27:28], -v[50:51]
	v_add_f64 v[33:34], v[42:43], v[9:10]
	v_ldexp_f64 v[31:32], v[31:32], 2
	v_add_f64 v[44:45], v[29:30], v[33:34]
	v_cndmask_b32_e32 v32, 0, v32, vcc
	v_cndmask_b32_e32 v31, 0, v31, vcc
	v_add_f64 v[52:53], v[33:34], -v[42:43]
	v_add_f64 v[48:49], v[44:45], v[31:32]
	v_add_f64 v[29:30], v[44:45], -v[29:30]
	v_add_f64 v[54:55], v[33:34], -v[52:53]
	;; [unrolled: 1-line block ×3, first 2 shown]
	v_cmp_gt_f64_e32 vcc, 0, v[48:49]
	v_add_f64 v[48:49], v[42:43], -v[50:51]
	v_add_f64 v[29:30], v[33:34], -v[29:30]
	v_add_f64 v[42:43], v[42:43], -v[54:55]
	v_cndmask_b32_e32 v22, 0, v38, vcc
	v_add_f64 v[31:32], v[31:32], v[21:22]
	v_add_f64 v[48:49], v[46:47], -v[48:49]
	v_add_f64 v[9:10], v[9:10], v[42:43]
	v_add_f64 v[56:57], v[44:45], v[31:32]
	;; [unrolled: 1-line block ×3, first 2 shown]
	v_cvt_i32_f64_e32 v52, v[56:57]
	v_add_f64 v[9:10], v[27:28], v[9:10]
	v_cvt_f64_i32_e32 v[50:51], v52
	v_add_f64 v[31:32], v[31:32], -v[50:51]
	v_add_f64 v[9:10], v[11:12], v[9:10]
	v_add_f64 v[27:28], v[44:45], v[31:32]
	;; [unrolled: 1-line block ×3, first 2 shown]
	v_add_f64 v[11:12], v[27:28], -v[31:32]
	v_cmp_le_f64_e32 vcc, 0.5, v[27:28]
	v_add_f64 v[11:12], v[44:45], -v[11:12]
	v_cndmask_b32_e32 v22, 0, v39, vcc
	v_add_f64 v[9:10], v[9:10], v[11:12]
	v_add_f64 v[11:12], v[27:28], -v[21:22]
	v_add_f64 v[27:28], v[11:12], v[9:10]
	v_mul_f64 v[29:30], v[27:28], s[78:79]
	v_add_f64 v[11:12], v[27:28], -v[11:12]
	v_fma_f64 v[31:32], v[27:28], s[78:79], -v[29:30]
	v_add_f64 v[9:10], v[9:10], -v[11:12]
	v_fma_f64 v[11:12], v[27:28], s[82:83], v[31:32]
	v_addc_co_u32_e32 v31, vcc, 0, v52, vcc
	v_fma_f64 v[11:12], v[9:10], s[78:79], v[11:12]
	v_add_f64 v[9:10], v[29:30], v[11:12]
	v_add_f64 v[27:28], v[9:10], -v[29:30]
	v_add_f64 v[29:30], v[11:12], -v[27:28]
	s_andn2_saveexec_b64 s[72:73], s[72:73]
	s_cbranch_execz .LBB131_144
	s_branch .LBB131_143
.LBB131_142:                            ;   in Loop: Header=BB131_4 Depth=1
	s_andn2_saveexec_b64 s[72:73], s[72:73]
	s_cbranch_execz .LBB131_144
.LBB131_143:                            ;   in Loop: Header=BB131_4 Depth=1
	s_mov_b32 vcc_lo, 0x6dc9c883
	s_mov_b32 vcc_hi, 0x3fe45f30
	v_mul_f64 v[9:10], |v[3:4]|, vcc
	s_mov_b32 s80, s20
	s_mov_b32 vcc_lo, 0x252049c0
	s_mov_b32 vcc_hi, 0xb97b839a
	v_rndne_f64_e32 v[11:12], v[9:10]
	v_fma_f64 v[9:10], v[11:12], s[16:17], |v[3:4]|
	v_mul_f64 v[27:28], v[11:12], s[20:21]
	v_fma_f64 v[33:34], v[11:12], s[20:21], v[9:10]
	v_add_f64 v[29:30], v[9:10], v[27:28]
	v_add_f64 v[31:32], v[9:10], -v[29:30]
	v_add_f64 v[29:30], v[29:30], -v[33:34]
	v_add_f64 v[9:10], v[31:32], v[27:28]
	v_fma_f64 v[27:28], v[11:12], s[80:81], v[27:28]
	v_cvt_i32_f64_e32 v31, v[11:12]
	v_add_f64 v[9:10], v[29:30], v[9:10]
	v_add_f64 v[9:10], v[9:10], -v[27:28]
	v_fma_f64 v[27:28], v[11:12], vcc, v[9:10]
	v_add_f64 v[9:10], v[33:34], v[27:28]
	v_add_f64 v[29:30], v[9:10], -v[33:34]
	v_add_f64 v[29:30], v[27:28], -v[29:30]
.LBB131_144:                            ;   in Loop: Header=BB131_4 Depth=1
	s_or_b64 exec, exec, s[72:73]
                                        ; implicit-def: $vgpr22
                                        ; implicit-def: $vgpr11_vgpr12
                                        ; implicit-def: $vgpr27_vgpr28
	s_and_saveexec_b64 s[72:73], s[0:1]
	s_xor_b64 s[0:1], exec, s[72:73]
	s_cbranch_execz .LBB131_146
; %bb.145:                              ;   in Loop: Header=BB131_4 Depth=1
	v_trig_preop_f64 v[11:12], |v[3:4]|, 0
	s_movk_i32 s72, 0xff80
	v_ldexp_f64 v[27:28], |v[3:4]|, s72
	s_mov_b32 s72, 0
	s_mov_b32 s73, 0x7b000000
	v_cmp_ge_f64_e64 vcc, |v[3:4]|, s[72:73]
	v_trig_preop_f64 v[32:33], |v[3:4]|, 1
	v_and_b32_e32 v22, 0x7fffffff, v4
	v_trig_preop_f64 v[46:47], |v[3:4]|, 2
	s_mov_b32 s78, s16
	s_mov_b32 s83, s81
	v_cndmask_b32_e32 v28, v22, v28, vcc
	v_cndmask_b32_e32 v27, v3, v27, vcc
	v_mul_f64 v[34:35], v[11:12], v[27:28]
	v_mul_f64 v[42:43], v[32:33], v[27:28]
	;; [unrolled: 1-line block ×3, first 2 shown]
	v_fma_f64 v[11:12], v[11:12], v[27:28], -v[34:35]
	v_fma_f64 v[32:33], v[32:33], v[27:28], -v[42:43]
	;; [unrolled: 1-line block ×3, first 2 shown]
	v_add_f64 v[44:45], v[42:43], v[11:12]
	v_add_f64 v[48:49], v[44:45], -v[42:43]
	v_add_f64 v[54:55], v[34:35], v[44:45]
	v_add_f64 v[50:51], v[44:45], -v[48:49]
	v_add_f64 v[11:12], v[11:12], -v[48:49]
	v_add_f64 v[48:49], v[52:53], v[32:33]
	v_add_f64 v[34:35], v[54:55], -v[34:35]
	v_add_f64 v[42:43], v[42:43], -v[50:51]
	v_ldexp_f64 v[50:51], v[54:55], -2
	v_add_f64 v[56:57], v[48:49], -v[52:53]
	v_add_f64 v[34:35], v[44:45], -v[34:35]
	v_add_f64 v[11:12], v[11:12], v[42:43]
	v_fract_f64_e32 v[42:43], v[50:51]
	v_cmp_neq_f64_e64 vcc, |v[50:51]|, s[76:77]
	v_add_f64 v[32:33], v[32:33], -v[56:57]
	v_add_f64 v[44:45], v[48:49], v[11:12]
	v_ldexp_f64 v[42:43], v[42:43], 2
	v_add_f64 v[50:51], v[34:35], v[44:45]
	v_cndmask_b32_e32 v43, 0, v43, vcc
	v_cndmask_b32_e32 v42, 0, v42, vcc
	v_add_f64 v[58:59], v[44:45], -v[48:49]
	v_add_f64 v[54:55], v[50:51], v[42:43]
	v_add_f64 v[34:35], v[50:51], -v[34:35]
	v_add_f64 v[60:61], v[44:45], -v[58:59]
	;; [unrolled: 1-line block ×3, first 2 shown]
	v_cmp_gt_f64_e32 vcc, 0, v[54:55]
	v_add_f64 v[54:55], v[48:49], -v[56:57]
	v_add_f64 v[34:35], v[44:45], -v[34:35]
	;; [unrolled: 1-line block ×3, first 2 shown]
	v_cndmask_b32_e32 v22, 0, v38, vcc
	v_add_f64 v[42:43], v[42:43], v[21:22]
	v_add_f64 v[54:55], v[52:53], -v[54:55]
	v_add_f64 v[11:12], v[11:12], v[48:49]
	v_add_f64 v[62:63], v[50:51], v[42:43]
	;; [unrolled: 1-line block ×3, first 2 shown]
	v_cvt_i32_f64_e32 v36, v[62:63]
	v_add_f64 v[11:12], v[32:33], v[11:12]
	v_cvt_f64_i32_e32 v[56:57], v36
	v_add_f64 v[42:43], v[42:43], -v[56:57]
	v_add_f64 v[11:12], v[27:28], v[11:12]
	v_add_f64 v[32:33], v[50:51], v[42:43]
	;; [unrolled: 1-line block ×3, first 2 shown]
	v_add_f64 v[27:28], v[32:33], -v[42:43]
	v_cmp_le_f64_e32 vcc, 0.5, v[32:33]
	v_add_f64 v[27:28], v[50:51], -v[27:28]
	v_cndmask_b32_e32 v22, 0, v39, vcc
	v_add_f64 v[11:12], v[11:12], v[27:28]
	v_add_f64 v[27:28], v[32:33], -v[21:22]
	v_addc_co_u32_e32 v22, vcc, 0, v36, vcc
	v_add_f64 v[32:33], v[27:28], v[11:12]
	v_mul_f64 v[34:35], v[32:33], s[78:79]
	v_add_f64 v[27:28], v[32:33], -v[27:28]
	v_fma_f64 v[42:43], v[32:33], s[78:79], -v[34:35]
	v_add_f64 v[11:12], v[11:12], -v[27:28]
	v_fma_f64 v[27:28], v[32:33], s[82:83], v[42:43]
	v_fma_f64 v[27:28], v[11:12], s[78:79], v[27:28]
	v_add_f64 v[11:12], v[34:35], v[27:28]
	v_add_f64 v[32:33], v[11:12], -v[34:35]
	v_add_f64 v[27:28], v[27:28], -v[32:33]
	s_andn2_saveexec_b64 s[0:1], s[0:1]
	s_cbranch_execnz .LBB131_147
	s_branch .LBB131_148
.LBB131_146:                            ;   in Loop: Header=BB131_4 Depth=1
	s_andn2_saveexec_b64 s[0:1], s[0:1]
	s_cbranch_execz .LBB131_148
.LBB131_147:                            ;   in Loop: Header=BB131_4 Depth=1
	s_mov_b32 s72, 0x6dc9c883
	s_mov_b32 s73, 0x3fe45f30
	v_mul_f64 v[11:12], |v[3:4]|, s[72:73]
	s_mov_b32 s80, s20
	s_mov_b32 s72, 0x252049c0
	;; [unrolled: 1-line block ×3, first 2 shown]
	v_rndne_f64_e32 v[32:33], v[11:12]
	v_fma_f64 v[11:12], v[32:33], s[16:17], |v[3:4]|
	v_mul_f64 v[27:28], v[32:33], s[20:21]
	v_cvt_i32_f64_e32 v22, v[32:33]
	v_fma_f64 v[44:45], v[32:33], s[20:21], v[11:12]
	v_add_f64 v[34:35], v[11:12], v[27:28]
	v_add_f64 v[42:43], v[11:12], -v[34:35]
	v_add_f64 v[34:35], v[34:35], -v[44:45]
	v_add_f64 v[11:12], v[42:43], v[27:28]
	v_fma_f64 v[27:28], v[32:33], s[80:81], v[27:28]
	v_add_f64 v[11:12], v[34:35], v[11:12]
	v_add_f64 v[11:12], v[11:12], -v[27:28]
	v_fma_f64 v[27:28], v[32:33], s[72:73], v[11:12]
	v_add_f64 v[11:12], v[44:45], v[27:28]
	v_add_f64 v[34:35], v[11:12], -v[44:45]
	v_add_f64 v[27:28], v[27:28], -v[34:35]
.LBB131_148:                            ;   in Loop: Header=BB131_4 Depth=1
	s_or_b64 exec, exec, s[0:1]
	v_mul_f64 v[32:33], v[1:2], s[24:25]
	s_mov_b32 s85, s43
	s_mov_b32 s87, s45
	v_cmp_nlt_f64_e32 vcc, s[88:89], v[1:2]
	v_cmp_ngt_f64_e64 s[0:1], s[90:91], v[1:2]
	v_mov_b32_e32 v46, s50
	v_mov_b32_e32 v47, s51
	v_mul_f64 v[50:51], v[29:30], 0.5
	v_rndne_f64_e32 v[32:33], v[32:33]
	s_mov_b32 s92, s44
	v_fma_f64 v[34:35], v[32:33], s[26:27], v[1:2]
	v_fma_f64 v[34:35], v[32:33], s[28:29], v[34:35]
	v_cvt_i32_f64_e32 v32, v[32:33]
	v_fma_f64 v[42:43], v[34:35], s[30:31], v[23:24]
	v_fma_f64 v[42:43], v[34:35], v[42:43], s[34:35]
	;; [unrolled: 1-line block ×9, first 2 shown]
	v_fma_f64 v[42:43], v[34:35], v[42:43], 1.0
	v_fma_f64 v[34:35], v[34:35], v[42:43], 1.0
	v_ldexp_f64 v[32:33], v[34:35], v32
	v_cndmask_b32_e32 v33, v40, v33, vcc
	s_and_b64 vcc, s[0:1], vcc
	v_cndmask_b32_e32 v1, 0, v32, vcc
	v_cndmask_b32_e64 v2, 0, v33, s[0:1]
	v_mul_f64 v[32:33], v[9:10], v[9:10]
	v_mul_f64 v[34:35], v[32:33], 0.5
	v_fma_f64 v[48:49], v[32:33], s[52:53], v[46:47]
	v_add_f64 v[42:43], -v[34:35], 1.0
	v_fma_f64 v[48:49], v[32:33], v[48:49], s[54:55]
	v_add_f64 v[44:45], -v[42:43], 1.0
	v_fma_f64 v[48:49], v[32:33], v[48:49], s[56:57]
	v_add_f64 v[34:35], v[44:45], -v[34:35]
	v_fma_f64 v[48:49], v[32:33], v[48:49], s[58:59]
	v_mul_f64 v[44:45], v[32:33], v[32:33]
	v_fma_f64 v[34:35], v[9:10], -v[29:30], v[34:35]
	v_fma_f64 v[48:49], v[32:33], v[48:49], s[44:45]
	v_fma_f64 v[34:35], v[44:45], v[48:49], v[34:35]
	v_mul_f64 v[48:49], v[9:10], -v[32:33]
	v_add_f64 v[34:35], v[42:43], v[34:35]
	v_mov_b32_e32 v42, s60
	v_mov_b32_e32 v43, s61
	v_fma_f64 v[44:45], v[32:33], s[62:63], v[42:43]
	v_fma_f64 v[44:45], v[32:33], v[44:45], s[64:65]
	;; [unrolled: 1-line block ×5, first 2 shown]
	v_fma_f64 v[29:30], v[32:33], v[44:45], -v[29:30]
	v_fma_f64 v[29:30], v[48:49], s[92:93], v[29:30]
	v_add_f64 v[9:10], v[9:10], -v[29:30]
	v_and_b32_e32 v29, 1, v31
	v_cmp_eq_u32_e32 vcc, 0, v29
	v_lshlrev_b32_e32 v29, 30, v31
	v_and_b32_e32 v29, 0x80000000, v29
	v_xor_b32_e32 v10, 0x80000000, v10
	v_cndmask_b32_e32 v10, v10, v35, vcc
	v_xor_b32_e32 v10, v10, v29
	v_mul_f64 v[29:30], v[11:12], v[11:12]
	v_cndmask_b32_e32 v9, v9, v34, vcc
	v_cmp_class_f64_e64 vcc, v[3:4], s75
	v_and_b32_e32 v3, 1, v22
	v_cmp_eq_u32_e64 s[0:1], 0, v3
	v_mul_f64 v[31:32], v[29:30], 0.5
	v_fma_f64 v[44:45], v[29:30], s[52:53], v[46:47]
	v_cndmask_b32_e32 v9, 0, v9, vcc
	v_cndmask_b32_e32 v10, v41, v10, vcc
	v_mul_f64 v[9:10], v[1:2], v[9:10]
	v_add_f64 v[33:34], -v[31:32], 1.0
	v_fma_f64 v[44:45], v[29:30], v[44:45], s[54:55]
	v_add_f64 v[35:36], -v[33:34], 1.0
	v_fma_f64 v[44:45], v[29:30], v[44:45], s[56:57]
	v_add_f64 v[31:32], v[35:36], -v[31:32]
	v_fma_f64 v[44:45], v[29:30], v[44:45], s[58:59]
	v_mul_f64 v[35:36], v[29:30], v[29:30]
	v_fma_f64 v[31:32], v[11:12], -v[27:28], v[31:32]
	v_fma_f64 v[44:45], v[29:30], v[44:45], s[44:45]
	v_fma_f64 v[31:32], v[35:36], v[44:45], v[31:32]
	v_mul_f64 v[35:36], v[11:12], -v[29:30]
	v_add_f64 v[31:32], v[33:34], v[31:32]
	v_fma_f64 v[33:34], v[29:30], s[62:63], v[42:43]
	v_mul_f64 v[42:43], v[27:28], 0.5
	v_fma_f64 v[33:34], v[29:30], v[33:34], s[64:65]
	v_fma_f64 v[33:34], v[29:30], v[33:34], s[66:67]
	;; [unrolled: 1-line block ×4, first 2 shown]
	v_fma_f64 v[27:28], v[29:30], v[33:34], -v[27:28]
	v_fma_f64 v[27:28], v[35:36], s[92:93], v[27:28]
	v_add_f64 v[11:12], v[11:12], -v[27:28]
	v_cndmask_b32_e64 v3, v31, v11, s[0:1]
	v_cndmask_b32_e64 v11, v32, v12, s[0:1]
	v_lshlrev_b32_e32 v12, 30, v22
	v_xor_b32_e32 v4, v12, v4
	v_and_b32_e32 v4, 0x80000000, v4
	v_xor_b32_e32 v4, v11, v4
	v_cndmask_b32_e32 v3, 0, v3, vcc
	v_cndmask_b32_e32 v4, v41, v4, vcc
	v_mul_f64 v[11:12], v[1:2], v[3:4]
                                        ; implicit-def: $vgpr3_vgpr4
.LBB131_149:                            ;   in Loop: Header=BB131_4 Depth=1
	s_andn2_saveexec_b64 s[72:73], s[2:3]
	s_cbranch_execz .LBB131_159
; %bb.150:                              ;   in Loop: Header=BB131_4 Depth=1
	s_mov_b32 s0, 0
	s_mov_b32 s1, 0x41d00000
	v_cmp_nlt_f64_e64 s[0:1], |v[3:4]|, s[0:1]
                                        ; implicit-def: $vgpr36
                                        ; implicit-def: $vgpr9_vgpr10
                                        ; implicit-def: $vgpr29_vgpr30
	s_and_saveexec_b64 s[2:3], s[0:1]
	s_xor_b64 s[2:3], exec, s[2:3]
	s_cbranch_execz .LBB131_152
; %bb.151:                              ;   in Loop: Header=BB131_4 Depth=1
	v_trig_preop_f64 v[9:10], |v[3:4]|, 0
	s_mov_b32 vcc_lo, 0
	s_movk_i32 s78, 0xff80
	s_mov_b32 vcc_hi, 0x7b000000
	v_ldexp_f64 v[11:12], |v[3:4]|, s78
	v_cmp_ge_f64_e64 vcc, |v[3:4]|, vcc
	v_trig_preop_f64 v[27:28], |v[3:4]|, 1
	v_and_b32_e32 v22, 0x7fffffff, v4
	v_trig_preop_f64 v[35:36], |v[3:4]|, 2
	s_mov_b32 s78, s16
	s_mov_b32 s83, s81
	v_cndmask_b32_e32 v12, v22, v12, vcc
	v_cndmask_b32_e32 v11, v3, v11, vcc
	v_mul_f64 v[29:30], v[9:10], v[11:12]
	v_mul_f64 v[31:32], v[27:28], v[11:12]
	;; [unrolled: 1-line block ×3, first 2 shown]
	v_fma_f64 v[9:10], v[9:10], v[11:12], -v[29:30]
	v_fma_f64 v[27:28], v[27:28], v[11:12], -v[31:32]
	;; [unrolled: 1-line block ×3, first 2 shown]
	v_add_f64 v[33:34], v[31:32], v[9:10]
	v_add_f64 v[42:43], v[33:34], -v[31:32]
	v_add_f64 v[48:49], v[29:30], v[33:34]
	v_add_f64 v[44:45], v[33:34], -v[42:43]
	v_add_f64 v[9:10], v[9:10], -v[42:43]
	v_add_f64 v[42:43], v[46:47], v[27:28]
	v_add_f64 v[29:30], v[48:49], -v[29:30]
	v_add_f64 v[31:32], v[31:32], -v[44:45]
	v_ldexp_f64 v[44:45], v[48:49], -2
	v_add_f64 v[50:51], v[42:43], -v[46:47]
	v_add_f64 v[29:30], v[33:34], -v[29:30]
	v_add_f64 v[9:10], v[9:10], v[31:32]
	v_fract_f64_e32 v[31:32], v[44:45]
	v_cmp_neq_f64_e64 vcc, |v[44:45]|, s[76:77]
	v_add_f64 v[27:28], v[27:28], -v[50:51]
	v_add_f64 v[33:34], v[42:43], v[9:10]
	v_ldexp_f64 v[31:32], v[31:32], 2
	v_add_f64 v[44:45], v[29:30], v[33:34]
	v_cndmask_b32_e32 v32, 0, v32, vcc
	v_cndmask_b32_e32 v31, 0, v31, vcc
	v_add_f64 v[52:53], v[33:34], -v[42:43]
	v_add_f64 v[48:49], v[44:45], v[31:32]
	v_add_f64 v[29:30], v[44:45], -v[29:30]
	v_add_f64 v[54:55], v[33:34], -v[52:53]
	;; [unrolled: 1-line block ×3, first 2 shown]
	v_cmp_gt_f64_e32 vcc, 0, v[48:49]
	v_add_f64 v[48:49], v[42:43], -v[50:51]
	v_add_f64 v[29:30], v[33:34], -v[29:30]
	;; [unrolled: 1-line block ×3, first 2 shown]
	v_cndmask_b32_e32 v22, 0, v38, vcc
	v_add_f64 v[31:32], v[31:32], v[21:22]
	v_add_f64 v[48:49], v[46:47], -v[48:49]
	v_add_f64 v[9:10], v[9:10], v[42:43]
	v_add_f64 v[56:57], v[44:45], v[31:32]
	;; [unrolled: 1-line block ×3, first 2 shown]
	v_cvt_i32_f64_e32 v52, v[56:57]
	v_add_f64 v[9:10], v[27:28], v[9:10]
	v_cvt_f64_i32_e32 v[50:51], v52
	v_add_f64 v[31:32], v[31:32], -v[50:51]
	v_add_f64 v[9:10], v[11:12], v[9:10]
	v_add_f64 v[27:28], v[44:45], v[31:32]
	;; [unrolled: 1-line block ×3, first 2 shown]
	v_add_f64 v[11:12], v[27:28], -v[31:32]
	v_cmp_le_f64_e32 vcc, 0.5, v[27:28]
	v_add_f64 v[11:12], v[44:45], -v[11:12]
	v_cndmask_b32_e32 v22, 0, v39, vcc
	v_addc_co_u32_e32 v36, vcc, 0, v52, vcc
	v_add_f64 v[9:10], v[9:10], v[11:12]
	v_add_f64 v[11:12], v[27:28], -v[21:22]
	v_add_f64 v[27:28], v[11:12], v[9:10]
	v_mul_f64 v[29:30], v[27:28], s[78:79]
	v_add_f64 v[11:12], v[27:28], -v[11:12]
	v_fma_f64 v[31:32], v[27:28], s[78:79], -v[29:30]
	v_add_f64 v[9:10], v[9:10], -v[11:12]
	v_fma_f64 v[11:12], v[27:28], s[82:83], v[31:32]
	v_fma_f64 v[11:12], v[9:10], s[78:79], v[11:12]
	v_add_f64 v[9:10], v[29:30], v[11:12]
	v_add_f64 v[27:28], v[9:10], -v[29:30]
	v_add_f64 v[29:30], v[11:12], -v[27:28]
	s_andn2_saveexec_b64 s[2:3], s[2:3]
	s_cbranch_execz .LBB131_154
	s_branch .LBB131_153
.LBB131_152:                            ;   in Loop: Header=BB131_4 Depth=1
	s_andn2_saveexec_b64 s[2:3], s[2:3]
	s_cbranch_execz .LBB131_154
.LBB131_153:                            ;   in Loop: Header=BB131_4 Depth=1
	s_mov_b32 vcc_lo, 0x6dc9c883
	s_mov_b32 vcc_hi, 0x3fe45f30
	v_mul_f64 v[9:10], |v[3:4]|, vcc
	s_mov_b32 s80, s20
	s_mov_b32 vcc_lo, 0x252049c0
	s_mov_b32 vcc_hi, 0xb97b839a
	v_rndne_f64_e32 v[11:12], v[9:10]
	v_fma_f64 v[9:10], v[11:12], s[16:17], |v[3:4]|
	v_mul_f64 v[27:28], v[11:12], s[20:21]
	v_cvt_i32_f64_e32 v36, v[11:12]
	v_fma_f64 v[33:34], v[11:12], s[20:21], v[9:10]
	v_add_f64 v[29:30], v[9:10], v[27:28]
	v_add_f64 v[31:32], v[9:10], -v[29:30]
	v_add_f64 v[29:30], v[29:30], -v[33:34]
	v_add_f64 v[9:10], v[31:32], v[27:28]
	v_fma_f64 v[27:28], v[11:12], s[80:81], v[27:28]
	v_add_f64 v[9:10], v[29:30], v[9:10]
	v_add_f64 v[9:10], v[9:10], -v[27:28]
	v_fma_f64 v[27:28], v[11:12], vcc, v[9:10]
	v_add_f64 v[9:10], v[33:34], v[27:28]
	v_add_f64 v[29:30], v[9:10], -v[33:34]
	v_add_f64 v[29:30], v[27:28], -v[29:30]
.LBB131_154:                            ;   in Loop: Header=BB131_4 Depth=1
	s_or_b64 exec, exec, s[2:3]
                                        ; implicit-def: $vgpr35
                                        ; implicit-def: $vgpr11_vgpr12
                                        ; implicit-def: $vgpr27_vgpr28
	s_and_saveexec_b64 s[2:3], s[0:1]
	s_xor_b64 s[0:1], exec, s[2:3]
	s_cbranch_execz .LBB131_156
; %bb.155:                              ;   in Loop: Header=BB131_4 Depth=1
	v_trig_preop_f64 v[11:12], |v[3:4]|, 0
	s_movk_i32 s2, 0xff80
	v_ldexp_f64 v[27:28], |v[3:4]|, s2
	s_mov_b32 s2, 0
	s_mov_b32 s3, 0x7b000000
	v_cmp_ge_f64_e64 vcc, |v[3:4]|, s[2:3]
	v_trig_preop_f64 v[31:32], |v[3:4]|, 1
	v_and_b32_e32 v22, 0x7fffffff, v4
	v_trig_preop_f64 v[46:47], |v[3:4]|, 2
	s_mov_b32 s78, s16
	s_mov_b32 s83, s81
	v_cndmask_b32_e32 v28, v22, v28, vcc
	v_cndmask_b32_e32 v27, v3, v27, vcc
	v_mul_f64 v[33:34], v[11:12], v[27:28]
	v_mul_f64 v[42:43], v[31:32], v[27:28]
	;; [unrolled: 1-line block ×3, first 2 shown]
	v_fma_f64 v[11:12], v[11:12], v[27:28], -v[33:34]
	v_fma_f64 v[31:32], v[31:32], v[27:28], -v[42:43]
	;; [unrolled: 1-line block ×3, first 2 shown]
	v_add_f64 v[44:45], v[42:43], v[11:12]
	v_add_f64 v[48:49], v[44:45], -v[42:43]
	v_add_f64 v[54:55], v[33:34], v[44:45]
	v_add_f64 v[50:51], v[44:45], -v[48:49]
	v_add_f64 v[11:12], v[11:12], -v[48:49]
	v_add_f64 v[48:49], v[52:53], v[31:32]
	v_add_f64 v[33:34], v[54:55], -v[33:34]
	v_add_f64 v[42:43], v[42:43], -v[50:51]
	v_ldexp_f64 v[50:51], v[54:55], -2
	v_add_f64 v[56:57], v[48:49], -v[52:53]
	v_add_f64 v[33:34], v[44:45], -v[33:34]
	v_add_f64 v[11:12], v[11:12], v[42:43]
	v_fract_f64_e32 v[42:43], v[50:51]
	v_cmp_neq_f64_e64 vcc, |v[50:51]|, s[76:77]
	v_add_f64 v[31:32], v[31:32], -v[56:57]
	v_add_f64 v[44:45], v[48:49], v[11:12]
	v_ldexp_f64 v[42:43], v[42:43], 2
	v_add_f64 v[50:51], v[33:34], v[44:45]
	v_cndmask_b32_e32 v43, 0, v43, vcc
	v_cndmask_b32_e32 v42, 0, v42, vcc
	v_add_f64 v[58:59], v[44:45], -v[48:49]
	v_add_f64 v[54:55], v[50:51], v[42:43]
	v_add_f64 v[33:34], v[50:51], -v[33:34]
	v_add_f64 v[60:61], v[44:45], -v[58:59]
	;; [unrolled: 1-line block ×3, first 2 shown]
	v_cmp_gt_f64_e32 vcc, 0, v[54:55]
	v_add_f64 v[54:55], v[48:49], -v[56:57]
	v_add_f64 v[33:34], v[44:45], -v[33:34]
	;; [unrolled: 1-line block ×3, first 2 shown]
	v_cndmask_b32_e32 v22, 0, v38, vcc
	v_add_f64 v[42:43], v[42:43], v[21:22]
	v_add_f64 v[54:55], v[52:53], -v[54:55]
	v_add_f64 v[11:12], v[11:12], v[48:49]
	v_add_f64 v[62:63], v[50:51], v[42:43]
	;; [unrolled: 1-line block ×3, first 2 shown]
	v_cvt_i32_f64_e32 v35, v[62:63]
	v_add_f64 v[11:12], v[31:32], v[11:12]
	v_cvt_f64_i32_e32 v[56:57], v35
	v_add_f64 v[42:43], v[42:43], -v[56:57]
	v_add_f64 v[11:12], v[27:28], v[11:12]
	v_add_f64 v[31:32], v[50:51], v[42:43]
	;; [unrolled: 1-line block ×3, first 2 shown]
	v_add_f64 v[27:28], v[31:32], -v[42:43]
	v_cmp_le_f64_e32 vcc, 0.5, v[31:32]
	v_add_f64 v[27:28], v[50:51], -v[27:28]
	v_cndmask_b32_e32 v22, 0, v39, vcc
	v_addc_co_u32_e32 v35, vcc, 0, v35, vcc
	v_add_f64 v[11:12], v[11:12], v[27:28]
	v_add_f64 v[27:28], v[31:32], -v[21:22]
	v_add_f64 v[31:32], v[27:28], v[11:12]
	v_mul_f64 v[33:34], v[31:32], s[78:79]
	v_add_f64 v[27:28], v[31:32], -v[27:28]
	v_fma_f64 v[42:43], v[31:32], s[78:79], -v[33:34]
	v_add_f64 v[11:12], v[11:12], -v[27:28]
	v_fma_f64 v[27:28], v[31:32], s[82:83], v[42:43]
	v_fma_f64 v[27:28], v[11:12], s[78:79], v[27:28]
	v_add_f64 v[11:12], v[33:34], v[27:28]
	v_add_f64 v[31:32], v[11:12], -v[33:34]
	v_add_f64 v[27:28], v[27:28], -v[31:32]
	s_andn2_saveexec_b64 s[0:1], s[0:1]
	s_cbranch_execnz .LBB131_157
	s_branch .LBB131_158
.LBB131_156:                            ;   in Loop: Header=BB131_4 Depth=1
	s_andn2_saveexec_b64 s[0:1], s[0:1]
	s_cbranch_execz .LBB131_158
.LBB131_157:                            ;   in Loop: Header=BB131_4 Depth=1
	s_mov_b32 s2, 0x6dc9c883
	s_mov_b32 s3, 0x3fe45f30
	v_mul_f64 v[11:12], |v[3:4]|, s[2:3]
	s_mov_b32 s80, s20
	s_mov_b32 s2, 0x252049c0
	;; [unrolled: 1-line block ×3, first 2 shown]
	v_rndne_f64_e32 v[31:32], v[11:12]
	v_fma_f64 v[11:12], v[31:32], s[16:17], |v[3:4]|
	v_mul_f64 v[27:28], v[31:32], s[20:21]
	v_cvt_i32_f64_e32 v35, v[31:32]
	v_fma_f64 v[44:45], v[31:32], s[20:21], v[11:12]
	v_add_f64 v[33:34], v[11:12], v[27:28]
	v_add_f64 v[42:43], v[11:12], -v[33:34]
	v_add_f64 v[33:34], v[33:34], -v[44:45]
	v_add_f64 v[11:12], v[42:43], v[27:28]
	v_fma_f64 v[27:28], v[31:32], s[80:81], v[27:28]
	v_add_f64 v[11:12], v[33:34], v[11:12]
	v_add_f64 v[11:12], v[11:12], -v[27:28]
	v_fma_f64 v[27:28], v[31:32], s[2:3], v[11:12]
	v_add_f64 v[11:12], v[44:45], v[27:28]
	v_add_f64 v[33:34], v[11:12], -v[44:45]
	v_add_f64 v[27:28], v[27:28], -v[33:34]
.LBB131_158:                            ;   in Loop: Header=BB131_4 Depth=1
	s_or_b64 exec, exec, s[0:1]
	v_mul_f64 v[42:43], v[9:10], v[9:10]
	v_mov_b32_e32 v33, s50
	v_mov_b32_e32 v34, s51
	s_mov_b32 s92, s44
	v_cmp_class_f64_e64 vcc, v[3:4], s75
	v_and_b32_e32 v3, 1, v36
	v_cmp_eq_u32_e64 s[0:1], 0, v3
	s_mov_b32 s85, s43
	v_mul_f64 v[31:32], v[42:43], 0.5
	v_fma_f64 v[48:49], v[42:43], s[52:53], v[33:34]
	v_mul_f64 v[46:47], v[42:43], v[42:43]
	s_mov_b32 s87, s45
	v_add_f64 v[44:45], -v[31:32], 1.0
	v_fma_f64 v[48:49], v[42:43], v[48:49], s[54:55]
	v_add_f64 v[50:51], -v[44:45], 1.0
	v_fma_f64 v[48:49], v[42:43], v[48:49], s[56:57]
	v_add_f64 v[31:32], v[50:51], -v[31:32]
	v_fma_f64 v[48:49], v[42:43], v[48:49], s[58:59]
	v_mul_f64 v[50:51], v[29:30], 0.5
	v_fma_f64 v[31:32], v[9:10], -v[29:30], v[31:32]
	v_fma_f64 v[48:49], v[42:43], v[48:49], s[44:45]
	v_fma_f64 v[31:32], v[46:47], v[48:49], v[31:32]
	v_mul_f64 v[46:47], v[9:10], -v[42:43]
	v_add_f64 v[44:45], v[44:45], v[31:32]
	v_mov_b32_e32 v31, s60
	v_mov_b32_e32 v32, s61
	v_fma_f64 v[48:49], v[42:43], s[62:63], v[31:32]
	v_fma_f64 v[48:49], v[42:43], v[48:49], s[64:65]
	;; [unrolled: 1-line block ×5, first 2 shown]
	v_fma_f64 v[29:30], v[42:43], v[48:49], -v[29:30]
	v_fma_f64 v[29:30], v[46:47], s[92:93], v[29:30]
	v_add_f64 v[9:10], v[9:10], -v[29:30]
	v_xor_b32_e32 v3, 0x80000000, v10
	v_cndmask_b32_e64 v9, v9, v44, s[0:1]
	v_cndmask_b32_e64 v3, v3, v45, s[0:1]
	s_mov_b32 s0, 0x19ba0da4
	s_mov_b32 s1, 0xc0937be3
	v_add_f64 v[1:2], v[1:2], s[0:1]
	v_lshlrev_b32_e32 v10, 30, v36
	v_and_b32_e32 v10, 0x80000000, v10
	v_xor_b32_e32 v3, v3, v10
	v_cndmask_b32_e32 v10, v41, v3, vcc
	v_cndmask_b32_e32 v9, 0, v9, vcc
	v_mul_f64 v[29:30], v[1:2], s[24:25]
	v_cmp_nlt_f64_e64 s[0:1], s[88:89], v[1:2]
	v_cmp_ngt_f64_e64 s[2:3], s[90:91], v[1:2]
	v_rndne_f64_e32 v[29:30], v[29:30]
	v_fma_f64 v[42:43], v[29:30], s[26:27], v[1:2]
	v_cvt_i32_f64_e32 v3, v[29:30]
	v_fma_f64 v[42:43], v[29:30], s[28:29], v[42:43]
	v_fma_f64 v[44:45], v[42:43], s[30:31], v[23:24]
	;; [unrolled: 1-line block ×10, first 2 shown]
	v_fma_f64 v[44:45], v[42:43], v[44:45], 1.0
	v_fma_f64 v[42:43], v[42:43], v[44:45], 1.0
	v_ldexp_f64 v[29:30], v[42:43], v3
	v_mul_f64 v[42:43], v[11:12], v[11:12]
	v_cndmask_b32_e64 v3, v40, v30, s[0:1]
	v_mul_f64 v[44:45], v[42:43], 0.5
	v_fma_f64 v[33:34], v[42:43], s[52:53], v[33:34]
	v_fma_f64 v[31:32], v[42:43], s[62:63], v[31:32]
	v_cndmask_b32_e64 v3, 0, v3, s[2:3]
	s_and_b64 s[0:1], s[2:3], s[0:1]
	v_and_b32_e32 v1, 0xfffff, v3
	v_cndmask_b32_e64 v29, 0, v29, s[0:1]
	v_or_b32_e32 v30, 0x7fe00000, v1
	v_add_f64 v[46:47], -v[44:45], 1.0
	v_fma_f64 v[33:34], v[42:43], v[33:34], s[54:55]
	v_fma_f64 v[31:32], v[42:43], v[31:32], s[64:65]
	v_mul_f64 v[1:2], v[29:30], v[9:10]
	v_lshrrev_b32_e32 v3, 20, v3
	v_add_u32_e32 v3, 0xffffff09, v3
	v_lshrrev_b16_e32 v9, 15, v3
	v_add_u16_e32 v9, v3, v9
	v_add_f64 v[48:49], -v[46:47], 1.0
	v_fma_f64 v[33:34], v[42:43], v[33:34], s[56:57]
	v_fma_f64 v[31:32], v[42:43], v[31:32], s[66:67]
	v_ashrrev_i16_e32 v9, 1, v9
	v_bfe_i32 v36, v9, 0, 16
	v_lshl_add_u32 v22, v36, 20, v39
	v_mul_f64 v[9:10], v[1:2], v[21:22]
	v_sub_u32_e32 v1, v3, v36
	v_add_f64 v[44:45], v[48:49], -v[44:45]
	v_fma_f64 v[33:34], v[42:43], v[33:34], s[58:59]
	v_mul_f64 v[48:49], v[42:43], v[42:43]
	v_fma_f64 v[31:32], v[42:43], v[31:32], s[42:43]
	v_and_b32_e32 v3, 1, v35
	v_cmp_eq_u32_e64 s[0:1], 0, v3
	v_lshl_add_u32 v2, v1, 20, v39
	v_mov_b32_e32 v1, v21
	v_fma_f64 v[44:45], v[11:12], -v[27:28], v[44:45]
	v_fma_f64 v[33:34], v[42:43], v[33:34], s[44:45]
	v_mul_f64 v[9:10], v[9:10], v[1:2]
	v_fma_f64 v[33:34], v[48:49], v[33:34], v[44:45]
	v_mul_f64 v[44:45], v[11:12], -v[42:43]
	v_add_f64 v[33:34], v[46:47], v[33:34]
	v_mul_f64 v[46:47], v[27:28], 0.5
	v_fma_f64 v[31:32], v[44:45], v[31:32], v[46:47]
	v_fma_f64 v[27:28], v[42:43], v[31:32], -v[27:28]
	v_fma_f64 v[27:28], v[44:45], s[92:93], v[27:28]
	v_add_f64 v[11:12], v[11:12], -v[27:28]
	v_cndmask_b32_e64 v3, v33, v11, s[0:1]
	v_cndmask_b32_e64 v11, v34, v12, s[0:1]
	v_lshlrev_b32_e32 v12, 30, v35
	v_xor_b32_e32 v4, v12, v4
	v_and_b32_e32 v4, 0x80000000, v4
	v_xor_b32_e32 v4, v11, v4
	v_cndmask_b32_e32 v3, 0, v3, vcc
	v_cndmask_b32_e32 v4, v41, v4, vcc
	v_mul_f64 v[3:4], v[29:30], v[3:4]
	v_mul_f64 v[3:4], v[3:4], v[21:22]
	;; [unrolled: 1-line block ×3, first 2 shown]
.LBB131_159:                            ;   in Loop: Header=BB131_4 Depth=1
	s_or_b64 exec, exec, s[72:73]
                                        ; implicit-def: $vgpr1_vgpr2
                                        ; implicit-def: $vgpr22
.LBB131_160:                            ;   in Loop: Header=BB131_4 Depth=1
	s_andn2_saveexec_b64 s[2:3], s[68:69]
	s_cbranch_execz .LBB131_166
; %bb.161:                              ;   in Loop: Header=BB131_4 Depth=1
	v_add_f64 v[11:12], v[3:4], -v[3:4]
	s_mov_b32 s0, 0x7ff00000
	v_cmp_ne_u32_e32 vcc, 0, v1
	v_cmp_ne_u32_e64 s[0:1], s0, v22
	s_or_b64 s[0:1], vcc, s[0:1]
	s_and_saveexec_b64 s[68:69], s[0:1]
	s_xor_b64 s[0:1], exec, s[68:69]
; %bb.162:                              ;   in Loop: Header=BB131_4 Depth=1
                                        ; implicit-def: $vgpr1_vgpr2
; %bb.163:                              ;   in Loop: Header=BB131_4 Depth=1
	s_or_saveexec_b64 s[0:1], s[0:1]
	v_mov_b32_e32 v9, v11
	v_mov_b32_e32 v10, v12
	s_xor_b64 exec, exec, s[0:1]
; %bb.164:                              ;   in Loop: Header=BB131_4 Depth=1
	v_cmp_lt_i64_e32 vcc, -1, v[1:2]
	v_cndmask_b32_e32 v10, 0, v2, vcc
	v_cndmask_b32_e32 v9, 0, v1, vcc
	;; [unrolled: 1-line block ×4, first 2 shown]
; %bb.165:                              ;   in Loop: Header=BB131_4 Depth=1
	s_or_b64 exec, exec, s[0:1]
.LBB131_166:                            ;   in Loop: Header=BB131_4 Depth=1
	s_or_b64 exec, exec, s[2:3]
                                        ; implicit-def: $vgpr3_vgpr4
.LBB131_167:                            ;   in Loop: Header=BB131_4 Depth=1
	s_andn2_saveexec_b64 s[2:3], s[18:19]
	s_cbranch_execz .LBB131_177
; %bb.168:                              ;   in Loop: Header=BB131_4 Depth=1
	v_trig_preop_f64 v[31:32], |v[3:4]|, 0
	v_trig_preop_f64 v[27:28], |v[3:4]|, 1
	;; [unrolled: 1-line block ×3, first 2 shown]
	s_mov_b32 s0, 0
	s_mov_b32 s1, 0x41d00000
	s_movk_i32 s18, 0xff80
	v_cmp_nlt_f64_e64 s[0:1], |v[3:4]|, s[0:1]
	v_ldexp_f64 v[35:36], |v[3:4]|, s18
	v_and_b32_e32 v44, 0x7fffffff, v4
                                        ; implicit-def: $vgpr43
                                        ; implicit-def: $vgpr9_vgpr10
                                        ; implicit-def: $vgpr11_vgpr12
	s_and_saveexec_b64 s[18:19], s[0:1]
	s_xor_b64 s[18:19], exec, s[18:19]
	s_cbranch_execz .LBB131_170
; %bb.169:                              ;   in Loop: Header=BB131_4 Depth=1
	s_mov_b32 s68, 0
	s_mov_b32 s69, 0x7b000000
	v_cmp_ge_f64_e64 vcc, |v[3:4]|, s[68:69]
	s_mov_b32 s78, s16
	s_mov_b32 s83, s81
	v_cndmask_b32_e32 v10, v44, v36, vcc
	v_cndmask_b32_e32 v9, v3, v35, vcc
	v_mul_f64 v[11:12], v[31:32], v[9:10]
	v_mul_f64 v[29:30], v[27:28], v[9:10]
	;; [unrolled: 1-line block ×3, first 2 shown]
	v_fma_f64 v[33:34], v[31:32], v[9:10], -v[11:12]
	v_fma_f64 v[51:52], v[27:28], v[9:10], -v[29:30]
	;; [unrolled: 1-line block ×3, first 2 shown]
	v_add_f64 v[42:43], v[29:30], v[33:34]
	v_add_f64 v[45:46], v[42:43], -v[29:30]
	v_add_f64 v[53:54], v[11:12], v[42:43]
	v_add_f64 v[47:48], v[42:43], -v[45:46]
	v_add_f64 v[33:34], v[33:34], -v[45:46]
	v_add_f64 v[45:46], v[49:50], v[51:52]
	v_add_f64 v[11:12], v[53:54], -v[11:12]
	v_add_f64 v[29:30], v[29:30], -v[47:48]
	v_ldexp_f64 v[47:48], v[53:54], -2
	v_add_f64 v[55:56], v[45:46], -v[49:50]
	v_add_f64 v[11:12], v[42:43], -v[11:12]
	v_add_f64 v[29:30], v[33:34], v[29:30]
	v_fract_f64_e32 v[33:34], v[47:48]
	v_cmp_neq_f64_e64 vcc, |v[47:48]|, s[76:77]
	v_add_f64 v[51:52], v[51:52], -v[55:56]
	v_add_f64 v[42:43], v[45:46], v[29:30]
	v_ldexp_f64 v[33:34], v[33:34], 2
	v_add_f64 v[47:48], v[11:12], v[42:43]
	v_cndmask_b32_e32 v34, 0, v34, vcc
	v_cndmask_b32_e32 v33, 0, v33, vcc
	v_add_f64 v[57:58], v[42:43], -v[45:46]
	v_add_f64 v[53:54], v[47:48], v[33:34]
	v_add_f64 v[11:12], v[47:48], -v[11:12]
	v_add_f64 v[59:60], v[42:43], -v[57:58]
	;; [unrolled: 1-line block ×3, first 2 shown]
	v_cmp_gt_f64_e32 vcc, 0, v[53:54]
	v_add_f64 v[53:54], v[45:46], -v[55:56]
	v_add_f64 v[11:12], v[42:43], -v[11:12]
	;; [unrolled: 1-line block ×3, first 2 shown]
	v_cndmask_b32_e32 v22, 0, v38, vcc
	v_add_f64 v[33:34], v[33:34], v[21:22]
	v_add_f64 v[53:54], v[49:50], -v[53:54]
	v_add_f64 v[29:30], v[29:30], v[45:46]
	v_add_f64 v[61:62], v[47:48], v[33:34]
	v_add_f64 v[51:52], v[51:52], v[53:54]
	v_cvt_i32_f64_e32 v57, v[61:62]
	v_add_f64 v[29:30], v[51:52], v[29:30]
	v_cvt_f64_i32_e32 v[55:56], v57
	v_add_f64 v[33:34], v[33:34], -v[55:56]
	v_add_f64 v[9:10], v[9:10], v[29:30]
	v_add_f64 v[45:46], v[47:48], v[33:34]
	v_add_f64 v[9:10], v[11:12], v[9:10]
	v_add_f64 v[29:30], v[45:46], -v[33:34]
	v_cmp_le_f64_e32 vcc, 0.5, v[45:46]
	v_add_f64 v[11:12], v[47:48], -v[29:30]
	v_cndmask_b32_e32 v22, 0, v39, vcc
	v_add_f64 v[9:10], v[9:10], v[11:12]
	v_add_f64 v[11:12], v[45:46], -v[21:22]
	v_add_f64 v[29:30], v[11:12], v[9:10]
	v_mul_f64 v[33:34], v[29:30], s[78:79]
	v_add_f64 v[11:12], v[29:30], -v[11:12]
	v_fma_f64 v[42:43], v[29:30], s[78:79], -v[33:34]
	v_add_f64 v[9:10], v[9:10], -v[11:12]
	v_fma_f64 v[11:12], v[29:30], s[82:83], v[42:43]
	v_addc_co_u32_e32 v43, vcc, 0, v57, vcc
	v_fma_f64 v[11:12], v[9:10], s[78:79], v[11:12]
	v_add_f64 v[9:10], v[33:34], v[11:12]
	v_add_f64 v[29:30], v[9:10], -v[33:34]
	v_add_f64 v[11:12], v[11:12], -v[29:30]
	s_andn2_saveexec_b64 s[18:19], s[18:19]
	s_cbranch_execz .LBB131_172
	s_branch .LBB131_171
.LBB131_170:                            ;   in Loop: Header=BB131_4 Depth=1
	s_andn2_saveexec_b64 s[18:19], s[18:19]
	s_cbranch_execz .LBB131_172
.LBB131_171:                            ;   in Loop: Header=BB131_4 Depth=1
	s_mov_b32 s68, 0x6dc9c883
	s_mov_b32 s69, 0x3fe45f30
	v_mul_f64 v[9:10], |v[3:4]|, s[68:69]
	s_mov_b32 s80, s20
	s_mov_b32 s68, 0x252049c0
	;; [unrolled: 1-line block ×3, first 2 shown]
	v_rndne_f64_e32 v[29:30], v[9:10]
	v_fma_f64 v[9:10], v[29:30], s[16:17], |v[3:4]|
	v_mul_f64 v[11:12], v[29:30], s[20:21]
	v_fma_f64 v[45:46], v[29:30], s[20:21], v[9:10]
	v_add_f64 v[33:34], v[9:10], v[11:12]
	v_add_f64 v[42:43], v[9:10], -v[33:34]
	v_add_f64 v[33:34], v[33:34], -v[45:46]
	v_add_f64 v[9:10], v[42:43], v[11:12]
	v_fma_f64 v[11:12], v[29:30], s[80:81], v[11:12]
	v_cvt_i32_f64_e32 v43, v[29:30]
	v_add_f64 v[9:10], v[33:34], v[9:10]
	v_add_f64 v[9:10], v[9:10], -v[11:12]
	v_fma_f64 v[11:12], v[29:30], s[68:69], v[9:10]
	v_add_f64 v[9:10], v[45:46], v[11:12]
	v_add_f64 v[33:34], v[9:10], -v[45:46]
	v_add_f64 v[11:12], v[11:12], -v[33:34]
.LBB131_172:                            ;   in Loop: Header=BB131_4 Depth=1
	s_or_b64 exec, exec, s[18:19]
                                        ; implicit-def: $vgpr42
                                        ; implicit-def: $vgpr29_vgpr30
                                        ; implicit-def: $vgpr33_vgpr34
	s_and_saveexec_b64 s[18:19], s[0:1]
	s_xor_b64 s[18:19], exec, s[18:19]
	s_cbranch_execz .LBB131_174
; %bb.173:                              ;   in Loop: Header=BB131_4 Depth=1
	s_mov_b32 s0, 0
	s_mov_b32 s1, 0x7b000000
	v_cmp_ge_f64_e64 vcc, |v[3:4]|, s[0:1]
	s_mov_b32 s78, s16
	s_mov_b32 s83, s81
	v_cndmask_b32_e32 v30, v44, v36, vcc
	v_cndmask_b32_e32 v29, v3, v35, vcc
	v_mul_f64 v[33:34], v[31:32], v[29:30]
	v_mul_f64 v[35:36], v[27:28], v[29:30]
	;; [unrolled: 1-line block ×3, first 2 shown]
	v_fma_f64 v[31:32], v[31:32], v[29:30], -v[33:34]
	v_fma_f64 v[27:28], v[27:28], v[29:30], -v[35:36]
	;; [unrolled: 1-line block ×3, first 2 shown]
	v_add_f64 v[44:45], v[35:36], v[31:32]
	v_add_f64 v[46:47], v[44:45], -v[35:36]
	v_add_f64 v[52:53], v[33:34], v[44:45]
	v_add_f64 v[48:49], v[44:45], -v[46:47]
	v_add_f64 v[31:32], v[31:32], -v[46:47]
	v_add_f64 v[46:47], v[50:51], v[27:28]
	v_add_f64 v[33:34], v[52:53], -v[33:34]
	v_add_f64 v[35:36], v[35:36], -v[48:49]
	v_ldexp_f64 v[48:49], v[52:53], -2
	v_add_f64 v[54:55], v[46:47], -v[50:51]
	v_add_f64 v[33:34], v[44:45], -v[33:34]
	v_add_f64 v[31:32], v[31:32], v[35:36]
	v_fract_f64_e32 v[35:36], v[48:49]
	v_cmp_neq_f64_e64 vcc, |v[48:49]|, s[76:77]
	v_add_f64 v[27:28], v[27:28], -v[54:55]
	v_add_f64 v[44:45], v[46:47], v[31:32]
	v_ldexp_f64 v[35:36], v[35:36], 2
	v_add_f64 v[48:49], v[33:34], v[44:45]
	v_cndmask_b32_e32 v36, 0, v36, vcc
	v_cndmask_b32_e32 v35, 0, v35, vcc
	v_add_f64 v[56:57], v[44:45], -v[46:47]
	v_add_f64 v[52:53], v[48:49], v[35:36]
	v_add_f64 v[29:30], v[48:49], -v[33:34]
	v_add_f64 v[58:59], v[44:45], -v[56:57]
	;; [unrolled: 1-line block ×3, first 2 shown]
	v_cmp_gt_f64_e32 vcc, 0, v[52:53]
	v_add_f64 v[52:53], v[46:47], -v[54:55]
	v_add_f64 v[29:30], v[44:45], -v[29:30]
	;; [unrolled: 1-line block ×3, first 2 shown]
	v_cndmask_b32_e32 v22, 0, v38, vcc
	v_add_f64 v[35:36], v[35:36], v[21:22]
	v_add_f64 v[52:53], v[50:51], -v[52:53]
	v_add_f64 v[31:32], v[31:32], v[46:47]
	v_add_f64 v[60:61], v[48:49], v[35:36]
	;; [unrolled: 1-line block ×3, first 2 shown]
	v_cvt_i32_f64_e32 v22, v[60:61]
	v_add_f64 v[27:28], v[27:28], v[31:32]
	v_cvt_f64_i32_e32 v[54:55], v22
	v_add_f64 v[35:36], v[35:36], -v[54:55]
	v_add_f64 v[1:2], v[1:2], v[27:28]
	v_add_f64 v[31:32], v[48:49], v[35:36]
	;; [unrolled: 1-line block ×3, first 2 shown]
	v_add_f64 v[27:28], v[31:32], -v[35:36]
	v_cmp_le_f64_e32 vcc, 0.5, v[31:32]
	v_add_f64 v[27:28], v[48:49], -v[27:28]
	v_addc_co_u32_e64 v42, s[0:1], 0, v22, vcc
	v_cndmask_b32_e32 v22, 0, v39, vcc
	v_add_f64 v[1:2], v[1:2], v[27:28]
	v_add_f64 v[27:28], v[31:32], -v[21:22]
	v_add_f64 v[29:30], v[27:28], v[1:2]
	v_mul_f64 v[31:32], v[29:30], s[78:79]
	v_add_f64 v[27:28], v[29:30], -v[27:28]
	v_fma_f64 v[33:34], v[29:30], s[78:79], -v[31:32]
	v_add_f64 v[1:2], v[1:2], -v[27:28]
	v_fma_f64 v[27:28], v[29:30], s[82:83], v[33:34]
	v_fma_f64 v[1:2], v[1:2], s[78:79], v[27:28]
	v_add_f64 v[29:30], v[31:32], v[1:2]
	v_add_f64 v[27:28], v[29:30], -v[31:32]
	v_add_f64 v[33:34], v[1:2], -v[27:28]
	s_andn2_saveexec_b64 s[0:1], s[18:19]
	s_cbranch_execnz .LBB131_175
	s_branch .LBB131_176
.LBB131_174:                            ;   in Loop: Header=BB131_4 Depth=1
	s_andn2_saveexec_b64 s[0:1], s[18:19]
	s_cbranch_execz .LBB131_176
.LBB131_175:                            ;   in Loop: Header=BB131_4 Depth=1
	s_mov_b32 s18, 0x6dc9c883
	s_mov_b32 s19, 0x3fe45f30
	v_mul_f64 v[1:2], |v[3:4]|, s[18:19]
	s_mov_b32 s80, s20
	s_mov_b32 s18, 0x252049c0
	;; [unrolled: 1-line block ×3, first 2 shown]
	v_rndne_f64_e32 v[1:2], v[1:2]
	v_fma_f64 v[27:28], v[1:2], s[16:17], |v[3:4]|
	v_mul_f64 v[29:30], v[1:2], s[20:21]
	v_cvt_i32_f64_e32 v42, v[1:2]
	v_add_f64 v[31:32], v[27:28], v[29:30]
	v_add_f64 v[33:34], v[27:28], -v[31:32]
	v_fma_f64 v[27:28], v[1:2], s[20:21], v[27:28]
	v_add_f64 v[33:34], v[33:34], v[29:30]
	v_add_f64 v[31:32], v[31:32], -v[27:28]
	v_fma_f64 v[29:30], v[1:2], s[80:81], v[29:30]
	;; [unrolled: 3-line block ×3, first 2 shown]
	v_add_f64 v[29:30], v[27:28], v[31:32]
	v_add_f64 v[27:28], v[29:30], -v[27:28]
	v_add_f64 v[33:34], v[31:32], -v[27:28]
.LBB131_176:                            ;   in Loop: Header=BB131_4 Depth=1
	s_or_b64 exec, exec, s[0:1]
	v_mul_f64 v[1:2], v[9:10], v[9:10]
	v_mov_b32_e32 v44, s50
	v_mov_b32_e32 v45, s51
	v_mul_f64 v[48:49], v[11:12], 0.5
	s_mov_b32 s92, s44
	v_mul_f64 v[27:28], v[1:2], 0.5
	v_fma_f64 v[46:47], v[1:2], s[52:53], v[44:45]
	v_add_f64 v[31:32], -v[27:28], 1.0
	v_fma_f64 v[46:47], v[1:2], v[46:47], s[54:55]
	v_add_f64 v[35:36], -v[31:32], 1.0
	v_fma_f64 v[46:47], v[1:2], v[46:47], s[56:57]
	v_add_f64 v[27:28], v[35:36], -v[27:28]
	v_fma_f64 v[46:47], v[1:2], v[46:47], s[58:59]
	v_mul_f64 v[35:36], v[1:2], v[1:2]
	v_fma_f64 v[27:28], v[9:10], -v[11:12], v[27:28]
	v_fma_f64 v[46:47], v[1:2], v[46:47], s[44:45]
	v_fma_f64 v[27:28], v[35:36], v[46:47], v[27:28]
	v_mul_f64 v[46:47], v[9:10], -v[1:2]
	v_add_f64 v[27:28], v[31:32], v[27:28]
	v_mov_b32_e32 v31, s60
	v_mov_b32_e32 v32, s61
	v_fma_f64 v[35:36], v[1:2], s[62:63], v[31:32]
	v_fma_f64 v[35:36], v[1:2], v[35:36], s[64:65]
	;; [unrolled: 1-line block ×5, first 2 shown]
	v_fma_f64 v[1:2], v[1:2], v[35:36], -v[11:12]
	v_fma_f64 v[1:2], v[46:47], s[92:93], v[1:2]
	v_add_f64 v[1:2], v[9:10], -v[1:2]
	v_and_b32_e32 v9, 1, v43
	v_cmp_eq_u32_e32 vcc, 0, v9
	v_lshlrev_b32_e32 v9, 30, v43
	v_and_b32_e32 v9, 0x80000000, v9
	v_xor_b32_e32 v2, 0x80000000, v2
	v_cndmask_b32_e32 v1, v1, v27, vcc
	v_cndmask_b32_e32 v2, v2, v28, vcc
	v_cmp_class_f64_e64 vcc, v[3:4], s75
	v_xor_b32_e32 v2, v2, v9
	v_and_b32_e32 v3, 1, v42
	v_cmp_eq_u32_e64 s[0:1], 0, v3
	v_lshlrev_b32_e32 v3, 30, v42
	v_xor_b32_e32 v3, v3, v4
	v_and_b32_e32 v3, 0x80000000, v3
	v_cndmask_b32_e32 v9, 0, v1, vcc
	v_cndmask_b32_e32 v10, v41, v2, vcc
	v_mul_f64 v[1:2], v[29:30], v[29:30]
	v_mul_f64 v[11:12], v[1:2], 0.5
	v_fma_f64 v[43:44], v[1:2], s[52:53], v[44:45]
	v_add_f64 v[27:28], -v[11:12], 1.0
	v_fma_f64 v[43:44], v[1:2], v[43:44], s[54:55]
	v_add_f64 v[35:36], -v[27:28], 1.0
	v_fma_f64 v[43:44], v[1:2], v[43:44], s[56:57]
	v_add_f64 v[11:12], v[35:36], -v[11:12]
	v_fma_f64 v[43:44], v[1:2], v[43:44], s[58:59]
	v_mul_f64 v[35:36], v[1:2], v[1:2]
	v_fma_f64 v[11:12], v[29:30], -v[33:34], v[11:12]
	v_fma_f64 v[43:44], v[1:2], v[43:44], s[44:45]
	v_fma_f64 v[11:12], v[35:36], v[43:44], v[11:12]
	v_mul_f64 v[35:36], v[33:34], 0.5
	v_add_f64 v[11:12], v[27:28], v[11:12]
	v_fma_f64 v[27:28], v[1:2], s[62:63], v[31:32]
	v_mul_f64 v[31:32], v[29:30], -v[1:2]
	v_fma_f64 v[27:28], v[1:2], v[27:28], s[64:65]
	v_fma_f64 v[27:28], v[1:2], v[27:28], s[66:67]
	;; [unrolled: 1-line block ×4, first 2 shown]
	v_fma_f64 v[1:2], v[1:2], v[27:28], -v[33:34]
	v_fma_f64 v[1:2], v[31:32], s[92:93], v[1:2]
	v_add_f64 v[1:2], v[29:30], -v[1:2]
	v_cndmask_b32_e64 v2, v12, v2, s[0:1]
	v_cndmask_b32_e64 v1, v11, v1, s[0:1]
	v_xor_b32_e32 v2, v2, v3
	v_cndmask_b32_e32 v11, 0, v1, vcc
	v_cndmask_b32_e32 v12, v41, v2, vcc
.LBB131_177:                            ;   in Loop: Header=BB131_4 Depth=1
	s_or_b64 exec, exec, s[2:3]
                                        ; implicit-def: $vgpr1_vgpr2
.LBB131_178:                            ;   in Loop: Header=BB131_4 Depth=1
	s_andn2_saveexec_b64 s[2:3], s[10:11]
	s_cbranch_execz .LBB131_3
; %bb.179:                              ;   in Loop: Header=BB131_4 Depth=1
	v_mul_f64 v[9:10], v[1:2], s[24:25]
	s_mov_b32 s85, s43
	s_mov_b32 s87, s45
	v_cmp_nlt_f64_e32 vcc, s[88:89], v[1:2]
	v_cmp_ngt_f64_e64 s[0:1], s[90:91], v[1:2]
	v_rndne_f64_e32 v[9:10], v[9:10]
	v_fma_f64 v[11:12], v[9:10], s[26:27], v[1:2]
	v_fma_f64 v[11:12], v[9:10], s[28:29], v[11:12]
	v_cvt_i32_f64_e32 v9, v[9:10]
	v_fma_f64 v[27:28], v[11:12], s[30:31], v[23:24]
	v_fma_f64 v[27:28], v[11:12], v[27:28], s[34:35]
	;; [unrolled: 1-line block ×9, first 2 shown]
	v_fma_f64 v[27:28], v[11:12], v[27:28], 1.0
	v_fma_f64 v[11:12], v[11:12], v[27:28], 1.0
	v_ldexp_f64 v[9:10], v[11:12], v9
	v_mov_b32_e32 v12, v4
	v_mov_b32_e32 v11, v3
	v_cndmask_b32_e32 v10, v40, v10, vcc
	s_and_b64 vcc, s[0:1], vcc
	v_cndmask_b32_e64 v10, 0, v10, s[0:1]
	v_cndmask_b32_e32 v9, 0, v9, vcc
	s_branch .LBB131_3
.LBB131_180:
	v_readlane_b32 s0, v65, 0
	v_readlane_b32 s1, v65, 1
	s_or_b64 exec, exec, s[0:1]
	s_mov_b64 s[0:1], 0
.LBB131_181:
	s_andn2_b64 vcc, exec, s[0:1]
	s_cbranch_vccnz .LBB131_377
; %bb.182:
	v_cmp_lt_i64_e64 s[0:1], s[6:7], 1
	s_and_b64 vcc, exec, s[0:1]
	s_cbranch_vccnz .LBB131_377
; %bb.183:
	v_mov_b32_e32 v1, 0x10000
	s_load_dword s2, s[4:5], 0xc5c
	v_mov_b32_e32 v2, 0
	v_cmp_lt_i64_e32 vcc, s[6:7], v[1:2]
	s_mov_b32 s20, 0x54442d18
	s_and_b64 s[0:1], vcc, exec
	v_cmp_lt_u64_e32 vcc, s[6:7], v[1:2]
	s_cselect_b32 s17, s7, 0
	s_cselect_b32 s16, s6, 0x10000
	s_waitcnt lgkmcnt(0)
	s_and_b32 s33, s2, 0xffff
	s_and_b64 s[0:1], vcc, exec
	s_mov_b32 s24, 0x33145c00
	s_mov_b32 s28, 0x652b82fe
	;; [unrolled: 1-line block ×23, first 2 shown]
	v_mov_b32_e32 v21, 0
	s_cselect_b32 s19, s7, 0
	s_cselect_b32 s18, s6, 0x10000
	s_lshl_b32 s54, s33, 1
	s_lshl_b32 s55, s33, 2
	s_mov_b32 s21, 0xbff921fb
	s_mov_b32 s25, 0xbc91a626
	;; [unrolled: 1-line block ×22, first 2 shown]
	v_mov_b32_e32 v43, 0x40100000
	v_mov_b32_e32 v44, 0x3ff00000
	;; [unrolled: 1-line block ×6, first 2 shown]
	s_mov_b64 s[74:75], 0
	s_mov_b32 s83, 0x3ff921fb
	s_mov_b32 s85, 0x3c91a626
	;; [unrolled: 1-line block ×8, first 2 shown]
	s_branch .LBB131_185
.LBB131_184:                            ;   in Loop: Header=BB131_185 Depth=1
	s_or_b64 exec, exec, s[0:1]
	s_add_u32 s74, s74, s55
	v_mov_b32_e32 v1, s16
	s_addc_u32 s75, s75, 0
	v_mov_b32_e32 v2, s17
	v_cmp_ge_i64_e32 vcc, s[74:75], v[1:2]
	s_cbranch_vccnz .LBB131_377
.LBB131_185:                            ; =>This Inner Loop Header: Depth=1
	v_mov_b32_e32 v1, s75
	v_add_co_u32_e32 v25, vcc, s74, v0
	v_addc_co_u32_e32 v26, vcc, 0, v1, vcc
	v_cmp_gt_u64_e32 vcc, s[18:19], v[25:26]
	v_mov_b32_e32 v19, 0
	v_mov_b32_e32 v15, 0
	;; [unrolled: 1-line block ×6, first 2 shown]
	s_and_saveexec_b64 s[2:3], vcc
	s_cbranch_execz .LBB131_187
; %bb.186:                              ;   in Loop: Header=BB131_185 Depth=1
	v_lshlrev_b64 v[1:2], 4, v[25:26]
	v_mov_b32_e32 v3, s13
	v_add_co_u32_e64 v1, s[0:1], s12, v1
	v_addc_co_u32_e64 v2, s[0:1], v3, v2, s[0:1]
	global_load_dwordx4 v[13:16], v[1:2], off
.LBB131_187:                            ;   in Loop: Header=BB131_185 Depth=1
	s_or_b64 exec, exec, s[2:3]
	v_add_co_u32_e64 v27, s[0:1], s33, v25
	v_addc_co_u32_e64 v28, s[0:1], 0, v26, s[0:1]
	v_cmp_gt_u64_e64 s[0:1], s[18:19], v[27:28]
	v_mov_b32_e32 v17, 0
	v_mov_b32_e32 v18, 0
	s_and_saveexec_b64 s[4:5], s[0:1]
	s_cbranch_execz .LBB131_189
; %bb.188:                              ;   in Loop: Header=BB131_185 Depth=1
	v_lshlrev_b64 v[1:2], 4, v[27:28]
	v_mov_b32_e32 v3, s13
	v_add_co_u32_e64 v1, s[2:3], s12, v1
	v_addc_co_u32_e64 v2, s[2:3], v3, v2, s[2:3]
	global_load_dwordx4 v[17:20], v[1:2], off
.LBB131_189:                            ;   in Loop: Header=BB131_185 Depth=1
	s_or_b64 exec, exec, s[4:5]
	v_add_co_u32_e64 v29, s[2:3], s54, v25
	v_addc_co_u32_e64 v30, s[2:3], 0, v26, s[2:3]
	v_cmp_gt_u64_e64 s[2:3], s[18:19], v[29:30]
	v_mov_b32_e32 v3, 0
	v_mov_b32_e32 v11, 0
	;; [unrolled: 1-line block ×6, first 2 shown]
	s_and_saveexec_b64 s[6:7], s[2:3]
	s_cbranch_execz .LBB131_191
; %bb.190:                              ;   in Loop: Header=BB131_185 Depth=1
	v_lshlrev_b64 v[1:2], 4, v[29:30]
	v_mov_b32_e32 v5, s13
	v_add_co_u32_e64 v1, s[4:5], s12, v1
	v_addc_co_u32_e64 v2, s[4:5], v5, v2, s[4:5]
	global_load_dwordx4 v[9:12], v[1:2], off
.LBB131_191:                            ;   in Loop: Header=BB131_185 Depth=1
	s_or_b64 exec, exec, s[6:7]
	s_mul_i32 s4, s33, 3
	v_add_co_u32_e64 v31, s[4:5], s4, v25
	v_addc_co_u32_e64 v32, s[4:5], 0, v26, s[4:5]
	v_cmp_gt_u64_e64 s[4:5], s[18:19], v[31:32]
	v_mov_b32_e32 v1, 0
	v_mov_b32_e32 v2, 0
	s_and_saveexec_b64 s[8:9], s[4:5]
	s_cbranch_execz .LBB131_193
; %bb.192:                              ;   in Loop: Header=BB131_185 Depth=1
	v_lshlrev_b64 v[1:2], 4, v[31:32]
	v_mov_b32_e32 v3, s13
	v_add_co_u32_e64 v1, s[6:7], s12, v1
	v_addc_co_u32_e64 v2, s[6:7], v3, v2, s[6:7]
	global_load_dwordx4 v[1:4], v[1:2], off
.LBB131_193:                            ;   in Loop: Header=BB131_185 Depth=1
	s_or_b64 exec, exec, s[8:9]
	s_waitcnt vmcnt(0)
	v_and_b32_e32 v39, 0x7fffffff, v16
	v_or_b32_e32 v5, v39, v15
	v_cmp_ne_u32_e64 s[6:7], 0, v5
                                        ; implicit-def: $vgpr7_vgpr8
	s_and_saveexec_b64 s[8:9], s[6:7]
	s_xor_b64 s[14:15], exec, s[8:9]
	s_cbranch_execz .LBB131_234
; %bb.194:                              ;   in Loop: Header=BB131_185 Depth=1
	v_and_b32_e32 v22, 0x7fffffff, v14
	v_or_b32_e32 v5, v22, v13
	v_cmp_ne_u32_e64 s[6:7], 0, v5
                                        ; implicit-def: $vgpr7_vgpr8
	s_and_saveexec_b64 s[8:9], s[6:7]
	s_xor_b64 s[26:27], exec, s[8:9]
	s_cbranch_execz .LBB131_223
; %bb.195:                              ;   in Loop: Header=BB131_185 Depth=1
	s_mov_b32 s6, 0x7ff00000
	v_cmp_gt_u32_e64 s[6:7], s6, v39
                                        ; implicit-def: $vgpr7_vgpr8
	s_and_saveexec_b64 s[8:9], s[6:7]
	s_xor_b64 s[76:77], exec, s[8:9]
	s_cbranch_execz .LBB131_216
; %bb.196:                              ;   in Loop: Header=BB131_185 Depth=1
	v_add_u32_e32 v5, 0xbf79d1be, v14
	s_mov_b32 s6, 0x108aa2
	v_cmp_lt_u32_e64 s[6:7], s6, v5
                                        ; implicit-def: $vgpr7_vgpr8
	s_and_saveexec_b64 s[8:9], s[6:7]
	s_xor_b64 s[10:11], exec, s[8:9]
	s_cbranch_execz .LBB131_206
; %bb.197:                              ;   in Loop: Header=BB131_185 Depth=1
	s_mov_b32 s6, 0
	s_mov_b32 s7, 0x41d00000
	v_cmp_nlt_f64_e64 s[78:79], |v[15:16]|, s[6:7]
                                        ; implicit-def: $vgpr40
                                        ; implicit-def: $vgpr5_vgpr6
                                        ; implicit-def: $vgpr37_vgpr38
	s_and_saveexec_b64 s[6:7], s[78:79]
	s_xor_b64 s[80:81], exec, s[6:7]
	s_cbranch_execz .LBB131_199
; %bb.198:                              ;   in Loop: Header=BB131_185 Depth=1
	v_trig_preop_f64 v[5:6], |v[15:16]|, 0
	s_mov_b32 s6, 0
	s_mov_b32 s7, 0x7b000000
	s_movk_i32 s8, 0xff80
	v_cmp_ge_f64_e64 s[6:7], |v[15:16]|, s[6:7]
	v_ldexp_f64 v[33:34], |v[15:16]|, s8
	v_trig_preop_f64 v[7:8], |v[15:16]|, 1
	s_mov_b32 s82, s20
	s_mov_b32 s87, s85
	v_cndmask_b32_e64 v34, v39, v34, s[6:7]
	v_cndmask_b32_e64 v33, v15, v33, s[6:7]
	s_mov_b32 s6, 0
	v_mul_f64 v[37:38], v[5:6], v[33:34]
	s_mov_b32 s7, 0x7ff00000
	v_mul_f64 v[35:36], v[7:8], v[33:34]
	v_fma_f64 v[5:6], v[5:6], v[33:34], -v[37:38]
	v_fma_f64 v[7:8], v[7:8], v[33:34], -v[35:36]
	v_add_f64 v[40:41], v[35:36], v[5:6]
	v_add_f64 v[53:54], v[40:41], -v[35:36]
	v_add_f64 v[47:48], v[37:38], v[40:41]
	v_add_f64 v[5:6], v[5:6], -v[53:54]
	v_add_f64 v[53:54], v[40:41], -v[53:54]
	v_ldexp_f64 v[49:50], v[47:48], -2
	v_add_f64 v[37:38], v[47:48], -v[37:38]
	v_add_f64 v[53:54], v[35:36], -v[53:54]
	v_trig_preop_f64 v[35:36], |v[15:16]|, 2
	v_fract_f64_e32 v[51:52], v[49:50]
	v_add_f64 v[37:38], v[40:41], -v[37:38]
	v_cmp_neq_f64_e64 s[6:7], |v[49:50]|, s[6:7]
	v_add_f64 v[5:6], v[5:6], v[53:54]
	v_mul_f64 v[53:54], v[35:36], v[33:34]
	v_add_f64 v[55:56], v[53:54], v[7:8]
	v_add_f64 v[57:58], v[55:56], v[5:6]
	v_add_f64 v[47:48], v[57:58], -v[55:56]
	v_add_f64 v[40:41], v[37:38], v[57:58]
	v_add_f64 v[5:6], v[5:6], -v[47:48]
	v_add_f64 v[47:48], v[57:58], -v[47:48]
	;; [unrolled: 1-line block ×5, first 2 shown]
	v_add_f64 v[5:6], v[5:6], v[47:48]
	v_add_f64 v[47:48], v[55:56], -v[53:54]
	v_add_f64 v[7:8], v[7:8], -v[47:48]
	v_add_f64 v[47:48], v[55:56], -v[47:48]
	v_add_f64 v[47:48], v[53:54], -v[47:48]
	v_add_f64 v[7:8], v[7:8], v[47:48]
	v_add_f64 v[5:6], v[7:8], v[5:6]
	v_fma_f64 v[7:8], v[35:36], v[33:34], -v[53:54]
	v_add_f64 v[5:6], v[7:8], v[5:6]
	v_ldexp_f64 v[7:8], v[51:52], 2
	v_add_f64 v[5:6], v[37:38], v[5:6]
	v_cndmask_b32_e64 v8, 0, v8, s[6:7]
	v_cndmask_b32_e64 v7, 0, v7, s[6:7]
	v_add_f64 v[33:34], v[40:41], v[7:8]
	v_cmp_gt_f64_e64 s[6:7], 0, v[33:34]
	v_cndmask_b32_e64 v22, 0, v43, s[6:7]
	v_add_f64 v[7:8], v[7:8], v[21:22]
	v_add_f64 v[33:34], v[40:41], v[7:8]
	v_cvt_i32_f64_e32 v22, v[33:34]
	v_cvt_f64_i32_e32 v[33:34], v22
	v_add_f64 v[7:8], v[7:8], -v[33:34]
	v_add_f64 v[33:34], v[40:41], v[7:8]
	v_add_f64 v[7:8], v[33:34], -v[7:8]
	v_cmp_le_f64_e64 s[6:7], 0.5, v[33:34]
	v_add_f64 v[7:8], v[40:41], -v[7:8]
	v_addc_co_u32_e64 v40, s[8:9], 0, v22, s[6:7]
	v_cndmask_b32_e64 v22, 0, v44, s[6:7]
	v_add_f64 v[5:6], v[5:6], v[7:8]
	v_add_f64 v[7:8], v[33:34], -v[21:22]
	v_add_f64 v[33:34], v[7:8], v[5:6]
	v_add_f64 v[7:8], v[33:34], -v[7:8]
	v_add_f64 v[5:6], v[5:6], -v[7:8]
	v_mul_f64 v[7:8], v[33:34], s[82:83]
	v_fma_f64 v[35:36], v[33:34], s[82:83], -v[7:8]
	v_fma_f64 v[33:34], v[33:34], s[86:87], v[35:36]
	v_fma_f64 v[33:34], v[5:6], s[82:83], v[33:34]
	v_add_f64 v[5:6], v[7:8], v[33:34]
	v_add_f64 v[7:8], v[5:6], -v[7:8]
	v_add_f64 v[37:38], v[33:34], -v[7:8]
	s_andn2_saveexec_b64 s[6:7], s[80:81]
	s_cbranch_execz .LBB131_201
	s_branch .LBB131_200
.LBB131_199:                            ;   in Loop: Header=BB131_185 Depth=1
	s_andn2_saveexec_b64 s[6:7], s[80:81]
	s_cbranch_execz .LBB131_201
.LBB131_200:                            ;   in Loop: Header=BB131_185 Depth=1
	s_mov_b32 s8, 0x6dc9c883
	s_mov_b32 s9, 0x3fe45f30
	v_mul_f64 v[5:6], |v[15:16]|, s[8:9]
	s_mov_b32 s84, s24
	s_mov_b32 s8, 0x252049c0
	;; [unrolled: 1-line block ×3, first 2 shown]
	v_rndne_f64_e32 v[7:8], v[5:6]
	v_fma_f64 v[5:6], v[7:8], s[20:21], |v[15:16]|
	v_mul_f64 v[33:34], v[7:8], s[24:25]
	v_fma_f64 v[40:41], v[7:8], s[24:25], v[5:6]
	v_add_f64 v[35:36], v[5:6], v[33:34]
	v_add_f64 v[37:38], v[5:6], -v[35:36]
	v_add_f64 v[35:36], v[35:36], -v[40:41]
	v_add_f64 v[5:6], v[37:38], v[33:34]
	v_fma_f64 v[33:34], v[7:8], s[84:85], v[33:34]
	v_add_f64 v[5:6], v[35:36], v[5:6]
	v_add_f64 v[5:6], v[5:6], -v[33:34]
	v_fma_f64 v[33:34], v[7:8], s[8:9], v[5:6]
	v_add_f64 v[5:6], v[40:41], v[33:34]
	v_add_f64 v[35:36], v[5:6], -v[40:41]
	v_cvt_i32_f64_e32 v40, v[7:8]
	v_add_f64 v[37:38], v[33:34], -v[35:36]
.LBB131_201:                            ;   in Loop: Header=BB131_185 Depth=1
	s_or_b64 exec, exec, s[6:7]
                                        ; implicit-def: $vgpr41
                                        ; implicit-def: $vgpr33_vgpr34
                                        ; implicit-def: $vgpr35_vgpr36
	s_and_saveexec_b64 s[6:7], s[78:79]
	s_xor_b64 s[78:79], exec, s[6:7]
	s_cbranch_execz .LBB131_203
; %bb.202:                              ;   in Loop: Header=BB131_185 Depth=1
	v_trig_preop_f64 v[7:8], |v[15:16]|, 0
	s_mov_b32 s6, 0
	s_mov_b32 s7, 0x7b000000
	s_movk_i32 s8, 0xff80
	v_cmp_ge_f64_e64 s[6:7], |v[15:16]|, s[6:7]
	v_ldexp_f64 v[35:36], |v[15:16]|, s8
	v_trig_preop_f64 v[33:34], |v[15:16]|, 1
	s_mov_b32 s82, s20
	s_mov_b32 s87, s85
	v_cndmask_b32_e64 v36, v39, v36, s[6:7]
	v_cndmask_b32_e64 v35, v15, v35, s[6:7]
	s_mov_b32 s6, 0
	v_mul_f64 v[47:48], v[7:8], v[35:36]
	s_mov_b32 s7, 0x7ff00000
	v_mul_f64 v[41:42], v[33:34], v[35:36]
	v_fma_f64 v[7:8], v[7:8], v[35:36], -v[47:48]
	v_fma_f64 v[33:34], v[33:34], v[35:36], -v[41:42]
	v_add_f64 v[49:50], v[41:42], v[7:8]
	v_add_f64 v[57:58], v[49:50], -v[41:42]
	v_add_f64 v[51:52], v[47:48], v[49:50]
	v_add_f64 v[7:8], v[7:8], -v[57:58]
	v_add_f64 v[57:58], v[49:50], -v[57:58]
	v_ldexp_f64 v[53:54], v[51:52], -2
	v_add_f64 v[47:48], v[51:52], -v[47:48]
	v_add_f64 v[57:58], v[41:42], -v[57:58]
	v_trig_preop_f64 v[41:42], |v[15:16]|, 2
	v_fract_f64_e32 v[55:56], v[53:54]
	v_add_f64 v[47:48], v[49:50], -v[47:48]
	v_cmp_neq_f64_e64 s[6:7], |v[53:54]|, s[6:7]
	v_add_f64 v[7:8], v[7:8], v[57:58]
	v_mul_f64 v[57:58], v[41:42], v[35:36]
	v_add_f64 v[59:60], v[57:58], v[33:34]
	v_add_f64 v[61:62], v[59:60], v[7:8]
	v_add_f64 v[51:52], v[61:62], -v[59:60]
	v_add_f64 v[49:50], v[47:48], v[61:62]
	v_add_f64 v[7:8], v[7:8], -v[51:52]
	v_add_f64 v[51:52], v[61:62], -v[51:52]
	;; [unrolled: 1-line block ×5, first 2 shown]
	v_add_f64 v[7:8], v[7:8], v[51:52]
	v_add_f64 v[51:52], v[59:60], -v[57:58]
	v_add_f64 v[33:34], v[33:34], -v[51:52]
	;; [unrolled: 1-line block ×4, first 2 shown]
	v_add_f64 v[33:34], v[33:34], v[51:52]
	v_add_f64 v[7:8], v[33:34], v[7:8]
	v_fma_f64 v[33:34], v[41:42], v[35:36], -v[57:58]
	v_add_f64 v[7:8], v[33:34], v[7:8]
	v_ldexp_f64 v[33:34], v[55:56], 2
	v_add_f64 v[7:8], v[47:48], v[7:8]
	v_cndmask_b32_e64 v34, 0, v34, s[6:7]
	v_cndmask_b32_e64 v33, 0, v33, s[6:7]
	v_add_f64 v[35:36], v[49:50], v[33:34]
	v_cmp_gt_f64_e64 s[6:7], 0, v[35:36]
	v_cndmask_b32_e64 v22, 0, v43, s[6:7]
	v_add_f64 v[33:34], v[33:34], v[21:22]
	v_add_f64 v[35:36], v[49:50], v[33:34]
	v_cvt_i32_f64_e32 v22, v[35:36]
	v_cvt_f64_i32_e32 v[35:36], v22
	v_add_f64 v[33:34], v[33:34], -v[35:36]
	v_add_f64 v[35:36], v[49:50], v[33:34]
	v_add_f64 v[33:34], v[35:36], -v[33:34]
	v_cmp_le_f64_e64 s[6:7], 0.5, v[35:36]
	v_add_f64 v[33:34], v[49:50], -v[33:34]
	v_addc_co_u32_e64 v41, s[8:9], 0, v22, s[6:7]
	v_cndmask_b32_e64 v22, 0, v44, s[6:7]
	v_add_f64 v[7:8], v[7:8], v[33:34]
	v_add_f64 v[33:34], v[35:36], -v[21:22]
	v_add_f64 v[35:36], v[33:34], v[7:8]
	v_add_f64 v[33:34], v[35:36], -v[33:34]
	v_mul_f64 v[47:48], v[35:36], s[82:83]
	v_add_f64 v[7:8], v[7:8], -v[33:34]
	v_fma_f64 v[33:34], v[35:36], s[82:83], -v[47:48]
	v_fma_f64 v[33:34], v[35:36], s[86:87], v[33:34]
	v_fma_f64 v[7:8], v[7:8], s[82:83], v[33:34]
	v_add_f64 v[33:34], v[47:48], v[7:8]
	v_add_f64 v[35:36], v[33:34], -v[47:48]
	v_add_f64 v[35:36], v[7:8], -v[35:36]
	s_andn2_saveexec_b64 s[6:7], s[78:79]
	s_cbranch_execnz .LBB131_204
	s_branch .LBB131_205
.LBB131_203:                            ;   in Loop: Header=BB131_185 Depth=1
	s_andn2_saveexec_b64 s[6:7], s[78:79]
	s_cbranch_execz .LBB131_205
.LBB131_204:                            ;   in Loop: Header=BB131_185 Depth=1
	s_mov_b32 s8, 0x6dc9c883
	s_mov_b32 s9, 0x3fe45f30
	v_mul_f64 v[7:8], |v[15:16]|, s[8:9]
	s_mov_b32 s84, s24
	s_mov_b32 s8, 0x252049c0
	;; [unrolled: 1-line block ×3, first 2 shown]
	v_rndne_f64_e32 v[7:8], v[7:8]
	v_fma_f64 v[33:34], v[7:8], s[20:21], |v[15:16]|
	v_mul_f64 v[35:36], v[7:8], s[24:25]
	v_fma_f64 v[49:50], v[7:8], s[24:25], v[33:34]
	v_add_f64 v[41:42], v[33:34], v[35:36]
	v_add_f64 v[47:48], v[33:34], -v[41:42]
	v_add_f64 v[41:42], v[41:42], -v[49:50]
	v_add_f64 v[33:34], v[47:48], v[35:36]
	v_fma_f64 v[35:36], v[7:8], s[84:85], v[35:36]
	v_add_f64 v[33:34], v[41:42], v[33:34]
	v_add_f64 v[33:34], v[33:34], -v[35:36]
	v_fma_f64 v[35:36], v[7:8], s[8:9], v[33:34]
	v_add_f64 v[33:34], v[49:50], v[35:36]
	v_add_f64 v[41:42], v[33:34], -v[49:50]
	v_add_f64 v[35:36], v[35:36], -v[41:42]
	v_cvt_i32_f64_e32 v41, v[7:8]
.LBB131_205:                            ;   in Loop: Header=BB131_185 Depth=1
	s_or_b64 exec, exec, s[6:7]
	v_mul_f64 v[7:8], v[13:14], s[28:29]
	s_mov_b32 s89, s47
	s_mov_b32 s91, s73
	v_cmp_nlt_f64_e64 s[6:7], s[92:93], v[13:14]
	v_cmp_ngt_f64_e64 s[8:9], s[94:95], v[13:14]
	v_mul_f64 v[57:58], v[37:38], 0.5
	s_mov_b32 s48, s72
	v_and_b32_e32 v22, 1, v40
	v_rndne_f64_e32 v[7:8], v[7:8]
	v_fma_f64 v[47:48], v[7:8], s[30:31], v[13:14]
	v_fma_f64 v[47:48], v[7:8], s[34:35], v[47:48]
	v_cvt_i32_f64_e32 v7, v[7:8]
	v_fma_f64 v[49:50], v[47:48], s[36:37], v[23:24]
	v_fma_f64 v[49:50], v[47:48], v[49:50], s[38:39]
	;; [unrolled: 1-line block ×9, first 2 shown]
	v_fma_f64 v[49:50], v[47:48], v[49:50], 1.0
	v_fma_f64 v[47:48], v[47:48], v[49:50], 1.0
	v_ldexp_f64 v[7:8], v[47:48], v7
	v_mul_f64 v[47:48], v[5:6], v[5:6]
	v_cndmask_b32_e64 v8, v45, v8, s[6:7]
	s_and_b64 s[6:7], s[8:9], s[6:7]
	v_cndmask_b32_e64 v7, 0, v7, s[6:7]
	s_mov_b32 s6, 0x9037ab78
	s_mov_b32 s7, 0x3e21eeb6
	v_mov_b32_e32 v54, s7
	v_mov_b32_e32 v53, s6
	v_mul_f64 v[13:14], v[47:48], 0.5
	v_fma_f64 v[55:56], v[47:48], s[56:57], v[53:54]
	v_cmp_eq_u32_e64 s[6:7], 0, v22
	v_lshlrev_b32_e32 v22, 30, v40
	v_mul_f64 v[39:40], v[33:34], v[33:34]
	v_cndmask_b32_e64 v8, 0, v8, s[8:9]
	v_and_b32_e32 v22, 0x80000000, v22
	v_add_f64 v[49:50], -v[13:14], 1.0
	v_fma_f64 v[55:56], v[47:48], v[55:56], s[58:59]
	v_add_f64 v[51:52], -v[49:50], 1.0
	v_fma_f64 v[55:56], v[47:48], v[55:56], s[60:61]
	v_add_f64 v[13:14], v[51:52], -v[13:14]
	v_fma_f64 v[55:56], v[47:48], v[55:56], s[62:63]
	v_mul_f64 v[51:52], v[47:48], v[47:48]
	v_fma_f64 v[13:14], v[5:6], -v[37:38], v[13:14]
	v_fma_f64 v[55:56], v[47:48], v[55:56], s[72:73]
	v_fma_f64 v[13:14], v[51:52], v[55:56], v[13:14]
	v_mul_f64 v[55:56], v[5:6], -v[47:48]
	v_add_f64 v[49:50], v[49:50], v[13:14]
	v_mov_b32_e32 v13, s64
	v_mov_b32_e32 v14, s65
	v_fma_f64 v[51:52], v[47:48], s[66:67], v[13:14]
	v_fma_f64 v[13:14], v[39:40], s[66:67], v[13:14]
	;; [unrolled: 1-line block ×9, first 2 shown]
	v_fma_f64 v[37:38], v[47:48], v[51:52], -v[37:38]
	v_fma_f64 v[51:52], v[39:40], s[56:57], v[53:54]
	v_fma_f64 v[37:38], v[55:56], s[48:49], v[37:38]
	;; [unrolled: 1-line block ×3, first 2 shown]
	v_add_f64 v[5:6], v[5:6], -v[37:38]
	v_mul_f64 v[37:38], v[39:40], 0.5
	v_fma_f64 v[51:52], v[39:40], v[51:52], s[60:61]
	v_xor_b32_e32 v6, 0x80000000, v6
	v_add_f64 v[47:48], -v[37:38], 1.0
	v_cndmask_b32_e64 v5, v5, v49, s[6:7]
	v_cndmask_b32_e64 v6, v6, v50, s[6:7]
	v_fma_f64 v[51:52], v[39:40], v[51:52], s[62:63]
	s_movk_i32 s6, 0x1f8
	v_cmp_class_f64_e64 s[6:7], v[15:16], s6
	v_and_b32_e32 v15, 1, v41
	v_cmp_eq_u32_e64 s[8:9], 0, v15
	v_add_f64 v[49:50], -v[47:48], 1.0
	v_lshlrev_b32_e32 v15, 30, v41
	v_xor_b32_e32 v15, v15, v16
	v_fma_f64 v[51:52], v[39:40], v[51:52], s[72:73]
	v_and_b32_e32 v15, 0x80000000, v15
	v_xor_b32_e32 v6, v6, v22
	v_cndmask_b32_e64 v5, 0, v5, s[6:7]
	v_cndmask_b32_e64 v6, v46, v6, s[6:7]
	v_add_f64 v[37:38], v[49:50], -v[37:38]
	v_mul_f64 v[49:50], v[39:40], v[39:40]
	v_mul_f64 v[5:6], v[7:8], v[5:6]
	v_fma_f64 v[37:38], v[33:34], -v[35:36], v[37:38]
	v_fma_f64 v[37:38], v[49:50], v[51:52], v[37:38]
	v_mul_f64 v[49:50], v[35:36], 0.5
	v_add_f64 v[37:38], v[47:48], v[37:38]
	v_mul_f64 v[47:48], v[33:34], -v[39:40]
	v_fma_f64 v[13:14], v[47:48], v[13:14], v[49:50]
	v_fma_f64 v[13:14], v[39:40], v[13:14], -v[35:36]
                                        ; implicit-def: $vgpr39
	v_fma_f64 v[13:14], v[47:48], s[48:49], v[13:14]
	v_add_f64 v[13:14], v[33:34], -v[13:14]
	v_cndmask_b32_e64 v14, v38, v14, s[8:9]
	v_cndmask_b32_e64 v13, v37, v13, s[8:9]
	v_xor_b32_e32 v14, v14, v15
	v_cndmask_b32_e64 v13, 0, v13, s[6:7]
	v_cndmask_b32_e64 v14, v46, v14, s[6:7]
	v_mul_f64 v[7:8], v[7:8], v[13:14]
                                        ; implicit-def: $vgpr15_vgpr16
.LBB131_206:                            ;   in Loop: Header=BB131_185 Depth=1
	s_andn2_saveexec_b64 s[78:79], s[10:11]
	s_cbranch_execz .LBB131_242
; %bb.207:                              ;   in Loop: Header=BB131_185 Depth=1
	s_mov_b32 s6, 0
	s_mov_b32 s7, 0x41d00000
	v_cmp_nlt_f64_e64 s[10:11], |v[15:16]|, s[6:7]
                                        ; implicit-def: $vgpr41
                                        ; implicit-def: $vgpr5_vgpr6
                                        ; implicit-def: $vgpr35_vgpr36
	s_and_saveexec_b64 s[6:7], s[10:11]
	s_xor_b64 s[80:81], exec, s[6:7]
	s_cbranch_execz .LBB131_209
; %bb.208:                              ;   in Loop: Header=BB131_185 Depth=1
	v_trig_preop_f64 v[5:6], |v[15:16]|, 0
	s_mov_b32 s6, 0
	s_mov_b32 s7, 0x7b000000
	s_movk_i32 s8, 0xff80
	v_cmp_ge_f64_e64 s[6:7], |v[15:16]|, s[6:7]
	v_ldexp_f64 v[33:34], |v[15:16]|, s8
	v_trig_preop_f64 v[7:8], |v[15:16]|, 1
	s_mov_b32 s82, s20
	s_mov_b32 s87, s85
	v_cndmask_b32_e64 v34, v39, v34, s[6:7]
	v_cndmask_b32_e64 v33, v15, v33, s[6:7]
	s_mov_b32 s6, 0
	v_mul_f64 v[37:38], v[5:6], v[33:34]
	s_mov_b32 s7, 0x7ff00000
	v_mul_f64 v[35:36], v[7:8], v[33:34]
	v_fma_f64 v[5:6], v[5:6], v[33:34], -v[37:38]
	v_fma_f64 v[7:8], v[7:8], v[33:34], -v[35:36]
	v_add_f64 v[40:41], v[35:36], v[5:6]
	v_add_f64 v[53:54], v[40:41], -v[35:36]
	v_add_f64 v[47:48], v[37:38], v[40:41]
	v_add_f64 v[5:6], v[5:6], -v[53:54]
	v_add_f64 v[53:54], v[40:41], -v[53:54]
	v_ldexp_f64 v[49:50], v[47:48], -2
	v_add_f64 v[37:38], v[47:48], -v[37:38]
	v_add_f64 v[53:54], v[35:36], -v[53:54]
	v_trig_preop_f64 v[35:36], |v[15:16]|, 2
	v_fract_f64_e32 v[51:52], v[49:50]
	v_add_f64 v[37:38], v[40:41], -v[37:38]
	v_cmp_neq_f64_e64 s[6:7], |v[49:50]|, s[6:7]
	v_add_f64 v[5:6], v[5:6], v[53:54]
	v_mul_f64 v[53:54], v[35:36], v[33:34]
	v_add_f64 v[55:56], v[53:54], v[7:8]
	v_add_f64 v[57:58], v[55:56], v[5:6]
	v_add_f64 v[47:48], v[57:58], -v[55:56]
	v_add_f64 v[40:41], v[37:38], v[57:58]
	v_add_f64 v[5:6], v[5:6], -v[47:48]
	v_add_f64 v[47:48], v[57:58], -v[47:48]
	;; [unrolled: 1-line block ×5, first 2 shown]
	v_add_f64 v[5:6], v[5:6], v[47:48]
	v_add_f64 v[47:48], v[55:56], -v[53:54]
	v_add_f64 v[7:8], v[7:8], -v[47:48]
	;; [unrolled: 1-line block ×4, first 2 shown]
	v_add_f64 v[7:8], v[7:8], v[47:48]
	v_add_f64 v[5:6], v[7:8], v[5:6]
	v_fma_f64 v[7:8], v[35:36], v[33:34], -v[53:54]
	v_add_f64 v[5:6], v[7:8], v[5:6]
	v_ldexp_f64 v[7:8], v[51:52], 2
	v_add_f64 v[5:6], v[37:38], v[5:6]
	v_cndmask_b32_e64 v8, 0, v8, s[6:7]
	v_cndmask_b32_e64 v7, 0, v7, s[6:7]
	v_add_f64 v[33:34], v[40:41], v[7:8]
	v_cmp_gt_f64_e64 s[6:7], 0, v[33:34]
	v_cndmask_b32_e64 v22, 0, v43, s[6:7]
	v_add_f64 v[7:8], v[7:8], v[21:22]
	v_add_f64 v[33:34], v[40:41], v[7:8]
	v_cvt_i32_f64_e32 v22, v[33:34]
	v_cvt_f64_i32_e32 v[33:34], v22
	v_add_f64 v[7:8], v[7:8], -v[33:34]
	v_add_f64 v[33:34], v[40:41], v[7:8]
	v_add_f64 v[7:8], v[33:34], -v[7:8]
	v_cmp_le_f64_e64 s[6:7], 0.5, v[33:34]
	v_add_f64 v[7:8], v[40:41], -v[7:8]
	v_addc_co_u32_e64 v41, s[8:9], 0, v22, s[6:7]
	v_cndmask_b32_e64 v22, 0, v44, s[6:7]
	v_add_f64 v[5:6], v[5:6], v[7:8]
	v_add_f64 v[7:8], v[33:34], -v[21:22]
	v_add_f64 v[33:34], v[7:8], v[5:6]
	v_add_f64 v[7:8], v[33:34], -v[7:8]
	v_add_f64 v[5:6], v[5:6], -v[7:8]
	v_mul_f64 v[7:8], v[33:34], s[82:83]
	v_fma_f64 v[35:36], v[33:34], s[82:83], -v[7:8]
	v_fma_f64 v[33:34], v[33:34], s[86:87], v[35:36]
	v_fma_f64 v[33:34], v[5:6], s[82:83], v[33:34]
	v_add_f64 v[5:6], v[7:8], v[33:34]
	v_add_f64 v[7:8], v[5:6], -v[7:8]
	v_add_f64 v[35:36], v[33:34], -v[7:8]
	s_andn2_saveexec_b64 s[6:7], s[80:81]
	s_cbranch_execz .LBB131_211
	s_branch .LBB131_210
.LBB131_209:                            ;   in Loop: Header=BB131_185 Depth=1
	s_andn2_saveexec_b64 s[6:7], s[80:81]
	s_cbranch_execz .LBB131_211
.LBB131_210:                            ;   in Loop: Header=BB131_185 Depth=1
	s_mov_b32 s8, 0x6dc9c883
	s_mov_b32 s9, 0x3fe45f30
	v_mul_f64 v[5:6], |v[15:16]|, s[8:9]
	s_mov_b32 s84, s24
	s_mov_b32 s8, 0x252049c0
	;; [unrolled: 1-line block ×3, first 2 shown]
	v_rndne_f64_e32 v[7:8], v[5:6]
	v_fma_f64 v[5:6], v[7:8], s[20:21], |v[15:16]|
	v_mul_f64 v[33:34], v[7:8], s[24:25]
	v_fma_f64 v[40:41], v[7:8], s[24:25], v[5:6]
	v_add_f64 v[35:36], v[5:6], v[33:34]
	v_add_f64 v[37:38], v[5:6], -v[35:36]
	v_add_f64 v[35:36], v[35:36], -v[40:41]
	v_add_f64 v[5:6], v[37:38], v[33:34]
	v_fma_f64 v[33:34], v[7:8], s[84:85], v[33:34]
	v_add_f64 v[5:6], v[35:36], v[5:6]
	v_add_f64 v[5:6], v[5:6], -v[33:34]
	v_fma_f64 v[33:34], v[7:8], s[8:9], v[5:6]
	v_add_f64 v[5:6], v[40:41], v[33:34]
	v_add_f64 v[35:36], v[5:6], -v[40:41]
	v_cvt_i32_f64_e32 v41, v[7:8]
	v_add_f64 v[35:36], v[33:34], -v[35:36]
.LBB131_211:                            ;   in Loop: Header=BB131_185 Depth=1
	s_or_b64 exec, exec, s[6:7]
                                        ; implicit-def: $vgpr47
                                        ; implicit-def: $vgpr7_vgpr8
                                        ; implicit-def: $vgpr33_vgpr34
	s_and_saveexec_b64 s[6:7], s[10:11]
	s_xor_b64 s[10:11], exec, s[6:7]
	s_cbranch_execz .LBB131_213
; %bb.212:                              ;   in Loop: Header=BB131_185 Depth=1
	v_trig_preop_f64 v[7:8], |v[15:16]|, 0
	s_mov_b32 s6, 0
	s_mov_b32 s7, 0x7b000000
	s_movk_i32 s8, 0xff80
	v_cmp_ge_f64_e64 s[6:7], |v[15:16]|, s[6:7]
	v_ldexp_f64 v[37:38], |v[15:16]|, s8
	v_trig_preop_f64 v[33:34], |v[15:16]|, 1
	s_mov_b32 s82, s20
	s_mov_b32 s87, s85
	v_cndmask_b32_e64 v38, v39, v38, s[6:7]
	v_cndmask_b32_e64 v37, v15, v37, s[6:7]
	s_mov_b32 s6, 0
	v_mul_f64 v[47:48], v[7:8], v[37:38]
	s_mov_b32 s7, 0x7ff00000
	v_mul_f64 v[39:40], v[33:34], v[37:38]
	v_fma_f64 v[7:8], v[7:8], v[37:38], -v[47:48]
	v_fma_f64 v[33:34], v[33:34], v[37:38], -v[39:40]
	v_add_f64 v[49:50], v[39:40], v[7:8]
	v_add_f64 v[57:58], v[49:50], -v[39:40]
	v_add_f64 v[51:52], v[47:48], v[49:50]
	v_add_f64 v[7:8], v[7:8], -v[57:58]
	v_add_f64 v[57:58], v[49:50], -v[57:58]
	v_ldexp_f64 v[53:54], v[51:52], -2
	v_add_f64 v[47:48], v[51:52], -v[47:48]
	v_add_f64 v[57:58], v[39:40], -v[57:58]
	v_trig_preop_f64 v[39:40], |v[15:16]|, 2
	v_fract_f64_e32 v[55:56], v[53:54]
	v_add_f64 v[47:48], v[49:50], -v[47:48]
	v_cmp_neq_f64_e64 s[6:7], |v[53:54]|, s[6:7]
	v_add_f64 v[7:8], v[7:8], v[57:58]
	v_mul_f64 v[57:58], v[39:40], v[37:38]
	v_add_f64 v[59:60], v[57:58], v[33:34]
	v_add_f64 v[61:62], v[59:60], v[7:8]
	v_add_f64 v[51:52], v[61:62], -v[59:60]
	v_add_f64 v[49:50], v[47:48], v[61:62]
	v_add_f64 v[7:8], v[7:8], -v[51:52]
	v_add_f64 v[51:52], v[61:62], -v[51:52]
	;; [unrolled: 1-line block ×5, first 2 shown]
	v_add_f64 v[7:8], v[7:8], v[51:52]
	v_add_f64 v[51:52], v[59:60], -v[57:58]
	v_add_f64 v[33:34], v[33:34], -v[51:52]
	;; [unrolled: 1-line block ×4, first 2 shown]
	v_add_f64 v[33:34], v[33:34], v[51:52]
	v_add_f64 v[7:8], v[33:34], v[7:8]
	v_fma_f64 v[33:34], v[39:40], v[37:38], -v[57:58]
	v_add_f64 v[7:8], v[33:34], v[7:8]
	v_ldexp_f64 v[33:34], v[55:56], 2
	v_add_f64 v[7:8], v[47:48], v[7:8]
	v_cndmask_b32_e64 v34, 0, v34, s[6:7]
	v_cndmask_b32_e64 v33, 0, v33, s[6:7]
	v_add_f64 v[37:38], v[49:50], v[33:34]
	v_cmp_gt_f64_e64 s[6:7], 0, v[37:38]
	v_cndmask_b32_e64 v22, 0, v43, s[6:7]
	v_add_f64 v[33:34], v[33:34], v[21:22]
	v_add_f64 v[37:38], v[49:50], v[33:34]
	v_cvt_i32_f64_e32 v22, v[37:38]
	v_cvt_f64_i32_e32 v[37:38], v22
	v_add_f64 v[33:34], v[33:34], -v[37:38]
	v_add_f64 v[37:38], v[49:50], v[33:34]
	v_add_f64 v[33:34], v[37:38], -v[33:34]
	v_cmp_le_f64_e64 s[6:7], 0.5, v[37:38]
	v_add_f64 v[33:34], v[49:50], -v[33:34]
	v_addc_co_u32_e64 v47, s[8:9], 0, v22, s[6:7]
	v_cndmask_b32_e64 v22, 0, v44, s[6:7]
	v_add_f64 v[7:8], v[7:8], v[33:34]
	v_add_f64 v[33:34], v[37:38], -v[21:22]
	v_add_f64 v[37:38], v[33:34], v[7:8]
	v_add_f64 v[33:34], v[37:38], -v[33:34]
	v_add_f64 v[7:8], v[7:8], -v[33:34]
	v_mul_f64 v[33:34], v[37:38], s[82:83]
	v_fma_f64 v[39:40], v[37:38], s[82:83], -v[33:34]
	v_fma_f64 v[37:38], v[37:38], s[86:87], v[39:40]
	v_fma_f64 v[37:38], v[7:8], s[82:83], v[37:38]
	v_add_f64 v[7:8], v[33:34], v[37:38]
	v_add_f64 v[33:34], v[7:8], -v[33:34]
	v_add_f64 v[33:34], v[37:38], -v[33:34]
	s_andn2_saveexec_b64 s[6:7], s[10:11]
	s_cbranch_execnz .LBB131_214
	s_branch .LBB131_215
.LBB131_213:                            ;   in Loop: Header=BB131_185 Depth=1
	s_andn2_saveexec_b64 s[6:7], s[10:11]
	s_cbranch_execz .LBB131_215
.LBB131_214:                            ;   in Loop: Header=BB131_185 Depth=1
	s_mov_b32 s8, 0x6dc9c883
	s_mov_b32 s9, 0x3fe45f30
	v_mul_f64 v[7:8], |v[15:16]|, s[8:9]
	s_mov_b32 s84, s24
	s_mov_b32 s8, 0x252049c0
	;; [unrolled: 1-line block ×3, first 2 shown]
	v_rndne_f64_e32 v[37:38], v[7:8]
	v_fma_f64 v[7:8], v[37:38], s[20:21], |v[15:16]|
	v_mul_f64 v[33:34], v[37:38], s[24:25]
	v_fma_f64 v[49:50], v[37:38], s[24:25], v[7:8]
	v_add_f64 v[39:40], v[7:8], v[33:34]
	v_add_f64 v[47:48], v[7:8], -v[39:40]
	v_add_f64 v[39:40], v[39:40], -v[49:50]
	v_add_f64 v[7:8], v[47:48], v[33:34]
	v_fma_f64 v[33:34], v[37:38], s[84:85], v[33:34]
	v_cvt_i32_f64_e32 v47, v[37:38]
	v_add_f64 v[7:8], v[39:40], v[7:8]
	v_add_f64 v[7:8], v[7:8], -v[33:34]
	v_fma_f64 v[33:34], v[37:38], s[8:9], v[7:8]
	v_add_f64 v[7:8], v[49:50], v[33:34]
	v_add_f64 v[39:40], v[7:8], -v[49:50]
	v_add_f64 v[33:34], v[33:34], -v[39:40]
.LBB131_215:                            ;   in Loop: Header=BB131_185 Depth=1
	s_or_b64 exec, exec, s[6:7]
	v_mul_f64 v[48:49], v[5:6], v[5:6]
	s_mov_b32 s10, 0x9037ab78
	s_mov_b32 s11, 0x3e21eeb6
	v_mov_b32_e32 v40, s11
	v_mov_b32_e32 v39, s10
	s_mov_b32 s48, s72
	s_movk_i32 s6, 0x1f8
	v_cmp_class_f64_e64 s[6:7], v[15:16], s6
	v_mul_f64 v[37:38], v[48:49], 0.5
	v_fma_f64 v[54:55], v[48:49], s[56:57], v[39:40]
	v_mul_f64 v[52:53], v[48:49], v[48:49]
	v_and_b32_e32 v15, 1, v41
	v_cmp_eq_u32_e64 s[8:9], 0, v15
	v_lshlrev_b32_e32 v15, 30, v41
	s_mov_b32 s89, s47
	s_mov_b32 s91, s73
	v_add_f64 v[50:51], -v[37:38], 1.0
	v_fma_f64 v[54:55], v[48:49], v[54:55], s[58:59]
	v_and_b32_e32 v15, 0x80000000, v15
	v_add_f64 v[56:57], -v[50:51], 1.0
	v_fma_f64 v[54:55], v[48:49], v[54:55], s[60:61]
	v_add_f64 v[37:38], v[56:57], -v[37:38]
	v_fma_f64 v[54:55], v[48:49], v[54:55], s[62:63]
	v_mul_f64 v[56:57], v[35:36], 0.5
	v_fma_f64 v[37:38], v[5:6], -v[35:36], v[37:38]
	v_fma_f64 v[54:55], v[48:49], v[54:55], s[72:73]
	v_fma_f64 v[37:38], v[52:53], v[54:55], v[37:38]
	v_mul_f64 v[52:53], v[5:6], -v[48:49]
	v_add_f64 v[50:51], v[50:51], v[37:38]
	v_mov_b32_e32 v37, s64
	v_mov_b32_e32 v38, s65
	v_fma_f64 v[54:55], v[48:49], s[66:67], v[37:38]
	v_fma_f64 v[54:55], v[48:49], v[54:55], s[68:69]
	;; [unrolled: 1-line block ×5, first 2 shown]
	v_fma_f64 v[35:36], v[48:49], v[54:55], -v[35:36]
	v_fma_f64 v[35:36], v[52:53], s[48:49], v[35:36]
	v_add_f64 v[5:6], v[5:6], -v[35:36]
	v_xor_b32_e32 v6, 0x80000000, v6
	v_cndmask_b32_e64 v5, v5, v50, s[8:9]
	v_cndmask_b32_e64 v6, v6, v51, s[8:9]
	s_mov_b32 s8, 0x19ba0da4
	s_mov_b32 s9, 0xc0937be3
	v_add_f64 v[13:14], v[13:14], s[8:9]
	v_xor_b32_e32 v6, v6, v15
	v_cndmask_b32_e64 v5, 0, v5, s[6:7]
	v_cndmask_b32_e64 v6, v46, v6, s[6:7]
	v_mul_f64 v[35:36], v[13:14], s[28:29]
	v_cmp_nlt_f64_e64 s[8:9], s[92:93], v[13:14]
	v_cmp_ngt_f64_e64 s[10:11], s[94:95], v[13:14]
	v_rndne_f64_e32 v[35:36], v[35:36]
	v_fma_f64 v[41:42], v[35:36], s[30:31], v[13:14]
	v_cvt_i32_f64_e32 v15, v[35:36]
	v_fma_f64 v[41:42], v[35:36], s[34:35], v[41:42]
	v_fma_f64 v[48:49], v[41:42], s[36:37], v[23:24]
	;; [unrolled: 1-line block ×10, first 2 shown]
	v_fma_f64 v[48:49], v[41:42], v[48:49], 1.0
	v_fma_f64 v[41:42], v[41:42], v[48:49], 1.0
	v_ldexp_f64 v[35:36], v[41:42], v15
	v_mul_f64 v[41:42], v[7:8], v[7:8]
	v_cndmask_b32_e64 v15, v45, v36, s[8:9]
	v_mul_f64 v[48:49], v[41:42], 0.5
	v_fma_f64 v[39:40], v[41:42], s[56:57], v[39:40]
	v_fma_f64 v[37:38], v[41:42], s[66:67], v[37:38]
	s_and_b64 s[8:9], s[10:11], s[8:9]
	v_cndmask_b32_e64 v13, 0, v15, s[10:11]
	v_and_b32_e32 v15, 1, v47
	v_cndmask_b32_e64 v35, 0, v35, s[8:9]
	v_cmp_eq_u32_e64 s[8:9], 0, v15
	v_add_f64 v[50:51], -v[48:49], 1.0
	v_fma_f64 v[39:40], v[41:42], v[39:40], s[58:59]
	v_fma_f64 v[37:38], v[41:42], v[37:38], s[68:69]
	v_lshlrev_b32_e32 v15, 30, v47
	v_xor_b32_e32 v15, v15, v16
	v_and_b32_e32 v15, 0x80000000, v15
	v_and_b32_e32 v14, 0xfffff, v13
	v_or_b32_e32 v36, 0x7fe00000, v14
	v_add_f64 v[52:53], -v[50:51], 1.0
	v_fma_f64 v[39:40], v[41:42], v[39:40], s[60:61]
	v_fma_f64 v[37:38], v[41:42], v[37:38], s[70:71]
	v_mul_f64 v[5:6], v[35:36], v[5:6]
	v_lshrrev_b32_e32 v13, 20, v13
	v_add_u32_e32 v13, 0xffffff09, v13
	v_lshrrev_b16_e32 v14, 15, v13
	v_add_u16_e32 v14, v13, v14
	v_add_f64 v[48:49], v[52:53], -v[48:49]
	v_fma_f64 v[39:40], v[41:42], v[39:40], s[62:63]
	v_mul_f64 v[52:53], v[41:42], v[41:42]
	v_fma_f64 v[37:38], v[41:42], v[37:38], s[46:47]
	v_ashrrev_i16_e32 v14, 1, v14
	v_bfe_i32 v14, v14, 0, 16
	v_lshl_add_u32 v22, v14, 20, v44
	v_mul_f64 v[5:6], v[5:6], v[21:22]
	v_fma_f64 v[48:49], v[7:8], -v[33:34], v[48:49]
	v_fma_f64 v[39:40], v[41:42], v[39:40], s[72:73]
	v_sub_u32_e32 v13, v13, v14
	v_lshl_add_u32 v14, v13, 20, v44
	v_mov_b32_e32 v13, v21
	v_mul_f64 v[5:6], v[5:6], v[13:14]
	v_fma_f64 v[39:40], v[52:53], v[39:40], v[48:49]
	v_mul_f64 v[48:49], v[7:8], -v[41:42]
	v_add_f64 v[39:40], v[50:51], v[39:40]
	v_mul_f64 v[50:51], v[33:34], 0.5
	v_fma_f64 v[37:38], v[48:49], v[37:38], v[50:51]
	v_fma_f64 v[33:34], v[41:42], v[37:38], -v[33:34]
	v_fma_f64 v[33:34], v[48:49], s[48:49], v[33:34]
	v_add_f64 v[7:8], v[7:8], -v[33:34]
	v_cndmask_b32_e64 v8, v40, v8, s[8:9]
	v_cndmask_b32_e64 v7, v39, v7, s[8:9]
	v_xor_b32_e32 v8, v8, v15
	v_cndmask_b32_e64 v7, 0, v7, s[6:7]
	v_cndmask_b32_e64 v8, v46, v8, s[6:7]
	v_mul_f64 v[7:8], v[35:36], v[7:8]
	v_mul_f64 v[7:8], v[7:8], v[21:22]
	;; [unrolled: 1-line block ×3, first 2 shown]
	s_or_b64 exec, exec, s[78:79]
                                        ; implicit-def: $vgpr13_vgpr14
                                        ; implicit-def: $vgpr22
.LBB131_216:                            ;   in Loop: Header=BB131_185 Depth=1
	s_andn2_saveexec_b64 s[10:11], s[76:77]
	s_cbranch_execz .LBB131_222
.LBB131_217:                            ;   in Loop: Header=BB131_185 Depth=1
	s_mov_b32 s8, 0x7ff00000
	v_cmp_ne_u32_e64 s[6:7], 0, v13
	v_cmp_ne_u32_e64 s[8:9], s8, v22
	s_or_b64 s[6:7], s[6:7], s[8:9]
                                        ; implicit-def: $vgpr7_vgpr8
	s_and_saveexec_b64 s[8:9], s[6:7]
	s_xor_b64 s[6:7], exec, s[8:9]
; %bb.218:                              ;   in Loop: Header=BB131_185 Depth=1
	v_add_f64 v[7:8], v[15:16], -v[15:16]
                                        ; implicit-def: $vgpr13_vgpr14
; %bb.219:                              ;   in Loop: Header=BB131_185 Depth=1
	s_or_saveexec_b64 s[8:9], s[6:7]
	v_mov_b32_e32 v5, v7
	v_mov_b32_e32 v6, v8
	s_xor_b64 exec, exec, s[8:9]
	s_cbranch_execz .LBB131_221
; %bb.220:                              ;   in Loop: Header=BB131_185 Depth=1
	v_add_f64 v[7:8], v[15:16], -v[15:16]
	v_cmp_lt_i64_e64 s[6:7], -1, v[13:14]
	v_cndmask_b32_e64 v6, 0, v14, s[6:7]
	v_cndmask_b32_e64 v5, 0, v13, s[6:7]
	;; [unrolled: 1-line block ×4, first 2 shown]
.LBB131_221:                            ;   in Loop: Header=BB131_185 Depth=1
	s_or_b64 exec, exec, s[8:9]
.LBB131_222:                            ;   in Loop: Header=BB131_185 Depth=1
	s_or_b64 exec, exec, s[10:11]
                                        ; implicit-def: $vgpr15_vgpr16
                                        ; implicit-def: $vgpr39
.LBB131_223:                            ;   in Loop: Header=BB131_185 Depth=1
	s_andn2_saveexec_b64 s[10:11], s[26:27]
	s_cbranch_execz .LBB131_233
; %bb.224:                              ;   in Loop: Header=BB131_185 Depth=1
	s_mov_b32 s6, 0
	s_mov_b32 s7, 0x41d00000
	v_cmp_nlt_f64_e64 s[8:9], |v[15:16]|, s[6:7]
                                        ; implicit-def: $vgpr38
                                        ; implicit-def: $vgpr5_vgpr6
                                        ; implicit-def: $vgpr13_vgpr14
	s_and_saveexec_b64 s[6:7], s[8:9]
	s_xor_b64 s[26:27], exec, s[6:7]
	s_cbranch_execz .LBB131_226
; %bb.225:                              ;   in Loop: Header=BB131_185 Depth=1
	v_trig_preop_f64 v[5:6], |v[15:16]|, 0
	s_movk_i32 s6, 0xff80
	v_ldexp_f64 v[7:8], |v[15:16]|, s6
	s_mov_b32 s6, 0
	s_mov_b32 s7, 0x7b000000
	v_cmp_ge_f64_e64 s[6:7], |v[15:16]|, s[6:7]
	v_trig_preop_f64 v[13:14], |v[15:16]|, 1
	v_trig_preop_f64 v[40:41], |v[15:16]|, 2
	s_mov_b32 s82, s20
	s_mov_b32 s87, s85
	v_cndmask_b32_e64 v8, v39, v8, s[6:7]
	v_cndmask_b32_e64 v7, v15, v7, s[6:7]
	s_mov_b32 s6, 0
	v_mul_f64 v[33:34], v[5:6], v[7:8]
	s_mov_b32 s7, 0x7ff00000
	v_mul_f64 v[35:36], v[13:14], v[7:8]
	v_mul_f64 v[51:52], v[40:41], v[7:8]
	v_fma_f64 v[5:6], v[5:6], v[7:8], -v[33:34]
	v_fma_f64 v[13:14], v[13:14], v[7:8], -v[35:36]
	;; [unrolled: 1-line block ×3, first 2 shown]
	v_add_f64 v[37:38], v[35:36], v[5:6]
	v_add_f64 v[47:48], v[37:38], -v[35:36]
	v_add_f64 v[53:54], v[33:34], v[37:38]
	v_add_f64 v[49:50], v[37:38], -v[47:48]
	v_add_f64 v[5:6], v[5:6], -v[47:48]
	v_add_f64 v[47:48], v[51:52], v[13:14]
	v_add_f64 v[33:34], v[53:54], -v[33:34]
	v_add_f64 v[35:36], v[35:36], -v[49:50]
	v_ldexp_f64 v[49:50], v[53:54], -2
	v_add_f64 v[55:56], v[47:48], -v[51:52]
	v_add_f64 v[33:34], v[37:38], -v[33:34]
	v_add_f64 v[5:6], v[5:6], v[35:36]
	v_fract_f64_e32 v[35:36], v[49:50]
	v_cmp_neq_f64_e64 s[6:7], |v[49:50]|, s[6:7]
	v_add_f64 v[13:14], v[13:14], -v[55:56]
	v_add_f64 v[37:38], v[47:48], v[5:6]
	v_ldexp_f64 v[35:36], v[35:36], 2
	v_add_f64 v[49:50], v[33:34], v[37:38]
	v_cndmask_b32_e64 v36, 0, v36, s[6:7]
	v_cndmask_b32_e64 v35, 0, v35, s[6:7]
	v_add_f64 v[57:58], v[37:38], -v[47:48]
	v_add_f64 v[53:54], v[49:50], v[35:36]
	v_add_f64 v[33:34], v[49:50], -v[33:34]
	v_add_f64 v[59:60], v[37:38], -v[57:58]
	v_add_f64 v[5:6], v[5:6], -v[57:58]
	v_cmp_gt_f64_e64 s[6:7], 0, v[53:54]
	v_add_f64 v[53:54], v[47:48], -v[55:56]
	v_add_f64 v[33:34], v[37:38], -v[33:34]
	;; [unrolled: 1-line block ×3, first 2 shown]
	v_cndmask_b32_e64 v22, 0, v43, s[6:7]
	v_add_f64 v[35:36], v[35:36], v[21:22]
	v_add_f64 v[53:54], v[51:52], -v[53:54]
	v_add_f64 v[5:6], v[5:6], v[47:48]
	v_add_f64 v[61:62], v[49:50], v[35:36]
	;; [unrolled: 1-line block ×3, first 2 shown]
	v_cvt_i32_f64_e32 v42, v[61:62]
	v_add_f64 v[5:6], v[13:14], v[5:6]
	v_cvt_f64_i32_e32 v[55:56], v42
	v_add_f64 v[35:36], v[35:36], -v[55:56]
	v_add_f64 v[5:6], v[7:8], v[5:6]
	v_add_f64 v[13:14], v[49:50], v[35:36]
	;; [unrolled: 1-line block ×3, first 2 shown]
	v_add_f64 v[7:8], v[13:14], -v[35:36]
	v_cmp_le_f64_e64 s[6:7], 0.5, v[13:14]
	v_add_f64 v[7:8], v[49:50], -v[7:8]
	v_cndmask_b32_e64 v22, 0, v44, s[6:7]
	v_addc_co_u32_e64 v38, s[6:7], 0, v42, s[6:7]
	v_add_f64 v[5:6], v[5:6], v[7:8]
	v_add_f64 v[7:8], v[13:14], -v[21:22]
	v_add_f64 v[13:14], v[7:8], v[5:6]
	v_mul_f64 v[33:34], v[13:14], s[82:83]
	v_add_f64 v[7:8], v[13:14], -v[7:8]
	v_fma_f64 v[35:36], v[13:14], s[82:83], -v[33:34]
	v_add_f64 v[5:6], v[5:6], -v[7:8]
	v_fma_f64 v[7:8], v[13:14], s[86:87], v[35:36]
	v_fma_f64 v[7:8], v[5:6], s[82:83], v[7:8]
	v_add_f64 v[5:6], v[33:34], v[7:8]
	v_add_f64 v[13:14], v[5:6], -v[33:34]
	v_add_f64 v[13:14], v[7:8], -v[13:14]
	s_andn2_saveexec_b64 s[6:7], s[26:27]
	s_cbranch_execz .LBB131_228
	s_branch .LBB131_227
.LBB131_226:                            ;   in Loop: Header=BB131_185 Depth=1
	s_andn2_saveexec_b64 s[6:7], s[26:27]
	s_cbranch_execz .LBB131_228
.LBB131_227:                            ;   in Loop: Header=BB131_185 Depth=1
	s_mov_b32 s26, 0x6dc9c883
	s_mov_b32 s27, 0x3fe45f30
	v_mul_f64 v[5:6], |v[15:16]|, s[26:27]
	s_mov_b32 s84, s24
	s_mov_b32 s26, 0x252049c0
	;; [unrolled: 1-line block ×3, first 2 shown]
	v_rndne_f64_e32 v[7:8], v[5:6]
	v_fma_f64 v[5:6], v[7:8], s[20:21], |v[15:16]|
	v_mul_f64 v[13:14], v[7:8], s[24:25]
	v_fma_f64 v[37:38], v[7:8], s[24:25], v[5:6]
	v_add_f64 v[33:34], v[5:6], v[13:14]
	v_add_f64 v[35:36], v[5:6], -v[33:34]
	v_add_f64 v[33:34], v[33:34], -v[37:38]
	v_add_f64 v[5:6], v[35:36], v[13:14]
	v_fma_f64 v[13:14], v[7:8], s[84:85], v[13:14]
	v_add_f64 v[5:6], v[33:34], v[5:6]
	v_add_f64 v[5:6], v[5:6], -v[13:14]
	v_fma_f64 v[13:14], v[7:8], s[26:27], v[5:6]
	v_add_f64 v[5:6], v[37:38], v[13:14]
	v_add_f64 v[33:34], v[5:6], -v[37:38]
	v_cvt_i32_f64_e32 v38, v[7:8]
	v_add_f64 v[13:14], v[13:14], -v[33:34]
.LBB131_228:                            ;   in Loop: Header=BB131_185 Depth=1
	s_or_b64 exec, exec, s[6:7]
                                        ; implicit-def: $vgpr37
                                        ; implicit-def: $vgpr7_vgpr8
                                        ; implicit-def: $vgpr33_vgpr34
	s_and_saveexec_b64 s[6:7], s[8:9]
	s_xor_b64 s[26:27], exec, s[6:7]
	s_cbranch_execz .LBB131_230
; %bb.229:                              ;   in Loop: Header=BB131_185 Depth=1
	v_trig_preop_f64 v[7:8], |v[15:16]|, 0
	s_mov_b32 s6, 0
	s_mov_b32 s7, 0x7b000000
	s_movk_i32 s8, 0xff80
	v_cmp_ge_f64_e64 s[6:7], |v[15:16]|, s[6:7]
	v_ldexp_f64 v[35:36], |v[15:16]|, s8
	v_trig_preop_f64 v[33:34], |v[15:16]|, 1
	s_mov_b32 s82, s20
	s_mov_b32 s87, s85
	v_cndmask_b32_e64 v36, v39, v36, s[6:7]
	v_cndmask_b32_e64 v35, v15, v35, s[6:7]
	s_mov_b32 s6, 0
	v_mul_f64 v[41:42], v[7:8], v[35:36]
	s_mov_b32 s7, 0x7ff00000
	v_mul_f64 v[39:40], v[33:34], v[35:36]
	v_fma_f64 v[7:8], v[7:8], v[35:36], -v[41:42]
	v_fma_f64 v[33:34], v[33:34], v[35:36], -v[39:40]
	v_add_f64 v[47:48], v[39:40], v[7:8]
	v_add_f64 v[55:56], v[47:48], -v[39:40]
	v_add_f64 v[49:50], v[41:42], v[47:48]
	v_add_f64 v[7:8], v[7:8], -v[55:56]
	v_add_f64 v[55:56], v[47:48], -v[55:56]
	v_ldexp_f64 v[51:52], v[49:50], -2
	v_add_f64 v[41:42], v[49:50], -v[41:42]
	v_add_f64 v[55:56], v[39:40], -v[55:56]
	v_trig_preop_f64 v[39:40], |v[15:16]|, 2
	v_fract_f64_e32 v[53:54], v[51:52]
	v_add_f64 v[41:42], v[47:48], -v[41:42]
	v_cmp_neq_f64_e64 s[6:7], |v[51:52]|, s[6:7]
	v_add_f64 v[7:8], v[7:8], v[55:56]
	v_mul_f64 v[55:56], v[39:40], v[35:36]
	v_add_f64 v[57:58], v[55:56], v[33:34]
	v_add_f64 v[59:60], v[57:58], v[7:8]
	v_add_f64 v[49:50], v[59:60], -v[57:58]
	v_add_f64 v[47:48], v[41:42], v[59:60]
	v_add_f64 v[7:8], v[7:8], -v[49:50]
	v_add_f64 v[49:50], v[59:60], -v[49:50]
	;; [unrolled: 1-line block ×5, first 2 shown]
	v_add_f64 v[7:8], v[7:8], v[49:50]
	v_add_f64 v[49:50], v[57:58], -v[55:56]
	v_add_f64 v[33:34], v[33:34], -v[49:50]
	;; [unrolled: 1-line block ×4, first 2 shown]
	v_add_f64 v[33:34], v[33:34], v[49:50]
	v_add_f64 v[7:8], v[33:34], v[7:8]
	v_fma_f64 v[33:34], v[39:40], v[35:36], -v[55:56]
	v_add_f64 v[7:8], v[33:34], v[7:8]
	v_ldexp_f64 v[33:34], v[53:54], 2
	v_add_f64 v[7:8], v[41:42], v[7:8]
	v_cndmask_b32_e64 v34, 0, v34, s[6:7]
	v_cndmask_b32_e64 v33, 0, v33, s[6:7]
	v_add_f64 v[35:36], v[47:48], v[33:34]
	v_cmp_gt_f64_e64 s[6:7], 0, v[35:36]
	v_cndmask_b32_e64 v22, 0, v43, s[6:7]
	v_add_f64 v[33:34], v[33:34], v[21:22]
	v_add_f64 v[35:36], v[47:48], v[33:34]
	v_cvt_i32_f64_e32 v22, v[35:36]
	v_cvt_f64_i32_e32 v[35:36], v22
	v_add_f64 v[33:34], v[33:34], -v[35:36]
	v_add_f64 v[35:36], v[47:48], v[33:34]
	v_add_f64 v[33:34], v[35:36], -v[33:34]
	v_cmp_le_f64_e64 s[6:7], 0.5, v[35:36]
	v_add_f64 v[33:34], v[47:48], -v[33:34]
	v_addc_co_u32_e64 v37, s[8:9], 0, v22, s[6:7]
	v_cndmask_b32_e64 v22, 0, v44, s[6:7]
	v_add_f64 v[7:8], v[7:8], v[33:34]
	v_add_f64 v[33:34], v[35:36], -v[21:22]
	v_add_f64 v[35:36], v[33:34], v[7:8]
	v_add_f64 v[33:34], v[35:36], -v[33:34]
	v_add_f64 v[7:8], v[7:8], -v[33:34]
	v_mul_f64 v[33:34], v[35:36], s[82:83]
	v_fma_f64 v[39:40], v[35:36], s[82:83], -v[33:34]
	v_fma_f64 v[35:36], v[35:36], s[86:87], v[39:40]
	v_fma_f64 v[35:36], v[7:8], s[82:83], v[35:36]
	v_add_f64 v[7:8], v[33:34], v[35:36]
	v_add_f64 v[33:34], v[7:8], -v[33:34]
	v_add_f64 v[33:34], v[35:36], -v[33:34]
	s_andn2_saveexec_b64 s[6:7], s[26:27]
	s_cbranch_execnz .LBB131_231
	s_branch .LBB131_232
.LBB131_230:                            ;   in Loop: Header=BB131_185 Depth=1
	s_andn2_saveexec_b64 s[6:7], s[26:27]
	s_cbranch_execz .LBB131_232
.LBB131_231:                            ;   in Loop: Header=BB131_185 Depth=1
	s_mov_b32 s8, 0x6dc9c883
	s_mov_b32 s9, 0x3fe45f30
	v_mul_f64 v[7:8], |v[15:16]|, s[8:9]
	s_mov_b32 s84, s24
	s_mov_b32 s8, 0x252049c0
	s_mov_b32 s9, 0xb97b839a
	v_rndne_f64_e32 v[35:36], v[7:8]
	v_fma_f64 v[7:8], v[35:36], s[20:21], |v[15:16]|
	v_mul_f64 v[33:34], v[35:36], s[24:25]
	v_cvt_i32_f64_e32 v37, v[35:36]
	v_fma_f64 v[47:48], v[35:36], s[24:25], v[7:8]
	v_add_f64 v[39:40], v[7:8], v[33:34]
	v_add_f64 v[41:42], v[7:8], -v[39:40]
	v_add_f64 v[39:40], v[39:40], -v[47:48]
	v_add_f64 v[7:8], v[41:42], v[33:34]
	v_fma_f64 v[33:34], v[35:36], s[84:85], v[33:34]
	v_add_f64 v[7:8], v[39:40], v[7:8]
	v_add_f64 v[7:8], v[7:8], -v[33:34]
	v_fma_f64 v[33:34], v[35:36], s[8:9], v[7:8]
	v_add_f64 v[7:8], v[47:48], v[33:34]
	v_add_f64 v[39:40], v[7:8], -v[47:48]
	v_add_f64 v[33:34], v[33:34], -v[39:40]
.LBB131_232:                            ;   in Loop: Header=BB131_185 Depth=1
	s_or_b64 exec, exec, s[6:7]
	v_mul_f64 v[39:40], v[5:6], v[5:6]
	s_mov_b32 s6, 0x9037ab78
	s_mov_b32 s7, 0x3e21eeb6
	v_mov_b32_e32 v50, s7
	v_mov_b32_e32 v49, s6
	v_mul_f64 v[53:54], v[13:14], 0.5
	s_mov_b32 s48, s72
	v_mul_f64 v[35:36], v[39:40], 0.5
	v_fma_f64 v[51:52], v[39:40], s[56:57], v[49:50]
	v_add_f64 v[41:42], -v[35:36], 1.0
	v_fma_f64 v[51:52], v[39:40], v[51:52], s[58:59]
	v_add_f64 v[47:48], -v[41:42], 1.0
	v_fma_f64 v[51:52], v[39:40], v[51:52], s[60:61]
	v_add_f64 v[35:36], v[47:48], -v[35:36]
	v_fma_f64 v[51:52], v[39:40], v[51:52], s[62:63]
	v_mul_f64 v[47:48], v[39:40], v[39:40]
	v_fma_f64 v[35:36], v[5:6], -v[13:14], v[35:36]
	v_fma_f64 v[51:52], v[39:40], v[51:52], s[72:73]
	v_fma_f64 v[35:36], v[47:48], v[51:52], v[35:36]
	v_mul_f64 v[51:52], v[5:6], -v[39:40]
	v_add_f64 v[41:42], v[41:42], v[35:36]
	v_mov_b32_e32 v35, s64
	v_mov_b32_e32 v36, s65
	v_fma_f64 v[47:48], v[39:40], s[66:67], v[35:36]
	v_fma_f64 v[47:48], v[39:40], v[47:48], s[68:69]
	v_fma_f64 v[47:48], v[39:40], v[47:48], s[70:71]
	v_fma_f64 v[47:48], v[39:40], v[47:48], s[46:47]
	v_fma_f64 v[47:48], v[51:52], v[47:48], v[53:54]
	v_fma_f64 v[13:14], v[39:40], v[47:48], -v[13:14]
	v_fma_f64 v[13:14], v[51:52], s[48:49], v[13:14]
	v_add_f64 v[5:6], v[5:6], -v[13:14]
	v_and_b32_e32 v13, 1, v38
	v_cmp_eq_u32_e64 s[6:7], 0, v13
	v_lshlrev_b32_e32 v13, 30, v38
	v_and_b32_e32 v13, 0x80000000, v13
	v_xor_b32_e32 v6, 0x80000000, v6
	v_cndmask_b32_e64 v6, v6, v42, s[6:7]
	v_xor_b32_e32 v6, v6, v13
	v_mul_f64 v[13:14], v[7:8], v[7:8]
	v_cndmask_b32_e64 v5, v5, v41, s[6:7]
	s_movk_i32 s6, 0x1f8
	v_cmp_class_f64_e64 s[6:7], v[15:16], s6
	v_mul_f64 v[38:39], v[13:14], 0.5
	v_fma_f64 v[49:50], v[13:14], s[56:57], v[49:50]
	v_fma_f64 v[35:36], v[13:14], s[66:67], v[35:36]
	v_cndmask_b32_e64 v5, 0, v5, s[6:7]
	v_cndmask_b32_e64 v6, v46, v6, s[6:7]
	v_add_f64 v[40:41], -v[38:39], 1.0
	v_fma_f64 v[49:50], v[13:14], v[49:50], s[58:59]
	v_fma_f64 v[35:36], v[13:14], v[35:36], s[68:69]
	v_add_f64 v[47:48], -v[40:41], 1.0
	v_fma_f64 v[49:50], v[13:14], v[49:50], s[60:61]
	v_fma_f64 v[35:36], v[13:14], v[35:36], s[70:71]
	v_add_f64 v[38:39], v[47:48], -v[38:39]
	v_fma_f64 v[49:50], v[13:14], v[49:50], s[62:63]
	v_mul_f64 v[47:48], v[13:14], v[13:14]
	v_fma_f64 v[35:36], v[13:14], v[35:36], s[46:47]
	v_fma_f64 v[38:39], v[7:8], -v[33:34], v[38:39]
	v_fma_f64 v[49:50], v[13:14], v[49:50], s[72:73]
	v_fma_f64 v[38:39], v[47:48], v[49:50], v[38:39]
	v_mul_f64 v[47:48], v[33:34], 0.5
	v_add_f64 v[38:39], v[40:41], v[38:39]
	v_mul_f64 v[40:41], v[7:8], -v[13:14]
	v_fma_f64 v[35:36], v[40:41], v[35:36], v[47:48]
	v_fma_f64 v[13:14], v[13:14], v[35:36], -v[33:34]
	v_fma_f64 v[13:14], v[40:41], s[48:49], v[13:14]
	v_add_f64 v[7:8], v[7:8], -v[13:14]
	v_and_b32_e32 v13, 1, v37
	v_cmp_eq_u32_e64 s[8:9], 0, v13
	v_lshlrev_b32_e32 v13, 30, v37
	v_xor_b32_e32 v13, v13, v16
	v_and_b32_e32 v13, 0x80000000, v13
	v_cndmask_b32_e64 v8, v39, v8, s[8:9]
	v_cndmask_b32_e64 v7, v38, v7, s[8:9]
	v_xor_b32_e32 v8, v8, v13
	v_cndmask_b32_e64 v7, 0, v7, s[6:7]
	v_cndmask_b32_e64 v8, v46, v8, s[6:7]
.LBB131_233:                            ;   in Loop: Header=BB131_185 Depth=1
	s_or_b64 exec, exec, s[10:11]
                                        ; implicit-def: $vgpr13_vgpr14
.LBB131_234:                            ;   in Loop: Header=BB131_185 Depth=1
	s_andn2_saveexec_b64 s[10:11], s[14:15]
	s_cbranch_execz .LBB131_236
; %bb.235:                              ;   in Loop: Header=BB131_185 Depth=1
	v_mul_f64 v[5:6], v[13:14], s[28:29]
	s_mov_b32 s89, s47
	s_mov_b32 s91, s73
	v_cmp_nlt_f64_e64 s[6:7], s[92:93], v[13:14]
	v_cmp_ngt_f64_e64 s[8:9], s[94:95], v[13:14]
	v_rndne_f64_e32 v[5:6], v[5:6]
	v_fma_f64 v[7:8], v[5:6], s[30:31], v[13:14]
	v_fma_f64 v[7:8], v[5:6], s[34:35], v[7:8]
	v_cvt_i32_f64_e32 v5, v[5:6]
	v_fma_f64 v[33:34], v[7:8], s[36:37], v[23:24]
	v_fma_f64 v[33:34], v[7:8], v[33:34], s[38:39]
	;; [unrolled: 1-line block ×9, first 2 shown]
	v_fma_f64 v[33:34], v[7:8], v[33:34], 1.0
	v_fma_f64 v[7:8], v[7:8], v[33:34], 1.0
	v_ldexp_f64 v[5:6], v[7:8], v5
	v_mov_b32_e32 v7, v15
	v_mov_b32_e32 v8, v16
	v_cndmask_b32_e64 v6, v45, v6, s[6:7]
	s_and_b64 s[6:7], s[8:9], s[6:7]
	v_cndmask_b32_e64 v6, 0, v6, s[8:9]
	v_cndmask_b32_e64 v5, 0, v5, s[6:7]
.LBB131_236:                            ;   in Loop: Header=BB131_185 Depth=1
	s_or_b64 exec, exec, s[10:11]
	v_and_b32_e32 v39, 0x7fffffff, v20
	v_or_b32_e32 v13, v39, v19
	v_cmp_ne_u32_e64 s[6:7], 0, v13
                                        ; implicit-def: $vgpr15_vgpr16
	s_and_saveexec_b64 s[8:9], s[6:7]
	s_xor_b64 s[14:15], exec, s[8:9]
	s_cbranch_execz .LBB131_279
; %bb.237:                              ;   in Loop: Header=BB131_185 Depth=1
	v_and_b32_e32 v22, 0x7fffffff, v18
	v_or_b32_e32 v13, v22, v17
	v_cmp_ne_u32_e64 s[6:7], 0, v13
                                        ; implicit-def: $vgpr15_vgpr16
	s_and_saveexec_b64 s[8:9], s[6:7]
	s_xor_b64 s[26:27], exec, s[8:9]
	s_cbranch_execz .LBB131_268
; %bb.238:                              ;   in Loop: Header=BB131_185 Depth=1
	s_mov_b32 s6, 0x7ff00000
	v_cmp_gt_u32_e64 s[6:7], s6, v39
                                        ; implicit-def: $vgpr15_vgpr16
	s_and_saveexec_b64 s[8:9], s[6:7]
	s_xor_b64 s[76:77], exec, s[8:9]
	s_cbranch_execz .LBB131_261
; %bb.239:                              ;   in Loop: Header=BB131_185 Depth=1
	v_add_u32_e32 v13, 0xbf79d1be, v18
	s_mov_b32 s6, 0x108aa2
	v_cmp_lt_u32_e64 s[6:7], s6, v13
                                        ; implicit-def: $vgpr15_vgpr16
	s_and_saveexec_b64 s[8:9], s[6:7]
	s_xor_b64 s[10:11], exec, s[8:9]
	s_cbranch_execz .LBB131_250
; %bb.240:                              ;   in Loop: Header=BB131_185 Depth=1
	s_mov_b32 s6, 0
	s_mov_b32 s7, 0x41d00000
	v_cmp_nlt_f64_e64 s[78:79], |v[19:20]|, s[6:7]
                                        ; implicit-def: $vgpr40
                                        ; implicit-def: $vgpr13_vgpr14
                                        ; implicit-def: $vgpr37_vgpr38
	s_and_saveexec_b64 s[6:7], s[78:79]
	s_xor_b64 s[80:81], exec, s[6:7]
	s_cbranch_execz .LBB131_243
; %bb.241:                              ;   in Loop: Header=BB131_185 Depth=1
	v_trig_preop_f64 v[13:14], |v[19:20]|, 0
	s_mov_b32 s6, 0
	s_mov_b32 s7, 0x7b000000
	s_movk_i32 s8, 0xff80
	v_cmp_ge_f64_e64 s[6:7], |v[19:20]|, s[6:7]
	v_ldexp_f64 v[33:34], |v[19:20]|, s8
	v_trig_preop_f64 v[15:16], |v[19:20]|, 1
	s_mov_b32 s82, s20
	s_mov_b32 s87, s85
	v_cndmask_b32_e64 v34, v39, v34, s[6:7]
	v_cndmask_b32_e64 v33, v19, v33, s[6:7]
	s_mov_b32 s6, 0
	v_mul_f64 v[37:38], v[13:14], v[33:34]
	s_mov_b32 s7, 0x7ff00000
	v_mul_f64 v[35:36], v[15:16], v[33:34]
	v_fma_f64 v[13:14], v[13:14], v[33:34], -v[37:38]
	v_fma_f64 v[15:16], v[15:16], v[33:34], -v[35:36]
	v_add_f64 v[40:41], v[35:36], v[13:14]
	v_add_f64 v[53:54], v[40:41], -v[35:36]
	v_add_f64 v[47:48], v[37:38], v[40:41]
	v_add_f64 v[13:14], v[13:14], -v[53:54]
	v_add_f64 v[53:54], v[40:41], -v[53:54]
	v_ldexp_f64 v[49:50], v[47:48], -2
	v_add_f64 v[37:38], v[47:48], -v[37:38]
	v_add_f64 v[53:54], v[35:36], -v[53:54]
	v_trig_preop_f64 v[35:36], |v[19:20]|, 2
	v_fract_f64_e32 v[51:52], v[49:50]
	v_add_f64 v[37:38], v[40:41], -v[37:38]
	v_cmp_neq_f64_e64 s[6:7], |v[49:50]|, s[6:7]
	v_add_f64 v[13:14], v[13:14], v[53:54]
	v_mul_f64 v[53:54], v[35:36], v[33:34]
	v_add_f64 v[55:56], v[53:54], v[15:16]
	v_add_f64 v[57:58], v[55:56], v[13:14]
	v_add_f64 v[47:48], v[57:58], -v[55:56]
	v_add_f64 v[40:41], v[37:38], v[57:58]
	v_add_f64 v[13:14], v[13:14], -v[47:48]
	v_add_f64 v[47:48], v[57:58], -v[47:48]
	;; [unrolled: 1-line block ×5, first 2 shown]
	v_add_f64 v[13:14], v[13:14], v[47:48]
	v_add_f64 v[47:48], v[55:56], -v[53:54]
	v_add_f64 v[15:16], v[15:16], -v[47:48]
	;; [unrolled: 1-line block ×4, first 2 shown]
	v_add_f64 v[15:16], v[15:16], v[47:48]
	v_add_f64 v[13:14], v[15:16], v[13:14]
	v_fma_f64 v[15:16], v[35:36], v[33:34], -v[53:54]
	v_add_f64 v[13:14], v[15:16], v[13:14]
	v_ldexp_f64 v[15:16], v[51:52], 2
	v_add_f64 v[13:14], v[37:38], v[13:14]
	v_cndmask_b32_e64 v16, 0, v16, s[6:7]
	v_cndmask_b32_e64 v15, 0, v15, s[6:7]
	v_add_f64 v[33:34], v[40:41], v[15:16]
	v_cmp_gt_f64_e64 s[6:7], 0, v[33:34]
	v_cndmask_b32_e64 v22, 0, v43, s[6:7]
	v_add_f64 v[15:16], v[15:16], v[21:22]
	v_add_f64 v[33:34], v[40:41], v[15:16]
	v_cvt_i32_f64_e32 v22, v[33:34]
	v_cvt_f64_i32_e32 v[33:34], v22
	v_add_f64 v[15:16], v[15:16], -v[33:34]
	v_add_f64 v[33:34], v[40:41], v[15:16]
	v_add_f64 v[15:16], v[33:34], -v[15:16]
	v_cmp_le_f64_e64 s[6:7], 0.5, v[33:34]
	v_add_f64 v[15:16], v[40:41], -v[15:16]
	v_addc_co_u32_e64 v40, s[8:9], 0, v22, s[6:7]
	v_cndmask_b32_e64 v22, 0, v44, s[6:7]
	v_add_f64 v[13:14], v[13:14], v[15:16]
	v_add_f64 v[15:16], v[33:34], -v[21:22]
	v_add_f64 v[33:34], v[15:16], v[13:14]
	v_add_f64 v[15:16], v[33:34], -v[15:16]
	v_add_f64 v[13:14], v[13:14], -v[15:16]
	v_mul_f64 v[15:16], v[33:34], s[82:83]
	v_fma_f64 v[35:36], v[33:34], s[82:83], -v[15:16]
	v_fma_f64 v[33:34], v[33:34], s[86:87], v[35:36]
	v_fma_f64 v[33:34], v[13:14], s[82:83], v[33:34]
	v_add_f64 v[13:14], v[15:16], v[33:34]
	v_add_f64 v[15:16], v[13:14], -v[15:16]
	v_add_f64 v[37:38], v[33:34], -v[15:16]
	s_andn2_saveexec_b64 s[6:7], s[80:81]
	s_cbranch_execz .LBB131_245
	s_branch .LBB131_244
.LBB131_242:                            ;   in Loop: Header=BB131_185 Depth=1
	s_or_b64 exec, exec, s[78:79]
                                        ; implicit-def: $vgpr13_vgpr14
                                        ; implicit-def: $vgpr22
	s_andn2_saveexec_b64 s[10:11], s[76:77]
	s_cbranch_execnz .LBB131_217
	s_branch .LBB131_222
.LBB131_243:                            ;   in Loop: Header=BB131_185 Depth=1
	s_andn2_saveexec_b64 s[6:7], s[80:81]
	s_cbranch_execz .LBB131_245
.LBB131_244:                            ;   in Loop: Header=BB131_185 Depth=1
	s_mov_b32 s8, 0x6dc9c883
	s_mov_b32 s9, 0x3fe45f30
	v_mul_f64 v[13:14], |v[19:20]|, s[8:9]
	s_mov_b32 s84, s24
	s_mov_b32 s8, 0x252049c0
	;; [unrolled: 1-line block ×3, first 2 shown]
	v_rndne_f64_e32 v[15:16], v[13:14]
	v_fma_f64 v[13:14], v[15:16], s[20:21], |v[19:20]|
	v_mul_f64 v[33:34], v[15:16], s[24:25]
	v_fma_f64 v[40:41], v[15:16], s[24:25], v[13:14]
	v_add_f64 v[35:36], v[13:14], v[33:34]
	v_add_f64 v[37:38], v[13:14], -v[35:36]
	v_add_f64 v[35:36], v[35:36], -v[40:41]
	v_add_f64 v[13:14], v[37:38], v[33:34]
	v_fma_f64 v[33:34], v[15:16], s[84:85], v[33:34]
	v_add_f64 v[13:14], v[35:36], v[13:14]
	v_add_f64 v[13:14], v[13:14], -v[33:34]
	v_fma_f64 v[33:34], v[15:16], s[8:9], v[13:14]
	v_add_f64 v[13:14], v[40:41], v[33:34]
	v_add_f64 v[35:36], v[13:14], -v[40:41]
	v_cvt_i32_f64_e32 v40, v[15:16]
	v_add_f64 v[37:38], v[33:34], -v[35:36]
.LBB131_245:                            ;   in Loop: Header=BB131_185 Depth=1
	s_or_b64 exec, exec, s[6:7]
                                        ; implicit-def: $vgpr41
                                        ; implicit-def: $vgpr33_vgpr34
                                        ; implicit-def: $vgpr35_vgpr36
	s_and_saveexec_b64 s[6:7], s[78:79]
	s_xor_b64 s[78:79], exec, s[6:7]
	s_cbranch_execz .LBB131_247
; %bb.246:                              ;   in Loop: Header=BB131_185 Depth=1
	v_trig_preop_f64 v[15:16], |v[19:20]|, 0
	s_mov_b32 s6, 0
	s_mov_b32 s7, 0x7b000000
	s_movk_i32 s8, 0xff80
	v_cmp_ge_f64_e64 s[6:7], |v[19:20]|, s[6:7]
	v_ldexp_f64 v[35:36], |v[19:20]|, s8
	v_trig_preop_f64 v[33:34], |v[19:20]|, 1
	s_mov_b32 s82, s20
	s_mov_b32 s87, s85
	v_cndmask_b32_e64 v36, v39, v36, s[6:7]
	v_cndmask_b32_e64 v35, v19, v35, s[6:7]
	s_mov_b32 s6, 0
	v_mul_f64 v[47:48], v[15:16], v[35:36]
	s_mov_b32 s7, 0x7ff00000
	v_mul_f64 v[41:42], v[33:34], v[35:36]
	v_fma_f64 v[15:16], v[15:16], v[35:36], -v[47:48]
	v_fma_f64 v[33:34], v[33:34], v[35:36], -v[41:42]
	v_add_f64 v[49:50], v[41:42], v[15:16]
	v_add_f64 v[57:58], v[49:50], -v[41:42]
	v_add_f64 v[51:52], v[47:48], v[49:50]
	v_add_f64 v[15:16], v[15:16], -v[57:58]
	v_add_f64 v[57:58], v[49:50], -v[57:58]
	v_ldexp_f64 v[53:54], v[51:52], -2
	v_add_f64 v[47:48], v[51:52], -v[47:48]
	v_add_f64 v[57:58], v[41:42], -v[57:58]
	v_trig_preop_f64 v[41:42], |v[19:20]|, 2
	v_fract_f64_e32 v[55:56], v[53:54]
	v_add_f64 v[47:48], v[49:50], -v[47:48]
	v_cmp_neq_f64_e64 s[6:7], |v[53:54]|, s[6:7]
	v_add_f64 v[15:16], v[15:16], v[57:58]
	v_mul_f64 v[57:58], v[41:42], v[35:36]
	v_add_f64 v[59:60], v[57:58], v[33:34]
	v_add_f64 v[61:62], v[59:60], v[15:16]
	v_add_f64 v[51:52], v[61:62], -v[59:60]
	v_add_f64 v[49:50], v[47:48], v[61:62]
	v_add_f64 v[15:16], v[15:16], -v[51:52]
	v_add_f64 v[51:52], v[61:62], -v[51:52]
	;; [unrolled: 1-line block ×5, first 2 shown]
	v_add_f64 v[15:16], v[15:16], v[51:52]
	v_add_f64 v[51:52], v[59:60], -v[57:58]
	v_add_f64 v[33:34], v[33:34], -v[51:52]
	;; [unrolled: 1-line block ×4, first 2 shown]
	v_add_f64 v[33:34], v[33:34], v[51:52]
	v_add_f64 v[15:16], v[33:34], v[15:16]
	v_fma_f64 v[33:34], v[41:42], v[35:36], -v[57:58]
	v_add_f64 v[15:16], v[33:34], v[15:16]
	v_ldexp_f64 v[33:34], v[55:56], 2
	v_add_f64 v[15:16], v[47:48], v[15:16]
	v_cndmask_b32_e64 v34, 0, v34, s[6:7]
	v_cndmask_b32_e64 v33, 0, v33, s[6:7]
	v_add_f64 v[35:36], v[49:50], v[33:34]
	v_cmp_gt_f64_e64 s[6:7], 0, v[35:36]
	v_cndmask_b32_e64 v22, 0, v43, s[6:7]
	v_add_f64 v[33:34], v[33:34], v[21:22]
	v_add_f64 v[35:36], v[49:50], v[33:34]
	v_cvt_i32_f64_e32 v22, v[35:36]
	v_cvt_f64_i32_e32 v[35:36], v22
	v_add_f64 v[33:34], v[33:34], -v[35:36]
	v_add_f64 v[35:36], v[49:50], v[33:34]
	v_add_f64 v[33:34], v[35:36], -v[33:34]
	v_cmp_le_f64_e64 s[6:7], 0.5, v[35:36]
	v_add_f64 v[33:34], v[49:50], -v[33:34]
	v_addc_co_u32_e64 v41, s[8:9], 0, v22, s[6:7]
	v_cndmask_b32_e64 v22, 0, v44, s[6:7]
	v_add_f64 v[15:16], v[15:16], v[33:34]
	v_add_f64 v[33:34], v[35:36], -v[21:22]
	v_add_f64 v[35:36], v[33:34], v[15:16]
	v_add_f64 v[33:34], v[35:36], -v[33:34]
	v_mul_f64 v[47:48], v[35:36], s[82:83]
	v_add_f64 v[15:16], v[15:16], -v[33:34]
	v_fma_f64 v[33:34], v[35:36], s[82:83], -v[47:48]
	v_fma_f64 v[33:34], v[35:36], s[86:87], v[33:34]
	v_fma_f64 v[15:16], v[15:16], s[82:83], v[33:34]
	v_add_f64 v[33:34], v[47:48], v[15:16]
	v_add_f64 v[35:36], v[33:34], -v[47:48]
	v_add_f64 v[35:36], v[15:16], -v[35:36]
	s_andn2_saveexec_b64 s[6:7], s[78:79]
	s_cbranch_execnz .LBB131_248
	s_branch .LBB131_249
.LBB131_247:                            ;   in Loop: Header=BB131_185 Depth=1
	s_andn2_saveexec_b64 s[6:7], s[78:79]
	s_cbranch_execz .LBB131_249
.LBB131_248:                            ;   in Loop: Header=BB131_185 Depth=1
	s_mov_b32 s8, 0x6dc9c883
	s_mov_b32 s9, 0x3fe45f30
	v_mul_f64 v[15:16], |v[19:20]|, s[8:9]
	s_mov_b32 s84, s24
	s_mov_b32 s8, 0x252049c0
	;; [unrolled: 1-line block ×3, first 2 shown]
	v_rndne_f64_e32 v[15:16], v[15:16]
	v_fma_f64 v[33:34], v[15:16], s[20:21], |v[19:20]|
	v_mul_f64 v[35:36], v[15:16], s[24:25]
	v_fma_f64 v[49:50], v[15:16], s[24:25], v[33:34]
	v_add_f64 v[41:42], v[33:34], v[35:36]
	v_add_f64 v[47:48], v[33:34], -v[41:42]
	v_add_f64 v[41:42], v[41:42], -v[49:50]
	v_add_f64 v[33:34], v[47:48], v[35:36]
	v_fma_f64 v[35:36], v[15:16], s[84:85], v[35:36]
	v_add_f64 v[33:34], v[41:42], v[33:34]
	v_add_f64 v[33:34], v[33:34], -v[35:36]
	v_fma_f64 v[35:36], v[15:16], s[8:9], v[33:34]
	v_add_f64 v[33:34], v[49:50], v[35:36]
	v_add_f64 v[41:42], v[33:34], -v[49:50]
	v_add_f64 v[35:36], v[35:36], -v[41:42]
	v_cvt_i32_f64_e32 v41, v[15:16]
.LBB131_249:                            ;   in Loop: Header=BB131_185 Depth=1
	s_or_b64 exec, exec, s[6:7]
	v_mul_f64 v[15:16], v[17:18], s[28:29]
	s_mov_b32 s89, s47
	s_mov_b32 s91, s73
	v_cmp_nlt_f64_e64 s[6:7], s[92:93], v[17:18]
	v_cmp_ngt_f64_e64 s[8:9], s[94:95], v[17:18]
	v_mul_f64 v[57:58], v[37:38], 0.5
	s_mov_b32 s48, s72
	v_and_b32_e32 v22, 1, v40
	v_rndne_f64_e32 v[15:16], v[15:16]
	v_fma_f64 v[47:48], v[15:16], s[30:31], v[17:18]
	v_fma_f64 v[47:48], v[15:16], s[34:35], v[47:48]
	v_cvt_i32_f64_e32 v15, v[15:16]
	v_fma_f64 v[49:50], v[47:48], s[36:37], v[23:24]
	v_fma_f64 v[49:50], v[47:48], v[49:50], s[38:39]
	;; [unrolled: 1-line block ×9, first 2 shown]
	v_fma_f64 v[49:50], v[47:48], v[49:50], 1.0
	v_fma_f64 v[47:48], v[47:48], v[49:50], 1.0
	v_ldexp_f64 v[15:16], v[47:48], v15
	v_mul_f64 v[47:48], v[13:14], v[13:14]
	v_cndmask_b32_e64 v16, v45, v16, s[6:7]
	s_and_b64 s[6:7], s[8:9], s[6:7]
	v_cndmask_b32_e64 v15, 0, v15, s[6:7]
	s_mov_b32 s6, 0x9037ab78
	s_mov_b32 s7, 0x3e21eeb6
	v_mov_b32_e32 v54, s7
	v_mov_b32_e32 v53, s6
	v_mul_f64 v[17:18], v[47:48], 0.5
	v_fma_f64 v[55:56], v[47:48], s[56:57], v[53:54]
	v_cmp_eq_u32_e64 s[6:7], 0, v22
	v_lshlrev_b32_e32 v22, 30, v40
	v_mul_f64 v[39:40], v[33:34], v[33:34]
	v_cndmask_b32_e64 v16, 0, v16, s[8:9]
	v_and_b32_e32 v22, 0x80000000, v22
	v_add_f64 v[49:50], -v[17:18], 1.0
	v_fma_f64 v[55:56], v[47:48], v[55:56], s[58:59]
	v_add_f64 v[51:52], -v[49:50], 1.0
	v_fma_f64 v[55:56], v[47:48], v[55:56], s[60:61]
	v_add_f64 v[17:18], v[51:52], -v[17:18]
	v_fma_f64 v[55:56], v[47:48], v[55:56], s[62:63]
	v_mul_f64 v[51:52], v[47:48], v[47:48]
	v_fma_f64 v[17:18], v[13:14], -v[37:38], v[17:18]
	v_fma_f64 v[55:56], v[47:48], v[55:56], s[72:73]
	v_fma_f64 v[17:18], v[51:52], v[55:56], v[17:18]
	v_mul_f64 v[55:56], v[13:14], -v[47:48]
	v_add_f64 v[49:50], v[49:50], v[17:18]
	v_mov_b32_e32 v17, s64
	v_mov_b32_e32 v18, s65
	v_fma_f64 v[51:52], v[47:48], s[66:67], v[17:18]
	v_fma_f64 v[17:18], v[39:40], s[66:67], v[17:18]
	;; [unrolled: 1-line block ×9, first 2 shown]
	v_fma_f64 v[37:38], v[47:48], v[51:52], -v[37:38]
	v_fma_f64 v[51:52], v[39:40], s[56:57], v[53:54]
	v_fma_f64 v[37:38], v[55:56], s[48:49], v[37:38]
	;; [unrolled: 1-line block ×3, first 2 shown]
	v_add_f64 v[13:14], v[13:14], -v[37:38]
	v_mul_f64 v[37:38], v[39:40], 0.5
	v_fma_f64 v[51:52], v[39:40], v[51:52], s[60:61]
	v_xor_b32_e32 v14, 0x80000000, v14
	v_add_f64 v[47:48], -v[37:38], 1.0
	v_cndmask_b32_e64 v13, v13, v49, s[6:7]
	v_cndmask_b32_e64 v14, v14, v50, s[6:7]
	v_fma_f64 v[51:52], v[39:40], v[51:52], s[62:63]
	s_movk_i32 s6, 0x1f8
	v_cmp_class_f64_e64 s[6:7], v[19:20], s6
	v_and_b32_e32 v19, 1, v41
	v_cmp_eq_u32_e64 s[8:9], 0, v19
	v_add_f64 v[49:50], -v[47:48], 1.0
	v_lshlrev_b32_e32 v19, 30, v41
	v_xor_b32_e32 v19, v19, v20
	v_fma_f64 v[51:52], v[39:40], v[51:52], s[72:73]
	v_and_b32_e32 v19, 0x80000000, v19
	v_xor_b32_e32 v14, v14, v22
	v_cndmask_b32_e64 v13, 0, v13, s[6:7]
	v_cndmask_b32_e64 v14, v46, v14, s[6:7]
	v_add_f64 v[37:38], v[49:50], -v[37:38]
	v_mul_f64 v[49:50], v[39:40], v[39:40]
	v_mul_f64 v[13:14], v[15:16], v[13:14]
	v_fma_f64 v[37:38], v[33:34], -v[35:36], v[37:38]
	v_fma_f64 v[37:38], v[49:50], v[51:52], v[37:38]
	v_mul_f64 v[49:50], v[35:36], 0.5
	v_add_f64 v[37:38], v[47:48], v[37:38]
	v_mul_f64 v[47:48], v[33:34], -v[39:40]
	v_fma_f64 v[17:18], v[47:48], v[17:18], v[49:50]
	v_fma_f64 v[17:18], v[39:40], v[17:18], -v[35:36]
                                        ; implicit-def: $vgpr39
	v_fma_f64 v[17:18], v[47:48], s[48:49], v[17:18]
	v_add_f64 v[17:18], v[33:34], -v[17:18]
	v_cndmask_b32_e64 v18, v38, v18, s[8:9]
	v_cndmask_b32_e64 v17, v37, v17, s[8:9]
	v_xor_b32_e32 v18, v18, v19
	v_cndmask_b32_e64 v17, 0, v17, s[6:7]
	v_cndmask_b32_e64 v18, v46, v18, s[6:7]
	v_mul_f64 v[15:16], v[15:16], v[17:18]
                                        ; implicit-def: $vgpr19_vgpr20
.LBB131_250:                            ;   in Loop: Header=BB131_185 Depth=1
	s_andn2_saveexec_b64 s[78:79], s[10:11]
	s_cbranch_execz .LBB131_260
; %bb.251:                              ;   in Loop: Header=BB131_185 Depth=1
	s_mov_b32 s6, 0
	s_mov_b32 s7, 0x41d00000
	v_cmp_nlt_f64_e64 s[10:11], |v[19:20]|, s[6:7]
                                        ; implicit-def: $vgpr41
                                        ; implicit-def: $vgpr13_vgpr14
                                        ; implicit-def: $vgpr35_vgpr36
	s_and_saveexec_b64 s[6:7], s[10:11]
	s_xor_b64 s[80:81], exec, s[6:7]
	s_cbranch_execz .LBB131_253
; %bb.252:                              ;   in Loop: Header=BB131_185 Depth=1
	v_trig_preop_f64 v[13:14], |v[19:20]|, 0
	s_mov_b32 s6, 0
	s_mov_b32 s7, 0x7b000000
	s_movk_i32 s8, 0xff80
	v_cmp_ge_f64_e64 s[6:7], |v[19:20]|, s[6:7]
	v_ldexp_f64 v[33:34], |v[19:20]|, s8
	v_trig_preop_f64 v[15:16], |v[19:20]|, 1
	s_mov_b32 s82, s20
	s_mov_b32 s87, s85
	v_cndmask_b32_e64 v34, v39, v34, s[6:7]
	v_cndmask_b32_e64 v33, v19, v33, s[6:7]
	s_mov_b32 s6, 0
	v_mul_f64 v[37:38], v[13:14], v[33:34]
	s_mov_b32 s7, 0x7ff00000
	v_mul_f64 v[35:36], v[15:16], v[33:34]
	v_fma_f64 v[13:14], v[13:14], v[33:34], -v[37:38]
	v_fma_f64 v[15:16], v[15:16], v[33:34], -v[35:36]
	v_add_f64 v[40:41], v[35:36], v[13:14]
	v_add_f64 v[53:54], v[40:41], -v[35:36]
	v_add_f64 v[47:48], v[37:38], v[40:41]
	v_add_f64 v[13:14], v[13:14], -v[53:54]
	v_add_f64 v[53:54], v[40:41], -v[53:54]
	v_ldexp_f64 v[49:50], v[47:48], -2
	v_add_f64 v[37:38], v[47:48], -v[37:38]
	v_add_f64 v[53:54], v[35:36], -v[53:54]
	v_trig_preop_f64 v[35:36], |v[19:20]|, 2
	v_fract_f64_e32 v[51:52], v[49:50]
	v_add_f64 v[37:38], v[40:41], -v[37:38]
	v_cmp_neq_f64_e64 s[6:7], |v[49:50]|, s[6:7]
	v_add_f64 v[13:14], v[13:14], v[53:54]
	v_mul_f64 v[53:54], v[35:36], v[33:34]
	v_add_f64 v[55:56], v[53:54], v[15:16]
	v_add_f64 v[57:58], v[55:56], v[13:14]
	v_add_f64 v[47:48], v[57:58], -v[55:56]
	v_add_f64 v[40:41], v[37:38], v[57:58]
	v_add_f64 v[13:14], v[13:14], -v[47:48]
	v_add_f64 v[47:48], v[57:58], -v[47:48]
	;; [unrolled: 1-line block ×5, first 2 shown]
	v_add_f64 v[13:14], v[13:14], v[47:48]
	v_add_f64 v[47:48], v[55:56], -v[53:54]
	v_add_f64 v[15:16], v[15:16], -v[47:48]
	;; [unrolled: 1-line block ×4, first 2 shown]
	v_add_f64 v[15:16], v[15:16], v[47:48]
	v_add_f64 v[13:14], v[15:16], v[13:14]
	v_fma_f64 v[15:16], v[35:36], v[33:34], -v[53:54]
	v_add_f64 v[13:14], v[15:16], v[13:14]
	v_ldexp_f64 v[15:16], v[51:52], 2
	v_add_f64 v[13:14], v[37:38], v[13:14]
	v_cndmask_b32_e64 v16, 0, v16, s[6:7]
	v_cndmask_b32_e64 v15, 0, v15, s[6:7]
	v_add_f64 v[33:34], v[40:41], v[15:16]
	v_cmp_gt_f64_e64 s[6:7], 0, v[33:34]
	v_cndmask_b32_e64 v22, 0, v43, s[6:7]
	v_add_f64 v[15:16], v[15:16], v[21:22]
	v_add_f64 v[33:34], v[40:41], v[15:16]
	v_cvt_i32_f64_e32 v22, v[33:34]
	v_cvt_f64_i32_e32 v[33:34], v22
	v_add_f64 v[15:16], v[15:16], -v[33:34]
	v_add_f64 v[33:34], v[40:41], v[15:16]
	v_add_f64 v[15:16], v[33:34], -v[15:16]
	v_cmp_le_f64_e64 s[6:7], 0.5, v[33:34]
	v_add_f64 v[15:16], v[40:41], -v[15:16]
	v_addc_co_u32_e64 v41, s[8:9], 0, v22, s[6:7]
	v_cndmask_b32_e64 v22, 0, v44, s[6:7]
	v_add_f64 v[13:14], v[13:14], v[15:16]
	v_add_f64 v[15:16], v[33:34], -v[21:22]
	v_add_f64 v[33:34], v[15:16], v[13:14]
	v_add_f64 v[15:16], v[33:34], -v[15:16]
	v_add_f64 v[13:14], v[13:14], -v[15:16]
	v_mul_f64 v[15:16], v[33:34], s[82:83]
	v_fma_f64 v[35:36], v[33:34], s[82:83], -v[15:16]
	v_fma_f64 v[33:34], v[33:34], s[86:87], v[35:36]
	v_fma_f64 v[33:34], v[13:14], s[82:83], v[33:34]
	v_add_f64 v[13:14], v[15:16], v[33:34]
	v_add_f64 v[15:16], v[13:14], -v[15:16]
	v_add_f64 v[35:36], v[33:34], -v[15:16]
	s_andn2_saveexec_b64 s[6:7], s[80:81]
	s_cbranch_execz .LBB131_255
	s_branch .LBB131_254
.LBB131_253:                            ;   in Loop: Header=BB131_185 Depth=1
	s_andn2_saveexec_b64 s[6:7], s[80:81]
	s_cbranch_execz .LBB131_255
.LBB131_254:                            ;   in Loop: Header=BB131_185 Depth=1
	s_mov_b32 s8, 0x6dc9c883
	s_mov_b32 s9, 0x3fe45f30
	v_mul_f64 v[13:14], |v[19:20]|, s[8:9]
	s_mov_b32 s84, s24
	s_mov_b32 s8, 0x252049c0
	;; [unrolled: 1-line block ×3, first 2 shown]
	v_rndne_f64_e32 v[15:16], v[13:14]
	v_fma_f64 v[13:14], v[15:16], s[20:21], |v[19:20]|
	v_mul_f64 v[33:34], v[15:16], s[24:25]
	v_fma_f64 v[40:41], v[15:16], s[24:25], v[13:14]
	v_add_f64 v[35:36], v[13:14], v[33:34]
	v_add_f64 v[37:38], v[13:14], -v[35:36]
	v_add_f64 v[35:36], v[35:36], -v[40:41]
	v_add_f64 v[13:14], v[37:38], v[33:34]
	v_fma_f64 v[33:34], v[15:16], s[84:85], v[33:34]
	v_add_f64 v[13:14], v[35:36], v[13:14]
	v_add_f64 v[13:14], v[13:14], -v[33:34]
	v_fma_f64 v[33:34], v[15:16], s[8:9], v[13:14]
	v_add_f64 v[13:14], v[40:41], v[33:34]
	v_add_f64 v[35:36], v[13:14], -v[40:41]
	v_cvt_i32_f64_e32 v41, v[15:16]
	v_add_f64 v[35:36], v[33:34], -v[35:36]
.LBB131_255:                            ;   in Loop: Header=BB131_185 Depth=1
	s_or_b64 exec, exec, s[6:7]
                                        ; implicit-def: $vgpr47
                                        ; implicit-def: $vgpr15_vgpr16
                                        ; implicit-def: $vgpr33_vgpr34
	s_and_saveexec_b64 s[6:7], s[10:11]
	s_xor_b64 s[10:11], exec, s[6:7]
	s_cbranch_execz .LBB131_257
; %bb.256:                              ;   in Loop: Header=BB131_185 Depth=1
	v_trig_preop_f64 v[15:16], |v[19:20]|, 0
	s_mov_b32 s6, 0
	s_mov_b32 s7, 0x7b000000
	s_movk_i32 s8, 0xff80
	v_cmp_ge_f64_e64 s[6:7], |v[19:20]|, s[6:7]
	v_ldexp_f64 v[37:38], |v[19:20]|, s8
	v_trig_preop_f64 v[33:34], |v[19:20]|, 1
	s_mov_b32 s82, s20
	s_mov_b32 s87, s85
	v_cndmask_b32_e64 v38, v39, v38, s[6:7]
	v_cndmask_b32_e64 v37, v19, v37, s[6:7]
	s_mov_b32 s6, 0
	v_mul_f64 v[47:48], v[15:16], v[37:38]
	s_mov_b32 s7, 0x7ff00000
	v_mul_f64 v[39:40], v[33:34], v[37:38]
	v_fma_f64 v[15:16], v[15:16], v[37:38], -v[47:48]
	v_fma_f64 v[33:34], v[33:34], v[37:38], -v[39:40]
	v_add_f64 v[49:50], v[39:40], v[15:16]
	v_add_f64 v[57:58], v[49:50], -v[39:40]
	v_add_f64 v[51:52], v[47:48], v[49:50]
	v_add_f64 v[15:16], v[15:16], -v[57:58]
	v_add_f64 v[57:58], v[49:50], -v[57:58]
	v_ldexp_f64 v[53:54], v[51:52], -2
	v_add_f64 v[47:48], v[51:52], -v[47:48]
	v_add_f64 v[57:58], v[39:40], -v[57:58]
	v_trig_preop_f64 v[39:40], |v[19:20]|, 2
	v_fract_f64_e32 v[55:56], v[53:54]
	v_add_f64 v[47:48], v[49:50], -v[47:48]
	v_cmp_neq_f64_e64 s[6:7], |v[53:54]|, s[6:7]
	v_add_f64 v[15:16], v[15:16], v[57:58]
	v_mul_f64 v[57:58], v[39:40], v[37:38]
	v_add_f64 v[59:60], v[57:58], v[33:34]
	v_add_f64 v[61:62], v[59:60], v[15:16]
	v_add_f64 v[51:52], v[61:62], -v[59:60]
	v_add_f64 v[49:50], v[47:48], v[61:62]
	v_add_f64 v[15:16], v[15:16], -v[51:52]
	v_add_f64 v[51:52], v[61:62], -v[51:52]
	;; [unrolled: 1-line block ×5, first 2 shown]
	v_add_f64 v[15:16], v[15:16], v[51:52]
	v_add_f64 v[51:52], v[59:60], -v[57:58]
	v_add_f64 v[33:34], v[33:34], -v[51:52]
	;; [unrolled: 1-line block ×4, first 2 shown]
	v_add_f64 v[33:34], v[33:34], v[51:52]
	v_add_f64 v[15:16], v[33:34], v[15:16]
	v_fma_f64 v[33:34], v[39:40], v[37:38], -v[57:58]
	v_add_f64 v[15:16], v[33:34], v[15:16]
	v_ldexp_f64 v[33:34], v[55:56], 2
	v_add_f64 v[15:16], v[47:48], v[15:16]
	v_cndmask_b32_e64 v34, 0, v34, s[6:7]
	v_cndmask_b32_e64 v33, 0, v33, s[6:7]
	v_add_f64 v[37:38], v[49:50], v[33:34]
	v_cmp_gt_f64_e64 s[6:7], 0, v[37:38]
	v_cndmask_b32_e64 v22, 0, v43, s[6:7]
	v_add_f64 v[33:34], v[33:34], v[21:22]
	v_add_f64 v[37:38], v[49:50], v[33:34]
	v_cvt_i32_f64_e32 v22, v[37:38]
	v_cvt_f64_i32_e32 v[37:38], v22
	v_add_f64 v[33:34], v[33:34], -v[37:38]
	v_add_f64 v[37:38], v[49:50], v[33:34]
	v_add_f64 v[33:34], v[37:38], -v[33:34]
	v_cmp_le_f64_e64 s[6:7], 0.5, v[37:38]
	v_add_f64 v[33:34], v[49:50], -v[33:34]
	v_addc_co_u32_e64 v47, s[8:9], 0, v22, s[6:7]
	v_cndmask_b32_e64 v22, 0, v44, s[6:7]
	v_add_f64 v[15:16], v[15:16], v[33:34]
	v_add_f64 v[33:34], v[37:38], -v[21:22]
	v_add_f64 v[37:38], v[33:34], v[15:16]
	v_add_f64 v[33:34], v[37:38], -v[33:34]
	v_add_f64 v[15:16], v[15:16], -v[33:34]
	v_mul_f64 v[33:34], v[37:38], s[82:83]
	v_fma_f64 v[39:40], v[37:38], s[82:83], -v[33:34]
	v_fma_f64 v[37:38], v[37:38], s[86:87], v[39:40]
	v_fma_f64 v[37:38], v[15:16], s[82:83], v[37:38]
	v_add_f64 v[15:16], v[33:34], v[37:38]
	v_add_f64 v[33:34], v[15:16], -v[33:34]
	v_add_f64 v[33:34], v[37:38], -v[33:34]
	s_andn2_saveexec_b64 s[6:7], s[10:11]
	s_cbranch_execnz .LBB131_258
	s_branch .LBB131_259
.LBB131_257:                            ;   in Loop: Header=BB131_185 Depth=1
	s_andn2_saveexec_b64 s[6:7], s[10:11]
	s_cbranch_execz .LBB131_259
.LBB131_258:                            ;   in Loop: Header=BB131_185 Depth=1
	s_mov_b32 s8, 0x6dc9c883
	s_mov_b32 s9, 0x3fe45f30
	v_mul_f64 v[15:16], |v[19:20]|, s[8:9]
	s_mov_b32 s84, s24
	s_mov_b32 s8, 0x252049c0
	;; [unrolled: 1-line block ×3, first 2 shown]
	v_rndne_f64_e32 v[37:38], v[15:16]
	v_fma_f64 v[15:16], v[37:38], s[20:21], |v[19:20]|
	v_mul_f64 v[33:34], v[37:38], s[24:25]
	v_fma_f64 v[49:50], v[37:38], s[24:25], v[15:16]
	v_add_f64 v[39:40], v[15:16], v[33:34]
	v_add_f64 v[47:48], v[15:16], -v[39:40]
	v_add_f64 v[39:40], v[39:40], -v[49:50]
	v_add_f64 v[15:16], v[47:48], v[33:34]
	v_fma_f64 v[33:34], v[37:38], s[84:85], v[33:34]
	v_cvt_i32_f64_e32 v47, v[37:38]
	v_add_f64 v[15:16], v[39:40], v[15:16]
	v_add_f64 v[15:16], v[15:16], -v[33:34]
	v_fma_f64 v[33:34], v[37:38], s[8:9], v[15:16]
	v_add_f64 v[15:16], v[49:50], v[33:34]
	v_add_f64 v[39:40], v[15:16], -v[49:50]
	v_add_f64 v[33:34], v[33:34], -v[39:40]
.LBB131_259:                            ;   in Loop: Header=BB131_185 Depth=1
	s_or_b64 exec, exec, s[6:7]
	v_mul_f64 v[48:49], v[13:14], v[13:14]
	s_mov_b32 s10, 0x9037ab78
	s_mov_b32 s11, 0x3e21eeb6
	v_mov_b32_e32 v40, s11
	v_mov_b32_e32 v39, s10
	s_mov_b32 s48, s72
	s_movk_i32 s6, 0x1f8
	v_cmp_class_f64_e64 s[6:7], v[19:20], s6
	v_mul_f64 v[37:38], v[48:49], 0.5
	v_fma_f64 v[54:55], v[48:49], s[56:57], v[39:40]
	v_mul_f64 v[52:53], v[48:49], v[48:49]
	v_and_b32_e32 v19, 1, v41
	v_cmp_eq_u32_e64 s[8:9], 0, v19
	v_lshlrev_b32_e32 v19, 30, v41
	s_mov_b32 s89, s47
	s_mov_b32 s91, s73
	v_add_f64 v[50:51], -v[37:38], 1.0
	v_fma_f64 v[54:55], v[48:49], v[54:55], s[58:59]
	v_and_b32_e32 v19, 0x80000000, v19
	v_add_f64 v[56:57], -v[50:51], 1.0
	v_fma_f64 v[54:55], v[48:49], v[54:55], s[60:61]
	v_add_f64 v[37:38], v[56:57], -v[37:38]
	v_fma_f64 v[54:55], v[48:49], v[54:55], s[62:63]
	v_mul_f64 v[56:57], v[35:36], 0.5
	v_fma_f64 v[37:38], v[13:14], -v[35:36], v[37:38]
	v_fma_f64 v[54:55], v[48:49], v[54:55], s[72:73]
	v_fma_f64 v[37:38], v[52:53], v[54:55], v[37:38]
	v_mul_f64 v[52:53], v[13:14], -v[48:49]
	v_add_f64 v[50:51], v[50:51], v[37:38]
	v_mov_b32_e32 v37, s64
	v_mov_b32_e32 v38, s65
	v_fma_f64 v[54:55], v[48:49], s[66:67], v[37:38]
	v_fma_f64 v[54:55], v[48:49], v[54:55], s[68:69]
	;; [unrolled: 1-line block ×5, first 2 shown]
	v_fma_f64 v[35:36], v[48:49], v[54:55], -v[35:36]
	v_fma_f64 v[35:36], v[52:53], s[48:49], v[35:36]
	v_add_f64 v[13:14], v[13:14], -v[35:36]
	v_xor_b32_e32 v14, 0x80000000, v14
	v_cndmask_b32_e64 v13, v13, v50, s[8:9]
	v_cndmask_b32_e64 v14, v14, v51, s[8:9]
	s_mov_b32 s8, 0x19ba0da4
	s_mov_b32 s9, 0xc0937be3
	v_add_f64 v[17:18], v[17:18], s[8:9]
	v_xor_b32_e32 v14, v14, v19
	v_cndmask_b32_e64 v13, 0, v13, s[6:7]
	v_cndmask_b32_e64 v14, v46, v14, s[6:7]
	v_mul_f64 v[35:36], v[17:18], s[28:29]
	v_cmp_nlt_f64_e64 s[8:9], s[92:93], v[17:18]
	v_cmp_ngt_f64_e64 s[10:11], s[94:95], v[17:18]
	v_rndne_f64_e32 v[35:36], v[35:36]
	v_fma_f64 v[41:42], v[35:36], s[30:31], v[17:18]
	v_cvt_i32_f64_e32 v19, v[35:36]
	v_fma_f64 v[41:42], v[35:36], s[34:35], v[41:42]
	v_fma_f64 v[48:49], v[41:42], s[36:37], v[23:24]
	;; [unrolled: 1-line block ×10, first 2 shown]
	v_fma_f64 v[48:49], v[41:42], v[48:49], 1.0
	v_fma_f64 v[41:42], v[41:42], v[48:49], 1.0
	v_ldexp_f64 v[35:36], v[41:42], v19
	v_mul_f64 v[41:42], v[15:16], v[15:16]
	v_cndmask_b32_e64 v19, v45, v36, s[8:9]
	v_mul_f64 v[48:49], v[41:42], 0.5
	v_fma_f64 v[39:40], v[41:42], s[56:57], v[39:40]
	v_fma_f64 v[37:38], v[41:42], s[66:67], v[37:38]
	s_and_b64 s[8:9], s[10:11], s[8:9]
	v_cndmask_b32_e64 v17, 0, v19, s[10:11]
	v_and_b32_e32 v19, 1, v47
	v_cndmask_b32_e64 v35, 0, v35, s[8:9]
	v_cmp_eq_u32_e64 s[8:9], 0, v19
	v_add_f64 v[50:51], -v[48:49], 1.0
	v_fma_f64 v[39:40], v[41:42], v[39:40], s[58:59]
	v_fma_f64 v[37:38], v[41:42], v[37:38], s[68:69]
	v_lshlrev_b32_e32 v19, 30, v47
	v_xor_b32_e32 v19, v19, v20
	v_and_b32_e32 v19, 0x80000000, v19
	v_and_b32_e32 v18, 0xfffff, v17
	v_or_b32_e32 v36, 0x7fe00000, v18
	v_add_f64 v[52:53], -v[50:51], 1.0
	v_fma_f64 v[39:40], v[41:42], v[39:40], s[60:61]
	v_fma_f64 v[37:38], v[41:42], v[37:38], s[70:71]
	v_mul_f64 v[13:14], v[35:36], v[13:14]
	v_lshrrev_b32_e32 v17, 20, v17
	v_add_u32_e32 v17, 0xffffff09, v17
	v_lshrrev_b16_e32 v18, 15, v17
	v_add_u16_e32 v18, v17, v18
	v_add_f64 v[48:49], v[52:53], -v[48:49]
	v_fma_f64 v[39:40], v[41:42], v[39:40], s[62:63]
	v_mul_f64 v[52:53], v[41:42], v[41:42]
	v_fma_f64 v[37:38], v[41:42], v[37:38], s[46:47]
	v_ashrrev_i16_e32 v18, 1, v18
	v_bfe_i32 v18, v18, 0, 16
	v_lshl_add_u32 v22, v18, 20, v44
	v_mul_f64 v[13:14], v[13:14], v[21:22]
	v_fma_f64 v[48:49], v[15:16], -v[33:34], v[48:49]
	v_fma_f64 v[39:40], v[41:42], v[39:40], s[72:73]
	v_sub_u32_e32 v17, v17, v18
	v_lshl_add_u32 v18, v17, 20, v44
	v_mov_b32_e32 v17, v21
	v_mul_f64 v[13:14], v[13:14], v[17:18]
	v_fma_f64 v[39:40], v[52:53], v[39:40], v[48:49]
	v_mul_f64 v[48:49], v[15:16], -v[41:42]
	v_add_f64 v[39:40], v[50:51], v[39:40]
	v_mul_f64 v[50:51], v[33:34], 0.5
	v_fma_f64 v[37:38], v[48:49], v[37:38], v[50:51]
	v_fma_f64 v[33:34], v[41:42], v[37:38], -v[33:34]
	v_fma_f64 v[33:34], v[48:49], s[48:49], v[33:34]
	v_add_f64 v[15:16], v[15:16], -v[33:34]
	v_cndmask_b32_e64 v16, v40, v16, s[8:9]
	v_cndmask_b32_e64 v15, v39, v15, s[8:9]
	v_xor_b32_e32 v16, v16, v19
	v_cndmask_b32_e64 v15, 0, v15, s[6:7]
	v_cndmask_b32_e64 v16, v46, v16, s[6:7]
	v_mul_f64 v[15:16], v[35:36], v[15:16]
	v_mul_f64 v[15:16], v[15:16], v[21:22]
	;; [unrolled: 1-line block ×3, first 2 shown]
.LBB131_260:                            ;   in Loop: Header=BB131_185 Depth=1
	s_or_b64 exec, exec, s[78:79]
                                        ; implicit-def: $vgpr17_vgpr18
                                        ; implicit-def: $vgpr22
.LBB131_261:                            ;   in Loop: Header=BB131_185 Depth=1
	s_andn2_saveexec_b64 s[10:11], s[76:77]
	s_cbranch_execz .LBB131_267
; %bb.262:                              ;   in Loop: Header=BB131_185 Depth=1
	s_mov_b32 s8, 0x7ff00000
	v_cmp_ne_u32_e64 s[6:7], 0, v17
	v_cmp_ne_u32_e64 s[8:9], s8, v22
	s_or_b64 s[6:7], s[6:7], s[8:9]
                                        ; implicit-def: $vgpr15_vgpr16
	s_and_saveexec_b64 s[8:9], s[6:7]
	s_xor_b64 s[6:7], exec, s[8:9]
; %bb.263:                              ;   in Loop: Header=BB131_185 Depth=1
	v_add_f64 v[15:16], v[19:20], -v[19:20]
                                        ; implicit-def: $vgpr17_vgpr18
; %bb.264:                              ;   in Loop: Header=BB131_185 Depth=1
	s_or_saveexec_b64 s[8:9], s[6:7]
	v_mov_b32_e32 v13, v15
	v_mov_b32_e32 v14, v16
	s_xor_b64 exec, exec, s[8:9]
	s_cbranch_execz .LBB131_266
; %bb.265:                              ;   in Loop: Header=BB131_185 Depth=1
	v_add_f64 v[15:16], v[19:20], -v[19:20]
	v_cmp_lt_i64_e64 s[6:7], -1, v[17:18]
	v_cndmask_b32_e64 v14, 0, v18, s[6:7]
	v_cndmask_b32_e64 v13, 0, v17, s[6:7]
	;; [unrolled: 1-line block ×4, first 2 shown]
.LBB131_266:                            ;   in Loop: Header=BB131_185 Depth=1
	s_or_b64 exec, exec, s[8:9]
.LBB131_267:                            ;   in Loop: Header=BB131_185 Depth=1
	s_or_b64 exec, exec, s[10:11]
                                        ; implicit-def: $vgpr19_vgpr20
                                        ; implicit-def: $vgpr39
.LBB131_268:                            ;   in Loop: Header=BB131_185 Depth=1
	s_andn2_saveexec_b64 s[10:11], s[26:27]
	s_cbranch_execz .LBB131_278
; %bb.269:                              ;   in Loop: Header=BB131_185 Depth=1
	s_mov_b32 s6, 0
	s_mov_b32 s7, 0x41d00000
	v_cmp_nlt_f64_e64 s[8:9], |v[19:20]|, s[6:7]
                                        ; implicit-def: $vgpr38
                                        ; implicit-def: $vgpr13_vgpr14
                                        ; implicit-def: $vgpr17_vgpr18
	s_and_saveexec_b64 s[6:7], s[8:9]
	s_xor_b64 s[26:27], exec, s[6:7]
	s_cbranch_execz .LBB131_271
; %bb.270:                              ;   in Loop: Header=BB131_185 Depth=1
	v_trig_preop_f64 v[13:14], |v[19:20]|, 0
	s_movk_i32 s6, 0xff80
	v_ldexp_f64 v[15:16], |v[19:20]|, s6
	s_mov_b32 s6, 0
	s_mov_b32 s7, 0x7b000000
	v_cmp_ge_f64_e64 s[6:7], |v[19:20]|, s[6:7]
	v_trig_preop_f64 v[17:18], |v[19:20]|, 1
	v_trig_preop_f64 v[40:41], |v[19:20]|, 2
	s_mov_b32 s82, s20
	s_mov_b32 s87, s85
	v_cndmask_b32_e64 v16, v39, v16, s[6:7]
	v_cndmask_b32_e64 v15, v19, v15, s[6:7]
	s_mov_b32 s6, 0
	v_mul_f64 v[33:34], v[13:14], v[15:16]
	s_mov_b32 s7, 0x7ff00000
	v_mul_f64 v[35:36], v[17:18], v[15:16]
	v_mul_f64 v[51:52], v[40:41], v[15:16]
	v_fma_f64 v[13:14], v[13:14], v[15:16], -v[33:34]
	v_fma_f64 v[17:18], v[17:18], v[15:16], -v[35:36]
	;; [unrolled: 1-line block ×3, first 2 shown]
	v_add_f64 v[37:38], v[35:36], v[13:14]
	v_add_f64 v[47:48], v[37:38], -v[35:36]
	v_add_f64 v[53:54], v[33:34], v[37:38]
	v_add_f64 v[49:50], v[37:38], -v[47:48]
	v_add_f64 v[13:14], v[13:14], -v[47:48]
	v_add_f64 v[47:48], v[51:52], v[17:18]
	v_add_f64 v[33:34], v[53:54], -v[33:34]
	v_add_f64 v[35:36], v[35:36], -v[49:50]
	v_ldexp_f64 v[49:50], v[53:54], -2
	v_add_f64 v[55:56], v[47:48], -v[51:52]
	v_add_f64 v[33:34], v[37:38], -v[33:34]
	v_add_f64 v[13:14], v[13:14], v[35:36]
	v_fract_f64_e32 v[35:36], v[49:50]
	v_cmp_neq_f64_e64 s[6:7], |v[49:50]|, s[6:7]
	v_add_f64 v[17:18], v[17:18], -v[55:56]
	v_add_f64 v[37:38], v[47:48], v[13:14]
	v_ldexp_f64 v[35:36], v[35:36], 2
	v_add_f64 v[49:50], v[33:34], v[37:38]
	v_cndmask_b32_e64 v36, 0, v36, s[6:7]
	v_cndmask_b32_e64 v35, 0, v35, s[6:7]
	v_add_f64 v[57:58], v[37:38], -v[47:48]
	v_add_f64 v[53:54], v[49:50], v[35:36]
	v_add_f64 v[33:34], v[49:50], -v[33:34]
	v_add_f64 v[59:60], v[37:38], -v[57:58]
	v_add_f64 v[13:14], v[13:14], -v[57:58]
	v_cmp_gt_f64_e64 s[6:7], 0, v[53:54]
	v_add_f64 v[53:54], v[47:48], -v[55:56]
	v_add_f64 v[33:34], v[37:38], -v[33:34]
	;; [unrolled: 1-line block ×3, first 2 shown]
	v_cndmask_b32_e64 v22, 0, v43, s[6:7]
	v_add_f64 v[35:36], v[35:36], v[21:22]
	v_add_f64 v[53:54], v[51:52], -v[53:54]
	v_add_f64 v[13:14], v[13:14], v[47:48]
	v_add_f64 v[61:62], v[49:50], v[35:36]
	;; [unrolled: 1-line block ×3, first 2 shown]
	v_cvt_i32_f64_e32 v42, v[61:62]
	v_add_f64 v[13:14], v[17:18], v[13:14]
	v_cvt_f64_i32_e32 v[55:56], v42
	v_add_f64 v[35:36], v[35:36], -v[55:56]
	v_add_f64 v[13:14], v[15:16], v[13:14]
	v_add_f64 v[17:18], v[49:50], v[35:36]
	;; [unrolled: 1-line block ×3, first 2 shown]
	v_add_f64 v[15:16], v[17:18], -v[35:36]
	v_cmp_le_f64_e64 s[6:7], 0.5, v[17:18]
	v_add_f64 v[15:16], v[49:50], -v[15:16]
	v_cndmask_b32_e64 v22, 0, v44, s[6:7]
	v_addc_co_u32_e64 v38, s[6:7], 0, v42, s[6:7]
	v_add_f64 v[13:14], v[13:14], v[15:16]
	v_add_f64 v[15:16], v[17:18], -v[21:22]
	v_add_f64 v[17:18], v[15:16], v[13:14]
	v_mul_f64 v[33:34], v[17:18], s[82:83]
	v_add_f64 v[15:16], v[17:18], -v[15:16]
	v_fma_f64 v[35:36], v[17:18], s[82:83], -v[33:34]
	v_add_f64 v[13:14], v[13:14], -v[15:16]
	v_fma_f64 v[15:16], v[17:18], s[86:87], v[35:36]
	v_fma_f64 v[15:16], v[13:14], s[82:83], v[15:16]
	v_add_f64 v[13:14], v[33:34], v[15:16]
	v_add_f64 v[17:18], v[13:14], -v[33:34]
	v_add_f64 v[17:18], v[15:16], -v[17:18]
	s_andn2_saveexec_b64 s[6:7], s[26:27]
	s_cbranch_execz .LBB131_273
	s_branch .LBB131_272
.LBB131_271:                            ;   in Loop: Header=BB131_185 Depth=1
	s_andn2_saveexec_b64 s[6:7], s[26:27]
	s_cbranch_execz .LBB131_273
.LBB131_272:                            ;   in Loop: Header=BB131_185 Depth=1
	s_mov_b32 s26, 0x6dc9c883
	s_mov_b32 s27, 0x3fe45f30
	v_mul_f64 v[13:14], |v[19:20]|, s[26:27]
	s_mov_b32 s84, s24
	s_mov_b32 s26, 0x252049c0
	;; [unrolled: 1-line block ×3, first 2 shown]
	v_rndne_f64_e32 v[15:16], v[13:14]
	v_fma_f64 v[13:14], v[15:16], s[20:21], |v[19:20]|
	v_mul_f64 v[17:18], v[15:16], s[24:25]
	v_fma_f64 v[37:38], v[15:16], s[24:25], v[13:14]
	v_add_f64 v[33:34], v[13:14], v[17:18]
	v_add_f64 v[35:36], v[13:14], -v[33:34]
	v_add_f64 v[33:34], v[33:34], -v[37:38]
	v_add_f64 v[13:14], v[35:36], v[17:18]
	v_fma_f64 v[17:18], v[15:16], s[84:85], v[17:18]
	v_add_f64 v[13:14], v[33:34], v[13:14]
	v_add_f64 v[13:14], v[13:14], -v[17:18]
	v_fma_f64 v[17:18], v[15:16], s[26:27], v[13:14]
	v_add_f64 v[13:14], v[37:38], v[17:18]
	v_add_f64 v[33:34], v[13:14], -v[37:38]
	v_cvt_i32_f64_e32 v38, v[15:16]
	v_add_f64 v[17:18], v[17:18], -v[33:34]
.LBB131_273:                            ;   in Loop: Header=BB131_185 Depth=1
	s_or_b64 exec, exec, s[6:7]
                                        ; implicit-def: $vgpr37
                                        ; implicit-def: $vgpr15_vgpr16
                                        ; implicit-def: $vgpr33_vgpr34
	s_and_saveexec_b64 s[6:7], s[8:9]
	s_xor_b64 s[26:27], exec, s[6:7]
	s_cbranch_execz .LBB131_275
; %bb.274:                              ;   in Loop: Header=BB131_185 Depth=1
	v_trig_preop_f64 v[15:16], |v[19:20]|, 0
	s_mov_b32 s6, 0
	s_mov_b32 s7, 0x7b000000
	s_movk_i32 s8, 0xff80
	v_cmp_ge_f64_e64 s[6:7], |v[19:20]|, s[6:7]
	v_ldexp_f64 v[35:36], |v[19:20]|, s8
	v_trig_preop_f64 v[33:34], |v[19:20]|, 1
	s_mov_b32 s82, s20
	s_mov_b32 s87, s85
	v_cndmask_b32_e64 v36, v39, v36, s[6:7]
	v_cndmask_b32_e64 v35, v19, v35, s[6:7]
	s_mov_b32 s6, 0
	v_mul_f64 v[41:42], v[15:16], v[35:36]
	s_mov_b32 s7, 0x7ff00000
	v_mul_f64 v[39:40], v[33:34], v[35:36]
	v_fma_f64 v[15:16], v[15:16], v[35:36], -v[41:42]
	v_fma_f64 v[33:34], v[33:34], v[35:36], -v[39:40]
	v_add_f64 v[47:48], v[39:40], v[15:16]
	v_add_f64 v[55:56], v[47:48], -v[39:40]
	v_add_f64 v[49:50], v[41:42], v[47:48]
	v_add_f64 v[15:16], v[15:16], -v[55:56]
	v_add_f64 v[55:56], v[47:48], -v[55:56]
	v_ldexp_f64 v[51:52], v[49:50], -2
	v_add_f64 v[41:42], v[49:50], -v[41:42]
	v_add_f64 v[55:56], v[39:40], -v[55:56]
	v_trig_preop_f64 v[39:40], |v[19:20]|, 2
	v_fract_f64_e32 v[53:54], v[51:52]
	v_add_f64 v[41:42], v[47:48], -v[41:42]
	v_cmp_neq_f64_e64 s[6:7], |v[51:52]|, s[6:7]
	v_add_f64 v[15:16], v[15:16], v[55:56]
	v_mul_f64 v[55:56], v[39:40], v[35:36]
	v_add_f64 v[57:58], v[55:56], v[33:34]
	v_add_f64 v[59:60], v[57:58], v[15:16]
	v_add_f64 v[49:50], v[59:60], -v[57:58]
	v_add_f64 v[47:48], v[41:42], v[59:60]
	v_add_f64 v[15:16], v[15:16], -v[49:50]
	v_add_f64 v[49:50], v[59:60], -v[49:50]
	;; [unrolled: 1-line block ×5, first 2 shown]
	v_add_f64 v[15:16], v[15:16], v[49:50]
	v_add_f64 v[49:50], v[57:58], -v[55:56]
	v_add_f64 v[33:34], v[33:34], -v[49:50]
	;; [unrolled: 1-line block ×4, first 2 shown]
	v_add_f64 v[33:34], v[33:34], v[49:50]
	v_add_f64 v[15:16], v[33:34], v[15:16]
	v_fma_f64 v[33:34], v[39:40], v[35:36], -v[55:56]
	v_add_f64 v[15:16], v[33:34], v[15:16]
	v_ldexp_f64 v[33:34], v[53:54], 2
	v_add_f64 v[15:16], v[41:42], v[15:16]
	v_cndmask_b32_e64 v34, 0, v34, s[6:7]
	v_cndmask_b32_e64 v33, 0, v33, s[6:7]
	v_add_f64 v[35:36], v[47:48], v[33:34]
	v_cmp_gt_f64_e64 s[6:7], 0, v[35:36]
	v_cndmask_b32_e64 v22, 0, v43, s[6:7]
	v_add_f64 v[33:34], v[33:34], v[21:22]
	v_add_f64 v[35:36], v[47:48], v[33:34]
	v_cvt_i32_f64_e32 v22, v[35:36]
	v_cvt_f64_i32_e32 v[35:36], v22
	v_add_f64 v[33:34], v[33:34], -v[35:36]
	v_add_f64 v[35:36], v[47:48], v[33:34]
	v_add_f64 v[33:34], v[35:36], -v[33:34]
	v_cmp_le_f64_e64 s[6:7], 0.5, v[35:36]
	v_add_f64 v[33:34], v[47:48], -v[33:34]
	v_addc_co_u32_e64 v37, s[8:9], 0, v22, s[6:7]
	v_cndmask_b32_e64 v22, 0, v44, s[6:7]
	v_add_f64 v[15:16], v[15:16], v[33:34]
	v_add_f64 v[33:34], v[35:36], -v[21:22]
	v_add_f64 v[35:36], v[33:34], v[15:16]
	v_add_f64 v[33:34], v[35:36], -v[33:34]
	v_add_f64 v[15:16], v[15:16], -v[33:34]
	v_mul_f64 v[33:34], v[35:36], s[82:83]
	v_fma_f64 v[39:40], v[35:36], s[82:83], -v[33:34]
	v_fma_f64 v[35:36], v[35:36], s[86:87], v[39:40]
	v_fma_f64 v[35:36], v[15:16], s[82:83], v[35:36]
	v_add_f64 v[15:16], v[33:34], v[35:36]
	v_add_f64 v[33:34], v[15:16], -v[33:34]
	v_add_f64 v[33:34], v[35:36], -v[33:34]
	s_andn2_saveexec_b64 s[6:7], s[26:27]
	s_cbranch_execnz .LBB131_276
	s_branch .LBB131_277
.LBB131_275:                            ;   in Loop: Header=BB131_185 Depth=1
	s_andn2_saveexec_b64 s[6:7], s[26:27]
	s_cbranch_execz .LBB131_277
.LBB131_276:                            ;   in Loop: Header=BB131_185 Depth=1
	s_mov_b32 s8, 0x6dc9c883
	s_mov_b32 s9, 0x3fe45f30
	v_mul_f64 v[15:16], |v[19:20]|, s[8:9]
	s_mov_b32 s84, s24
	s_mov_b32 s8, 0x252049c0
	;; [unrolled: 1-line block ×3, first 2 shown]
	v_rndne_f64_e32 v[35:36], v[15:16]
	v_fma_f64 v[15:16], v[35:36], s[20:21], |v[19:20]|
	v_mul_f64 v[33:34], v[35:36], s[24:25]
	v_cvt_i32_f64_e32 v37, v[35:36]
	v_fma_f64 v[47:48], v[35:36], s[24:25], v[15:16]
	v_add_f64 v[39:40], v[15:16], v[33:34]
	v_add_f64 v[41:42], v[15:16], -v[39:40]
	v_add_f64 v[39:40], v[39:40], -v[47:48]
	v_add_f64 v[15:16], v[41:42], v[33:34]
	v_fma_f64 v[33:34], v[35:36], s[84:85], v[33:34]
	v_add_f64 v[15:16], v[39:40], v[15:16]
	v_add_f64 v[15:16], v[15:16], -v[33:34]
	v_fma_f64 v[33:34], v[35:36], s[8:9], v[15:16]
	v_add_f64 v[15:16], v[47:48], v[33:34]
	v_add_f64 v[39:40], v[15:16], -v[47:48]
	v_add_f64 v[33:34], v[33:34], -v[39:40]
.LBB131_277:                            ;   in Loop: Header=BB131_185 Depth=1
	s_or_b64 exec, exec, s[6:7]
	v_mul_f64 v[39:40], v[13:14], v[13:14]
	s_mov_b32 s6, 0x9037ab78
	s_mov_b32 s7, 0x3e21eeb6
	v_mov_b32_e32 v50, s7
	v_mov_b32_e32 v49, s6
	v_mul_f64 v[53:54], v[17:18], 0.5
	s_mov_b32 s48, s72
	v_mul_f64 v[35:36], v[39:40], 0.5
	v_fma_f64 v[51:52], v[39:40], s[56:57], v[49:50]
	v_add_f64 v[41:42], -v[35:36], 1.0
	v_fma_f64 v[51:52], v[39:40], v[51:52], s[58:59]
	v_add_f64 v[47:48], -v[41:42], 1.0
	v_fma_f64 v[51:52], v[39:40], v[51:52], s[60:61]
	v_add_f64 v[35:36], v[47:48], -v[35:36]
	v_fma_f64 v[51:52], v[39:40], v[51:52], s[62:63]
	v_mul_f64 v[47:48], v[39:40], v[39:40]
	v_fma_f64 v[35:36], v[13:14], -v[17:18], v[35:36]
	v_fma_f64 v[51:52], v[39:40], v[51:52], s[72:73]
	v_fma_f64 v[35:36], v[47:48], v[51:52], v[35:36]
	v_mul_f64 v[51:52], v[13:14], -v[39:40]
	v_add_f64 v[41:42], v[41:42], v[35:36]
	v_mov_b32_e32 v35, s64
	v_mov_b32_e32 v36, s65
	v_fma_f64 v[47:48], v[39:40], s[66:67], v[35:36]
	v_fma_f64 v[47:48], v[39:40], v[47:48], s[68:69]
	;; [unrolled: 1-line block ×5, first 2 shown]
	v_fma_f64 v[17:18], v[39:40], v[47:48], -v[17:18]
	v_fma_f64 v[17:18], v[51:52], s[48:49], v[17:18]
	v_add_f64 v[13:14], v[13:14], -v[17:18]
	v_and_b32_e32 v17, 1, v38
	v_cmp_eq_u32_e64 s[6:7], 0, v17
	v_lshlrev_b32_e32 v17, 30, v38
	v_and_b32_e32 v17, 0x80000000, v17
	v_xor_b32_e32 v14, 0x80000000, v14
	v_cndmask_b32_e64 v14, v14, v42, s[6:7]
	v_xor_b32_e32 v14, v14, v17
	v_mul_f64 v[17:18], v[15:16], v[15:16]
	v_cndmask_b32_e64 v13, v13, v41, s[6:7]
	s_movk_i32 s6, 0x1f8
	v_cmp_class_f64_e64 s[6:7], v[19:20], s6
	v_mul_f64 v[38:39], v[17:18], 0.5
	v_fma_f64 v[49:50], v[17:18], s[56:57], v[49:50]
	v_fma_f64 v[35:36], v[17:18], s[66:67], v[35:36]
	v_cndmask_b32_e64 v13, 0, v13, s[6:7]
	v_cndmask_b32_e64 v14, v46, v14, s[6:7]
	v_add_f64 v[40:41], -v[38:39], 1.0
	v_fma_f64 v[49:50], v[17:18], v[49:50], s[58:59]
	v_fma_f64 v[35:36], v[17:18], v[35:36], s[68:69]
	v_add_f64 v[47:48], -v[40:41], 1.0
	v_fma_f64 v[49:50], v[17:18], v[49:50], s[60:61]
	v_fma_f64 v[35:36], v[17:18], v[35:36], s[70:71]
	v_add_f64 v[38:39], v[47:48], -v[38:39]
	v_fma_f64 v[49:50], v[17:18], v[49:50], s[62:63]
	v_mul_f64 v[47:48], v[17:18], v[17:18]
	v_fma_f64 v[35:36], v[17:18], v[35:36], s[46:47]
	v_fma_f64 v[38:39], v[15:16], -v[33:34], v[38:39]
	v_fma_f64 v[49:50], v[17:18], v[49:50], s[72:73]
	v_fma_f64 v[38:39], v[47:48], v[49:50], v[38:39]
	v_mul_f64 v[47:48], v[33:34], 0.5
	v_add_f64 v[38:39], v[40:41], v[38:39]
	v_mul_f64 v[40:41], v[15:16], -v[17:18]
	v_fma_f64 v[35:36], v[40:41], v[35:36], v[47:48]
	v_fma_f64 v[17:18], v[17:18], v[35:36], -v[33:34]
	v_fma_f64 v[17:18], v[40:41], s[48:49], v[17:18]
	v_add_f64 v[15:16], v[15:16], -v[17:18]
	v_and_b32_e32 v17, 1, v37
	v_cmp_eq_u32_e64 s[8:9], 0, v17
	v_lshlrev_b32_e32 v17, 30, v37
	v_xor_b32_e32 v17, v17, v20
	v_and_b32_e32 v17, 0x80000000, v17
	v_cndmask_b32_e64 v16, v39, v16, s[8:9]
	v_cndmask_b32_e64 v15, v38, v15, s[8:9]
	v_xor_b32_e32 v16, v16, v17
	v_cndmask_b32_e64 v15, 0, v15, s[6:7]
	v_cndmask_b32_e64 v16, v46, v16, s[6:7]
.LBB131_278:                            ;   in Loop: Header=BB131_185 Depth=1
	s_or_b64 exec, exec, s[10:11]
                                        ; implicit-def: $vgpr17_vgpr18
.LBB131_279:                            ;   in Loop: Header=BB131_185 Depth=1
	s_andn2_saveexec_b64 s[10:11], s[14:15]
	s_cbranch_execz .LBB131_281
; %bb.280:                              ;   in Loop: Header=BB131_185 Depth=1
	v_mul_f64 v[13:14], v[17:18], s[28:29]
	s_mov_b32 s89, s47
	s_mov_b32 s91, s73
	v_cmp_nlt_f64_e64 s[6:7], s[92:93], v[17:18]
	v_cmp_ngt_f64_e64 s[8:9], s[94:95], v[17:18]
	v_rndne_f64_e32 v[13:14], v[13:14]
	v_fma_f64 v[15:16], v[13:14], s[30:31], v[17:18]
	v_fma_f64 v[15:16], v[13:14], s[34:35], v[15:16]
	v_cvt_i32_f64_e32 v13, v[13:14]
	v_fma_f64 v[33:34], v[15:16], s[36:37], v[23:24]
	v_fma_f64 v[33:34], v[15:16], v[33:34], s[38:39]
	v_fma_f64 v[33:34], v[15:16], v[33:34], s[40:41]
	v_fma_f64 v[33:34], v[15:16], v[33:34], s[42:43]
	v_fma_f64 v[33:34], v[15:16], v[33:34], s[44:45]
	v_fma_f64 v[33:34], v[15:16], v[33:34], s[88:89]
	v_fma_f64 v[33:34], v[15:16], v[33:34], s[90:91]
	v_fma_f64 v[33:34], v[15:16], v[33:34], s[50:51]
	v_fma_f64 v[33:34], v[15:16], v[33:34], s[52:53]
	v_fma_f64 v[33:34], v[15:16], v[33:34], 1.0
	v_fma_f64 v[15:16], v[15:16], v[33:34], 1.0
	v_ldexp_f64 v[13:14], v[15:16], v13
	v_mov_b32_e32 v15, v19
	v_mov_b32_e32 v16, v20
	v_cndmask_b32_e64 v14, v45, v14, s[6:7]
	s_and_b64 s[6:7], s[8:9], s[6:7]
	v_cndmask_b32_e64 v14, 0, v14, s[8:9]
	v_cndmask_b32_e64 v13, 0, v13, s[6:7]
.LBB131_281:                            ;   in Loop: Header=BB131_185 Depth=1
	s_or_b64 exec, exec, s[10:11]
	v_and_b32_e32 v37, 0x7fffffff, v12
	v_or_b32_e32 v17, v37, v11
	v_cmp_ne_u32_e64 s[6:7], 0, v17
                                        ; implicit-def: $vgpr19_vgpr20
	s_and_saveexec_b64 s[8:9], s[6:7]
	s_xor_b64 s[14:15], exec, s[8:9]
	s_cbranch_execz .LBB131_323
; %bb.282:                              ;   in Loop: Header=BB131_185 Depth=1
	v_and_b32_e32 v22, 0x7fffffff, v10
	v_or_b32_e32 v17, v22, v9
	v_cmp_ne_u32_e64 s[6:7], 0, v17
                                        ; implicit-def: $vgpr19_vgpr20
	s_and_saveexec_b64 s[8:9], s[6:7]
	s_xor_b64 s[26:27], exec, s[8:9]
	s_cbranch_execz .LBB131_312
; %bb.283:                              ;   in Loop: Header=BB131_185 Depth=1
	s_mov_b32 s6, 0x7ff00000
	v_cmp_gt_u32_e64 s[6:7], s6, v37
                                        ; implicit-def: $vgpr19_vgpr20
	s_and_saveexec_b64 s[8:9], s[6:7]
	s_xor_b64 s[76:77], exec, s[8:9]
	s_cbranch_execz .LBB131_305
; %bb.284:                              ;   in Loop: Header=BB131_185 Depth=1
	v_add_u32_e32 v17, 0xbf79d1be, v10
	s_mov_b32 s6, 0x108aa2
	v_cmp_lt_u32_e64 s[6:7], s6, v17
                                        ; implicit-def: $vgpr19_vgpr20
	s_and_saveexec_b64 s[8:9], s[6:7]
	s_xor_b64 s[10:11], exec, s[8:9]
	s_cbranch_execz .LBB131_294
; %bb.285:                              ;   in Loop: Header=BB131_185 Depth=1
	s_mov_b32 s6, 0
	s_mov_b32 s7, 0x41d00000
	v_cmp_nlt_f64_e64 s[78:79], |v[11:12]|, s[6:7]
                                        ; implicit-def: $vgpr39
                                        ; implicit-def: $vgpr17_vgpr18
                                        ; implicit-def: $vgpr35_vgpr36
	s_and_saveexec_b64 s[6:7], s[78:79]
	s_xor_b64 s[80:81], exec, s[6:7]
	s_cbranch_execz .LBB131_287
; %bb.286:                              ;   in Loop: Header=BB131_185 Depth=1
	v_trig_preop_f64 v[17:18], |v[11:12]|, 0
	s_mov_b32 s6, 0
	s_mov_b32 s7, 0x7b000000
	s_movk_i32 s8, 0xff80
	v_cmp_ge_f64_e64 s[6:7], |v[11:12]|, s[6:7]
	v_ldexp_f64 v[33:34], |v[11:12]|, s8
	v_trig_preop_f64 v[19:20], |v[11:12]|, 1
	s_mov_b32 s82, s20
	s_mov_b32 s87, s85
	v_cndmask_b32_e64 v34, v37, v34, s[6:7]
	v_cndmask_b32_e64 v33, v11, v33, s[6:7]
	s_mov_b32 s6, 0
	v_mul_f64 v[38:39], v[17:18], v[33:34]
	s_mov_b32 s7, 0x7ff00000
	v_mul_f64 v[35:36], v[19:20], v[33:34]
	v_fma_f64 v[17:18], v[17:18], v[33:34], -v[38:39]
	v_fma_f64 v[19:20], v[19:20], v[33:34], -v[35:36]
	v_add_f64 v[40:41], v[35:36], v[17:18]
	v_add_f64 v[53:54], v[40:41], -v[35:36]
	v_add_f64 v[47:48], v[38:39], v[40:41]
	v_add_f64 v[17:18], v[17:18], -v[53:54]
	v_add_f64 v[53:54], v[40:41], -v[53:54]
	v_ldexp_f64 v[49:50], v[47:48], -2
	v_add_f64 v[38:39], v[47:48], -v[38:39]
	v_add_f64 v[53:54], v[35:36], -v[53:54]
	v_trig_preop_f64 v[35:36], |v[11:12]|, 2
	v_fract_f64_e32 v[51:52], v[49:50]
	v_add_f64 v[38:39], v[40:41], -v[38:39]
	v_cmp_neq_f64_e64 s[6:7], |v[49:50]|, s[6:7]
	v_add_f64 v[17:18], v[17:18], v[53:54]
	v_mul_f64 v[53:54], v[35:36], v[33:34]
	v_add_f64 v[55:56], v[53:54], v[19:20]
	v_add_f64 v[57:58], v[55:56], v[17:18]
	v_add_f64 v[47:48], v[57:58], -v[55:56]
	v_add_f64 v[40:41], v[38:39], v[57:58]
	v_add_f64 v[17:18], v[17:18], -v[47:48]
	v_add_f64 v[47:48], v[57:58], -v[47:48]
	v_add_f64 v[38:39], v[40:41], -v[38:39]
	v_add_f64 v[47:48], v[55:56], -v[47:48]
	v_add_f64 v[38:39], v[57:58], -v[38:39]
	v_add_f64 v[17:18], v[17:18], v[47:48]
	v_add_f64 v[47:48], v[55:56], -v[53:54]
	v_add_f64 v[19:20], v[19:20], -v[47:48]
	;; [unrolled: 1-line block ×4, first 2 shown]
	v_add_f64 v[19:20], v[19:20], v[47:48]
	v_add_f64 v[17:18], v[19:20], v[17:18]
	v_fma_f64 v[19:20], v[35:36], v[33:34], -v[53:54]
	v_add_f64 v[17:18], v[19:20], v[17:18]
	v_ldexp_f64 v[19:20], v[51:52], 2
	v_add_f64 v[17:18], v[38:39], v[17:18]
	v_cndmask_b32_e64 v20, 0, v20, s[6:7]
	v_cndmask_b32_e64 v19, 0, v19, s[6:7]
	v_add_f64 v[33:34], v[40:41], v[19:20]
	v_cmp_gt_f64_e64 s[6:7], 0, v[33:34]
	v_cndmask_b32_e64 v22, 0, v43, s[6:7]
	v_add_f64 v[19:20], v[19:20], v[21:22]
	v_add_f64 v[33:34], v[40:41], v[19:20]
	v_cvt_i32_f64_e32 v22, v[33:34]
	v_cvt_f64_i32_e32 v[33:34], v22
	v_add_f64 v[19:20], v[19:20], -v[33:34]
	v_add_f64 v[33:34], v[40:41], v[19:20]
	v_add_f64 v[19:20], v[33:34], -v[19:20]
	v_cmp_le_f64_e64 s[6:7], 0.5, v[33:34]
	v_add_f64 v[19:20], v[40:41], -v[19:20]
	v_addc_co_u32_e64 v39, s[8:9], 0, v22, s[6:7]
	v_cndmask_b32_e64 v22, 0, v44, s[6:7]
	v_add_f64 v[17:18], v[17:18], v[19:20]
	v_add_f64 v[19:20], v[33:34], -v[21:22]
	v_add_f64 v[33:34], v[19:20], v[17:18]
	v_add_f64 v[19:20], v[33:34], -v[19:20]
	v_add_f64 v[17:18], v[17:18], -v[19:20]
	v_mul_f64 v[19:20], v[33:34], s[82:83]
	v_fma_f64 v[35:36], v[33:34], s[82:83], -v[19:20]
	v_fma_f64 v[33:34], v[33:34], s[86:87], v[35:36]
	v_fma_f64 v[33:34], v[17:18], s[82:83], v[33:34]
	v_add_f64 v[17:18], v[19:20], v[33:34]
	v_add_f64 v[19:20], v[17:18], -v[19:20]
	v_add_f64 v[35:36], v[33:34], -v[19:20]
	s_andn2_saveexec_b64 s[6:7], s[80:81]
	s_cbranch_execz .LBB131_289
	s_branch .LBB131_288
.LBB131_287:                            ;   in Loop: Header=BB131_185 Depth=1
	s_andn2_saveexec_b64 s[6:7], s[80:81]
	s_cbranch_execz .LBB131_289
.LBB131_288:                            ;   in Loop: Header=BB131_185 Depth=1
	s_mov_b32 s8, 0x6dc9c883
	s_mov_b32 s9, 0x3fe45f30
	v_mul_f64 v[17:18], |v[11:12]|, s[8:9]
	s_mov_b32 s84, s24
	s_mov_b32 s8, 0x252049c0
	;; [unrolled: 1-line block ×3, first 2 shown]
	v_rndne_f64_e32 v[19:20], v[17:18]
	v_fma_f64 v[17:18], v[19:20], s[20:21], |v[11:12]|
	v_mul_f64 v[33:34], v[19:20], s[24:25]
	v_fma_f64 v[40:41], v[19:20], s[24:25], v[17:18]
	v_add_f64 v[35:36], v[17:18], v[33:34]
	v_add_f64 v[38:39], v[17:18], -v[35:36]
	v_add_f64 v[35:36], v[35:36], -v[40:41]
	v_add_f64 v[17:18], v[38:39], v[33:34]
	v_fma_f64 v[33:34], v[19:20], s[84:85], v[33:34]
	v_cvt_i32_f64_e32 v39, v[19:20]
	v_add_f64 v[17:18], v[35:36], v[17:18]
	v_add_f64 v[17:18], v[17:18], -v[33:34]
	v_fma_f64 v[33:34], v[19:20], s[8:9], v[17:18]
	v_add_f64 v[17:18], v[40:41], v[33:34]
	v_add_f64 v[35:36], v[17:18], -v[40:41]
	v_add_f64 v[35:36], v[33:34], -v[35:36]
.LBB131_289:                            ;   in Loop: Header=BB131_185 Depth=1
	s_or_b64 exec, exec, s[6:7]
                                        ; implicit-def: $vgpr41
                                        ; implicit-def: $vgpr19_vgpr20
                                        ; implicit-def: $vgpr33_vgpr34
	s_and_saveexec_b64 s[6:7], s[78:79]
	s_xor_b64 s[78:79], exec, s[6:7]
	s_cbranch_execz .LBB131_291
; %bb.290:                              ;   in Loop: Header=BB131_185 Depth=1
	v_trig_preop_f64 v[19:20], |v[11:12]|, 0
	s_mov_b32 s6, 0
	s_mov_b32 s7, 0x7b000000
	s_movk_i32 s8, 0xff80
	v_cmp_ge_f64_e64 s[6:7], |v[11:12]|, s[6:7]
	v_ldexp_f64 v[40:41], |v[11:12]|, s8
	v_trig_preop_f64 v[33:34], |v[11:12]|, 1
	s_mov_b32 s82, s20
	s_mov_b32 s87, s85
	v_cndmask_b32_e64 v38, v37, v41, s[6:7]
	v_cndmask_b32_e64 v37, v11, v40, s[6:7]
	s_mov_b32 s6, 0
	v_mul_f64 v[47:48], v[19:20], v[37:38]
	s_mov_b32 s7, 0x7ff00000
	v_mul_f64 v[40:41], v[33:34], v[37:38]
	v_fma_f64 v[19:20], v[19:20], v[37:38], -v[47:48]
	v_fma_f64 v[33:34], v[33:34], v[37:38], -v[40:41]
	v_add_f64 v[49:50], v[40:41], v[19:20]
	v_add_f64 v[57:58], v[49:50], -v[40:41]
	v_add_f64 v[51:52], v[47:48], v[49:50]
	v_add_f64 v[19:20], v[19:20], -v[57:58]
	v_add_f64 v[57:58], v[49:50], -v[57:58]
	v_ldexp_f64 v[53:54], v[51:52], -2
	v_add_f64 v[47:48], v[51:52], -v[47:48]
	v_add_f64 v[57:58], v[40:41], -v[57:58]
	v_trig_preop_f64 v[40:41], |v[11:12]|, 2
	v_fract_f64_e32 v[55:56], v[53:54]
	v_add_f64 v[47:48], v[49:50], -v[47:48]
	v_cmp_neq_f64_e64 s[6:7], |v[53:54]|, s[6:7]
	v_add_f64 v[19:20], v[19:20], v[57:58]
	v_mul_f64 v[57:58], v[40:41], v[37:38]
	v_add_f64 v[59:60], v[57:58], v[33:34]
	v_add_f64 v[61:62], v[59:60], v[19:20]
	v_add_f64 v[51:52], v[61:62], -v[59:60]
	v_add_f64 v[49:50], v[47:48], v[61:62]
	v_add_f64 v[19:20], v[19:20], -v[51:52]
	v_add_f64 v[51:52], v[61:62], -v[51:52]
	;; [unrolled: 1-line block ×5, first 2 shown]
	v_add_f64 v[19:20], v[19:20], v[51:52]
	v_add_f64 v[51:52], v[59:60], -v[57:58]
	v_add_f64 v[33:34], v[33:34], -v[51:52]
	;; [unrolled: 1-line block ×4, first 2 shown]
	v_add_f64 v[33:34], v[33:34], v[51:52]
	v_add_f64 v[19:20], v[33:34], v[19:20]
	v_fma_f64 v[33:34], v[40:41], v[37:38], -v[57:58]
	v_add_f64 v[19:20], v[33:34], v[19:20]
	v_ldexp_f64 v[33:34], v[55:56], 2
	v_add_f64 v[19:20], v[47:48], v[19:20]
	v_cndmask_b32_e64 v34, 0, v34, s[6:7]
	v_cndmask_b32_e64 v33, 0, v33, s[6:7]
	v_add_f64 v[37:38], v[49:50], v[33:34]
	v_cmp_gt_f64_e64 s[6:7], 0, v[37:38]
	v_cndmask_b32_e64 v22, 0, v43, s[6:7]
	v_add_f64 v[33:34], v[33:34], v[21:22]
	v_add_f64 v[37:38], v[49:50], v[33:34]
	v_cvt_i32_f64_e32 v22, v[37:38]
	v_cvt_f64_i32_e32 v[37:38], v22
	v_add_f64 v[33:34], v[33:34], -v[37:38]
	v_add_f64 v[37:38], v[49:50], v[33:34]
	v_add_f64 v[33:34], v[37:38], -v[33:34]
	v_cmp_le_f64_e64 s[6:7], 0.5, v[37:38]
	v_add_f64 v[33:34], v[49:50], -v[33:34]
	v_addc_co_u32_e64 v41, s[8:9], 0, v22, s[6:7]
	v_cndmask_b32_e64 v22, 0, v44, s[6:7]
	v_add_f64 v[19:20], v[19:20], v[33:34]
	v_add_f64 v[33:34], v[37:38], -v[21:22]
	v_add_f64 v[37:38], v[33:34], v[19:20]
	v_add_f64 v[33:34], v[37:38], -v[33:34]
	v_add_f64 v[19:20], v[19:20], -v[33:34]
	v_mul_f64 v[33:34], v[37:38], s[82:83]
	v_fma_f64 v[47:48], v[37:38], s[82:83], -v[33:34]
	v_fma_f64 v[37:38], v[37:38], s[86:87], v[47:48]
	v_fma_f64 v[37:38], v[19:20], s[82:83], v[37:38]
	v_add_f64 v[19:20], v[33:34], v[37:38]
	v_add_f64 v[33:34], v[19:20], -v[33:34]
	v_add_f64 v[33:34], v[37:38], -v[33:34]
	s_andn2_saveexec_b64 s[6:7], s[78:79]
	s_cbranch_execnz .LBB131_292
	s_branch .LBB131_293
.LBB131_291:                            ;   in Loop: Header=BB131_185 Depth=1
	s_andn2_saveexec_b64 s[6:7], s[78:79]
	s_cbranch_execz .LBB131_293
.LBB131_292:                            ;   in Loop: Header=BB131_185 Depth=1
	s_mov_b32 s8, 0x6dc9c883
	s_mov_b32 s9, 0x3fe45f30
	v_mul_f64 v[19:20], |v[11:12]|, s[8:9]
	s_mov_b32 s84, s24
	s_mov_b32 s8, 0x252049c0
	;; [unrolled: 1-line block ×3, first 2 shown]
	v_rndne_f64_e32 v[37:38], v[19:20]
	v_fma_f64 v[19:20], v[37:38], s[20:21], |v[11:12]|
	v_mul_f64 v[33:34], v[37:38], s[24:25]
	v_fma_f64 v[49:50], v[37:38], s[24:25], v[19:20]
	v_add_f64 v[40:41], v[19:20], v[33:34]
	v_add_f64 v[47:48], v[19:20], -v[40:41]
	v_add_f64 v[40:41], v[40:41], -v[49:50]
	v_add_f64 v[19:20], v[47:48], v[33:34]
	v_fma_f64 v[33:34], v[37:38], s[84:85], v[33:34]
	v_add_f64 v[19:20], v[40:41], v[19:20]
	v_add_f64 v[19:20], v[19:20], -v[33:34]
	v_fma_f64 v[33:34], v[37:38], s[8:9], v[19:20]
	v_add_f64 v[19:20], v[49:50], v[33:34]
	v_add_f64 v[40:41], v[19:20], -v[49:50]
	v_add_f64 v[33:34], v[33:34], -v[40:41]
	v_cvt_i32_f64_e32 v41, v[37:38]
.LBB131_293:                            ;   in Loop: Header=BB131_185 Depth=1
	s_or_b64 exec, exec, s[6:7]
	v_mul_f64 v[37:38], v[9:10], s[28:29]
	s_mov_b32 s89, s47
	s_mov_b32 s91, s73
	v_cmp_nlt_f64_e64 s[6:7], s[92:93], v[9:10]
	v_cmp_ngt_f64_e64 s[8:9], s[94:95], v[9:10]
	v_mul_f64 v[57:58], v[35:36], 0.5
	s_mov_b32 s48, s72
	v_rndne_f64_e32 v[37:38], v[37:38]
	v_fma_f64 v[47:48], v[37:38], s[30:31], v[9:10]
	v_cvt_i32_f64_e32 v22, v[37:38]
	v_fma_f64 v[47:48], v[37:38], s[34:35], v[47:48]
	v_fma_f64 v[49:50], v[47:48], s[36:37], v[23:24]
	;; [unrolled: 1-line block ×10, first 2 shown]
	v_fma_f64 v[49:50], v[47:48], v[49:50], 1.0
	v_fma_f64 v[47:48], v[47:48], v[49:50], 1.0
	v_ldexp_f64 v[37:38], v[47:48], v22
	v_mul_f64 v[47:48], v[17:18], v[17:18]
	v_cndmask_b32_e64 v22, v45, v38, s[6:7]
	s_and_b64 s[6:7], s[8:9], s[6:7]
	v_cndmask_b32_e64 v9, 0, v37, s[6:7]
	s_mov_b32 s6, 0x9037ab78
	s_mov_b32 s7, 0x3e21eeb6
	v_mov_b32_e32 v54, s7
	v_mov_b32_e32 v53, s6
	v_mul_f64 v[37:38], v[47:48], 0.5
	v_fma_f64 v[55:56], v[47:48], s[56:57], v[53:54]
	v_cndmask_b32_e64 v10, 0, v22, s[8:9]
	v_and_b32_e32 v22, 1, v39
	v_cmp_eq_u32_e64 s[6:7], 0, v22
	v_lshlrev_b32_e32 v22, 30, v39
	v_mul_f64 v[39:40], v[19:20], v[19:20]
	v_and_b32_e32 v22, 0x80000000, v22
	v_add_f64 v[49:50], -v[37:38], 1.0
	v_fma_f64 v[55:56], v[47:48], v[55:56], s[58:59]
	v_add_f64 v[51:52], -v[49:50], 1.0
	v_fma_f64 v[55:56], v[47:48], v[55:56], s[60:61]
	v_add_f64 v[37:38], v[51:52], -v[37:38]
	v_fma_f64 v[55:56], v[47:48], v[55:56], s[62:63]
	v_mul_f64 v[51:52], v[47:48], v[47:48]
	v_fma_f64 v[37:38], v[17:18], -v[35:36], v[37:38]
	v_fma_f64 v[55:56], v[47:48], v[55:56], s[72:73]
	v_fma_f64 v[37:38], v[51:52], v[55:56], v[37:38]
	v_mul_f64 v[55:56], v[17:18], -v[47:48]
	v_add_f64 v[49:50], v[49:50], v[37:38]
	v_mov_b32_e32 v37, s64
	v_mov_b32_e32 v38, s65
	v_fma_f64 v[51:52], v[47:48], s[66:67], v[37:38]
	v_fma_f64 v[37:38], v[39:40], s[66:67], v[37:38]
	;; [unrolled: 1-line block ×9, first 2 shown]
	v_fma_f64 v[35:36], v[47:48], v[51:52], -v[35:36]
	v_fma_f64 v[51:52], v[39:40], s[56:57], v[53:54]
	v_fma_f64 v[35:36], v[55:56], s[48:49], v[35:36]
	v_fma_f64 v[51:52], v[39:40], v[51:52], s[58:59]
	v_add_f64 v[17:18], v[17:18], -v[35:36]
	v_mul_f64 v[35:36], v[39:40], 0.5
	v_fma_f64 v[51:52], v[39:40], v[51:52], s[60:61]
	v_xor_b32_e32 v18, 0x80000000, v18
	v_add_f64 v[47:48], -v[35:36], 1.0
	v_cndmask_b32_e64 v17, v17, v49, s[6:7]
	v_cndmask_b32_e64 v18, v18, v50, s[6:7]
	v_fma_f64 v[51:52], v[39:40], v[51:52], s[62:63]
	s_movk_i32 s6, 0x1f8
	v_cmp_class_f64_e64 s[6:7], v[11:12], s6
	v_and_b32_e32 v11, 1, v41
	v_cmp_eq_u32_e64 s[8:9], 0, v11
	v_add_f64 v[49:50], -v[47:48], 1.0
	v_xor_b32_e32 v18, v18, v22
	v_fma_f64 v[51:52], v[39:40], v[51:52], s[72:73]
	v_cndmask_b32_e64 v17, 0, v17, s[6:7]
	v_cndmask_b32_e64 v18, v46, v18, s[6:7]
	v_mul_f64 v[17:18], v[9:10], v[17:18]
	v_add_f64 v[35:36], v[49:50], -v[35:36]
	v_mul_f64 v[49:50], v[39:40], v[39:40]
	v_fma_f64 v[35:36], v[19:20], -v[33:34], v[35:36]
	v_fma_f64 v[35:36], v[49:50], v[51:52], v[35:36]
	v_mul_f64 v[49:50], v[33:34], 0.5
	v_add_f64 v[35:36], v[47:48], v[35:36]
	v_mul_f64 v[47:48], v[19:20], -v[39:40]
	v_fma_f64 v[37:38], v[47:48], v[37:38], v[49:50]
	v_fma_f64 v[33:34], v[39:40], v[37:38], -v[33:34]
                                        ; implicit-def: $vgpr37
	v_fma_f64 v[33:34], v[47:48], s[48:49], v[33:34]
	v_add_f64 v[19:20], v[19:20], -v[33:34]
	v_cndmask_b32_e64 v11, v35, v19, s[8:9]
	v_cndmask_b32_e64 v19, v36, v20, s[8:9]
	v_lshlrev_b32_e32 v20, 30, v41
	v_xor_b32_e32 v12, v20, v12
	v_and_b32_e32 v12, 0x80000000, v12
	v_xor_b32_e32 v12, v19, v12
	v_cndmask_b32_e64 v11, 0, v11, s[6:7]
	v_cndmask_b32_e64 v12, v46, v12, s[6:7]
	v_mul_f64 v[19:20], v[9:10], v[11:12]
                                        ; implicit-def: $vgpr11_vgpr12
.LBB131_294:                            ;   in Loop: Header=BB131_185 Depth=1
	s_andn2_saveexec_b64 s[78:79], s[10:11]
	s_cbranch_execz .LBB131_304
; %bb.295:                              ;   in Loop: Header=BB131_185 Depth=1
	s_mov_b32 s6, 0
	s_mov_b32 s7, 0x41d00000
	v_cmp_nlt_f64_e64 s[10:11], |v[11:12]|, s[6:7]
                                        ; implicit-def: $vgpr41
                                        ; implicit-def: $vgpr17_vgpr18
                                        ; implicit-def: $vgpr35_vgpr36
	s_and_saveexec_b64 s[6:7], s[10:11]
	s_xor_b64 s[80:81], exec, s[6:7]
	s_cbranch_execz .LBB131_297
; %bb.296:                              ;   in Loop: Header=BB131_185 Depth=1
	v_trig_preop_f64 v[17:18], |v[11:12]|, 0
	s_mov_b32 s6, 0
	s_mov_b32 s7, 0x7b000000
	s_movk_i32 s8, 0xff80
	v_cmp_ge_f64_e64 s[6:7], |v[11:12]|, s[6:7]
	v_ldexp_f64 v[33:34], |v[11:12]|, s8
	v_trig_preop_f64 v[19:20], |v[11:12]|, 1
	s_mov_b32 s82, s20
	s_mov_b32 s87, s85
	v_cndmask_b32_e64 v34, v37, v34, s[6:7]
	v_cndmask_b32_e64 v33, v11, v33, s[6:7]
	s_mov_b32 s6, 0
	v_mul_f64 v[38:39], v[17:18], v[33:34]
	s_mov_b32 s7, 0x7ff00000
	v_mul_f64 v[35:36], v[19:20], v[33:34]
	v_fma_f64 v[17:18], v[17:18], v[33:34], -v[38:39]
	v_fma_f64 v[19:20], v[19:20], v[33:34], -v[35:36]
	v_add_f64 v[40:41], v[35:36], v[17:18]
	v_add_f64 v[53:54], v[40:41], -v[35:36]
	v_add_f64 v[47:48], v[38:39], v[40:41]
	v_add_f64 v[17:18], v[17:18], -v[53:54]
	v_add_f64 v[53:54], v[40:41], -v[53:54]
	v_ldexp_f64 v[49:50], v[47:48], -2
	v_add_f64 v[38:39], v[47:48], -v[38:39]
	v_add_f64 v[53:54], v[35:36], -v[53:54]
	v_trig_preop_f64 v[35:36], |v[11:12]|, 2
	v_fract_f64_e32 v[51:52], v[49:50]
	v_add_f64 v[38:39], v[40:41], -v[38:39]
	v_cmp_neq_f64_e64 s[6:7], |v[49:50]|, s[6:7]
	v_add_f64 v[17:18], v[17:18], v[53:54]
	v_mul_f64 v[53:54], v[35:36], v[33:34]
	v_add_f64 v[55:56], v[53:54], v[19:20]
	v_add_f64 v[57:58], v[55:56], v[17:18]
	v_add_f64 v[47:48], v[57:58], -v[55:56]
	v_add_f64 v[40:41], v[38:39], v[57:58]
	v_add_f64 v[17:18], v[17:18], -v[47:48]
	v_add_f64 v[47:48], v[57:58], -v[47:48]
	;; [unrolled: 1-line block ×5, first 2 shown]
	v_add_f64 v[17:18], v[17:18], v[47:48]
	v_add_f64 v[47:48], v[55:56], -v[53:54]
	v_add_f64 v[19:20], v[19:20], -v[47:48]
	;; [unrolled: 1-line block ×4, first 2 shown]
	v_add_f64 v[19:20], v[19:20], v[47:48]
	v_add_f64 v[17:18], v[19:20], v[17:18]
	v_fma_f64 v[19:20], v[35:36], v[33:34], -v[53:54]
	v_add_f64 v[17:18], v[19:20], v[17:18]
	v_ldexp_f64 v[19:20], v[51:52], 2
	v_add_f64 v[17:18], v[38:39], v[17:18]
	v_cndmask_b32_e64 v20, 0, v20, s[6:7]
	v_cndmask_b32_e64 v19, 0, v19, s[6:7]
	v_add_f64 v[33:34], v[40:41], v[19:20]
	v_cmp_gt_f64_e64 s[6:7], 0, v[33:34]
	v_cndmask_b32_e64 v22, 0, v43, s[6:7]
	v_add_f64 v[19:20], v[19:20], v[21:22]
	v_add_f64 v[33:34], v[40:41], v[19:20]
	v_cvt_i32_f64_e32 v22, v[33:34]
	v_cvt_f64_i32_e32 v[33:34], v22
	v_add_f64 v[19:20], v[19:20], -v[33:34]
	v_add_f64 v[33:34], v[40:41], v[19:20]
	v_add_f64 v[19:20], v[33:34], -v[19:20]
	v_cmp_le_f64_e64 s[6:7], 0.5, v[33:34]
	v_add_f64 v[19:20], v[40:41], -v[19:20]
	v_addc_co_u32_e64 v41, s[8:9], 0, v22, s[6:7]
	v_cndmask_b32_e64 v22, 0, v44, s[6:7]
	v_add_f64 v[17:18], v[17:18], v[19:20]
	v_add_f64 v[19:20], v[33:34], -v[21:22]
	v_add_f64 v[33:34], v[19:20], v[17:18]
	v_add_f64 v[19:20], v[33:34], -v[19:20]
	v_add_f64 v[17:18], v[17:18], -v[19:20]
	v_mul_f64 v[19:20], v[33:34], s[82:83]
	v_fma_f64 v[35:36], v[33:34], s[82:83], -v[19:20]
	v_fma_f64 v[33:34], v[33:34], s[86:87], v[35:36]
	v_fma_f64 v[33:34], v[17:18], s[82:83], v[33:34]
	v_add_f64 v[17:18], v[19:20], v[33:34]
	v_add_f64 v[19:20], v[17:18], -v[19:20]
	v_add_f64 v[35:36], v[33:34], -v[19:20]
	s_andn2_saveexec_b64 s[6:7], s[80:81]
	s_cbranch_execz .LBB131_299
	s_branch .LBB131_298
.LBB131_297:                            ;   in Loop: Header=BB131_185 Depth=1
	s_andn2_saveexec_b64 s[6:7], s[80:81]
	s_cbranch_execz .LBB131_299
.LBB131_298:                            ;   in Loop: Header=BB131_185 Depth=1
	s_mov_b32 s8, 0x6dc9c883
	s_mov_b32 s9, 0x3fe45f30
	v_mul_f64 v[17:18], |v[11:12]|, s[8:9]
	s_mov_b32 s84, s24
	s_mov_b32 s8, 0x252049c0
	s_mov_b32 s9, 0xb97b839a
	v_rndne_f64_e32 v[19:20], v[17:18]
	v_fma_f64 v[17:18], v[19:20], s[20:21], |v[11:12]|
	v_mul_f64 v[33:34], v[19:20], s[24:25]
	v_fma_f64 v[40:41], v[19:20], s[24:25], v[17:18]
	v_add_f64 v[35:36], v[17:18], v[33:34]
	v_add_f64 v[38:39], v[17:18], -v[35:36]
	v_add_f64 v[35:36], v[35:36], -v[40:41]
	v_add_f64 v[17:18], v[38:39], v[33:34]
	v_fma_f64 v[33:34], v[19:20], s[84:85], v[33:34]
	v_add_f64 v[17:18], v[35:36], v[17:18]
	v_add_f64 v[17:18], v[17:18], -v[33:34]
	v_fma_f64 v[33:34], v[19:20], s[8:9], v[17:18]
	v_add_f64 v[17:18], v[40:41], v[33:34]
	v_add_f64 v[35:36], v[17:18], -v[40:41]
	v_cvt_i32_f64_e32 v41, v[19:20]
	v_add_f64 v[35:36], v[33:34], -v[35:36]
.LBB131_299:                            ;   in Loop: Header=BB131_185 Depth=1
	s_or_b64 exec, exec, s[6:7]
                                        ; implicit-def: $vgpr47
                                        ; implicit-def: $vgpr19_vgpr20
                                        ; implicit-def: $vgpr33_vgpr34
	s_and_saveexec_b64 s[6:7], s[10:11]
	s_xor_b64 s[10:11], exec, s[6:7]
	s_cbranch_execz .LBB131_301
; %bb.300:                              ;   in Loop: Header=BB131_185 Depth=1
	v_trig_preop_f64 v[19:20], |v[11:12]|, 0
	s_mov_b32 s6, 0
	s_mov_b32 s7, 0x7b000000
	s_movk_i32 s8, 0xff80
	v_cmp_ge_f64_e64 s[6:7], |v[11:12]|, s[6:7]
	v_ldexp_f64 v[38:39], |v[11:12]|, s8
	v_trig_preop_f64 v[33:34], |v[11:12]|, 1
	s_mov_b32 s82, s20
	s_mov_b32 s87, s85
	v_cndmask_b32_e64 v39, v37, v39, s[6:7]
	v_cndmask_b32_e64 v38, v11, v38, s[6:7]
	s_mov_b32 s6, 0
	v_mul_f64 v[49:50], v[19:20], v[38:39]
	s_mov_b32 s7, 0x7ff00000
	v_mul_f64 v[47:48], v[33:34], v[38:39]
	v_fma_f64 v[19:20], v[19:20], v[38:39], -v[49:50]
	v_fma_f64 v[33:34], v[33:34], v[38:39], -v[47:48]
	v_add_f64 v[51:52], v[47:48], v[19:20]
	v_add_f64 v[59:60], v[51:52], -v[47:48]
	v_add_f64 v[53:54], v[49:50], v[51:52]
	v_add_f64 v[19:20], v[19:20], -v[59:60]
	v_add_f64 v[59:60], v[51:52], -v[59:60]
	v_ldexp_f64 v[55:56], v[53:54], -2
	v_add_f64 v[49:50], v[53:54], -v[49:50]
	v_add_f64 v[59:60], v[47:48], -v[59:60]
	v_trig_preop_f64 v[47:48], |v[11:12]|, 2
	v_fract_f64_e32 v[57:58], v[55:56]
	v_add_f64 v[49:50], v[51:52], -v[49:50]
	v_cmp_neq_f64_e64 s[6:7], |v[55:56]|, s[6:7]
	v_add_f64 v[19:20], v[19:20], v[59:60]
	v_mul_f64 v[59:60], v[47:48], v[38:39]
	v_add_f64 v[61:62], v[59:60], v[33:34]
	v_add_f64 v[63:64], v[61:62], v[19:20]
	v_add_f64 v[53:54], v[63:64], -v[61:62]
	v_add_f64 v[51:52], v[49:50], v[63:64]
	v_add_f64 v[19:20], v[19:20], -v[53:54]
	v_add_f64 v[53:54], v[63:64], -v[53:54]
	;; [unrolled: 1-line block ×5, first 2 shown]
	v_add_f64 v[19:20], v[19:20], v[53:54]
	v_add_f64 v[53:54], v[61:62], -v[59:60]
	v_add_f64 v[33:34], v[33:34], -v[53:54]
	;; [unrolled: 1-line block ×4, first 2 shown]
	v_add_f64 v[33:34], v[33:34], v[53:54]
	v_add_f64 v[19:20], v[33:34], v[19:20]
	v_fma_f64 v[33:34], v[47:48], v[38:39], -v[59:60]
	v_add_f64 v[19:20], v[33:34], v[19:20]
	v_ldexp_f64 v[33:34], v[57:58], 2
	v_add_f64 v[19:20], v[49:50], v[19:20]
	v_cndmask_b32_e64 v34, 0, v34, s[6:7]
	v_cndmask_b32_e64 v33, 0, v33, s[6:7]
	v_add_f64 v[37:38], v[51:52], v[33:34]
	v_cmp_gt_f64_e64 s[6:7], 0, v[37:38]
	v_cndmask_b32_e64 v22, 0, v43, s[6:7]
	v_add_f64 v[33:34], v[33:34], v[21:22]
	v_add_f64 v[37:38], v[51:52], v[33:34]
	v_cvt_i32_f64_e32 v22, v[37:38]
	v_cvt_f64_i32_e32 v[37:38], v22
	v_add_f64 v[33:34], v[33:34], -v[37:38]
	v_add_f64 v[37:38], v[51:52], v[33:34]
	v_add_f64 v[33:34], v[37:38], -v[33:34]
	v_cmp_le_f64_e64 s[6:7], 0.5, v[37:38]
	v_add_f64 v[33:34], v[51:52], -v[33:34]
	v_addc_co_u32_e64 v47, s[8:9], 0, v22, s[6:7]
	v_cndmask_b32_e64 v22, 0, v44, s[6:7]
	v_add_f64 v[19:20], v[19:20], v[33:34]
	v_add_f64 v[33:34], v[37:38], -v[21:22]
	v_add_f64 v[37:38], v[33:34], v[19:20]
	v_add_f64 v[33:34], v[37:38], -v[33:34]
	v_add_f64 v[19:20], v[19:20], -v[33:34]
	v_mul_f64 v[33:34], v[37:38], s[82:83]
	v_fma_f64 v[39:40], v[37:38], s[82:83], -v[33:34]
	v_fma_f64 v[37:38], v[37:38], s[86:87], v[39:40]
	v_fma_f64 v[37:38], v[19:20], s[82:83], v[37:38]
	v_add_f64 v[19:20], v[33:34], v[37:38]
	v_add_f64 v[33:34], v[19:20], -v[33:34]
	v_add_f64 v[33:34], v[37:38], -v[33:34]
	s_andn2_saveexec_b64 s[6:7], s[10:11]
	s_cbranch_execnz .LBB131_302
	s_branch .LBB131_303
.LBB131_301:                            ;   in Loop: Header=BB131_185 Depth=1
	s_andn2_saveexec_b64 s[6:7], s[10:11]
	s_cbranch_execz .LBB131_303
.LBB131_302:                            ;   in Loop: Header=BB131_185 Depth=1
	s_mov_b32 s8, 0x6dc9c883
	s_mov_b32 s9, 0x3fe45f30
	v_mul_f64 v[19:20], |v[11:12]|, s[8:9]
	s_mov_b32 s84, s24
	s_mov_b32 s8, 0x252049c0
	;; [unrolled: 1-line block ×3, first 2 shown]
	v_rndne_f64_e32 v[37:38], v[19:20]
	v_fma_f64 v[19:20], v[37:38], s[20:21], |v[11:12]|
	v_mul_f64 v[33:34], v[37:38], s[24:25]
	v_fma_f64 v[49:50], v[37:38], s[24:25], v[19:20]
	v_add_f64 v[39:40], v[19:20], v[33:34]
	v_add_f64 v[47:48], v[19:20], -v[39:40]
	v_add_f64 v[39:40], v[39:40], -v[49:50]
	v_add_f64 v[19:20], v[47:48], v[33:34]
	v_fma_f64 v[33:34], v[37:38], s[84:85], v[33:34]
	v_cvt_i32_f64_e32 v47, v[37:38]
	v_add_f64 v[19:20], v[39:40], v[19:20]
	v_add_f64 v[19:20], v[19:20], -v[33:34]
	v_fma_f64 v[33:34], v[37:38], s[8:9], v[19:20]
	v_add_f64 v[19:20], v[49:50], v[33:34]
	v_add_f64 v[39:40], v[19:20], -v[49:50]
	v_add_f64 v[33:34], v[33:34], -v[39:40]
.LBB131_303:                            ;   in Loop: Header=BB131_185 Depth=1
	s_or_b64 exec, exec, s[6:7]
	v_mul_f64 v[48:49], v[17:18], v[17:18]
	s_mov_b32 s10, 0x9037ab78
	s_mov_b32 s11, 0x3e21eeb6
	v_mov_b32_e32 v40, s11
	v_mov_b32_e32 v39, s10
	s_mov_b32 s48, s72
	s_movk_i32 s6, 0x1f8
	v_cmp_class_f64_e64 s[6:7], v[11:12], s6
	v_mul_f64 v[37:38], v[48:49], 0.5
	v_fma_f64 v[54:55], v[48:49], s[56:57], v[39:40]
	v_mul_f64 v[52:53], v[48:49], v[48:49]
	v_and_b32_e32 v11, 1, v41
	v_cmp_eq_u32_e64 s[8:9], 0, v11
	s_mov_b32 s89, s47
	s_mov_b32 s91, s73
	v_add_f64 v[50:51], -v[37:38], 1.0
	v_fma_f64 v[54:55], v[48:49], v[54:55], s[58:59]
	v_add_f64 v[56:57], -v[50:51], 1.0
	v_fma_f64 v[54:55], v[48:49], v[54:55], s[60:61]
	v_add_f64 v[37:38], v[56:57], -v[37:38]
	v_fma_f64 v[54:55], v[48:49], v[54:55], s[62:63]
	v_mul_f64 v[56:57], v[35:36], 0.5
	v_fma_f64 v[37:38], v[17:18], -v[35:36], v[37:38]
	v_fma_f64 v[54:55], v[48:49], v[54:55], s[72:73]
	v_fma_f64 v[37:38], v[52:53], v[54:55], v[37:38]
	v_mul_f64 v[52:53], v[17:18], -v[48:49]
	v_add_f64 v[50:51], v[50:51], v[37:38]
	v_mov_b32_e32 v37, s64
	v_mov_b32_e32 v38, s65
	v_fma_f64 v[54:55], v[48:49], s[66:67], v[37:38]
	v_fma_f64 v[54:55], v[48:49], v[54:55], s[68:69]
	;; [unrolled: 1-line block ×5, first 2 shown]
	v_fma_f64 v[35:36], v[48:49], v[54:55], -v[35:36]
	v_fma_f64 v[35:36], v[52:53], s[48:49], v[35:36]
	v_add_f64 v[17:18], v[17:18], -v[35:36]
	v_xor_b32_e32 v11, 0x80000000, v18
	v_cndmask_b32_e64 v17, v17, v50, s[8:9]
	v_cndmask_b32_e64 v11, v11, v51, s[8:9]
	s_mov_b32 s8, 0x19ba0da4
	s_mov_b32 s9, 0xc0937be3
	v_add_f64 v[9:10], v[9:10], s[8:9]
	v_lshlrev_b32_e32 v18, 30, v41
	v_and_b32_e32 v18, 0x80000000, v18
	v_xor_b32_e32 v11, v11, v18
	v_cndmask_b32_e64 v18, v46, v11, s[6:7]
	v_cndmask_b32_e64 v17, 0, v17, s[6:7]
	v_mul_f64 v[35:36], v[9:10], s[28:29]
	v_cmp_nlt_f64_e64 s[8:9], s[92:93], v[9:10]
	v_cmp_ngt_f64_e64 s[10:11], s[94:95], v[9:10]
	v_rndne_f64_e32 v[35:36], v[35:36]
	v_fma_f64 v[41:42], v[35:36], s[30:31], v[9:10]
	v_cvt_i32_f64_e32 v11, v[35:36]
	v_fma_f64 v[41:42], v[35:36], s[34:35], v[41:42]
	v_fma_f64 v[48:49], v[41:42], s[36:37], v[23:24]
	v_fma_f64 v[48:49], v[41:42], v[48:49], s[38:39]
	v_fma_f64 v[48:49], v[41:42], v[48:49], s[40:41]
	v_fma_f64 v[48:49], v[41:42], v[48:49], s[42:43]
	v_fma_f64 v[48:49], v[41:42], v[48:49], s[44:45]
	v_fma_f64 v[48:49], v[41:42], v[48:49], s[88:89]
	v_fma_f64 v[48:49], v[41:42], v[48:49], s[90:91]
	v_fma_f64 v[48:49], v[41:42], v[48:49], s[50:51]
	v_fma_f64 v[48:49], v[41:42], v[48:49], s[52:53]
	v_fma_f64 v[48:49], v[41:42], v[48:49], 1.0
	v_fma_f64 v[41:42], v[41:42], v[48:49], 1.0
	v_ldexp_f64 v[35:36], v[41:42], v11
	v_cndmask_b32_e64 v11, v45, v36, s[8:9]
	v_cndmask_b32_e64 v11, 0, v11, s[10:11]
	s_and_b64 s[8:9], s[10:11], s[8:9]
	v_and_b32_e32 v9, 0xfffff, v11
	v_cndmask_b32_e64 v35, 0, v35, s[8:9]
	v_or_b32_e32 v36, 0x7fe00000, v9
	v_mul_f64 v[9:10], v[35:36], v[17:18]
	v_lshrrev_b32_e32 v11, 20, v11
	v_add_u32_e32 v11, 0xffffff09, v11
	v_lshrrev_b16_e32 v17, 15, v11
	v_add_u16_e32 v17, v11, v17
	v_ashrrev_i16_e32 v17, 1, v17
	v_bfe_i32 v41, v17, 0, 16
	v_lshl_add_u32 v22, v41, 20, v44
	v_mul_f64 v[17:18], v[9:10], v[21:22]
	v_sub_u32_e32 v9, v11, v41
	v_mul_f64 v[41:42], v[19:20], v[19:20]
	v_and_b32_e32 v11, 1, v47
	v_cmp_eq_u32_e64 s[8:9], 0, v11
	v_lshl_add_u32 v10, v9, 20, v44
	v_mov_b32_e32 v9, v21
	v_mul_f64 v[17:18], v[17:18], v[9:10]
	v_mul_f64 v[48:49], v[41:42], 0.5
	v_fma_f64 v[39:40], v[41:42], s[56:57], v[39:40]
	v_fma_f64 v[37:38], v[41:42], s[66:67], v[37:38]
	v_add_f64 v[50:51], -v[48:49], 1.0
	v_fma_f64 v[39:40], v[41:42], v[39:40], s[58:59]
	v_fma_f64 v[37:38], v[41:42], v[37:38], s[68:69]
	v_add_f64 v[52:53], -v[50:51], 1.0
	v_fma_f64 v[39:40], v[41:42], v[39:40], s[60:61]
	v_fma_f64 v[37:38], v[41:42], v[37:38], s[70:71]
	v_add_f64 v[48:49], v[52:53], -v[48:49]
	v_fma_f64 v[39:40], v[41:42], v[39:40], s[62:63]
	v_mul_f64 v[52:53], v[41:42], v[41:42]
	v_fma_f64 v[37:38], v[41:42], v[37:38], s[46:47]
	v_fma_f64 v[48:49], v[19:20], -v[33:34], v[48:49]
	v_fma_f64 v[39:40], v[41:42], v[39:40], s[72:73]
	v_fma_f64 v[39:40], v[52:53], v[39:40], v[48:49]
	v_mul_f64 v[48:49], v[19:20], -v[41:42]
	v_add_f64 v[39:40], v[50:51], v[39:40]
	v_mul_f64 v[50:51], v[33:34], 0.5
	v_fma_f64 v[37:38], v[48:49], v[37:38], v[50:51]
	v_fma_f64 v[33:34], v[41:42], v[37:38], -v[33:34]
	v_fma_f64 v[33:34], v[48:49], s[48:49], v[33:34]
	v_add_f64 v[19:20], v[19:20], -v[33:34]
	v_cndmask_b32_e64 v11, v39, v19, s[8:9]
	v_cndmask_b32_e64 v19, v40, v20, s[8:9]
	v_lshlrev_b32_e32 v20, 30, v47
	v_xor_b32_e32 v12, v20, v12
	v_and_b32_e32 v12, 0x80000000, v12
	v_xor_b32_e32 v12, v19, v12
	v_cndmask_b32_e64 v11, 0, v11, s[6:7]
	v_cndmask_b32_e64 v12, v46, v12, s[6:7]
	v_mul_f64 v[11:12], v[35:36], v[11:12]
	v_mul_f64 v[11:12], v[11:12], v[21:22]
	;; [unrolled: 1-line block ×3, first 2 shown]
.LBB131_304:                            ;   in Loop: Header=BB131_185 Depth=1
	s_or_b64 exec, exec, s[78:79]
                                        ; implicit-def: $vgpr9_vgpr10
                                        ; implicit-def: $vgpr22
.LBB131_305:                            ;   in Loop: Header=BB131_185 Depth=1
	s_andn2_saveexec_b64 s[10:11], s[76:77]
	s_cbranch_execz .LBB131_311
; %bb.306:                              ;   in Loop: Header=BB131_185 Depth=1
	s_mov_b32 s8, 0x7ff00000
	v_cmp_ne_u32_e64 s[6:7], 0, v9
	v_cmp_ne_u32_e64 s[8:9], s8, v22
	s_or_b64 s[6:7], s[6:7], s[8:9]
                                        ; implicit-def: $vgpr19_vgpr20
	s_and_saveexec_b64 s[8:9], s[6:7]
	s_xor_b64 s[6:7], exec, s[8:9]
; %bb.307:                              ;   in Loop: Header=BB131_185 Depth=1
	v_add_f64 v[19:20], v[11:12], -v[11:12]
                                        ; implicit-def: $vgpr9_vgpr10
; %bb.308:                              ;   in Loop: Header=BB131_185 Depth=1
	s_or_saveexec_b64 s[8:9], s[6:7]
	v_mov_b32_e32 v17, v19
	v_mov_b32_e32 v18, v20
	s_xor_b64 exec, exec, s[8:9]
	s_cbranch_execz .LBB131_310
; %bb.309:                              ;   in Loop: Header=BB131_185 Depth=1
	v_add_f64 v[11:12], v[11:12], -v[11:12]
	v_cmp_lt_i64_e64 s[6:7], -1, v[9:10]
	v_cndmask_b32_e64 v18, 0, v10, s[6:7]
	v_cndmask_b32_e64 v17, 0, v9, s[6:7]
	;; [unrolled: 1-line block ×4, first 2 shown]
.LBB131_310:                            ;   in Loop: Header=BB131_185 Depth=1
	s_or_b64 exec, exec, s[8:9]
.LBB131_311:                            ;   in Loop: Header=BB131_185 Depth=1
	s_or_b64 exec, exec, s[10:11]
                                        ; implicit-def: $vgpr11_vgpr12
                                        ; implicit-def: $vgpr37
.LBB131_312:                            ;   in Loop: Header=BB131_185 Depth=1
	s_andn2_saveexec_b64 s[10:11], s[26:27]
	s_cbranch_execz .LBB131_322
; %bb.313:                              ;   in Loop: Header=BB131_185 Depth=1
	s_mov_b32 s6, 0
	s_mov_b32 s7, 0x41d00000
	v_cmp_nlt_f64_e64 s[8:9], |v[11:12]|, s[6:7]
                                        ; implicit-def: $vgpr39
                                        ; implicit-def: $vgpr17_vgpr18
                                        ; implicit-def: $vgpr19_vgpr20
	s_and_saveexec_b64 s[6:7], s[8:9]
	s_xor_b64 s[26:27], exec, s[6:7]
	s_cbranch_execz .LBB131_315
; %bb.314:                              ;   in Loop: Header=BB131_185 Depth=1
	v_trig_preop_f64 v[9:10], |v[11:12]|, 0
	s_movk_i32 s6, 0xff80
	v_ldexp_f64 v[17:18], |v[11:12]|, s6
	s_mov_b32 s6, 0
	s_mov_b32 s7, 0x7b000000
	v_cmp_ge_f64_e64 s[6:7], |v[11:12]|, s[6:7]
	v_trig_preop_f64 v[19:20], |v[11:12]|, 1
	v_trig_preop_f64 v[40:41], |v[11:12]|, 2
	s_mov_b32 s82, s20
	s_mov_b32 s87, s85
	v_cndmask_b32_e64 v18, v37, v18, s[6:7]
	v_cndmask_b32_e64 v17, v11, v17, s[6:7]
	s_mov_b32 s6, 0
	v_mul_f64 v[33:34], v[9:10], v[17:18]
	s_mov_b32 s7, 0x7ff00000
	v_mul_f64 v[35:36], v[19:20], v[17:18]
	v_mul_f64 v[51:52], v[40:41], v[17:18]
	v_fma_f64 v[9:10], v[9:10], v[17:18], -v[33:34]
	v_fma_f64 v[19:20], v[19:20], v[17:18], -v[35:36]
	;; [unrolled: 1-line block ×3, first 2 shown]
	v_add_f64 v[38:39], v[35:36], v[9:10]
	v_add_f64 v[47:48], v[38:39], -v[35:36]
	v_add_f64 v[53:54], v[33:34], v[38:39]
	v_add_f64 v[49:50], v[38:39], -v[47:48]
	v_add_f64 v[9:10], v[9:10], -v[47:48]
	v_add_f64 v[47:48], v[51:52], v[19:20]
	v_add_f64 v[33:34], v[53:54], -v[33:34]
	v_add_f64 v[35:36], v[35:36], -v[49:50]
	v_ldexp_f64 v[49:50], v[53:54], -2
	v_add_f64 v[55:56], v[47:48], -v[51:52]
	v_add_f64 v[33:34], v[38:39], -v[33:34]
	v_add_f64 v[9:10], v[9:10], v[35:36]
	v_fract_f64_e32 v[35:36], v[49:50]
	v_cmp_neq_f64_e64 s[6:7], |v[49:50]|, s[6:7]
	v_add_f64 v[19:20], v[19:20], -v[55:56]
	v_add_f64 v[38:39], v[47:48], v[9:10]
	v_ldexp_f64 v[35:36], v[35:36], 2
	v_add_f64 v[49:50], v[33:34], v[38:39]
	v_cndmask_b32_e64 v36, 0, v36, s[6:7]
	v_cndmask_b32_e64 v35, 0, v35, s[6:7]
	v_add_f64 v[57:58], v[38:39], -v[47:48]
	v_add_f64 v[53:54], v[49:50], v[35:36]
	v_add_f64 v[33:34], v[49:50], -v[33:34]
	v_add_f64 v[59:60], v[38:39], -v[57:58]
	;; [unrolled: 1-line block ×3, first 2 shown]
	v_cmp_gt_f64_e64 s[6:7], 0, v[53:54]
	v_add_f64 v[53:54], v[47:48], -v[55:56]
	v_add_f64 v[33:34], v[38:39], -v[33:34]
	;; [unrolled: 1-line block ×3, first 2 shown]
	v_cndmask_b32_e64 v22, 0, v43, s[6:7]
	v_add_f64 v[35:36], v[35:36], v[21:22]
	v_add_f64 v[53:54], v[51:52], -v[53:54]
	v_add_f64 v[9:10], v[9:10], v[47:48]
	v_add_f64 v[61:62], v[49:50], v[35:36]
	;; [unrolled: 1-line block ×3, first 2 shown]
	v_cvt_i32_f64_e32 v42, v[61:62]
	v_add_f64 v[9:10], v[19:20], v[9:10]
	v_cvt_f64_i32_e32 v[55:56], v42
	v_add_f64 v[35:36], v[35:36], -v[55:56]
	v_add_f64 v[9:10], v[17:18], v[9:10]
	v_add_f64 v[19:20], v[49:50], v[35:36]
	;; [unrolled: 1-line block ×3, first 2 shown]
	v_add_f64 v[17:18], v[19:20], -v[35:36]
	v_cmp_le_f64_e64 s[6:7], 0.5, v[19:20]
	v_add_f64 v[17:18], v[49:50], -v[17:18]
	v_cndmask_b32_e64 v22, 0, v44, s[6:7]
	v_addc_co_u32_e64 v39, s[6:7], 0, v42, s[6:7]
	v_add_f64 v[9:10], v[9:10], v[17:18]
	v_add_f64 v[17:18], v[19:20], -v[21:22]
	v_add_f64 v[19:20], v[17:18], v[9:10]
	v_mul_f64 v[33:34], v[19:20], s[82:83]
	v_add_f64 v[17:18], v[19:20], -v[17:18]
	v_fma_f64 v[35:36], v[19:20], s[82:83], -v[33:34]
	v_add_f64 v[9:10], v[9:10], -v[17:18]
	v_fma_f64 v[17:18], v[19:20], s[86:87], v[35:36]
	v_fma_f64 v[9:10], v[9:10], s[82:83], v[17:18]
	v_add_f64 v[17:18], v[33:34], v[9:10]
	v_add_f64 v[19:20], v[17:18], -v[33:34]
	v_add_f64 v[19:20], v[9:10], -v[19:20]
	s_andn2_saveexec_b64 s[6:7], s[26:27]
	s_cbranch_execz .LBB131_317
	s_branch .LBB131_316
.LBB131_315:                            ;   in Loop: Header=BB131_185 Depth=1
	s_andn2_saveexec_b64 s[6:7], s[26:27]
	s_cbranch_execz .LBB131_317
.LBB131_316:                            ;   in Loop: Header=BB131_185 Depth=1
	s_mov_b32 s26, 0x6dc9c883
	s_mov_b32 s27, 0x3fe45f30
	v_mul_f64 v[9:10], |v[11:12]|, s[26:27]
	s_mov_b32 s84, s24
	s_mov_b32 s26, 0x252049c0
	;; [unrolled: 1-line block ×3, first 2 shown]
	v_rndne_f64_e32 v[9:10], v[9:10]
	v_fma_f64 v[17:18], v[9:10], s[20:21], |v[11:12]|
	v_mul_f64 v[19:20], v[9:10], s[24:25]
	v_fma_f64 v[38:39], v[9:10], s[24:25], v[17:18]
	v_add_f64 v[33:34], v[17:18], v[19:20]
	v_add_f64 v[35:36], v[17:18], -v[33:34]
	v_add_f64 v[33:34], v[33:34], -v[38:39]
	v_add_f64 v[17:18], v[35:36], v[19:20]
	v_fma_f64 v[19:20], v[9:10], s[84:85], v[19:20]
	v_add_f64 v[17:18], v[33:34], v[17:18]
	v_add_f64 v[17:18], v[17:18], -v[19:20]
	v_fma_f64 v[19:20], v[9:10], s[26:27], v[17:18]
	v_add_f64 v[17:18], v[38:39], v[19:20]
	v_add_f64 v[33:34], v[17:18], -v[38:39]
	v_cvt_i32_f64_e32 v39, v[9:10]
	v_add_f64 v[19:20], v[19:20], -v[33:34]
.LBB131_317:                            ;   in Loop: Header=BB131_185 Depth=1
	s_or_b64 exec, exec, s[6:7]
                                        ; implicit-def: $vgpr38
                                        ; implicit-def: $vgpr9_vgpr10
                                        ; implicit-def: $vgpr33_vgpr34
	s_and_saveexec_b64 s[6:7], s[8:9]
	s_xor_b64 s[26:27], exec, s[6:7]
	s_cbranch_execz .LBB131_319
; %bb.318:                              ;   in Loop: Header=BB131_185 Depth=1
	v_trig_preop_f64 v[9:10], |v[11:12]|, 0
	s_mov_b32 s6, 0
	s_mov_b32 s7, 0x7b000000
	s_movk_i32 s8, 0xff80
	v_cmp_ge_f64_e64 s[6:7], |v[11:12]|, s[6:7]
	v_ldexp_f64 v[35:36], |v[11:12]|, s8
	v_trig_preop_f64 v[33:34], |v[11:12]|, 1
	s_mov_b32 s82, s20
	s_mov_b32 s87, s85
	v_cndmask_b32_e64 v36, v37, v36, s[6:7]
	v_cndmask_b32_e64 v35, v11, v35, s[6:7]
	s_mov_b32 s6, 0
	v_mul_f64 v[40:41], v[9:10], v[35:36]
	s_mov_b32 s7, 0x7ff00000
	v_mul_f64 v[37:38], v[33:34], v[35:36]
	v_fma_f64 v[9:10], v[9:10], v[35:36], -v[40:41]
	v_fma_f64 v[33:34], v[33:34], v[35:36], -v[37:38]
	v_add_f64 v[47:48], v[37:38], v[9:10]
	v_add_f64 v[55:56], v[47:48], -v[37:38]
	v_add_f64 v[49:50], v[40:41], v[47:48]
	v_add_f64 v[9:10], v[9:10], -v[55:56]
	v_add_f64 v[55:56], v[47:48], -v[55:56]
	v_ldexp_f64 v[51:52], v[49:50], -2
	v_add_f64 v[40:41], v[49:50], -v[40:41]
	v_add_f64 v[55:56], v[37:38], -v[55:56]
	v_trig_preop_f64 v[37:38], |v[11:12]|, 2
	v_fract_f64_e32 v[53:54], v[51:52]
	v_add_f64 v[40:41], v[47:48], -v[40:41]
	v_cmp_neq_f64_e64 s[6:7], |v[51:52]|, s[6:7]
	v_add_f64 v[9:10], v[9:10], v[55:56]
	v_mul_f64 v[55:56], v[37:38], v[35:36]
	v_add_f64 v[57:58], v[55:56], v[33:34]
	v_add_f64 v[59:60], v[57:58], v[9:10]
	v_add_f64 v[49:50], v[59:60], -v[57:58]
	v_add_f64 v[47:48], v[40:41], v[59:60]
	v_add_f64 v[9:10], v[9:10], -v[49:50]
	v_add_f64 v[49:50], v[59:60], -v[49:50]
	;; [unrolled: 1-line block ×5, first 2 shown]
	v_add_f64 v[9:10], v[9:10], v[49:50]
	v_add_f64 v[49:50], v[57:58], -v[55:56]
	v_add_f64 v[33:34], v[33:34], -v[49:50]
	v_add_f64 v[49:50], v[57:58], -v[49:50]
	v_add_f64 v[49:50], v[55:56], -v[49:50]
	v_add_f64 v[33:34], v[33:34], v[49:50]
	v_add_f64 v[9:10], v[33:34], v[9:10]
	v_fma_f64 v[33:34], v[37:38], v[35:36], -v[55:56]
	v_add_f64 v[9:10], v[33:34], v[9:10]
	v_ldexp_f64 v[33:34], v[53:54], 2
	v_add_f64 v[9:10], v[40:41], v[9:10]
	v_cndmask_b32_e64 v34, 0, v34, s[6:7]
	v_cndmask_b32_e64 v33, 0, v33, s[6:7]
	v_add_f64 v[35:36], v[47:48], v[33:34]
	v_cmp_gt_f64_e64 s[6:7], 0, v[35:36]
	v_cndmask_b32_e64 v22, 0, v43, s[6:7]
	v_add_f64 v[33:34], v[33:34], v[21:22]
	v_add_f64 v[35:36], v[47:48], v[33:34]
	v_cvt_i32_f64_e32 v22, v[35:36]
	v_cvt_f64_i32_e32 v[35:36], v22
	v_add_f64 v[33:34], v[33:34], -v[35:36]
	v_add_f64 v[35:36], v[47:48], v[33:34]
	v_add_f64 v[33:34], v[35:36], -v[33:34]
	v_cmp_le_f64_e64 s[6:7], 0.5, v[35:36]
	v_add_f64 v[33:34], v[47:48], -v[33:34]
	v_addc_co_u32_e64 v38, s[8:9], 0, v22, s[6:7]
	v_cndmask_b32_e64 v22, 0, v44, s[6:7]
	v_add_f64 v[9:10], v[9:10], v[33:34]
	v_add_f64 v[33:34], v[35:36], -v[21:22]
	v_add_f64 v[35:36], v[33:34], v[9:10]
	v_add_f64 v[33:34], v[35:36], -v[33:34]
	v_add_f64 v[9:10], v[9:10], -v[33:34]
	v_mul_f64 v[33:34], v[35:36], s[82:83]
	v_fma_f64 v[40:41], v[35:36], s[82:83], -v[33:34]
	v_fma_f64 v[35:36], v[35:36], s[86:87], v[40:41]
	v_fma_f64 v[35:36], v[9:10], s[82:83], v[35:36]
	v_add_f64 v[9:10], v[33:34], v[35:36]
	v_add_f64 v[33:34], v[9:10], -v[33:34]
	v_add_f64 v[33:34], v[35:36], -v[33:34]
	s_andn2_saveexec_b64 s[6:7], s[26:27]
	s_cbranch_execnz .LBB131_320
	s_branch .LBB131_321
.LBB131_319:                            ;   in Loop: Header=BB131_185 Depth=1
	s_andn2_saveexec_b64 s[6:7], s[26:27]
	s_cbranch_execz .LBB131_321
.LBB131_320:                            ;   in Loop: Header=BB131_185 Depth=1
	s_mov_b32 s8, 0x6dc9c883
	s_mov_b32 s9, 0x3fe45f30
	v_mul_f64 v[9:10], |v[11:12]|, s[8:9]
	s_mov_b32 s84, s24
	s_mov_b32 s8, 0x252049c0
	;; [unrolled: 1-line block ×3, first 2 shown]
	v_rndne_f64_e32 v[35:36], v[9:10]
	v_fma_f64 v[9:10], v[35:36], s[20:21], |v[11:12]|
	v_mul_f64 v[33:34], v[35:36], s[24:25]
	v_fma_f64 v[47:48], v[35:36], s[24:25], v[9:10]
	v_add_f64 v[37:38], v[9:10], v[33:34]
	v_add_f64 v[40:41], v[9:10], -v[37:38]
	v_add_f64 v[37:38], v[37:38], -v[47:48]
	v_add_f64 v[9:10], v[40:41], v[33:34]
	v_fma_f64 v[33:34], v[35:36], s[84:85], v[33:34]
	v_add_f64 v[9:10], v[37:38], v[9:10]
	v_add_f64 v[9:10], v[9:10], -v[33:34]
	v_fma_f64 v[33:34], v[35:36], s[8:9], v[9:10]
	v_add_f64 v[9:10], v[47:48], v[33:34]
	v_add_f64 v[37:38], v[9:10], -v[47:48]
	v_add_f64 v[33:34], v[33:34], -v[37:38]
	v_cvt_i32_f64_e32 v38, v[35:36]
.LBB131_321:                            ;   in Loop: Header=BB131_185 Depth=1
	s_or_b64 exec, exec, s[6:7]
	v_mul_f64 v[40:41], v[17:18], v[17:18]
	s_mov_b32 s6, 0x9037ab78
	s_mov_b32 s7, 0x3e21eeb6
	v_mov_b32_e32 v52, s7
	v_mov_b32_e32 v51, s6
	v_mul_f64 v[55:56], v[19:20], 0.5
	s_mov_b32 s48, s72
	v_mul_f64 v[35:36], v[40:41], 0.5
	v_fma_f64 v[53:54], v[40:41], s[56:57], v[51:52]
	v_add_f64 v[47:48], -v[35:36], 1.0
	v_fma_f64 v[53:54], v[40:41], v[53:54], s[58:59]
	v_add_f64 v[49:50], -v[47:48], 1.0
	v_fma_f64 v[53:54], v[40:41], v[53:54], s[60:61]
	v_add_f64 v[35:36], v[49:50], -v[35:36]
	v_fma_f64 v[53:54], v[40:41], v[53:54], s[62:63]
	v_mul_f64 v[49:50], v[40:41], v[40:41]
	v_fma_f64 v[35:36], v[17:18], -v[19:20], v[35:36]
	v_fma_f64 v[53:54], v[40:41], v[53:54], s[72:73]
	v_fma_f64 v[35:36], v[49:50], v[53:54], v[35:36]
	v_mul_f64 v[53:54], v[17:18], -v[40:41]
	v_add_f64 v[47:48], v[47:48], v[35:36]
	v_mov_b32_e32 v35, s64
	v_mov_b32_e32 v36, s65
	v_fma_f64 v[49:50], v[40:41], s[66:67], v[35:36]
	v_fma_f64 v[49:50], v[40:41], v[49:50], s[68:69]
	;; [unrolled: 1-line block ×5, first 2 shown]
	v_fma_f64 v[19:20], v[40:41], v[49:50], -v[19:20]
	v_fma_f64 v[19:20], v[53:54], s[48:49], v[19:20]
	v_add_f64 v[17:18], v[17:18], -v[19:20]
	v_and_b32_e32 v19, 1, v39
	v_cmp_eq_u32_e64 s[6:7], 0, v19
	v_lshlrev_b32_e32 v19, 30, v39
	v_and_b32_e32 v19, 0x80000000, v19
	v_xor_b32_e32 v18, 0x80000000, v18
	v_cndmask_b32_e64 v18, v18, v48, s[6:7]
	v_xor_b32_e32 v18, v18, v19
	v_mul_f64 v[19:20], v[9:10], v[9:10]
	v_cndmask_b32_e64 v17, v17, v47, s[6:7]
	s_movk_i32 s6, 0x1f8
	v_cmp_class_f64_e64 s[6:7], v[11:12], s6
	v_and_b32_e32 v11, 1, v38
	v_cmp_eq_u32_e64 s[8:9], 0, v11
	v_lshlrev_b32_e32 v11, 30, v38
	v_xor_b32_e32 v11, v11, v12
	v_mul_f64 v[39:40], v[19:20], 0.5
	v_fma_f64 v[49:50], v[19:20], s[56:57], v[51:52]
	v_fma_f64 v[35:36], v[19:20], s[66:67], v[35:36]
	v_and_b32_e32 v11, 0x80000000, v11
	v_cndmask_b32_e64 v17, 0, v17, s[6:7]
	v_cndmask_b32_e64 v18, v46, v18, s[6:7]
	v_add_f64 v[41:42], -v[39:40], 1.0
	v_fma_f64 v[49:50], v[19:20], v[49:50], s[58:59]
	v_fma_f64 v[35:36], v[19:20], v[35:36], s[68:69]
	v_add_f64 v[47:48], -v[41:42], 1.0
	v_fma_f64 v[49:50], v[19:20], v[49:50], s[60:61]
	v_fma_f64 v[35:36], v[19:20], v[35:36], s[70:71]
	v_add_f64 v[39:40], v[47:48], -v[39:40]
	v_fma_f64 v[49:50], v[19:20], v[49:50], s[62:63]
	v_mul_f64 v[47:48], v[19:20], v[19:20]
	v_fma_f64 v[35:36], v[19:20], v[35:36], s[46:47]
	v_fma_f64 v[39:40], v[9:10], -v[33:34], v[39:40]
	v_fma_f64 v[49:50], v[19:20], v[49:50], s[72:73]
	v_fma_f64 v[39:40], v[47:48], v[49:50], v[39:40]
	v_mul_f64 v[47:48], v[33:34], 0.5
	v_add_f64 v[39:40], v[41:42], v[39:40]
	v_mul_f64 v[41:42], v[9:10], -v[19:20]
	v_fma_f64 v[35:36], v[41:42], v[35:36], v[47:48]
	v_fma_f64 v[19:20], v[19:20], v[35:36], -v[33:34]
	v_fma_f64 v[19:20], v[41:42], s[48:49], v[19:20]
	v_add_f64 v[9:10], v[9:10], -v[19:20]
	v_cndmask_b32_e64 v10, v40, v10, s[8:9]
	v_cndmask_b32_e64 v9, v39, v9, s[8:9]
	v_xor_b32_e32 v10, v10, v11
	v_cndmask_b32_e64 v19, 0, v9, s[6:7]
	v_cndmask_b32_e64 v20, v46, v10, s[6:7]
.LBB131_322:                            ;   in Loop: Header=BB131_185 Depth=1
	s_or_b64 exec, exec, s[10:11]
                                        ; implicit-def: $vgpr9_vgpr10
.LBB131_323:                            ;   in Loop: Header=BB131_185 Depth=1
	s_andn2_saveexec_b64 s[10:11], s[14:15]
	s_cbranch_execz .LBB131_325
; %bb.324:                              ;   in Loop: Header=BB131_185 Depth=1
	v_mul_f64 v[17:18], v[9:10], s[28:29]
	s_mov_b32 s89, s47
	s_mov_b32 s91, s73
	v_cmp_nlt_f64_e64 s[6:7], s[92:93], v[9:10]
	v_cmp_ngt_f64_e64 s[8:9], s[94:95], v[9:10]
	v_rndne_f64_e32 v[17:18], v[17:18]
	v_fma_f64 v[19:20], v[17:18], s[30:31], v[9:10]
	v_fma_f64 v[19:20], v[17:18], s[34:35], v[19:20]
	v_cvt_i32_f64_e32 v17, v[17:18]
	v_fma_f64 v[33:34], v[19:20], s[36:37], v[23:24]
	v_fma_f64 v[33:34], v[19:20], v[33:34], s[38:39]
	;; [unrolled: 1-line block ×9, first 2 shown]
	v_fma_f64 v[33:34], v[19:20], v[33:34], 1.0
	v_fma_f64 v[19:20], v[19:20], v[33:34], 1.0
	v_ldexp_f64 v[17:18], v[19:20], v17
	v_mov_b32_e32 v20, v12
	v_mov_b32_e32 v19, v11
	v_cndmask_b32_e64 v18, v45, v18, s[6:7]
	s_and_b64 s[6:7], s[8:9], s[6:7]
	v_cndmask_b32_e64 v18, 0, v18, s[8:9]
	v_cndmask_b32_e64 v17, 0, v17, s[6:7]
.LBB131_325:                            ;   in Loop: Header=BB131_185 Depth=1
	s_or_b64 exec, exec, s[10:11]
	v_and_b32_e32 v37, 0x7fffffff, v4
	v_or_b32_e32 v9, v37, v3
	v_cmp_ne_u32_e64 s[6:7], 0, v9
                                        ; implicit-def: $vgpr11_vgpr12
	s_and_saveexec_b64 s[8:9], s[6:7]
	s_xor_b64 s[14:15], exec, s[8:9]
	s_cbranch_execz .LBB131_331
; %bb.326:                              ;   in Loop: Header=BB131_185 Depth=1
	v_and_b32_e32 v22, 0x7fffffff, v2
	v_or_b32_e32 v9, v22, v1
	v_cmp_ne_u32_e64 s[6:7], 0, v9
                                        ; implicit-def: $vgpr11_vgpr12
	s_and_saveexec_b64 s[8:9], s[6:7]
	s_xor_b64 s[26:27], exec, s[8:9]
	s_cbranch_execz .LBB131_361
; %bb.327:                              ;   in Loop: Header=BB131_185 Depth=1
	s_mov_b32 s6, 0x7ff00000
	v_cmp_gt_u32_e64 s[6:7], s6, v37
                                        ; implicit-def: $vgpr11_vgpr12
	s_and_saveexec_b64 s[8:9], s[6:7]
	s_xor_b64 s[76:77], exec, s[8:9]
	s_cbranch_execz .LBB131_354
; %bb.328:                              ;   in Loop: Header=BB131_185 Depth=1
	v_add_u32_e32 v9, 0xbf79d1be, v2
	s_mov_b32 s6, 0x108aa2
	v_cmp_lt_u32_e64 s[6:7], s6, v9
                                        ; implicit-def: $vgpr11_vgpr12
	s_and_saveexec_b64 s[8:9], s[6:7]
	s_xor_b64 s[10:11], exec, s[8:9]
	s_cbranch_execz .LBB131_343
; %bb.329:                              ;   in Loop: Header=BB131_185 Depth=1
	s_mov_b32 s6, 0
	s_mov_b32 s7, 0x41d00000
	v_cmp_nlt_f64_e64 s[78:79], |v[3:4]|, s[6:7]
                                        ; implicit-def: $vgpr39
                                        ; implicit-def: $vgpr9_vgpr10
                                        ; implicit-def: $vgpr35_vgpr36
	s_and_saveexec_b64 s[6:7], s[78:79]
	s_xor_b64 s[80:81], exec, s[6:7]
	s_cbranch_execz .LBB131_336
; %bb.330:                              ;   in Loop: Header=BB131_185 Depth=1
	v_trig_preop_f64 v[9:10], |v[3:4]|, 0
	s_mov_b32 s6, 0
	s_mov_b32 s7, 0x7b000000
	s_movk_i32 s8, 0xff80
	v_cmp_ge_f64_e64 s[6:7], |v[3:4]|, s[6:7]
	v_ldexp_f64 v[33:34], |v[3:4]|, s8
	v_trig_preop_f64 v[11:12], |v[3:4]|, 1
	s_mov_b32 s82, s20
	s_mov_b32 s87, s85
	v_cndmask_b32_e64 v34, v37, v34, s[6:7]
	v_cndmask_b32_e64 v33, v3, v33, s[6:7]
	s_mov_b32 s6, 0
	v_mul_f64 v[38:39], v[9:10], v[33:34]
	s_mov_b32 s7, 0x7ff00000
	v_mul_f64 v[35:36], v[11:12], v[33:34]
	v_fma_f64 v[9:10], v[9:10], v[33:34], -v[38:39]
	v_fma_f64 v[11:12], v[11:12], v[33:34], -v[35:36]
	v_add_f64 v[40:41], v[35:36], v[9:10]
	v_add_f64 v[53:54], v[40:41], -v[35:36]
	v_add_f64 v[47:48], v[38:39], v[40:41]
	v_add_f64 v[9:10], v[9:10], -v[53:54]
	v_add_f64 v[53:54], v[40:41], -v[53:54]
	v_ldexp_f64 v[49:50], v[47:48], -2
	v_add_f64 v[38:39], v[47:48], -v[38:39]
	v_add_f64 v[53:54], v[35:36], -v[53:54]
	v_trig_preop_f64 v[35:36], |v[3:4]|, 2
	v_fract_f64_e32 v[51:52], v[49:50]
	v_add_f64 v[38:39], v[40:41], -v[38:39]
	v_cmp_neq_f64_e64 s[6:7], |v[49:50]|, s[6:7]
	v_add_f64 v[9:10], v[9:10], v[53:54]
	v_mul_f64 v[53:54], v[35:36], v[33:34]
	v_add_f64 v[55:56], v[53:54], v[11:12]
	v_add_f64 v[57:58], v[55:56], v[9:10]
	v_add_f64 v[47:48], v[57:58], -v[55:56]
	v_add_f64 v[40:41], v[38:39], v[57:58]
	v_add_f64 v[9:10], v[9:10], -v[47:48]
	v_add_f64 v[47:48], v[57:58], -v[47:48]
	;; [unrolled: 1-line block ×5, first 2 shown]
	v_add_f64 v[9:10], v[9:10], v[47:48]
	v_add_f64 v[47:48], v[55:56], -v[53:54]
	v_add_f64 v[11:12], v[11:12], -v[47:48]
	;; [unrolled: 1-line block ×4, first 2 shown]
	v_add_f64 v[11:12], v[11:12], v[47:48]
	v_add_f64 v[9:10], v[11:12], v[9:10]
	v_fma_f64 v[11:12], v[35:36], v[33:34], -v[53:54]
	v_add_f64 v[9:10], v[11:12], v[9:10]
	v_ldexp_f64 v[11:12], v[51:52], 2
	v_add_f64 v[9:10], v[38:39], v[9:10]
	v_cndmask_b32_e64 v12, 0, v12, s[6:7]
	v_cndmask_b32_e64 v11, 0, v11, s[6:7]
	v_add_f64 v[33:34], v[40:41], v[11:12]
	v_cmp_gt_f64_e64 s[6:7], 0, v[33:34]
	v_cndmask_b32_e64 v22, 0, v43, s[6:7]
	v_add_f64 v[11:12], v[11:12], v[21:22]
	v_add_f64 v[33:34], v[40:41], v[11:12]
	v_cvt_i32_f64_e32 v22, v[33:34]
	v_cvt_f64_i32_e32 v[33:34], v22
	v_add_f64 v[11:12], v[11:12], -v[33:34]
	v_add_f64 v[33:34], v[40:41], v[11:12]
	v_add_f64 v[11:12], v[33:34], -v[11:12]
	v_cmp_le_f64_e64 s[6:7], 0.5, v[33:34]
	v_add_f64 v[11:12], v[40:41], -v[11:12]
	v_addc_co_u32_e64 v39, s[8:9], 0, v22, s[6:7]
	v_cndmask_b32_e64 v22, 0, v44, s[6:7]
	v_add_f64 v[9:10], v[9:10], v[11:12]
	v_add_f64 v[11:12], v[33:34], -v[21:22]
	v_add_f64 v[33:34], v[11:12], v[9:10]
	v_add_f64 v[11:12], v[33:34], -v[11:12]
	v_add_f64 v[9:10], v[9:10], -v[11:12]
	v_mul_f64 v[11:12], v[33:34], s[82:83]
	v_fma_f64 v[35:36], v[33:34], s[82:83], -v[11:12]
	v_fma_f64 v[33:34], v[33:34], s[86:87], v[35:36]
	v_fma_f64 v[33:34], v[9:10], s[82:83], v[33:34]
	v_add_f64 v[9:10], v[11:12], v[33:34]
	v_add_f64 v[11:12], v[9:10], -v[11:12]
	v_add_f64 v[35:36], v[33:34], -v[11:12]
	s_andn2_saveexec_b64 s[6:7], s[80:81]
	s_cbranch_execz .LBB131_338
	s_branch .LBB131_337
.LBB131_331:                            ;   in Loop: Header=BB131_185 Depth=1
	s_andn2_saveexec_b64 s[10:11], s[14:15]
	s_cbranch_execz .LBB131_372
.LBB131_332:                            ;   in Loop: Header=BB131_185 Depth=1
	v_mul_f64 v[9:10], v[1:2], s[28:29]
	s_mov_b32 s89, s47
	s_mov_b32 s91, s73
	v_cmp_nlt_f64_e64 s[6:7], s[92:93], v[1:2]
	v_cmp_ngt_f64_e64 s[8:9], s[94:95], v[1:2]
	v_rndne_f64_e32 v[9:10], v[9:10]
	v_fma_f64 v[11:12], v[9:10], s[30:31], v[1:2]
	v_fma_f64 v[11:12], v[9:10], s[34:35], v[11:12]
	v_cvt_i32_f64_e32 v9, v[9:10]
	v_fma_f64 v[33:34], v[11:12], s[36:37], v[23:24]
	v_fma_f64 v[33:34], v[11:12], v[33:34], s[38:39]
	;; [unrolled: 1-line block ×9, first 2 shown]
	v_fma_f64 v[33:34], v[11:12], v[33:34], 1.0
	v_fma_f64 v[11:12], v[11:12], v[33:34], 1.0
	v_ldexp_f64 v[9:10], v[11:12], v9
	v_mov_b32_e32 v12, v4
	v_mov_b32_e32 v11, v3
	v_cndmask_b32_e64 v10, v45, v10, s[6:7]
	s_and_b64 s[6:7], s[8:9], s[6:7]
	v_cndmask_b32_e64 v10, 0, v10, s[8:9]
	v_cndmask_b32_e64 v9, 0, v9, s[6:7]
	s_or_b64 exec, exec, s[10:11]
	s_and_saveexec_b64 s[6:7], vcc
	s_xor_b64 s[6:7], exec, s[6:7]
	s_cbranch_execnz .LBB131_373
.LBB131_333:                            ;   in Loop: Header=BB131_185 Depth=1
	s_or_b64 exec, exec, s[6:7]
	s_and_saveexec_b64 s[6:7], s[0:1]
	s_cbranch_execz .LBB131_374
.LBB131_334:                            ;   in Loop: Header=BB131_185 Depth=1
	v_lshlrev_b64 v[1:2], 4, v[27:28]
	v_mov_b32_e32 v3, s23
	v_add_co_u32_e32 v1, vcc, s22, v1
	v_addc_co_u32_e32 v2, vcc, v3, v2, vcc
	global_store_dwordx4 v[1:2], v[13:16], off
	s_or_b64 exec, exec, s[6:7]
	s_and_saveexec_b64 s[0:1], s[2:3]
	s_cbranch_execnz .LBB131_375
.LBB131_335:                            ;   in Loop: Header=BB131_185 Depth=1
	s_or_b64 exec, exec, s[0:1]
	s_and_saveexec_b64 s[0:1], s[4:5]
	s_cbranch_execz .LBB131_184
	s_branch .LBB131_376
.LBB131_336:                            ;   in Loop: Header=BB131_185 Depth=1
	s_andn2_saveexec_b64 s[6:7], s[80:81]
	s_cbranch_execz .LBB131_338
.LBB131_337:                            ;   in Loop: Header=BB131_185 Depth=1
	s_mov_b32 s8, 0x6dc9c883
	s_mov_b32 s9, 0x3fe45f30
	v_mul_f64 v[9:10], |v[3:4]|, s[8:9]
	s_mov_b32 s84, s24
	s_mov_b32 s8, 0x252049c0
	;; [unrolled: 1-line block ×3, first 2 shown]
	v_rndne_f64_e32 v[11:12], v[9:10]
	v_fma_f64 v[9:10], v[11:12], s[20:21], |v[3:4]|
	v_mul_f64 v[33:34], v[11:12], s[24:25]
	v_fma_f64 v[40:41], v[11:12], s[24:25], v[9:10]
	v_add_f64 v[35:36], v[9:10], v[33:34]
	v_add_f64 v[38:39], v[9:10], -v[35:36]
	v_add_f64 v[35:36], v[35:36], -v[40:41]
	v_add_f64 v[9:10], v[38:39], v[33:34]
	v_fma_f64 v[33:34], v[11:12], s[84:85], v[33:34]
	v_cvt_i32_f64_e32 v39, v[11:12]
	v_add_f64 v[9:10], v[35:36], v[9:10]
	v_add_f64 v[9:10], v[9:10], -v[33:34]
	v_fma_f64 v[33:34], v[11:12], s[8:9], v[9:10]
	v_add_f64 v[9:10], v[40:41], v[33:34]
	v_add_f64 v[35:36], v[9:10], -v[40:41]
	v_add_f64 v[35:36], v[33:34], -v[35:36]
.LBB131_338:                            ;   in Loop: Header=BB131_185 Depth=1
	s_or_b64 exec, exec, s[6:7]
                                        ; implicit-def: $vgpr41
                                        ; implicit-def: $vgpr11_vgpr12
                                        ; implicit-def: $vgpr33_vgpr34
	s_and_saveexec_b64 s[6:7], s[78:79]
	s_xor_b64 s[78:79], exec, s[6:7]
	s_cbranch_execz .LBB131_340
; %bb.339:                              ;   in Loop: Header=BB131_185 Depth=1
	v_trig_preop_f64 v[11:12], |v[3:4]|, 0
	s_mov_b32 s6, 0
	s_mov_b32 s7, 0x7b000000
	s_movk_i32 s8, 0xff80
	v_cmp_ge_f64_e64 s[6:7], |v[3:4]|, s[6:7]
	v_ldexp_f64 v[40:41], |v[3:4]|, s8
	v_trig_preop_f64 v[33:34], |v[3:4]|, 1
	s_mov_b32 s82, s20
	s_mov_b32 s87, s85
	v_cndmask_b32_e64 v38, v37, v41, s[6:7]
	v_cndmask_b32_e64 v37, v3, v40, s[6:7]
	s_mov_b32 s6, 0
	v_mul_f64 v[47:48], v[11:12], v[37:38]
	s_mov_b32 s7, 0x7ff00000
	v_mul_f64 v[40:41], v[33:34], v[37:38]
	v_fma_f64 v[11:12], v[11:12], v[37:38], -v[47:48]
	v_fma_f64 v[33:34], v[33:34], v[37:38], -v[40:41]
	v_add_f64 v[49:50], v[40:41], v[11:12]
	v_add_f64 v[57:58], v[49:50], -v[40:41]
	v_add_f64 v[51:52], v[47:48], v[49:50]
	v_add_f64 v[11:12], v[11:12], -v[57:58]
	v_add_f64 v[57:58], v[49:50], -v[57:58]
	v_ldexp_f64 v[53:54], v[51:52], -2
	v_add_f64 v[47:48], v[51:52], -v[47:48]
	v_add_f64 v[57:58], v[40:41], -v[57:58]
	v_trig_preop_f64 v[40:41], |v[3:4]|, 2
	v_fract_f64_e32 v[55:56], v[53:54]
	v_add_f64 v[47:48], v[49:50], -v[47:48]
	v_cmp_neq_f64_e64 s[6:7], |v[53:54]|, s[6:7]
	v_add_f64 v[11:12], v[11:12], v[57:58]
	v_mul_f64 v[57:58], v[40:41], v[37:38]
	v_add_f64 v[59:60], v[57:58], v[33:34]
	v_add_f64 v[61:62], v[59:60], v[11:12]
	v_add_f64 v[51:52], v[61:62], -v[59:60]
	v_add_f64 v[49:50], v[47:48], v[61:62]
	v_add_f64 v[11:12], v[11:12], -v[51:52]
	v_add_f64 v[51:52], v[61:62], -v[51:52]
	;; [unrolled: 1-line block ×5, first 2 shown]
	v_add_f64 v[11:12], v[11:12], v[51:52]
	v_add_f64 v[51:52], v[59:60], -v[57:58]
	v_add_f64 v[33:34], v[33:34], -v[51:52]
	;; [unrolled: 1-line block ×4, first 2 shown]
	v_add_f64 v[33:34], v[33:34], v[51:52]
	v_add_f64 v[11:12], v[33:34], v[11:12]
	v_fma_f64 v[33:34], v[40:41], v[37:38], -v[57:58]
	v_add_f64 v[11:12], v[33:34], v[11:12]
	v_ldexp_f64 v[33:34], v[55:56], 2
	v_add_f64 v[11:12], v[47:48], v[11:12]
	v_cndmask_b32_e64 v34, 0, v34, s[6:7]
	v_cndmask_b32_e64 v33, 0, v33, s[6:7]
	v_add_f64 v[37:38], v[49:50], v[33:34]
	v_cmp_gt_f64_e64 s[6:7], 0, v[37:38]
	v_cndmask_b32_e64 v22, 0, v43, s[6:7]
	v_add_f64 v[33:34], v[33:34], v[21:22]
	v_add_f64 v[37:38], v[49:50], v[33:34]
	v_cvt_i32_f64_e32 v22, v[37:38]
	v_cvt_f64_i32_e32 v[37:38], v22
	v_add_f64 v[33:34], v[33:34], -v[37:38]
	v_add_f64 v[37:38], v[49:50], v[33:34]
	v_add_f64 v[33:34], v[37:38], -v[33:34]
	v_cmp_le_f64_e64 s[6:7], 0.5, v[37:38]
	v_add_f64 v[33:34], v[49:50], -v[33:34]
	v_addc_co_u32_e64 v41, s[8:9], 0, v22, s[6:7]
	v_cndmask_b32_e64 v22, 0, v44, s[6:7]
	v_add_f64 v[11:12], v[11:12], v[33:34]
	v_add_f64 v[33:34], v[37:38], -v[21:22]
	v_add_f64 v[37:38], v[33:34], v[11:12]
	v_add_f64 v[33:34], v[37:38], -v[33:34]
	v_add_f64 v[11:12], v[11:12], -v[33:34]
	v_mul_f64 v[33:34], v[37:38], s[82:83]
	v_fma_f64 v[47:48], v[37:38], s[82:83], -v[33:34]
	v_fma_f64 v[37:38], v[37:38], s[86:87], v[47:48]
	v_fma_f64 v[37:38], v[11:12], s[82:83], v[37:38]
	v_add_f64 v[11:12], v[33:34], v[37:38]
	v_add_f64 v[33:34], v[11:12], -v[33:34]
	v_add_f64 v[33:34], v[37:38], -v[33:34]
	s_andn2_saveexec_b64 s[6:7], s[78:79]
	s_cbranch_execnz .LBB131_341
	s_branch .LBB131_342
.LBB131_340:                            ;   in Loop: Header=BB131_185 Depth=1
	s_andn2_saveexec_b64 s[6:7], s[78:79]
	s_cbranch_execz .LBB131_342
.LBB131_341:                            ;   in Loop: Header=BB131_185 Depth=1
	s_mov_b32 s8, 0x6dc9c883
	s_mov_b32 s9, 0x3fe45f30
	v_mul_f64 v[11:12], |v[3:4]|, s[8:9]
	s_mov_b32 s84, s24
	s_mov_b32 s8, 0x252049c0
	;; [unrolled: 1-line block ×3, first 2 shown]
	v_rndne_f64_e32 v[37:38], v[11:12]
	v_fma_f64 v[11:12], v[37:38], s[20:21], |v[3:4]|
	v_mul_f64 v[33:34], v[37:38], s[24:25]
	v_fma_f64 v[49:50], v[37:38], s[24:25], v[11:12]
	v_add_f64 v[40:41], v[11:12], v[33:34]
	v_add_f64 v[47:48], v[11:12], -v[40:41]
	v_add_f64 v[40:41], v[40:41], -v[49:50]
	v_add_f64 v[11:12], v[47:48], v[33:34]
	v_fma_f64 v[33:34], v[37:38], s[84:85], v[33:34]
	v_add_f64 v[11:12], v[40:41], v[11:12]
	v_add_f64 v[11:12], v[11:12], -v[33:34]
	v_fma_f64 v[33:34], v[37:38], s[8:9], v[11:12]
	v_add_f64 v[11:12], v[49:50], v[33:34]
	v_add_f64 v[40:41], v[11:12], -v[49:50]
	v_add_f64 v[33:34], v[33:34], -v[40:41]
	v_cvt_i32_f64_e32 v41, v[37:38]
.LBB131_342:                            ;   in Loop: Header=BB131_185 Depth=1
	s_or_b64 exec, exec, s[6:7]
	v_mul_f64 v[37:38], v[1:2], s[28:29]
	s_mov_b32 s89, s47
	s_mov_b32 s91, s73
	v_cmp_nlt_f64_e64 s[6:7], s[92:93], v[1:2]
	v_cmp_ngt_f64_e64 s[8:9], s[94:95], v[1:2]
	v_mul_f64 v[57:58], v[35:36], 0.5
	s_mov_b32 s48, s72
	v_rndne_f64_e32 v[37:38], v[37:38]
	v_fma_f64 v[47:48], v[37:38], s[30:31], v[1:2]
	v_cvt_i32_f64_e32 v22, v[37:38]
	v_fma_f64 v[47:48], v[37:38], s[34:35], v[47:48]
	v_fma_f64 v[49:50], v[47:48], s[36:37], v[23:24]
	;; [unrolled: 1-line block ×10, first 2 shown]
	v_fma_f64 v[49:50], v[47:48], v[49:50], 1.0
	v_fma_f64 v[47:48], v[47:48], v[49:50], 1.0
	v_ldexp_f64 v[37:38], v[47:48], v22
	v_mul_f64 v[47:48], v[9:10], v[9:10]
	v_cndmask_b32_e64 v22, v45, v38, s[6:7]
	s_and_b64 s[6:7], s[8:9], s[6:7]
	v_cndmask_b32_e64 v1, 0, v37, s[6:7]
	s_mov_b32 s6, 0x9037ab78
	s_mov_b32 s7, 0x3e21eeb6
	v_mov_b32_e32 v54, s7
	v_mov_b32_e32 v53, s6
	v_mul_f64 v[37:38], v[47:48], 0.5
	v_fma_f64 v[55:56], v[47:48], s[56:57], v[53:54]
	v_cndmask_b32_e64 v2, 0, v22, s[8:9]
	v_and_b32_e32 v22, 1, v39
	v_cmp_eq_u32_e64 s[6:7], 0, v22
	v_lshlrev_b32_e32 v22, 30, v39
	v_mul_f64 v[39:40], v[11:12], v[11:12]
	v_and_b32_e32 v22, 0x80000000, v22
	v_add_f64 v[49:50], -v[37:38], 1.0
	v_fma_f64 v[55:56], v[47:48], v[55:56], s[58:59]
	v_add_f64 v[51:52], -v[49:50], 1.0
	v_fma_f64 v[55:56], v[47:48], v[55:56], s[60:61]
	v_add_f64 v[37:38], v[51:52], -v[37:38]
	v_fma_f64 v[55:56], v[47:48], v[55:56], s[62:63]
	v_mul_f64 v[51:52], v[47:48], v[47:48]
	v_fma_f64 v[37:38], v[9:10], -v[35:36], v[37:38]
	v_fma_f64 v[55:56], v[47:48], v[55:56], s[72:73]
	v_fma_f64 v[37:38], v[51:52], v[55:56], v[37:38]
	v_mul_f64 v[55:56], v[9:10], -v[47:48]
	v_add_f64 v[49:50], v[49:50], v[37:38]
	v_mov_b32_e32 v37, s64
	v_mov_b32_e32 v38, s65
	v_fma_f64 v[51:52], v[47:48], s[66:67], v[37:38]
	v_fma_f64 v[37:38], v[39:40], s[66:67], v[37:38]
	;; [unrolled: 1-line block ×9, first 2 shown]
	v_fma_f64 v[35:36], v[47:48], v[51:52], -v[35:36]
	v_fma_f64 v[51:52], v[39:40], s[56:57], v[53:54]
	v_fma_f64 v[35:36], v[55:56], s[48:49], v[35:36]
	;; [unrolled: 1-line block ×3, first 2 shown]
	v_add_f64 v[9:10], v[9:10], -v[35:36]
	v_mul_f64 v[35:36], v[39:40], 0.5
	v_fma_f64 v[51:52], v[39:40], v[51:52], s[60:61]
	v_xor_b32_e32 v10, 0x80000000, v10
	v_add_f64 v[47:48], -v[35:36], 1.0
	v_cndmask_b32_e64 v9, v9, v49, s[6:7]
	v_cndmask_b32_e64 v10, v10, v50, s[6:7]
	v_fma_f64 v[51:52], v[39:40], v[51:52], s[62:63]
	s_movk_i32 s6, 0x1f8
	v_cmp_class_f64_e64 s[6:7], v[3:4], s6
	v_and_b32_e32 v3, 1, v41
	v_cmp_eq_u32_e64 s[8:9], 0, v3
	v_add_f64 v[49:50], -v[47:48], 1.0
	v_xor_b32_e32 v10, v10, v22
	v_fma_f64 v[51:52], v[39:40], v[51:52], s[72:73]
	v_cndmask_b32_e64 v9, 0, v9, s[6:7]
	v_cndmask_b32_e64 v10, v46, v10, s[6:7]
	v_mul_f64 v[9:10], v[1:2], v[9:10]
	v_add_f64 v[35:36], v[49:50], -v[35:36]
	v_mul_f64 v[49:50], v[39:40], v[39:40]
	v_fma_f64 v[35:36], v[11:12], -v[33:34], v[35:36]
	v_fma_f64 v[35:36], v[49:50], v[51:52], v[35:36]
	v_mul_f64 v[49:50], v[33:34], 0.5
	v_add_f64 v[35:36], v[47:48], v[35:36]
	v_mul_f64 v[47:48], v[11:12], -v[39:40]
	v_fma_f64 v[37:38], v[47:48], v[37:38], v[49:50]
	v_fma_f64 v[33:34], v[39:40], v[37:38], -v[33:34]
                                        ; implicit-def: $vgpr37
	v_fma_f64 v[33:34], v[47:48], s[48:49], v[33:34]
	v_add_f64 v[11:12], v[11:12], -v[33:34]
	v_cndmask_b32_e64 v3, v35, v11, s[8:9]
	v_cndmask_b32_e64 v11, v36, v12, s[8:9]
	v_lshlrev_b32_e32 v12, 30, v41
	v_xor_b32_e32 v4, v12, v4
	v_and_b32_e32 v4, 0x80000000, v4
	v_xor_b32_e32 v4, v11, v4
	v_cndmask_b32_e64 v3, 0, v3, s[6:7]
	v_cndmask_b32_e64 v4, v46, v4, s[6:7]
	v_mul_f64 v[11:12], v[1:2], v[3:4]
                                        ; implicit-def: $vgpr3_vgpr4
.LBB131_343:                            ;   in Loop: Header=BB131_185 Depth=1
	s_andn2_saveexec_b64 s[78:79], s[10:11]
	s_cbranch_execz .LBB131_353
; %bb.344:                              ;   in Loop: Header=BB131_185 Depth=1
	s_mov_b32 s6, 0
	s_mov_b32 s7, 0x41d00000
	v_cmp_nlt_f64_e64 s[10:11], |v[3:4]|, s[6:7]
                                        ; implicit-def: $vgpr41
                                        ; implicit-def: $vgpr9_vgpr10
                                        ; implicit-def: $vgpr35_vgpr36
	s_and_saveexec_b64 s[6:7], s[10:11]
	s_xor_b64 s[80:81], exec, s[6:7]
	s_cbranch_execz .LBB131_346
; %bb.345:                              ;   in Loop: Header=BB131_185 Depth=1
	v_trig_preop_f64 v[9:10], |v[3:4]|, 0
	s_mov_b32 s6, 0
	s_mov_b32 s7, 0x7b000000
	s_movk_i32 s8, 0xff80
	v_cmp_ge_f64_e64 s[6:7], |v[3:4]|, s[6:7]
	v_ldexp_f64 v[33:34], |v[3:4]|, s8
	v_trig_preop_f64 v[11:12], |v[3:4]|, 1
	s_mov_b32 s82, s20
	s_mov_b32 s87, s85
	v_cndmask_b32_e64 v34, v37, v34, s[6:7]
	v_cndmask_b32_e64 v33, v3, v33, s[6:7]
	s_mov_b32 s6, 0
	v_mul_f64 v[38:39], v[9:10], v[33:34]
	s_mov_b32 s7, 0x7ff00000
	v_mul_f64 v[35:36], v[11:12], v[33:34]
	v_fma_f64 v[9:10], v[9:10], v[33:34], -v[38:39]
	v_fma_f64 v[11:12], v[11:12], v[33:34], -v[35:36]
	v_add_f64 v[40:41], v[35:36], v[9:10]
	v_add_f64 v[53:54], v[40:41], -v[35:36]
	v_add_f64 v[47:48], v[38:39], v[40:41]
	v_add_f64 v[9:10], v[9:10], -v[53:54]
	v_add_f64 v[53:54], v[40:41], -v[53:54]
	v_ldexp_f64 v[49:50], v[47:48], -2
	v_add_f64 v[38:39], v[47:48], -v[38:39]
	v_add_f64 v[53:54], v[35:36], -v[53:54]
	v_trig_preop_f64 v[35:36], |v[3:4]|, 2
	v_fract_f64_e32 v[51:52], v[49:50]
	v_add_f64 v[38:39], v[40:41], -v[38:39]
	v_cmp_neq_f64_e64 s[6:7], |v[49:50]|, s[6:7]
	v_add_f64 v[9:10], v[9:10], v[53:54]
	v_mul_f64 v[53:54], v[35:36], v[33:34]
	v_add_f64 v[55:56], v[53:54], v[11:12]
	v_add_f64 v[57:58], v[55:56], v[9:10]
	v_add_f64 v[47:48], v[57:58], -v[55:56]
	v_add_f64 v[40:41], v[38:39], v[57:58]
	v_add_f64 v[9:10], v[9:10], -v[47:48]
	v_add_f64 v[47:48], v[57:58], -v[47:48]
	;; [unrolled: 1-line block ×5, first 2 shown]
	v_add_f64 v[9:10], v[9:10], v[47:48]
	v_add_f64 v[47:48], v[55:56], -v[53:54]
	v_add_f64 v[11:12], v[11:12], -v[47:48]
	;; [unrolled: 1-line block ×4, first 2 shown]
	v_add_f64 v[11:12], v[11:12], v[47:48]
	v_add_f64 v[9:10], v[11:12], v[9:10]
	v_fma_f64 v[11:12], v[35:36], v[33:34], -v[53:54]
	v_add_f64 v[9:10], v[11:12], v[9:10]
	v_ldexp_f64 v[11:12], v[51:52], 2
	v_add_f64 v[9:10], v[38:39], v[9:10]
	v_cndmask_b32_e64 v12, 0, v12, s[6:7]
	v_cndmask_b32_e64 v11, 0, v11, s[6:7]
	v_add_f64 v[33:34], v[40:41], v[11:12]
	v_cmp_gt_f64_e64 s[6:7], 0, v[33:34]
	v_cndmask_b32_e64 v22, 0, v43, s[6:7]
	v_add_f64 v[11:12], v[11:12], v[21:22]
	v_add_f64 v[33:34], v[40:41], v[11:12]
	v_cvt_i32_f64_e32 v22, v[33:34]
	v_cvt_f64_i32_e32 v[33:34], v22
	v_add_f64 v[11:12], v[11:12], -v[33:34]
	v_add_f64 v[33:34], v[40:41], v[11:12]
	v_add_f64 v[11:12], v[33:34], -v[11:12]
	v_cmp_le_f64_e64 s[6:7], 0.5, v[33:34]
	v_add_f64 v[11:12], v[40:41], -v[11:12]
	v_addc_co_u32_e64 v41, s[8:9], 0, v22, s[6:7]
	v_cndmask_b32_e64 v22, 0, v44, s[6:7]
	v_add_f64 v[9:10], v[9:10], v[11:12]
	v_add_f64 v[11:12], v[33:34], -v[21:22]
	v_add_f64 v[33:34], v[11:12], v[9:10]
	v_add_f64 v[11:12], v[33:34], -v[11:12]
	v_add_f64 v[9:10], v[9:10], -v[11:12]
	v_mul_f64 v[11:12], v[33:34], s[82:83]
	v_fma_f64 v[35:36], v[33:34], s[82:83], -v[11:12]
	v_fma_f64 v[33:34], v[33:34], s[86:87], v[35:36]
	v_fma_f64 v[33:34], v[9:10], s[82:83], v[33:34]
	v_add_f64 v[9:10], v[11:12], v[33:34]
	v_add_f64 v[11:12], v[9:10], -v[11:12]
	v_add_f64 v[35:36], v[33:34], -v[11:12]
	s_andn2_saveexec_b64 s[6:7], s[80:81]
	s_cbranch_execz .LBB131_348
	s_branch .LBB131_347
.LBB131_346:                            ;   in Loop: Header=BB131_185 Depth=1
	s_andn2_saveexec_b64 s[6:7], s[80:81]
	s_cbranch_execz .LBB131_348
.LBB131_347:                            ;   in Loop: Header=BB131_185 Depth=1
	s_mov_b32 s8, 0x6dc9c883
	s_mov_b32 s9, 0x3fe45f30
	v_mul_f64 v[9:10], |v[3:4]|, s[8:9]
	s_mov_b32 s84, s24
	s_mov_b32 s8, 0x252049c0
	s_mov_b32 s9, 0xb97b839a
	v_rndne_f64_e32 v[11:12], v[9:10]
	v_fma_f64 v[9:10], v[11:12], s[20:21], |v[3:4]|
	v_mul_f64 v[33:34], v[11:12], s[24:25]
	v_fma_f64 v[40:41], v[11:12], s[24:25], v[9:10]
	v_add_f64 v[35:36], v[9:10], v[33:34]
	v_add_f64 v[38:39], v[9:10], -v[35:36]
	v_add_f64 v[35:36], v[35:36], -v[40:41]
	v_add_f64 v[9:10], v[38:39], v[33:34]
	v_fma_f64 v[33:34], v[11:12], s[84:85], v[33:34]
	v_add_f64 v[9:10], v[35:36], v[9:10]
	v_add_f64 v[9:10], v[9:10], -v[33:34]
	v_fma_f64 v[33:34], v[11:12], s[8:9], v[9:10]
	v_add_f64 v[9:10], v[40:41], v[33:34]
	v_add_f64 v[35:36], v[9:10], -v[40:41]
	v_cvt_i32_f64_e32 v41, v[11:12]
	v_add_f64 v[35:36], v[33:34], -v[35:36]
.LBB131_348:                            ;   in Loop: Header=BB131_185 Depth=1
	s_or_b64 exec, exec, s[6:7]
                                        ; implicit-def: $vgpr47
                                        ; implicit-def: $vgpr11_vgpr12
                                        ; implicit-def: $vgpr33_vgpr34
	s_and_saveexec_b64 s[6:7], s[10:11]
	s_xor_b64 s[10:11], exec, s[6:7]
	s_cbranch_execz .LBB131_350
; %bb.349:                              ;   in Loop: Header=BB131_185 Depth=1
	v_trig_preop_f64 v[11:12], |v[3:4]|, 0
	s_mov_b32 s6, 0
	s_mov_b32 s7, 0x7b000000
	s_movk_i32 s8, 0xff80
	v_cmp_ge_f64_e64 s[6:7], |v[3:4]|, s[6:7]
	v_ldexp_f64 v[38:39], |v[3:4]|, s8
	v_trig_preop_f64 v[33:34], |v[3:4]|, 1
	s_mov_b32 s82, s20
	s_mov_b32 s87, s85
	v_cndmask_b32_e64 v39, v37, v39, s[6:7]
	v_cndmask_b32_e64 v38, v3, v38, s[6:7]
	s_mov_b32 s6, 0
	v_mul_f64 v[49:50], v[11:12], v[38:39]
	s_mov_b32 s7, 0x7ff00000
	v_mul_f64 v[47:48], v[33:34], v[38:39]
	v_fma_f64 v[11:12], v[11:12], v[38:39], -v[49:50]
	v_fma_f64 v[33:34], v[33:34], v[38:39], -v[47:48]
	v_add_f64 v[51:52], v[47:48], v[11:12]
	v_add_f64 v[59:60], v[51:52], -v[47:48]
	v_add_f64 v[53:54], v[49:50], v[51:52]
	v_add_f64 v[11:12], v[11:12], -v[59:60]
	v_add_f64 v[59:60], v[51:52], -v[59:60]
	v_ldexp_f64 v[55:56], v[53:54], -2
	v_add_f64 v[49:50], v[53:54], -v[49:50]
	v_add_f64 v[59:60], v[47:48], -v[59:60]
	v_trig_preop_f64 v[47:48], |v[3:4]|, 2
	v_fract_f64_e32 v[57:58], v[55:56]
	v_add_f64 v[49:50], v[51:52], -v[49:50]
	v_cmp_neq_f64_e64 s[6:7], |v[55:56]|, s[6:7]
	v_add_f64 v[11:12], v[11:12], v[59:60]
	v_mul_f64 v[59:60], v[47:48], v[38:39]
	v_add_f64 v[61:62], v[59:60], v[33:34]
	v_add_f64 v[63:64], v[61:62], v[11:12]
	v_add_f64 v[53:54], v[63:64], -v[61:62]
	v_add_f64 v[51:52], v[49:50], v[63:64]
	v_add_f64 v[11:12], v[11:12], -v[53:54]
	v_add_f64 v[53:54], v[63:64], -v[53:54]
	;; [unrolled: 1-line block ×5, first 2 shown]
	v_add_f64 v[11:12], v[11:12], v[53:54]
	v_add_f64 v[53:54], v[61:62], -v[59:60]
	v_add_f64 v[33:34], v[33:34], -v[53:54]
	;; [unrolled: 1-line block ×4, first 2 shown]
	v_add_f64 v[33:34], v[33:34], v[53:54]
	v_add_f64 v[11:12], v[33:34], v[11:12]
	v_fma_f64 v[33:34], v[47:48], v[38:39], -v[59:60]
	v_add_f64 v[11:12], v[33:34], v[11:12]
	v_ldexp_f64 v[33:34], v[57:58], 2
	v_add_f64 v[11:12], v[49:50], v[11:12]
	v_cndmask_b32_e64 v34, 0, v34, s[6:7]
	v_cndmask_b32_e64 v33, 0, v33, s[6:7]
	v_add_f64 v[37:38], v[51:52], v[33:34]
	v_cmp_gt_f64_e64 s[6:7], 0, v[37:38]
	v_cndmask_b32_e64 v22, 0, v43, s[6:7]
	v_add_f64 v[33:34], v[33:34], v[21:22]
	v_add_f64 v[37:38], v[51:52], v[33:34]
	v_cvt_i32_f64_e32 v22, v[37:38]
	v_cvt_f64_i32_e32 v[37:38], v22
	v_add_f64 v[33:34], v[33:34], -v[37:38]
	v_add_f64 v[37:38], v[51:52], v[33:34]
	v_add_f64 v[33:34], v[37:38], -v[33:34]
	v_cmp_le_f64_e64 s[6:7], 0.5, v[37:38]
	v_add_f64 v[33:34], v[51:52], -v[33:34]
	v_addc_co_u32_e64 v47, s[8:9], 0, v22, s[6:7]
	v_cndmask_b32_e64 v22, 0, v44, s[6:7]
	v_add_f64 v[11:12], v[11:12], v[33:34]
	v_add_f64 v[33:34], v[37:38], -v[21:22]
	v_add_f64 v[37:38], v[33:34], v[11:12]
	v_add_f64 v[33:34], v[37:38], -v[33:34]
	v_add_f64 v[11:12], v[11:12], -v[33:34]
	v_mul_f64 v[33:34], v[37:38], s[82:83]
	v_fma_f64 v[39:40], v[37:38], s[82:83], -v[33:34]
	v_fma_f64 v[37:38], v[37:38], s[86:87], v[39:40]
	v_fma_f64 v[37:38], v[11:12], s[82:83], v[37:38]
	v_add_f64 v[11:12], v[33:34], v[37:38]
	v_add_f64 v[33:34], v[11:12], -v[33:34]
	v_add_f64 v[33:34], v[37:38], -v[33:34]
	s_andn2_saveexec_b64 s[6:7], s[10:11]
	s_cbranch_execnz .LBB131_351
	s_branch .LBB131_352
.LBB131_350:                            ;   in Loop: Header=BB131_185 Depth=1
	s_andn2_saveexec_b64 s[6:7], s[10:11]
	s_cbranch_execz .LBB131_352
.LBB131_351:                            ;   in Loop: Header=BB131_185 Depth=1
	s_mov_b32 s8, 0x6dc9c883
	s_mov_b32 s9, 0x3fe45f30
	v_mul_f64 v[11:12], |v[3:4]|, s[8:9]
	s_mov_b32 s84, s24
	s_mov_b32 s8, 0x252049c0
	;; [unrolled: 1-line block ×3, first 2 shown]
	v_rndne_f64_e32 v[37:38], v[11:12]
	v_fma_f64 v[11:12], v[37:38], s[20:21], |v[3:4]|
	v_mul_f64 v[33:34], v[37:38], s[24:25]
	v_fma_f64 v[49:50], v[37:38], s[24:25], v[11:12]
	v_add_f64 v[39:40], v[11:12], v[33:34]
	v_add_f64 v[47:48], v[11:12], -v[39:40]
	v_add_f64 v[39:40], v[39:40], -v[49:50]
	v_add_f64 v[11:12], v[47:48], v[33:34]
	v_fma_f64 v[33:34], v[37:38], s[84:85], v[33:34]
	v_cvt_i32_f64_e32 v47, v[37:38]
	v_add_f64 v[11:12], v[39:40], v[11:12]
	v_add_f64 v[11:12], v[11:12], -v[33:34]
	v_fma_f64 v[33:34], v[37:38], s[8:9], v[11:12]
	v_add_f64 v[11:12], v[49:50], v[33:34]
	v_add_f64 v[39:40], v[11:12], -v[49:50]
	v_add_f64 v[33:34], v[33:34], -v[39:40]
.LBB131_352:                            ;   in Loop: Header=BB131_185 Depth=1
	s_or_b64 exec, exec, s[6:7]
	v_mul_f64 v[48:49], v[9:10], v[9:10]
	s_mov_b32 s10, 0x9037ab78
	s_mov_b32 s11, 0x3e21eeb6
	v_mov_b32_e32 v40, s11
	v_mov_b32_e32 v39, s10
	s_mov_b32 s48, s72
	s_movk_i32 s6, 0x1f8
	v_cmp_class_f64_e64 s[6:7], v[3:4], s6
	v_mul_f64 v[37:38], v[48:49], 0.5
	v_fma_f64 v[54:55], v[48:49], s[56:57], v[39:40]
	v_mul_f64 v[52:53], v[48:49], v[48:49]
	v_and_b32_e32 v3, 1, v41
	v_cmp_eq_u32_e64 s[8:9], 0, v3
	s_mov_b32 s89, s47
	s_mov_b32 s91, s73
	v_add_f64 v[50:51], -v[37:38], 1.0
	v_fma_f64 v[54:55], v[48:49], v[54:55], s[58:59]
	v_add_f64 v[56:57], -v[50:51], 1.0
	v_fma_f64 v[54:55], v[48:49], v[54:55], s[60:61]
	v_add_f64 v[37:38], v[56:57], -v[37:38]
	v_fma_f64 v[54:55], v[48:49], v[54:55], s[62:63]
	v_mul_f64 v[56:57], v[35:36], 0.5
	v_fma_f64 v[37:38], v[9:10], -v[35:36], v[37:38]
	v_fma_f64 v[54:55], v[48:49], v[54:55], s[72:73]
	v_fma_f64 v[37:38], v[52:53], v[54:55], v[37:38]
	v_mul_f64 v[52:53], v[9:10], -v[48:49]
	v_add_f64 v[50:51], v[50:51], v[37:38]
	v_mov_b32_e32 v37, s64
	v_mov_b32_e32 v38, s65
	v_fma_f64 v[54:55], v[48:49], s[66:67], v[37:38]
	v_fma_f64 v[54:55], v[48:49], v[54:55], s[68:69]
	;; [unrolled: 1-line block ×5, first 2 shown]
	v_fma_f64 v[35:36], v[48:49], v[54:55], -v[35:36]
	v_fma_f64 v[35:36], v[52:53], s[48:49], v[35:36]
	v_add_f64 v[9:10], v[9:10], -v[35:36]
	v_xor_b32_e32 v3, 0x80000000, v10
	v_cndmask_b32_e64 v9, v9, v50, s[8:9]
	v_cndmask_b32_e64 v3, v3, v51, s[8:9]
	s_mov_b32 s8, 0x19ba0da4
	s_mov_b32 s9, 0xc0937be3
	v_add_f64 v[1:2], v[1:2], s[8:9]
	v_lshlrev_b32_e32 v10, 30, v41
	v_and_b32_e32 v10, 0x80000000, v10
	v_xor_b32_e32 v3, v3, v10
	v_cndmask_b32_e64 v10, v46, v3, s[6:7]
	v_cndmask_b32_e64 v9, 0, v9, s[6:7]
	v_mul_f64 v[35:36], v[1:2], s[28:29]
	v_cmp_nlt_f64_e64 s[8:9], s[92:93], v[1:2]
	v_cmp_ngt_f64_e64 s[10:11], s[94:95], v[1:2]
	v_rndne_f64_e32 v[35:36], v[35:36]
	v_fma_f64 v[41:42], v[35:36], s[30:31], v[1:2]
	v_cvt_i32_f64_e32 v3, v[35:36]
	v_fma_f64 v[41:42], v[35:36], s[34:35], v[41:42]
	v_fma_f64 v[48:49], v[41:42], s[36:37], v[23:24]
	;; [unrolled: 1-line block ×10, first 2 shown]
	v_fma_f64 v[48:49], v[41:42], v[48:49], 1.0
	v_fma_f64 v[41:42], v[41:42], v[48:49], 1.0
	v_ldexp_f64 v[35:36], v[41:42], v3
	v_cndmask_b32_e64 v3, v45, v36, s[8:9]
	v_cndmask_b32_e64 v3, 0, v3, s[10:11]
	s_and_b64 s[8:9], s[10:11], s[8:9]
	v_and_b32_e32 v1, 0xfffff, v3
	v_cndmask_b32_e64 v35, 0, v35, s[8:9]
	v_or_b32_e32 v36, 0x7fe00000, v1
	v_mul_f64 v[1:2], v[35:36], v[9:10]
	v_lshrrev_b32_e32 v3, 20, v3
	v_add_u32_e32 v3, 0xffffff09, v3
	v_lshrrev_b16_e32 v9, 15, v3
	v_add_u16_e32 v9, v3, v9
	v_ashrrev_i16_e32 v9, 1, v9
	v_bfe_i32 v41, v9, 0, 16
	v_lshl_add_u32 v22, v41, 20, v44
	v_mul_f64 v[9:10], v[1:2], v[21:22]
	v_sub_u32_e32 v1, v3, v41
	v_mul_f64 v[41:42], v[11:12], v[11:12]
	v_and_b32_e32 v3, 1, v47
	v_cmp_eq_u32_e64 s[8:9], 0, v3
	v_lshl_add_u32 v2, v1, 20, v44
	v_mov_b32_e32 v1, v21
	v_mul_f64 v[9:10], v[9:10], v[1:2]
	v_mul_f64 v[48:49], v[41:42], 0.5
	v_fma_f64 v[39:40], v[41:42], s[56:57], v[39:40]
	v_fma_f64 v[37:38], v[41:42], s[66:67], v[37:38]
	v_add_f64 v[50:51], -v[48:49], 1.0
	v_fma_f64 v[39:40], v[41:42], v[39:40], s[58:59]
	v_fma_f64 v[37:38], v[41:42], v[37:38], s[68:69]
	v_add_f64 v[52:53], -v[50:51], 1.0
	v_fma_f64 v[39:40], v[41:42], v[39:40], s[60:61]
	v_fma_f64 v[37:38], v[41:42], v[37:38], s[70:71]
	v_add_f64 v[48:49], v[52:53], -v[48:49]
	v_fma_f64 v[39:40], v[41:42], v[39:40], s[62:63]
	v_mul_f64 v[52:53], v[41:42], v[41:42]
	v_fma_f64 v[37:38], v[41:42], v[37:38], s[46:47]
	v_fma_f64 v[48:49], v[11:12], -v[33:34], v[48:49]
	v_fma_f64 v[39:40], v[41:42], v[39:40], s[72:73]
	v_fma_f64 v[39:40], v[52:53], v[39:40], v[48:49]
	v_mul_f64 v[48:49], v[11:12], -v[41:42]
	v_add_f64 v[39:40], v[50:51], v[39:40]
	v_mul_f64 v[50:51], v[33:34], 0.5
	v_fma_f64 v[37:38], v[48:49], v[37:38], v[50:51]
	v_fma_f64 v[33:34], v[41:42], v[37:38], -v[33:34]
	v_fma_f64 v[33:34], v[48:49], s[48:49], v[33:34]
	v_add_f64 v[11:12], v[11:12], -v[33:34]
	v_cndmask_b32_e64 v3, v39, v11, s[8:9]
	v_cndmask_b32_e64 v11, v40, v12, s[8:9]
	v_lshlrev_b32_e32 v12, 30, v47
	v_xor_b32_e32 v4, v12, v4
	v_and_b32_e32 v4, 0x80000000, v4
	v_xor_b32_e32 v4, v11, v4
	v_cndmask_b32_e64 v3, 0, v3, s[6:7]
	v_cndmask_b32_e64 v4, v46, v4, s[6:7]
	v_mul_f64 v[3:4], v[35:36], v[3:4]
	v_mul_f64 v[3:4], v[3:4], v[21:22]
	;; [unrolled: 1-line block ×3, first 2 shown]
.LBB131_353:                            ;   in Loop: Header=BB131_185 Depth=1
	s_or_b64 exec, exec, s[78:79]
                                        ; implicit-def: $vgpr1_vgpr2
                                        ; implicit-def: $vgpr22
.LBB131_354:                            ;   in Loop: Header=BB131_185 Depth=1
	s_andn2_saveexec_b64 s[10:11], s[76:77]
	s_cbranch_execz .LBB131_360
; %bb.355:                              ;   in Loop: Header=BB131_185 Depth=1
	s_mov_b32 s8, 0x7ff00000
	v_cmp_ne_u32_e64 s[6:7], 0, v1
	v_cmp_ne_u32_e64 s[8:9], s8, v22
	s_or_b64 s[6:7], s[6:7], s[8:9]
                                        ; implicit-def: $vgpr11_vgpr12
	s_and_saveexec_b64 s[8:9], s[6:7]
	s_xor_b64 s[6:7], exec, s[8:9]
; %bb.356:                              ;   in Loop: Header=BB131_185 Depth=1
	v_add_f64 v[11:12], v[3:4], -v[3:4]
                                        ; implicit-def: $vgpr1_vgpr2
; %bb.357:                              ;   in Loop: Header=BB131_185 Depth=1
	s_or_saveexec_b64 s[8:9], s[6:7]
	v_mov_b32_e32 v9, v11
	v_mov_b32_e32 v10, v12
	s_xor_b64 exec, exec, s[8:9]
	s_cbranch_execz .LBB131_359
; %bb.358:                              ;   in Loop: Header=BB131_185 Depth=1
	v_add_f64 v[3:4], v[3:4], -v[3:4]
	v_cmp_lt_i64_e64 s[6:7], -1, v[1:2]
	v_cndmask_b32_e64 v10, 0, v2, s[6:7]
	v_cndmask_b32_e64 v9, 0, v1, s[6:7]
	;; [unrolled: 1-line block ×4, first 2 shown]
.LBB131_359:                            ;   in Loop: Header=BB131_185 Depth=1
	s_or_b64 exec, exec, s[8:9]
.LBB131_360:                            ;   in Loop: Header=BB131_185 Depth=1
	s_or_b64 exec, exec, s[10:11]
                                        ; implicit-def: $vgpr3_vgpr4
                                        ; implicit-def: $vgpr37
.LBB131_361:                            ;   in Loop: Header=BB131_185 Depth=1
	s_andn2_saveexec_b64 s[10:11], s[26:27]
	s_cbranch_execz .LBB131_371
; %bb.362:                              ;   in Loop: Header=BB131_185 Depth=1
	s_mov_b32 s6, 0
	s_mov_b32 s7, 0x41d00000
	v_cmp_nlt_f64_e64 s[8:9], |v[3:4]|, s[6:7]
                                        ; implicit-def: $vgpr39
                                        ; implicit-def: $vgpr9_vgpr10
                                        ; implicit-def: $vgpr11_vgpr12
	s_and_saveexec_b64 s[6:7], s[8:9]
	s_xor_b64 s[26:27], exec, s[6:7]
	s_cbranch_execz .LBB131_364
; %bb.363:                              ;   in Loop: Header=BB131_185 Depth=1
	v_trig_preop_f64 v[1:2], |v[3:4]|, 0
	s_movk_i32 s6, 0xff80
	v_ldexp_f64 v[9:10], |v[3:4]|, s6
	s_mov_b32 s6, 0
	s_mov_b32 s7, 0x7b000000
	v_cmp_ge_f64_e64 s[6:7], |v[3:4]|, s[6:7]
	v_trig_preop_f64 v[11:12], |v[3:4]|, 1
	v_trig_preop_f64 v[40:41], |v[3:4]|, 2
	s_mov_b32 s82, s20
	s_mov_b32 s87, s85
	v_cndmask_b32_e64 v10, v37, v10, s[6:7]
	v_cndmask_b32_e64 v9, v3, v9, s[6:7]
	s_mov_b32 s6, 0
	v_mul_f64 v[33:34], v[1:2], v[9:10]
	s_mov_b32 s7, 0x7ff00000
	v_mul_f64 v[35:36], v[11:12], v[9:10]
	v_mul_f64 v[51:52], v[40:41], v[9:10]
	v_fma_f64 v[1:2], v[1:2], v[9:10], -v[33:34]
	v_fma_f64 v[11:12], v[11:12], v[9:10], -v[35:36]
	;; [unrolled: 1-line block ×3, first 2 shown]
	v_add_f64 v[38:39], v[35:36], v[1:2]
	v_add_f64 v[47:48], v[38:39], -v[35:36]
	v_add_f64 v[53:54], v[33:34], v[38:39]
	v_add_f64 v[49:50], v[38:39], -v[47:48]
	v_add_f64 v[1:2], v[1:2], -v[47:48]
	v_add_f64 v[47:48], v[51:52], v[11:12]
	v_add_f64 v[33:34], v[53:54], -v[33:34]
	v_add_f64 v[35:36], v[35:36], -v[49:50]
	v_ldexp_f64 v[49:50], v[53:54], -2
	v_add_f64 v[55:56], v[47:48], -v[51:52]
	v_add_f64 v[33:34], v[38:39], -v[33:34]
	v_add_f64 v[1:2], v[1:2], v[35:36]
	v_fract_f64_e32 v[35:36], v[49:50]
	v_cmp_neq_f64_e64 s[6:7], |v[49:50]|, s[6:7]
	v_add_f64 v[11:12], v[11:12], -v[55:56]
	v_add_f64 v[38:39], v[47:48], v[1:2]
	v_ldexp_f64 v[35:36], v[35:36], 2
	v_add_f64 v[49:50], v[33:34], v[38:39]
	v_cndmask_b32_e64 v36, 0, v36, s[6:7]
	v_cndmask_b32_e64 v35, 0, v35, s[6:7]
	v_add_f64 v[57:58], v[38:39], -v[47:48]
	v_add_f64 v[53:54], v[49:50], v[35:36]
	v_add_f64 v[33:34], v[49:50], -v[33:34]
	v_add_f64 v[59:60], v[38:39], -v[57:58]
	;; [unrolled: 1-line block ×3, first 2 shown]
	v_cmp_gt_f64_e64 s[6:7], 0, v[53:54]
	v_add_f64 v[53:54], v[47:48], -v[55:56]
	v_add_f64 v[33:34], v[38:39], -v[33:34]
	;; [unrolled: 1-line block ×3, first 2 shown]
	v_cndmask_b32_e64 v22, 0, v43, s[6:7]
	v_add_f64 v[35:36], v[35:36], v[21:22]
	v_add_f64 v[53:54], v[51:52], -v[53:54]
	v_add_f64 v[1:2], v[1:2], v[47:48]
	v_add_f64 v[61:62], v[49:50], v[35:36]
	;; [unrolled: 1-line block ×3, first 2 shown]
	v_cvt_i32_f64_e32 v42, v[61:62]
	v_add_f64 v[1:2], v[11:12], v[1:2]
	v_cvt_f64_i32_e32 v[55:56], v42
	v_add_f64 v[35:36], v[35:36], -v[55:56]
	v_add_f64 v[1:2], v[9:10], v[1:2]
	v_add_f64 v[11:12], v[49:50], v[35:36]
	;; [unrolled: 1-line block ×3, first 2 shown]
	v_add_f64 v[9:10], v[11:12], -v[35:36]
	v_cmp_le_f64_e64 s[6:7], 0.5, v[11:12]
	v_add_f64 v[9:10], v[49:50], -v[9:10]
	v_cndmask_b32_e64 v22, 0, v44, s[6:7]
	v_addc_co_u32_e64 v39, s[6:7], 0, v42, s[6:7]
	v_add_f64 v[1:2], v[1:2], v[9:10]
	v_add_f64 v[9:10], v[11:12], -v[21:22]
	v_add_f64 v[11:12], v[9:10], v[1:2]
	v_mul_f64 v[33:34], v[11:12], s[82:83]
	v_add_f64 v[9:10], v[11:12], -v[9:10]
	v_fma_f64 v[35:36], v[11:12], s[82:83], -v[33:34]
	v_add_f64 v[1:2], v[1:2], -v[9:10]
	v_fma_f64 v[9:10], v[11:12], s[86:87], v[35:36]
	v_fma_f64 v[1:2], v[1:2], s[82:83], v[9:10]
	v_add_f64 v[9:10], v[33:34], v[1:2]
	v_add_f64 v[11:12], v[9:10], -v[33:34]
	v_add_f64 v[11:12], v[1:2], -v[11:12]
	s_andn2_saveexec_b64 s[6:7], s[26:27]
	s_cbranch_execz .LBB131_366
	s_branch .LBB131_365
.LBB131_364:                            ;   in Loop: Header=BB131_185 Depth=1
	s_andn2_saveexec_b64 s[6:7], s[26:27]
	s_cbranch_execz .LBB131_366
.LBB131_365:                            ;   in Loop: Header=BB131_185 Depth=1
	s_mov_b32 s26, 0x6dc9c883
	s_mov_b32 s27, 0x3fe45f30
	v_mul_f64 v[1:2], |v[3:4]|, s[26:27]
	s_mov_b32 s84, s24
	s_mov_b32 s26, 0x252049c0
	;; [unrolled: 1-line block ×3, first 2 shown]
	v_rndne_f64_e32 v[1:2], v[1:2]
	v_fma_f64 v[9:10], v[1:2], s[20:21], |v[3:4]|
	v_mul_f64 v[11:12], v[1:2], s[24:25]
	v_fma_f64 v[38:39], v[1:2], s[24:25], v[9:10]
	v_add_f64 v[33:34], v[9:10], v[11:12]
	v_add_f64 v[35:36], v[9:10], -v[33:34]
	v_add_f64 v[33:34], v[33:34], -v[38:39]
	v_add_f64 v[9:10], v[35:36], v[11:12]
	v_fma_f64 v[11:12], v[1:2], s[84:85], v[11:12]
	v_add_f64 v[9:10], v[33:34], v[9:10]
	v_add_f64 v[9:10], v[9:10], -v[11:12]
	v_fma_f64 v[11:12], v[1:2], s[26:27], v[9:10]
	v_add_f64 v[9:10], v[38:39], v[11:12]
	v_add_f64 v[33:34], v[9:10], -v[38:39]
	v_cvt_i32_f64_e32 v39, v[1:2]
	v_add_f64 v[11:12], v[11:12], -v[33:34]
.LBB131_366:                            ;   in Loop: Header=BB131_185 Depth=1
	s_or_b64 exec, exec, s[6:7]
                                        ; implicit-def: $vgpr38
                                        ; implicit-def: $vgpr1_vgpr2
                                        ; implicit-def: $vgpr33_vgpr34
	s_and_saveexec_b64 s[6:7], s[8:9]
	s_xor_b64 s[26:27], exec, s[6:7]
	s_cbranch_execz .LBB131_368
; %bb.367:                              ;   in Loop: Header=BB131_185 Depth=1
	v_trig_preop_f64 v[1:2], |v[3:4]|, 0
	s_mov_b32 s6, 0
	s_mov_b32 s7, 0x7b000000
	s_movk_i32 s8, 0xff80
	v_cmp_ge_f64_e64 s[6:7], |v[3:4]|, s[6:7]
	v_ldexp_f64 v[35:36], |v[3:4]|, s8
	v_trig_preop_f64 v[33:34], |v[3:4]|, 1
	s_mov_b32 s82, s20
	s_mov_b32 s87, s85
	v_cndmask_b32_e64 v36, v37, v36, s[6:7]
	v_cndmask_b32_e64 v35, v3, v35, s[6:7]
	s_mov_b32 s6, 0
	v_mul_f64 v[40:41], v[1:2], v[35:36]
	s_mov_b32 s7, 0x7ff00000
	v_mul_f64 v[37:38], v[33:34], v[35:36]
	v_fma_f64 v[1:2], v[1:2], v[35:36], -v[40:41]
	v_fma_f64 v[33:34], v[33:34], v[35:36], -v[37:38]
	v_add_f64 v[47:48], v[37:38], v[1:2]
	v_add_f64 v[55:56], v[47:48], -v[37:38]
	v_add_f64 v[49:50], v[40:41], v[47:48]
	v_add_f64 v[1:2], v[1:2], -v[55:56]
	v_add_f64 v[55:56], v[47:48], -v[55:56]
	v_ldexp_f64 v[51:52], v[49:50], -2
	v_add_f64 v[40:41], v[49:50], -v[40:41]
	v_add_f64 v[55:56], v[37:38], -v[55:56]
	v_trig_preop_f64 v[37:38], |v[3:4]|, 2
	v_fract_f64_e32 v[53:54], v[51:52]
	v_add_f64 v[40:41], v[47:48], -v[40:41]
	v_cmp_neq_f64_e64 s[6:7], |v[51:52]|, s[6:7]
	v_add_f64 v[1:2], v[1:2], v[55:56]
	v_mul_f64 v[55:56], v[37:38], v[35:36]
	v_add_f64 v[57:58], v[55:56], v[33:34]
	v_add_f64 v[59:60], v[57:58], v[1:2]
	v_add_f64 v[49:50], v[59:60], -v[57:58]
	v_add_f64 v[47:48], v[40:41], v[59:60]
	v_add_f64 v[1:2], v[1:2], -v[49:50]
	v_add_f64 v[49:50], v[59:60], -v[49:50]
	;; [unrolled: 1-line block ×5, first 2 shown]
	v_add_f64 v[1:2], v[1:2], v[49:50]
	v_add_f64 v[49:50], v[57:58], -v[55:56]
	v_add_f64 v[33:34], v[33:34], -v[49:50]
	;; [unrolled: 1-line block ×4, first 2 shown]
	v_add_f64 v[33:34], v[33:34], v[49:50]
	v_add_f64 v[1:2], v[33:34], v[1:2]
	v_fma_f64 v[33:34], v[37:38], v[35:36], -v[55:56]
	v_add_f64 v[1:2], v[33:34], v[1:2]
	v_ldexp_f64 v[33:34], v[53:54], 2
	v_add_f64 v[1:2], v[40:41], v[1:2]
	v_cndmask_b32_e64 v34, 0, v34, s[6:7]
	v_cndmask_b32_e64 v33, 0, v33, s[6:7]
	v_add_f64 v[35:36], v[47:48], v[33:34]
	v_cmp_gt_f64_e64 s[6:7], 0, v[35:36]
	v_cndmask_b32_e64 v22, 0, v43, s[6:7]
	v_add_f64 v[33:34], v[33:34], v[21:22]
	v_add_f64 v[35:36], v[47:48], v[33:34]
	v_cvt_i32_f64_e32 v22, v[35:36]
	v_cvt_f64_i32_e32 v[35:36], v22
	v_add_f64 v[33:34], v[33:34], -v[35:36]
	v_add_f64 v[35:36], v[47:48], v[33:34]
	v_add_f64 v[33:34], v[35:36], -v[33:34]
	v_cmp_le_f64_e64 s[6:7], 0.5, v[35:36]
	v_add_f64 v[33:34], v[47:48], -v[33:34]
	v_addc_co_u32_e64 v38, s[8:9], 0, v22, s[6:7]
	v_cndmask_b32_e64 v22, 0, v44, s[6:7]
	v_add_f64 v[1:2], v[1:2], v[33:34]
	v_add_f64 v[33:34], v[35:36], -v[21:22]
	v_add_f64 v[35:36], v[33:34], v[1:2]
	v_add_f64 v[33:34], v[35:36], -v[33:34]
	v_add_f64 v[1:2], v[1:2], -v[33:34]
	v_mul_f64 v[33:34], v[35:36], s[82:83]
	v_fma_f64 v[40:41], v[35:36], s[82:83], -v[33:34]
	v_fma_f64 v[35:36], v[35:36], s[86:87], v[40:41]
	v_fma_f64 v[35:36], v[1:2], s[82:83], v[35:36]
	v_add_f64 v[1:2], v[33:34], v[35:36]
	v_add_f64 v[33:34], v[1:2], -v[33:34]
	v_add_f64 v[33:34], v[35:36], -v[33:34]
	s_andn2_saveexec_b64 s[6:7], s[26:27]
	s_cbranch_execnz .LBB131_369
	s_branch .LBB131_370
.LBB131_368:                            ;   in Loop: Header=BB131_185 Depth=1
	s_andn2_saveexec_b64 s[6:7], s[26:27]
	s_cbranch_execz .LBB131_370
.LBB131_369:                            ;   in Loop: Header=BB131_185 Depth=1
	s_mov_b32 s8, 0x6dc9c883
	s_mov_b32 s9, 0x3fe45f30
	v_mul_f64 v[1:2], |v[3:4]|, s[8:9]
	s_mov_b32 s84, s24
	s_mov_b32 s8, 0x252049c0
	;; [unrolled: 1-line block ×3, first 2 shown]
	v_rndne_f64_e32 v[35:36], v[1:2]
	v_fma_f64 v[1:2], v[35:36], s[20:21], |v[3:4]|
	v_mul_f64 v[33:34], v[35:36], s[24:25]
	v_fma_f64 v[47:48], v[35:36], s[24:25], v[1:2]
	v_add_f64 v[37:38], v[1:2], v[33:34]
	v_add_f64 v[40:41], v[1:2], -v[37:38]
	v_add_f64 v[37:38], v[37:38], -v[47:48]
	v_add_f64 v[1:2], v[40:41], v[33:34]
	v_fma_f64 v[33:34], v[35:36], s[84:85], v[33:34]
	v_add_f64 v[1:2], v[37:38], v[1:2]
	v_add_f64 v[1:2], v[1:2], -v[33:34]
	v_fma_f64 v[33:34], v[35:36], s[8:9], v[1:2]
	v_add_f64 v[1:2], v[47:48], v[33:34]
	v_add_f64 v[37:38], v[1:2], -v[47:48]
	v_add_f64 v[33:34], v[33:34], -v[37:38]
	v_cvt_i32_f64_e32 v38, v[35:36]
.LBB131_370:                            ;   in Loop: Header=BB131_185 Depth=1
	s_or_b64 exec, exec, s[6:7]
	v_mul_f64 v[40:41], v[9:10], v[9:10]
	s_mov_b32 s6, 0x9037ab78
	s_mov_b32 s7, 0x3e21eeb6
	v_mov_b32_e32 v52, s7
	v_mov_b32_e32 v51, s6
	v_mul_f64 v[55:56], v[11:12], 0.5
	s_mov_b32 s48, s72
	v_mul_f64 v[35:36], v[40:41], 0.5
	v_fma_f64 v[53:54], v[40:41], s[56:57], v[51:52]
	v_add_f64 v[47:48], -v[35:36], 1.0
	v_fma_f64 v[53:54], v[40:41], v[53:54], s[58:59]
	v_add_f64 v[49:50], -v[47:48], 1.0
	v_fma_f64 v[53:54], v[40:41], v[53:54], s[60:61]
	v_add_f64 v[35:36], v[49:50], -v[35:36]
	v_fma_f64 v[53:54], v[40:41], v[53:54], s[62:63]
	v_mul_f64 v[49:50], v[40:41], v[40:41]
	v_fma_f64 v[35:36], v[9:10], -v[11:12], v[35:36]
	v_fma_f64 v[53:54], v[40:41], v[53:54], s[72:73]
	v_fma_f64 v[35:36], v[49:50], v[53:54], v[35:36]
	v_mul_f64 v[53:54], v[9:10], -v[40:41]
	v_add_f64 v[47:48], v[47:48], v[35:36]
	v_mov_b32_e32 v35, s64
	v_mov_b32_e32 v36, s65
	v_fma_f64 v[49:50], v[40:41], s[66:67], v[35:36]
	v_fma_f64 v[49:50], v[40:41], v[49:50], s[68:69]
	;; [unrolled: 1-line block ×5, first 2 shown]
	v_fma_f64 v[11:12], v[40:41], v[49:50], -v[11:12]
	v_fma_f64 v[11:12], v[53:54], s[48:49], v[11:12]
	v_add_f64 v[9:10], v[9:10], -v[11:12]
	v_and_b32_e32 v11, 1, v39
	v_cmp_eq_u32_e64 s[6:7], 0, v11
	v_lshlrev_b32_e32 v11, 30, v39
	v_and_b32_e32 v11, 0x80000000, v11
	v_xor_b32_e32 v10, 0x80000000, v10
	v_cndmask_b32_e64 v10, v10, v48, s[6:7]
	v_xor_b32_e32 v10, v10, v11
	v_mul_f64 v[11:12], v[1:2], v[1:2]
	v_cndmask_b32_e64 v9, v9, v47, s[6:7]
	s_movk_i32 s6, 0x1f8
	v_cmp_class_f64_e64 s[6:7], v[3:4], s6
	v_and_b32_e32 v3, 1, v38
	v_cmp_eq_u32_e64 s[8:9], 0, v3
	v_lshlrev_b32_e32 v3, 30, v38
	v_xor_b32_e32 v3, v3, v4
	v_mul_f64 v[39:40], v[11:12], 0.5
	v_fma_f64 v[49:50], v[11:12], s[56:57], v[51:52]
	v_fma_f64 v[35:36], v[11:12], s[66:67], v[35:36]
	v_and_b32_e32 v3, 0x80000000, v3
	v_cndmask_b32_e64 v9, 0, v9, s[6:7]
	v_cndmask_b32_e64 v10, v46, v10, s[6:7]
	v_add_f64 v[41:42], -v[39:40], 1.0
	v_fma_f64 v[49:50], v[11:12], v[49:50], s[58:59]
	v_fma_f64 v[35:36], v[11:12], v[35:36], s[68:69]
	v_add_f64 v[47:48], -v[41:42], 1.0
	v_fma_f64 v[49:50], v[11:12], v[49:50], s[60:61]
	v_fma_f64 v[35:36], v[11:12], v[35:36], s[70:71]
	v_add_f64 v[39:40], v[47:48], -v[39:40]
	v_fma_f64 v[49:50], v[11:12], v[49:50], s[62:63]
	v_mul_f64 v[47:48], v[11:12], v[11:12]
	v_fma_f64 v[35:36], v[11:12], v[35:36], s[46:47]
	v_fma_f64 v[39:40], v[1:2], -v[33:34], v[39:40]
	v_fma_f64 v[49:50], v[11:12], v[49:50], s[72:73]
	v_fma_f64 v[39:40], v[47:48], v[49:50], v[39:40]
	v_mul_f64 v[47:48], v[33:34], 0.5
	v_add_f64 v[39:40], v[41:42], v[39:40]
	v_mul_f64 v[41:42], v[1:2], -v[11:12]
	v_fma_f64 v[35:36], v[41:42], v[35:36], v[47:48]
	v_fma_f64 v[11:12], v[11:12], v[35:36], -v[33:34]
	v_fma_f64 v[11:12], v[41:42], s[48:49], v[11:12]
	v_add_f64 v[1:2], v[1:2], -v[11:12]
	v_cndmask_b32_e64 v2, v40, v2, s[8:9]
	v_cndmask_b32_e64 v1, v39, v1, s[8:9]
	v_xor_b32_e32 v2, v2, v3
	v_cndmask_b32_e64 v11, 0, v1, s[6:7]
	v_cndmask_b32_e64 v12, v46, v2, s[6:7]
.LBB131_371:                            ;   in Loop: Header=BB131_185 Depth=1
	s_or_b64 exec, exec, s[10:11]
                                        ; implicit-def: $vgpr1_vgpr2
	s_andn2_saveexec_b64 s[10:11], s[14:15]
	s_cbranch_execnz .LBB131_332
.LBB131_372:                            ;   in Loop: Header=BB131_185 Depth=1
	s_or_b64 exec, exec, s[10:11]
	s_and_saveexec_b64 s[6:7], vcc
	s_xor_b64 s[6:7], exec, s[6:7]
	s_cbranch_execz .LBB131_333
.LBB131_373:                            ;   in Loop: Header=BB131_185 Depth=1
	v_lshlrev_b64 v[1:2], 4, v[25:26]
	v_mov_b32_e32 v3, s23
	v_add_co_u32_e32 v1, vcc, s22, v1
	v_addc_co_u32_e32 v2, vcc, v3, v2, vcc
	global_store_dwordx4 v[1:2], v[5:8], off
	s_or_b64 exec, exec, s[6:7]
	s_and_saveexec_b64 s[6:7], s[0:1]
	s_cbranch_execnz .LBB131_334
.LBB131_374:                            ;   in Loop: Header=BB131_185 Depth=1
	s_or_b64 exec, exec, s[6:7]
	s_and_saveexec_b64 s[0:1], s[2:3]
	s_cbranch_execz .LBB131_335
.LBB131_375:                            ;   in Loop: Header=BB131_185 Depth=1
	v_lshlrev_b64 v[1:2], 4, v[29:30]
	v_mov_b32_e32 v3, s23
	v_add_co_u32_e32 v1, vcc, s22, v1
	v_addc_co_u32_e32 v2, vcc, v3, v2, vcc
	global_store_dwordx4 v[1:2], v[17:20], off
	s_or_b64 exec, exec, s[0:1]
	s_and_saveexec_b64 s[0:1], s[4:5]
	s_cbranch_execz .LBB131_184
.LBB131_376:                            ;   in Loop: Header=BB131_185 Depth=1
	v_lshlrev_b64 v[1:2], 4, v[31:32]
	v_mov_b32_e32 v3, s23
	v_add_co_u32_e32 v1, vcc, s22, v1
	v_addc_co_u32_e32 v2, vcc, v3, v2, vcc
	global_store_dwordx4 v[1:2], v[9:12], off
	s_branch .LBB131_184
.LBB131_377:
	s_endpgm
	.section	.rodata,"a",@progbits
	.p2align	6, 0x0
	.amdhsa_kernel _ZN2at6native12_GLOBAL__N_125multi_tensor_apply_kernelINS1_18TensorListMetadataILi2EEENS1_14UnaryOpFunctorIN3c107complexIdEELi2ELi1ELi1EEEJNS0_3ExpIS8_EEEEEvT_T0_DpT1_
		.amdhsa_group_segment_fixed_size 0
		.amdhsa_private_segment_fixed_size 0
		.amdhsa_kernarg_size 3408
		.amdhsa_user_sgpr_count 6
		.amdhsa_user_sgpr_private_segment_buffer 1
		.amdhsa_user_sgpr_dispatch_ptr 0
		.amdhsa_user_sgpr_queue_ptr 0
		.amdhsa_user_sgpr_kernarg_segment_ptr 1
		.amdhsa_user_sgpr_dispatch_id 0
		.amdhsa_user_sgpr_flat_scratch_init 0
		.amdhsa_user_sgpr_private_segment_size 0
		.amdhsa_uses_dynamic_stack 0
		.amdhsa_system_sgpr_private_segment_wavefront_offset 0
		.amdhsa_system_sgpr_workgroup_id_x 1
		.amdhsa_system_sgpr_workgroup_id_y 0
		.amdhsa_system_sgpr_workgroup_id_z 0
		.amdhsa_system_sgpr_workgroup_info 0
		.amdhsa_system_vgpr_workitem_id 0
		.amdhsa_next_free_vgpr 66
		.amdhsa_next_free_sgpr 96
		.amdhsa_reserve_vcc 1
		.amdhsa_reserve_flat_scratch 0
		.amdhsa_float_round_mode_32 0
		.amdhsa_float_round_mode_16_64 0
		.amdhsa_float_denorm_mode_32 3
		.amdhsa_float_denorm_mode_16_64 3
		.amdhsa_dx10_clamp 1
		.amdhsa_ieee_mode 1
		.amdhsa_fp16_overflow 0
		.amdhsa_exception_fp_ieee_invalid_op 0
		.amdhsa_exception_fp_denorm_src 0
		.amdhsa_exception_fp_ieee_div_zero 0
		.amdhsa_exception_fp_ieee_overflow 0
		.amdhsa_exception_fp_ieee_underflow 0
		.amdhsa_exception_fp_ieee_inexact 0
		.amdhsa_exception_int_div_zero 0
	.end_amdhsa_kernel
	.section	.text._ZN2at6native12_GLOBAL__N_125multi_tensor_apply_kernelINS1_18TensorListMetadataILi2EEENS1_14UnaryOpFunctorIN3c107complexIdEELi2ELi1ELi1EEEJNS0_3ExpIS8_EEEEEvT_T0_DpT1_,"axG",@progbits,_ZN2at6native12_GLOBAL__N_125multi_tensor_apply_kernelINS1_18TensorListMetadataILi2EEENS1_14UnaryOpFunctorIN3c107complexIdEELi2ELi1ELi1EEEJNS0_3ExpIS8_EEEEEvT_T0_DpT1_,comdat
.Lfunc_end131:
	.size	_ZN2at6native12_GLOBAL__N_125multi_tensor_apply_kernelINS1_18TensorListMetadataILi2EEENS1_14UnaryOpFunctorIN3c107complexIdEELi2ELi1ELi1EEEJNS0_3ExpIS8_EEEEEvT_T0_DpT1_, .Lfunc_end131-_ZN2at6native12_GLOBAL__N_125multi_tensor_apply_kernelINS1_18TensorListMetadataILi2EEENS1_14UnaryOpFunctorIN3c107complexIdEELi2ELi1ELi1EEEJNS0_3ExpIS8_EEEEEvT_T0_DpT1_
                                        ; -- End function
	.set _ZN2at6native12_GLOBAL__N_125multi_tensor_apply_kernelINS1_18TensorListMetadataILi2EEENS1_14UnaryOpFunctorIN3c107complexIdEELi2ELi1ELi1EEEJNS0_3ExpIS8_EEEEEvT_T0_DpT1_.num_vgpr, 66
	.set _ZN2at6native12_GLOBAL__N_125multi_tensor_apply_kernelINS1_18TensorListMetadataILi2EEENS1_14UnaryOpFunctorIN3c107complexIdEELi2ELi1ELi1EEEJNS0_3ExpIS8_EEEEEvT_T0_DpT1_.num_agpr, 0
	.set _ZN2at6native12_GLOBAL__N_125multi_tensor_apply_kernelINS1_18TensorListMetadataILi2EEENS1_14UnaryOpFunctorIN3c107complexIdEELi2ELi1ELi1EEEJNS0_3ExpIS8_EEEEEvT_T0_DpT1_.numbered_sgpr, 96
	.set _ZN2at6native12_GLOBAL__N_125multi_tensor_apply_kernelINS1_18TensorListMetadataILi2EEENS1_14UnaryOpFunctorIN3c107complexIdEELi2ELi1ELi1EEEJNS0_3ExpIS8_EEEEEvT_T0_DpT1_.num_named_barrier, 0
	.set _ZN2at6native12_GLOBAL__N_125multi_tensor_apply_kernelINS1_18TensorListMetadataILi2EEENS1_14UnaryOpFunctorIN3c107complexIdEELi2ELi1ELi1EEEJNS0_3ExpIS8_EEEEEvT_T0_DpT1_.private_seg_size, 0
	.set _ZN2at6native12_GLOBAL__N_125multi_tensor_apply_kernelINS1_18TensorListMetadataILi2EEENS1_14UnaryOpFunctorIN3c107complexIdEELi2ELi1ELi1EEEJNS0_3ExpIS8_EEEEEvT_T0_DpT1_.uses_vcc, 1
	.set _ZN2at6native12_GLOBAL__N_125multi_tensor_apply_kernelINS1_18TensorListMetadataILi2EEENS1_14UnaryOpFunctorIN3c107complexIdEELi2ELi1ELi1EEEJNS0_3ExpIS8_EEEEEvT_T0_DpT1_.uses_flat_scratch, 0
	.set _ZN2at6native12_GLOBAL__N_125multi_tensor_apply_kernelINS1_18TensorListMetadataILi2EEENS1_14UnaryOpFunctorIN3c107complexIdEELi2ELi1ELi1EEEJNS0_3ExpIS8_EEEEEvT_T0_DpT1_.has_dyn_sized_stack, 0
	.set _ZN2at6native12_GLOBAL__N_125multi_tensor_apply_kernelINS1_18TensorListMetadataILi2EEENS1_14UnaryOpFunctorIN3c107complexIdEELi2ELi1ELi1EEEJNS0_3ExpIS8_EEEEEvT_T0_DpT1_.has_recursion, 0
	.set _ZN2at6native12_GLOBAL__N_125multi_tensor_apply_kernelINS1_18TensorListMetadataILi2EEENS1_14UnaryOpFunctorIN3c107complexIdEELi2ELi1ELi1EEEJNS0_3ExpIS8_EEEEEvT_T0_DpT1_.has_indirect_call, 0
	.section	.AMDGPU.csdata,"",@progbits
; Kernel info:
; codeLenInByte = 60672
; TotalNumSgprs: 100
; NumVgprs: 66
; ScratchSize: 0
; MemoryBound: 1
; FloatMode: 240
; IeeeMode: 1
; LDSByteSize: 0 bytes/workgroup (compile time only)
; SGPRBlocks: 12
; VGPRBlocks: 16
; NumSGPRsForWavesPerEU: 100
; NumVGPRsForWavesPerEU: 66
; Occupancy: 3
; WaveLimiterHint : 0
; COMPUTE_PGM_RSRC2:SCRATCH_EN: 0
; COMPUTE_PGM_RSRC2:USER_SGPR: 6
; COMPUTE_PGM_RSRC2:TRAP_HANDLER: 0
; COMPUTE_PGM_RSRC2:TGID_X_EN: 1
; COMPUTE_PGM_RSRC2:TGID_Y_EN: 0
; COMPUTE_PGM_RSRC2:TGID_Z_EN: 0
; COMPUTE_PGM_RSRC2:TIDIG_COMP_CNT: 0
	.section	.text._ZN2at6native12_GLOBAL__N_125multi_tensor_apply_kernelINS1_18TensorListMetadataILi2EEENS1_14UnaryOpFunctorIN3c107complexIfEELi2ELi1ELi1EEEJNS0_3ExpIS8_EEEEEvT_T0_DpT1_,"axG",@progbits,_ZN2at6native12_GLOBAL__N_125multi_tensor_apply_kernelINS1_18TensorListMetadataILi2EEENS1_14UnaryOpFunctorIN3c107complexIfEELi2ELi1ELi1EEEJNS0_3ExpIS8_EEEEEvT_T0_DpT1_,comdat
	.globl	_ZN2at6native12_GLOBAL__N_125multi_tensor_apply_kernelINS1_18TensorListMetadataILi2EEENS1_14UnaryOpFunctorIN3c107complexIfEELi2ELi1ELi1EEEJNS0_3ExpIS8_EEEEEvT_T0_DpT1_ ; -- Begin function _ZN2at6native12_GLOBAL__N_125multi_tensor_apply_kernelINS1_18TensorListMetadataILi2EEENS1_14UnaryOpFunctorIN3c107complexIfEELi2ELi1ELi1EEEJNS0_3ExpIS8_EEEEEvT_T0_DpT1_
	.p2align	8
	.type	_ZN2at6native12_GLOBAL__N_125multi_tensor_apply_kernelINS1_18TensorListMetadataILi2EEENS1_14UnaryOpFunctorIN3c107complexIfEELi2ELi1ELi1EEEJNS0_3ExpIS8_EEEEEvT_T0_DpT1_,@function
_ZN2at6native12_GLOBAL__N_125multi_tensor_apply_kernelINS1_18TensorListMetadataILi2EEENS1_14UnaryOpFunctorIN3c107complexIfEELi2ELi1ELi1EEEJNS0_3ExpIS8_EEEEEvT_T0_DpT1_: ; @_ZN2at6native12_GLOBAL__N_125multi_tensor_apply_kernelINS1_18TensorListMetadataILi2EEENS1_14UnaryOpFunctorIN3c107complexIfEELi2ELi1ELi1EEEJNS0_3ExpIS8_EEEEEvT_T0_DpT1_
; %bb.0:
	v_mov_b32_e32 v1, s6
	global_load_ubyte v1, v1, s[4:5] offset:1536
	s_add_u32 s0, s4, s6
	s_mul_hi_u32 s2, s6, 3
	s_mul_i32 s6, s6, 3
	s_addc_u32 s7, s5, 0
	s_add_u32 s6, s0, s6
	s_addc_u32 s7, s7, s2
	s_load_dword s6, s[6:7], 0x740
	s_mov_b32 s1, 0
	s_mov_b32 s3, s1
	s_waitcnt lgkmcnt(0)
	s_ashr_i32 s7, s6, 31
	s_lshl_b64 s[16:17], s[6:7], 19
	s_waitcnt vmcnt(0)
	v_readfirstlane_b32 s0, v1
	s_lshl_b32 s0, s0, 3
	s_load_dwordx2 s[8:9], s[4:5], s0 offset:0x0
	s_load_dwordx2 s[10:11], s[4:5], s0 offset:0x400
	;; [unrolled: 1-line block ×3, first 2 shown]
	s_waitcnt lgkmcnt(0)
	s_add_u32 s14, s8, s16
	s_addc_u32 s15, s9, s17
	s_and_b32 s0, s14, 31
	s_add_u32 s16, s12, s16
	s_addc_u32 s17, s13, s17
	s_lshl_b64 s[6:7], s[6:7], 16
	s_and_b32 s2, s16, 31
	s_sub_u32 s8, s10, s6
	s_subb_u32 s9, s11, s7
	s_and_b32 s6, s10, 3
	s_mov_b32 s7, s1
	s_or_b64 s[2:3], s[2:3], s[6:7]
	s_or_b64 s[0:1], s[2:3], s[0:1]
	s_cmp_eq_u64 s[0:1], 0
	s_mov_b64 s[0:1], -1
	s_cbranch_scc0 .LBB132_177
; %bb.1:
	v_mov_b32_e32 v1, 0x10000
	v_mov_b32_e32 v2, 0
	v_cmp_lt_i64_e32 vcc, s[8:9], v[1:2]
	v_mov_b32_e32 v14, 0
	s_and_b64 s[0:1], vcc, exec
	s_cselect_b32 s11, s9, 0
	s_cselect_b32 s10, s8, 0x10000
	v_lshlrev_b32_e32 v13, 2, v0
	v_cmp_gt_i64_e32 vcc, s[10:11], v[13:14]
	s_and_saveexec_b64 s[12:13], vcc
	s_cbranch_execz .LBB132_176
; %bb.2:
	s_load_dword s0, s[4:5], 0xc5c
	v_mov_b32_e32 v1, v14
	v_mov_b32_e32 v16, v1
	v_lshlrev_b32_e32 v17, 5, v0
	s_mov_b64 s[18:19], 0
	s_waitcnt lgkmcnt(0)
	s_and_b32 s38, s0, 0xffff
	s_mov_b32 s33, 0x7f800000
	s_lshl_b32 s39, s38, 5
	s_mov_b32 s40, 0x8e8e5c
	s_brev_b32 s41, 18
	s_mov_b32 s42, 0xfe5163ab
	s_mov_b32 s43, 0x3c439041
	;; [unrolled: 1-line block ×13, first 2 shown]
	v_mov_b32_e32 v18, 0xbe2aaa9d
	v_mov_b32_e32 v19, 0x3d2aabf7
	;; [unrolled: 1-line block ×3, first 2 shown]
	s_brev_b32 s55, 1
	s_movk_i32 s56, 0x1f8
	v_not_b32_e32 v21, 63
	v_not_b32_e32 v22, 31
	v_mov_b32_e32 v23, 0x7f800000
	v_mov_b32_e32 v24, 0x7fc00000
	s_mov_b64 s[20:21], s[14:15]
	s_mov_b64 s[22:23], s[16:17]
	v_mov_b32_e32 v15, v0
	s_branch .LBB132_4
.LBB132_3:                              ;   in Loop: Header=BB132_4 Depth=1
	s_or_b64 exec, exec, s[0:1]
	v_mov_b32_e32 v2, s23
	v_add_co_u32_e32 v1, vcc, s22, v17
	v_addc_co_u32_e32 v2, vcc, 0, v2, vcc
	v_add_co_u32_e32 v15, vcc, s38, v15
	v_addc_co_u32_e32 v16, vcc, 0, v16, vcc
	v_lshlrev_b64 v[3:4], 2, v[15:16]
	s_add_u32 s22, s22, s39
	s_addc_u32 s23, s23, 0
	s_add_u32 s20, s20, s39
	v_cmp_le_i64_e32 vcc, s[10:11], v[3:4]
	s_addc_u32 s21, s21, 0
	s_or_b64 s[18:19], vcc, s[18:19]
	global_store_dwordx4 v[1:2], v[5:8], off
	global_store_dwordx4 v[1:2], v[9:12], off offset:16
	s_andn2_b64 exec, exec, s[18:19]
	s_cbranch_execz .LBB132_176
.LBB132_4:                              ; =>This Inner Loop Header: Depth=1
	v_mov_b32_e32 v1, s21
	v_add_co_u32_e32 v5, vcc, s20, v17
	v_addc_co_u32_e32 v6, vcc, 0, v1, vcc
	global_load_dwordx4 v[9:12], v[5:6], off
	global_load_dwordx4 v[1:4], v[5:6], off offset:16
                                        ; implicit-def: $vgpr6
	s_waitcnt vmcnt(1)
	v_and_b32_e32 v7, 0x7fffffff, v10
	v_cmp_ne_u32_e32 vcc, 0, v7
	s_and_saveexec_b64 s[0:1], vcc
	s_xor_b64 s[24:25], exec, s[0:1]
	s_cbranch_execz .LBB132_44
; %bb.5:                                ;   in Loop: Header=BB132_4 Depth=1
	v_and_b32_e32 v8, 0x7fffffff, v9
	v_cmp_ne_u32_e32 vcc, 0, v8
                                        ; implicit-def: $vgpr6
	s_and_saveexec_b64 s[0:1], vcc
	s_xor_b64 s[26:27], exec, s[0:1]
	s_cbranch_execz .LBB132_33
; %bb.6:                                ;   in Loop: Header=BB132_4 Depth=1
	v_cmp_gt_u32_e32 vcc, s33, v7
                                        ; implicit-def: $vgpr6
	s_and_saveexec_b64 s[0:1], vcc
	s_xor_b64 s[28:29], exec, s[0:1]
	s_cbranch_execz .LBB132_28
; %bb.7:                                ;   in Loop: Header=BB132_4 Depth=1
	v_add_u32_e32 v5, 0xbd4e8de8, v9
	v_cmp_lt_u32_e32 vcc, s40, v5
                                        ; implicit-def: $vgpr6
	s_and_saveexec_b64 s[0:1], vcc
	s_xor_b64 s[30:31], exec, s[0:1]
	s_cbranch_execz .LBB132_17
; %bb.8:                                ;   in Loop: Header=BB132_4 Depth=1
	v_cmp_nlt_f32_e64 s[34:35], |v10|, s41
                                        ; implicit-def: $vgpr5
                                        ; implicit-def: $vgpr6
	s_and_saveexec_b64 s[0:1], s[34:35]
	s_xor_b64 s[36:37], exec, s[0:1]
	s_cbranch_execz .LBB132_10
; %bb.9:                                ;   in Loop: Header=BB132_4 Depth=1
	v_and_b32_e32 v5, 0x7fffff, v7
	v_or_b32_e32 v8, 0x800000, v5
	v_mad_u64_u32 v[5:6], s[0:1], v8, s42, 0
	v_mov_b32_e32 v13, v6
	v_mad_u64_u32 v[25:26], s[0:1], v8, s43, v[13:14]
	v_lshrrev_b32_e32 v6, 23, v7
	v_add_u32_e32 v6, 0xffffff88, v6
	v_mov_b32_e32 v13, v26
	v_mad_u64_u32 v[26:27], s[0:1], v8, s44, v[13:14]
	v_cmp_lt_u32_e32 vcc, 63, v6
	v_mov_b32_e32 v13, v27
	v_mad_u64_u32 v[27:28], s[0:1], v8, s45, v[13:14]
	v_cndmask_b32_e32 v5, v26, v5, vcc
	v_mov_b32_e32 v13, v28
	v_mad_u64_u32 v[28:29], s[0:1], v8, s46, v[13:14]
	v_cndmask_b32_e32 v13, 0, v21, vcc
	v_add_u32_e32 v6, v13, v6
	v_mov_b32_e32 v13, v29
	v_mad_u64_u32 v[29:30], s[0:1], v8, s47, v[13:14]
	v_cmp_lt_u32_e64 s[0:1], 31, v6
	v_cndmask_b32_e64 v13, 0, v22, s[0:1]
	v_add_u32_e32 v6, v13, v6
	v_mov_b32_e32 v13, v30
	v_mad_u64_u32 v[30:31], s[2:3], v8, s48, v[13:14]
	v_cmp_lt_u32_e64 s[2:3], 31, v6
	v_cndmask_b32_e64 v8, 0, v22, s[2:3]
	v_add_u32_e32 v6, v8, v6
	v_cndmask_b32_e32 v8, v29, v27, vcc
	v_cndmask_b32_e32 v13, v30, v28, vcc
	;; [unrolled: 1-line block ×4, first 2 shown]
	v_cndmask_b32_e64 v30, v13, v8, s[0:1]
	v_cndmask_b32_e64 v13, v29, v13, s[0:1]
	;; [unrolled: 1-line block ×5, first 2 shown]
	v_sub_u32_e32 v30, 32, v6
	v_cmp_eq_u32_e64 s[6:7], 0, v6
	v_cndmask_b32_e32 v6, v27, v25, vcc
	v_cndmask_b32_e64 v25, v28, v6, s[0:1]
	v_alignbit_b32 v31, v13, v29, v30
	v_cndmask_b32_e64 v8, v8, v25, s[2:3]
	v_cndmask_b32_e64 v13, v31, v13, s[6:7]
	v_alignbit_b32 v27, v29, v8, v30
	v_cndmask_b32_e64 v27, v27, v29, s[6:7]
	v_bfe_u32 v31, v13, 29, 1
	v_cndmask_b32_e64 v5, v6, v5, s[0:1]
	v_alignbit_b32 v28, v13, v27, 30
	v_sub_u32_e32 v32, 0, v31
	v_cndmask_b32_e64 v5, v25, v5, s[2:3]
	v_xor_b32_e32 v28, v28, v32
	v_alignbit_b32 v6, v8, v5, v30
	v_cndmask_b32_e64 v6, v6, v8, s[6:7]
	v_ffbh_u32_e32 v25, v28
	v_alignbit_b32 v8, v27, v6, 30
	v_min_u32_e32 v25, 32, v25
	v_alignbit_b32 v5, v6, v5, 30
	v_xor_b32_e32 v8, v8, v32
	v_sub_u32_e32 v26, 31, v25
	v_xor_b32_e32 v5, v5, v32
	v_alignbit_b32 v27, v28, v8, v26
	v_alignbit_b32 v5, v8, v5, v26
	;; [unrolled: 1-line block ×3, first 2 shown]
	v_ffbh_u32_e32 v8, v6
	v_min_u32_e32 v8, 32, v8
	v_lshrrev_b32_e32 v29, 29, v13
	v_not_b32_e32 v26, v8
	v_alignbit_b32 v5, v6, v5, v26
	v_lshlrev_b32_e32 v6, 31, v29
	v_or_b32_e32 v26, 0x33000000, v6
	v_add_lshl_u32 v8, v8, v25, 23
	v_lshrrev_b32_e32 v5, 9, v5
	v_sub_u32_e32 v8, v26, v8
	v_or_b32_e32 v6, 0.5, v6
	v_lshlrev_b32_e32 v25, 23, v25
	v_or_b32_e32 v5, v8, v5
	v_lshrrev_b32_e32 v8, 9, v27
	v_sub_u32_e32 v6, v6, v25
	v_or_b32_e32 v6, v8, v6
	v_mul_f32_e32 v8, 0x3fc90fda, v6
	v_fma_f32 v25, v6, s49, -v8
	v_fmac_f32_e32 v25, 0x33a22168, v6
	v_fmac_f32_e32 v25, 0x3fc90fda, v5
	v_lshrrev_b32_e32 v5, 30, v13
	v_add_f32_e32 v6, v8, v25
	v_add_u32_e32 v5, v31, v5
	s_andn2_saveexec_b64 s[0:1], s[36:37]
	s_branch .LBB132_11
.LBB132_10:                             ;   in Loop: Header=BB132_4 Depth=1
	s_andn2_saveexec_b64 s[0:1], s[36:37]
.LBB132_11:                             ;   in Loop: Header=BB132_4 Depth=1
	v_mul_f32_e64 v5, |v10|, s50
	v_rndne_f32_e32 v8, v5
	v_cvt_i32_f32_e32 v5, v8
	v_fma_f32 v6, v8, s51, |v10|
	v_fmac_f32_e32 v6, 0xb3a22168, v8
	v_fmac_f32_e32 v6, 0xa7c234c4, v8
; %bb.12:                               ;   in Loop: Header=BB132_4 Depth=1
	s_or_b64 exec, exec, s[0:1]
                                        ; implicit-def: $vgpr8
                                        ; implicit-def: $vgpr13
	s_and_saveexec_b64 s[0:1], s[34:35]
	s_xor_b64 s[34:35], exec, s[0:1]
	s_cbranch_execz .LBB132_14
; %bb.13:                               ;   in Loop: Header=BB132_4 Depth=1
	v_and_b32_e32 v8, 0x7fffff, v7
	v_or_b32_e32 v8, 0x800000, v8
	v_mad_u64_u32 v[25:26], s[0:1], v8, s42, 0
	v_mov_b32_e32 v13, v26
	v_mad_u64_u32 v[26:27], s[0:1], v8, s43, v[13:14]
	v_mov_b32_e32 v13, v27
	;; [unrolled: 2-line block ×3, first 2 shown]
	v_mad_u64_u32 v[28:29], s[0:1], v8, s45, v[13:14]
	v_lshrrev_b32_e32 v13, 23, v7
	v_add_u32_e32 v31, 0xffffff88, v13
	v_mov_b32_e32 v13, v29
	v_mad_u64_u32 v[29:30], s[0:1], v8, s46, v[13:14]
	v_cmp_lt_u32_e32 vcc, 63, v31
	v_cndmask_b32_e32 v13, 0, v21, vcc
	v_add_u32_e32 v32, v13, v31
	v_mov_b32_e32 v13, v30
	v_mad_u64_u32 v[30:31], s[0:1], v8, s47, v[13:14]
	v_cmp_lt_u32_e64 s[0:1], 31, v32
	v_cndmask_b32_e64 v13, 0, v22, s[0:1]
	v_add_u32_e32 v33, v13, v32
	v_mov_b32_e32 v13, v31
	v_mad_u64_u32 v[31:32], s[2:3], v8, s48, v[13:14]
	v_cmp_lt_u32_e64 s[2:3], 31, v33
	v_cndmask_b32_e64 v8, 0, v22, s[2:3]
	v_cndmask_b32_e32 v13, v30, v28, vcc
	v_cndmask_b32_e32 v31, v31, v29, vcc
	;; [unrolled: 1-line block ×4, first 2 shown]
	v_add_u32_e32 v8, v8, v33
	v_cndmask_b32_e64 v32, v31, v13, s[0:1]
	v_cndmask_b32_e64 v30, v30, v31, s[0:1]
	;; [unrolled: 1-line block ×3, first 2 shown]
	v_cndmask_b32_e32 v26, v28, v26, vcc
	v_cndmask_b32_e64 v30, v30, v32, s[2:3]
	v_cndmask_b32_e64 v31, v32, v13, s[2:3]
	v_sub_u32_e32 v32, 32, v8
	v_cndmask_b32_e64 v28, v29, v26, s[0:1]
	v_alignbit_b32 v33, v30, v31, v32
	v_cmp_eq_u32_e64 s[6:7], 0, v8
	v_cndmask_b32_e64 v13, v13, v28, s[2:3]
	v_cndmask_b32_e64 v8, v33, v30, s[6:7]
	v_alignbit_b32 v29, v31, v13, v32
	v_cndmask_b32_e32 v25, v27, v25, vcc
	v_cndmask_b32_e64 v29, v29, v31, s[6:7]
	v_bfe_u32 v33, v8, 29, 1
	v_cndmask_b32_e64 v25, v26, v25, s[0:1]
	v_alignbit_b32 v30, v8, v29, 30
	v_sub_u32_e32 v34, 0, v33
	v_cndmask_b32_e64 v25, v28, v25, s[2:3]
	v_xor_b32_e32 v30, v30, v34
	v_alignbit_b32 v26, v13, v25, v32
	v_cndmask_b32_e64 v13, v26, v13, s[6:7]
	v_ffbh_u32_e32 v27, v30
	v_alignbit_b32 v26, v29, v13, 30
	v_min_u32_e32 v27, 32, v27
	v_alignbit_b32 v13, v13, v25, 30
	v_xor_b32_e32 v26, v26, v34
	v_sub_u32_e32 v28, 31, v27
	v_xor_b32_e32 v13, v13, v34
	v_alignbit_b32 v29, v30, v26, v28
	v_alignbit_b32 v13, v26, v13, v28
	v_alignbit_b32 v25, v29, v13, 9
	v_ffbh_u32_e32 v26, v25
	v_min_u32_e32 v26, 32, v26
	v_lshrrev_b32_e32 v31, 29, v8
	v_not_b32_e32 v28, v26
	v_alignbit_b32 v13, v25, v13, v28
	v_lshlrev_b32_e32 v25, 31, v31
	v_or_b32_e32 v28, 0x33000000, v25
	v_add_lshl_u32 v26, v26, v27, 23
	v_lshrrev_b32_e32 v13, 9, v13
	v_sub_u32_e32 v26, v28, v26
	v_or_b32_e32 v25, 0.5, v25
	v_lshlrev_b32_e32 v27, 23, v27
	v_or_b32_e32 v13, v26, v13
	v_lshrrev_b32_e32 v26, 9, v29
	v_sub_u32_e32 v25, v25, v27
	v_or_b32_e32 v25, v26, v25
	v_mul_f32_e32 v26, 0x3fc90fda, v25
	v_fma_f32 v27, v25, s49, -v26
	v_fmac_f32_e32 v27, 0x33a22168, v25
	v_fmac_f32_e32 v27, 0x3fc90fda, v13
	v_lshrrev_b32_e32 v8, 30, v8
	v_add_f32_e32 v13, v26, v27
	v_add_u32_e32 v8, v33, v8
	s_andn2_saveexec_b64 s[0:1], s[34:35]
	s_cbranch_execnz .LBB132_15
	s_branch .LBB132_16
.LBB132_14:                             ;   in Loop: Header=BB132_4 Depth=1
	s_andn2_saveexec_b64 s[0:1], s[34:35]
.LBB132_15:                             ;   in Loop: Header=BB132_4 Depth=1
	v_mul_f32_e64 v8, |v10|, s50
	v_rndne_f32_e32 v25, v8
	v_cvt_i32_f32_e32 v8, v25
	v_fma_f32 v13, v25, s51, |v10|
	v_fmac_f32_e32 v13, 0xb3a22168, v25
	v_fmac_f32_e32 v13, 0xa7c234c4, v25
.LBB132_16:                             ;   in Loop: Header=BB132_4 Depth=1
	s_or_b64 exec, exec, s[0:1]
	v_mul_f32_e32 v25, 0x3fb8aa3b, v9
	v_rndne_f32_e32 v26, v25
	v_sub_f32_e32 v27, v25, v26
	v_fma_f32 v25, v9, s52, -v25
	v_fmac_f32_e32 v25, 0x32a5705f, v9
	v_add_f32_e32 v25, v27, v25
	v_cvt_i32_f32_e32 v26, v26
	v_exp_f32_e32 v25, v25
	v_mov_b32_e32 v27, 0x3c0881c4
	v_cmp_ngt_f32_e32 vcc, s53, v9
	v_ldexp_f32 v25, v25, v26
	v_mul_f32_e32 v26, v6, v6
	v_fmac_f32_e32 v27, 0xb94c1982, v26
	v_fma_f32 v27, v26, v27, v18
	v_mul_f32_e32 v27, v26, v27
	v_fmac_f32_e32 v6, v6, v27
	v_mov_b32_e32 v27, 0xbab64f3b
	v_fmac_f32_e32 v27, 0x37d75334, v26
	v_fma_f32 v27, v26, v27, v19
	v_fma_f32 v27, v26, v27, v20
	v_cndmask_b32_e32 v25, 0, v25, vcc
	v_cmp_nlt_f32_e32 vcc, s54, v9
	v_fma_f32 v26, v26, v27, 1.0
	v_and_b32_e32 v27, 1, v5
	v_cndmask_b32_e32 v25, v23, v25, vcc
	v_cmp_eq_u32_e32 vcc, 0, v27
	v_lshlrev_b32_e32 v5, 30, v5
	v_cndmask_b32_e64 v6, -v6, v26, vcc
	v_and_b32_e32 v5, 0x80000000, v5
	v_xor_b32_e32 v5, v5, v6
	v_mul_f32_e32 v6, v13, v13
	v_mov_b32_e32 v26, 0x3c0881c4
	v_fmac_f32_e32 v26, 0xb94c1982, v6
	v_fma_f32 v26, v6, v26, v18
	v_mul_f32_e32 v26, v6, v26
	v_fmac_f32_e32 v13, v13, v26
	v_mov_b32_e32 v26, 0xbab64f3b
	v_fmac_f32_e32 v26, 0x37d75334, v6
	v_fma_f32 v26, v6, v26, v19
	v_fma_f32 v26, v6, v26, v20
	v_fma_f32 v6, v6, v26, 1.0
	v_and_b32_e32 v26, 1, v8
	v_cmp_eq_u32_e64 s[0:1], 0, v26
	v_lshlrev_b32_e32 v8, 30, v8
	v_cndmask_b32_e64 v6, v6, v13, s[0:1]
	v_and_or_b32 v7, v8, s55, v7
	v_xor_b32_e32 v6, v7, v6
	v_cmp_class_f32_e64 vcc, v10, s56
	v_xor_b32_e32 v6, v6, v10
	v_cndmask_b32_e32 v5, v24, v5, vcc
	v_cndmask_b32_e32 v6, v24, v6, vcc
	v_mul_f32_e32 v5, v25, v5
	v_mul_f32_e32 v6, v25, v6
                                        ; implicit-def: $vgpr7
.LBB132_17:                             ;   in Loop: Header=BB132_4 Depth=1
	s_andn2_saveexec_b64 s[30:31], s[30:31]
	s_cbranch_execz .LBB132_20
; %bb.18:                               ;   in Loop: Header=BB132_4 Depth=1
	v_cmp_nlt_f32_e64 s[34:35], |v10|, s41
                                        ; implicit-def: $vgpr6
                                        ; implicit-def: $vgpr5
	s_and_saveexec_b64 s[0:1], s[34:35]
	s_xor_b64 s[36:37], exec, s[0:1]
	s_cbranch_execz .LBB132_21
; %bb.19:                               ;   in Loop: Header=BB132_4 Depth=1
	v_and_b32_e32 v5, 0x7fffff, v7
	v_or_b32_e32 v8, 0x800000, v5
	v_mad_u64_u32 v[5:6], s[0:1], v8, s42, 0
	v_mov_b32_e32 v13, v6
	v_mad_u64_u32 v[25:26], s[0:1], v8, s43, v[13:14]
	v_lshrrev_b32_e32 v6, 23, v7
	v_add_u32_e32 v6, 0xffffff88, v6
	v_mov_b32_e32 v13, v26
	v_mad_u64_u32 v[26:27], s[0:1], v8, s44, v[13:14]
	v_cmp_lt_u32_e32 vcc, 63, v6
	v_mov_b32_e32 v13, v27
	v_mad_u64_u32 v[27:28], s[0:1], v8, s45, v[13:14]
	v_cndmask_b32_e32 v5, v26, v5, vcc
	v_mov_b32_e32 v13, v28
	v_mad_u64_u32 v[28:29], s[0:1], v8, s46, v[13:14]
	v_cndmask_b32_e32 v13, 0, v21, vcc
	v_add_u32_e32 v6, v13, v6
	v_mov_b32_e32 v13, v29
	v_mad_u64_u32 v[29:30], s[0:1], v8, s47, v[13:14]
	v_cmp_lt_u32_e64 s[0:1], 31, v6
	v_cndmask_b32_e64 v13, 0, v22, s[0:1]
	v_add_u32_e32 v6, v13, v6
	v_mov_b32_e32 v13, v30
	v_mad_u64_u32 v[30:31], s[2:3], v8, s48, v[13:14]
	v_cmp_lt_u32_e64 s[2:3], 31, v6
	v_cndmask_b32_e64 v8, 0, v22, s[2:3]
	v_add_u32_e32 v6, v8, v6
	v_cndmask_b32_e32 v8, v29, v27, vcc
	v_cndmask_b32_e32 v13, v30, v28, vcc
	;; [unrolled: 1-line block ×4, first 2 shown]
	v_cndmask_b32_e64 v30, v13, v8, s[0:1]
	v_cndmask_b32_e64 v13, v29, v13, s[0:1]
	;; [unrolled: 1-line block ×5, first 2 shown]
	v_sub_u32_e32 v30, 32, v6
	v_alignbit_b32 v31, v13, v29, v30
	v_cmp_eq_u32_e64 s[6:7], 0, v6
	v_cndmask_b32_e64 v6, v31, v13, s[6:7]
	v_cndmask_b32_e32 v13, v27, v25, vcc
	v_cndmask_b32_e64 v25, v28, v13, s[0:1]
	v_cndmask_b32_e64 v8, v8, v25, s[2:3]
	v_alignbit_b32 v27, v29, v8, v30
	v_cndmask_b32_e64 v27, v27, v29, s[6:7]
	v_bfe_u32 v31, v6, 29, 1
	v_cndmask_b32_e64 v5, v13, v5, s[0:1]
	v_alignbit_b32 v28, v6, v27, 30
	v_sub_u32_e32 v32, 0, v31
	v_cndmask_b32_e64 v5, v25, v5, s[2:3]
	v_xor_b32_e32 v28, v28, v32
	v_alignbit_b32 v13, v8, v5, v30
	v_cndmask_b32_e64 v8, v13, v8, s[6:7]
	v_ffbh_u32_e32 v25, v28
	v_alignbit_b32 v13, v27, v8, 30
	v_min_u32_e32 v25, 32, v25
	v_alignbit_b32 v5, v8, v5, 30
	v_xor_b32_e32 v13, v13, v32
	v_sub_u32_e32 v26, 31, v25
	v_xor_b32_e32 v5, v5, v32
	v_alignbit_b32 v27, v28, v13, v26
	v_alignbit_b32 v5, v13, v5, v26
	;; [unrolled: 1-line block ×3, first 2 shown]
	v_ffbh_u32_e32 v13, v8
	v_min_u32_e32 v13, 32, v13
	v_lshrrev_b32_e32 v29, 29, v6
	v_not_b32_e32 v26, v13
	v_alignbit_b32 v5, v8, v5, v26
	v_lshlrev_b32_e32 v8, 31, v29
	v_or_b32_e32 v26, 0x33000000, v8
	v_add_lshl_u32 v13, v13, v25, 23
	v_lshrrev_b32_e32 v5, 9, v5
	v_sub_u32_e32 v13, v26, v13
	v_or_b32_e32 v8, 0.5, v8
	v_lshlrev_b32_e32 v25, 23, v25
	v_or_b32_e32 v5, v13, v5
	v_lshrrev_b32_e32 v13, 9, v27
	v_sub_u32_e32 v8, v8, v25
	v_or_b32_e32 v8, v13, v8
	v_mul_f32_e32 v13, 0x3fc90fda, v8
	v_fma_f32 v25, v8, s49, -v13
	v_fmac_f32_e32 v25, 0x33a22168, v8
	v_fmac_f32_e32 v25, 0x3fc90fda, v5
	v_lshrrev_b32_e32 v6, 30, v6
	v_add_f32_e32 v5, v13, v25
	v_add_u32_e32 v6, v31, v6
	s_andn2_saveexec_b64 s[0:1], s[36:37]
	s_branch .LBB132_22
.LBB132_20:                             ;   in Loop: Header=BB132_4 Depth=1
	s_or_b64 exec, exec, s[30:31]
                                        ; implicit-def: $vgpr8
	s_andn2_saveexec_b64 s[0:1], s[28:29]
	s_cbranch_execnz .LBB132_29
	s_branch .LBB132_32
.LBB132_21:                             ;   in Loop: Header=BB132_4 Depth=1
	s_andn2_saveexec_b64 s[0:1], s[36:37]
.LBB132_22:                             ;   in Loop: Header=BB132_4 Depth=1
	v_mul_f32_e64 v5, |v10|, s50
	v_rndne_f32_e32 v8, v5
	v_cvt_i32_f32_e32 v6, v8
	v_fma_f32 v5, v8, s51, |v10|
	v_fmac_f32_e32 v5, 0xb3a22168, v8
	v_fmac_f32_e32 v5, 0xa7c234c4, v8
; %bb.23:                               ;   in Loop: Header=BB132_4 Depth=1
	s_or_b64 exec, exec, s[0:1]
                                        ; implicit-def: $vgpr8
                                        ; implicit-def: $vgpr13
	s_and_saveexec_b64 s[0:1], s[34:35]
	s_xor_b64 s[34:35], exec, s[0:1]
	s_cbranch_execz .LBB132_25
; %bb.24:                               ;   in Loop: Header=BB132_4 Depth=1
	v_and_b32_e32 v8, 0x7fffff, v7
	v_or_b32_e32 v8, 0x800000, v8
	v_mad_u64_u32 v[25:26], s[0:1], v8, s42, 0
	v_mov_b32_e32 v13, v26
	v_mad_u64_u32 v[26:27], s[0:1], v8, s43, v[13:14]
	v_mov_b32_e32 v13, v27
	;; [unrolled: 2-line block ×3, first 2 shown]
	v_mad_u64_u32 v[28:29], s[0:1], v8, s45, v[13:14]
	v_lshrrev_b32_e32 v13, 23, v7
	v_add_u32_e32 v31, 0xffffff88, v13
	v_mov_b32_e32 v13, v29
	v_mad_u64_u32 v[29:30], s[0:1], v8, s46, v[13:14]
	v_cmp_lt_u32_e32 vcc, 63, v31
	v_cndmask_b32_e32 v13, 0, v21, vcc
	v_add_u32_e32 v32, v13, v31
	v_mov_b32_e32 v13, v30
	v_mad_u64_u32 v[30:31], s[0:1], v8, s47, v[13:14]
	v_cmp_lt_u32_e64 s[0:1], 31, v32
	v_cndmask_b32_e64 v13, 0, v22, s[0:1]
	v_add_u32_e32 v33, v13, v32
	v_mov_b32_e32 v13, v31
	v_mad_u64_u32 v[31:32], s[2:3], v8, s48, v[13:14]
	v_cmp_lt_u32_e64 s[2:3], 31, v33
	v_cndmask_b32_e64 v8, 0, v22, s[2:3]
	v_cndmask_b32_e32 v13, v30, v28, vcc
	v_cndmask_b32_e32 v31, v31, v29, vcc
	v_cndmask_b32_e32 v30, v32, v30, vcc
	v_cndmask_b32_e32 v29, v29, v27, vcc
	v_add_u32_e32 v8, v8, v33
	v_cndmask_b32_e64 v32, v31, v13, s[0:1]
	v_cndmask_b32_e64 v30, v30, v31, s[0:1]
	;; [unrolled: 1-line block ×3, first 2 shown]
	v_cndmask_b32_e32 v26, v28, v26, vcc
	v_cndmask_b32_e64 v30, v30, v32, s[2:3]
	v_cndmask_b32_e64 v31, v32, v13, s[2:3]
	v_sub_u32_e32 v32, 32, v8
	v_cndmask_b32_e64 v28, v29, v26, s[0:1]
	v_alignbit_b32 v33, v30, v31, v32
	v_cmp_eq_u32_e64 s[6:7], 0, v8
	v_cndmask_b32_e64 v13, v13, v28, s[2:3]
	v_cndmask_b32_e64 v8, v33, v30, s[6:7]
	v_alignbit_b32 v29, v31, v13, v32
	v_cndmask_b32_e32 v25, v27, v25, vcc
	v_cndmask_b32_e64 v29, v29, v31, s[6:7]
	v_bfe_u32 v33, v8, 29, 1
	v_cndmask_b32_e64 v25, v26, v25, s[0:1]
	v_alignbit_b32 v30, v8, v29, 30
	v_sub_u32_e32 v34, 0, v33
	v_cndmask_b32_e64 v25, v28, v25, s[2:3]
	v_xor_b32_e32 v30, v30, v34
	v_alignbit_b32 v26, v13, v25, v32
	v_cndmask_b32_e64 v13, v26, v13, s[6:7]
	v_ffbh_u32_e32 v27, v30
	v_alignbit_b32 v26, v29, v13, 30
	v_min_u32_e32 v27, 32, v27
	v_alignbit_b32 v13, v13, v25, 30
	v_xor_b32_e32 v26, v26, v34
	v_sub_u32_e32 v28, 31, v27
	v_xor_b32_e32 v13, v13, v34
	v_alignbit_b32 v29, v30, v26, v28
	v_alignbit_b32 v13, v26, v13, v28
	;; [unrolled: 1-line block ×3, first 2 shown]
	v_ffbh_u32_e32 v26, v25
	v_min_u32_e32 v26, 32, v26
	v_lshrrev_b32_e32 v31, 29, v8
	v_not_b32_e32 v28, v26
	v_alignbit_b32 v13, v25, v13, v28
	v_lshlrev_b32_e32 v25, 31, v31
	v_or_b32_e32 v28, 0x33000000, v25
	v_add_lshl_u32 v26, v26, v27, 23
	v_lshrrev_b32_e32 v13, 9, v13
	v_sub_u32_e32 v26, v28, v26
	v_or_b32_e32 v25, 0.5, v25
	v_lshlrev_b32_e32 v27, 23, v27
	v_or_b32_e32 v13, v26, v13
	v_lshrrev_b32_e32 v26, 9, v29
	v_sub_u32_e32 v25, v25, v27
	v_or_b32_e32 v25, v26, v25
	v_mul_f32_e32 v26, 0x3fc90fda, v25
	v_fma_f32 v27, v25, s49, -v26
	v_fmac_f32_e32 v27, 0x33a22168, v25
	v_fmac_f32_e32 v27, 0x3fc90fda, v13
	v_lshrrev_b32_e32 v8, 30, v8
	v_add_f32_e32 v13, v26, v27
	v_add_u32_e32 v8, v33, v8
	s_andn2_saveexec_b64 s[0:1], s[34:35]
	s_cbranch_execnz .LBB132_26
	s_branch .LBB132_27
.LBB132_25:                             ;   in Loop: Header=BB132_4 Depth=1
	s_andn2_saveexec_b64 s[0:1], s[34:35]
.LBB132_26:                             ;   in Loop: Header=BB132_4 Depth=1
	v_mul_f32_e64 v8, |v10|, s50
	v_rndne_f32_e32 v25, v8
	v_cvt_i32_f32_e32 v8, v25
	v_fma_f32 v13, v25, s51, |v10|
	v_fmac_f32_e32 v13, 0xb3a22168, v25
	v_fmac_f32_e32 v13, 0xa7c234c4, v25
.LBB132_27:                             ;   in Loop: Header=BB132_4 Depth=1
	s_or_b64 exec, exec, s[0:1]
	v_mul_f32_e32 v26, v5, v5
	v_mov_b32_e32 v27, 0xbab64f3b
	v_fmac_f32_e32 v27, 0x37d75334, v26
	v_mov_b32_e32 v28, 0x3c0881c4
	v_fma_f32 v27, v26, v27, v19
	v_fmac_f32_e32 v28, 0xb94c1982, v26
	v_lshlrev_b32_e32 v25, 30, v6
	v_and_b32_e32 v6, 1, v6
	v_fma_f32 v27, v26, v27, v20
	v_fma_f32 v28, v26, v28, v18
	v_fma_f32 v27, v26, v27, 1.0
	v_mul_f32_e32 v26, v26, v28
	v_cmp_eq_u32_e32 vcc, 0, v6
	v_add_f32_e32 v6, 0xc322e3bc, v9
	v_fmac_f32_e32 v5, v5, v26
	v_mul_f32_e32 v26, 0x3fb8aa3b, v6
	v_cndmask_b32_e64 v5, -v5, v27, vcc
	v_fma_f32 v27, v6, s52, -v26
	v_rndne_f32_e32 v28, v26
	v_fmac_f32_e32 v27, 0x32a5705f, v6
	v_sub_f32_e32 v26, v26, v28
	v_add_f32_e32 v26, v26, v27
	v_exp_f32_e32 v26, v26
	v_cvt_i32_f32_e32 v27, v28
	v_and_b32_e32 v25, 0x80000000, v25
	v_xor_b32_e32 v5, v25, v5
	v_cmp_ngt_f32_e64 s[0:1], s53, v6
	v_ldexp_f32 v25, v26, v27
	v_cndmask_b32_e64 v25, 0, v25, s[0:1]
	v_cmp_nlt_f32_e64 s[0:1], s54, v6
	v_cndmask_b32_e64 v6, v23, v25, s[0:1]
	v_and_b32_e32 v25, 0x7fffff, v6
	v_lshrrev_b32_e32 v6, 23, v6
	v_subrev_u32_e32 v6, 19, v6
	v_lshrrev_b16_e32 v26, 15, v6
	v_add_u16_e32 v26, v6, v26
	v_ashrrev_i16_e32 v26, 1, v26
	v_bfe_i32 v26, v26, 0, 16
	v_lshl_add_u32 v27, v26, 23, 1.0
	v_sub_u32_e32 v6, v6, v26
	v_mul_f32_e32 v26, v13, v13
	v_mov_b32_e32 v28, 0x3c0881c4
	v_fmac_f32_e32 v28, 0xb94c1982, v26
	v_fma_f32 v28, v26, v28, v18
	v_mul_f32_e32 v28, v26, v28
	v_fmac_f32_e32 v13, v13, v28
	v_mov_b32_e32 v28, 0xbab64f3b
	v_fmac_f32_e32 v28, 0x37d75334, v26
	v_fma_f32 v28, v26, v28, v19
	v_fma_f32 v28, v26, v28, v20
	v_fma_f32 v26, v26, v28, 1.0
	v_and_b32_e32 v28, 1, v8
	v_cmp_eq_u32_e64 s[0:1], 0, v28
	v_lshlrev_b32_e32 v8, 30, v8
	v_cndmask_b32_e64 v13, v26, v13, s[0:1]
	v_and_or_b32 v7, v8, s55, v7
	v_xor_b32_e32 v7, v7, v13
	v_cmp_class_f32_e64 vcc, v10, s56
	v_xor_b32_e32 v7, v7, v10
	v_cndmask_b32_e32 v5, v24, v5, vcc
	v_or_b32_e32 v25, 0x7f000000, v25
	v_cndmask_b32_e32 v7, v24, v7, vcc
	v_mul_f32_e32 v5, v5, v25
	v_mul_f32_e32 v7, v7, v25
	;; [unrolled: 1-line block ×3, first 2 shown]
	v_lshl_add_u32 v6, v6, 23, 1.0
	v_mul_f32_e32 v7, v7, v27
	v_mul_f32_e32 v5, v5, v6
	;; [unrolled: 1-line block ×3, first 2 shown]
	s_or_b64 exec, exec, s[30:31]
                                        ; implicit-def: $vgpr8
.LBB132_28:                             ;   in Loop: Header=BB132_4 Depth=1
	s_andn2_saveexec_b64 s[0:1], s[28:29]
	s_cbranch_execz .LBB132_32
.LBB132_29:                             ;   in Loop: Header=BB132_4 Depth=1
	v_cmp_ne_u32_e32 vcc, s33, v8
	v_sub_f32_e32 v6, v10, v10
	s_and_saveexec_b64 s[2:3], vcc
	s_xor_b64 s[2:3], exec, s[2:3]
	s_or_saveexec_b64 s[2:3], s[2:3]
	v_mov_b32_e32 v5, v6
	s_xor_b64 exec, exec, s[2:3]
; %bb.30:                               ;   in Loop: Header=BB132_4 Depth=1
	v_cmp_lt_i32_e32 vcc, -1, v9
	v_cndmask_b32_e32 v5, 0, v9, vcc
	v_cndmask_b32_e32 v6, 0, v6, vcc
; %bb.31:                               ;   in Loop: Header=BB132_4 Depth=1
	s_or_b64 exec, exec, s[2:3]
.LBB132_32:                             ;   in Loop: Header=BB132_4 Depth=1
	s_or_b64 exec, exec, s[0:1]
                                        ; implicit-def: $vgpr7
.LBB132_33:                             ;   in Loop: Header=BB132_4 Depth=1
	s_andn2_saveexec_b64 s[26:27], s[26:27]
	s_cbranch_execz .LBB132_43
; %bb.34:                               ;   in Loop: Header=BB132_4 Depth=1
	v_lshrrev_b32_e32 v5, 23, v7
	v_and_b32_e32 v6, 0x7fffff, v7
	v_cmp_nlt_f32_e64 s[28:29], |v10|, s41
	v_add_u32_e32 v25, 0xffffff88, v5
	v_or_b32_e32 v8, 0x800000, v6
                                        ; implicit-def: $vgpr5
                                        ; implicit-def: $vgpr6
	s_and_saveexec_b64 s[0:1], s[28:29]
	s_xor_b64 s[30:31], exec, s[0:1]
	s_cbranch_execz .LBB132_36
; %bb.35:                               ;   in Loop: Header=BB132_4 Depth=1
	v_mad_u64_u32 v[5:6], s[0:1], v8, s42, 0
	v_cmp_lt_u32_e32 vcc, 63, v25
	v_mov_b32_e32 v13, v6
	v_mad_u64_u32 v[26:27], s[0:1], v8, s43, v[13:14]
	v_cndmask_b32_e32 v6, 0, v21, vcc
	v_add_u32_e32 v6, v6, v25
	v_mov_b32_e32 v13, v27
	v_mad_u64_u32 v[27:28], s[0:1], v8, s44, v[13:14]
	v_mov_b32_e32 v13, v28
	v_mad_u64_u32 v[28:29], s[0:1], v8, s45, v[13:14]
	v_cndmask_b32_e32 v5, v27, v5, vcc
	v_mov_b32_e32 v13, v29
	v_mad_u64_u32 v[29:30], s[0:1], v8, s46, v[13:14]
	v_cmp_lt_u32_e64 s[0:1], 31, v6
	v_cndmask_b32_e64 v13, 0, v22, s[0:1]
	v_add_u32_e32 v6, v13, v6
	v_mov_b32_e32 v13, v30
	v_mad_u64_u32 v[30:31], s[2:3], v8, s47, v[13:14]
	v_cmp_lt_u32_e64 s[2:3], 31, v6
	v_cndmask_b32_e64 v13, 0, v22, s[2:3]
	v_add_u32_e32 v6, v13, v6
	v_mov_b32_e32 v13, v31
	v_mad_u64_u32 v[31:32], s[6:7], v8, s48, v[13:14]
	v_cndmask_b32_e32 v13, v29, v27, vcc
	v_cndmask_b32_e32 v33, v30, v28, vcc
	;; [unrolled: 1-line block ×4, first 2 shown]
	v_cndmask_b32_e64 v34, v33, v13, s[0:1]
	v_cndmask_b32_e64 v31, v29, v33, s[0:1]
	;; [unrolled: 1-line block ×5, first 2 shown]
	v_sub_u32_e32 v31, 32, v6
	v_cmp_eq_u32_e64 s[6:7], 0, v6
	v_cndmask_b32_e32 v6, v28, v26, vcc
	v_cndmask_b32_e64 v13, v13, v6, s[0:1]
	v_alignbit_b32 v32, v29, v30, v31
	v_cndmask_b32_e64 v26, v34, v13, s[2:3]
	v_cndmask_b32_e64 v29, v32, v29, s[6:7]
	v_alignbit_b32 v28, v30, v26, v31
	v_cndmask_b32_e64 v28, v28, v30, s[6:7]
	v_bfe_u32 v33, v29, 29, 1
	v_cndmask_b32_e64 v5, v6, v5, s[0:1]
	v_alignbit_b32 v30, v29, v28, 30
	v_sub_u32_e32 v34, 0, v33
	v_cndmask_b32_e64 v5, v13, v5, s[2:3]
	v_xor_b32_e32 v30, v30, v34
	v_alignbit_b32 v6, v26, v5, v31
	v_cndmask_b32_e64 v6, v6, v26, s[6:7]
	v_ffbh_u32_e32 v26, v30
	v_alignbit_b32 v13, v28, v6, 30
	v_min_u32_e32 v26, 32, v26
	v_alignbit_b32 v5, v6, v5, 30
	v_xor_b32_e32 v13, v13, v34
	v_sub_u32_e32 v27, 31, v26
	v_xor_b32_e32 v5, v5, v34
	v_alignbit_b32 v28, v30, v13, v27
	v_alignbit_b32 v5, v13, v5, v27
	;; [unrolled: 1-line block ×3, first 2 shown]
	v_ffbh_u32_e32 v13, v6
	v_min_u32_e32 v13, 32, v13
	v_lshrrev_b32_e32 v32, 29, v29
	v_not_b32_e32 v27, v13
	v_alignbit_b32 v5, v6, v5, v27
	v_lshlrev_b32_e32 v6, 31, v32
	v_or_b32_e32 v27, 0x33000000, v6
	v_add_lshl_u32 v13, v13, v26, 23
	v_lshrrev_b32_e32 v5, 9, v5
	v_sub_u32_e32 v13, v27, v13
	v_or_b32_e32 v6, 0.5, v6
	v_lshlrev_b32_e32 v26, 23, v26
	v_or_b32_e32 v5, v13, v5
	v_lshrrev_b32_e32 v13, 9, v28
	v_sub_u32_e32 v6, v6, v26
	v_or_b32_e32 v6, v13, v6
	v_mul_f32_e32 v13, 0x3fc90fda, v6
	v_fma_f32 v26, v6, s49, -v13
	v_fmac_f32_e32 v26, 0x33a22168, v6
	v_fmac_f32_e32 v26, 0x3fc90fda, v5
	v_lshrrev_b32_e32 v5, 30, v29
	v_add_f32_e32 v6, v13, v26
	v_add_u32_e32 v5, v33, v5
.LBB132_36:                             ;   in Loop: Header=BB132_4 Depth=1
	s_or_saveexec_b64 s[0:1], s[30:31]
	v_mul_f32_e64 v13, |v10|, s50
	v_rndne_f32_e32 v27, v13
	s_xor_b64 exec, exec, s[0:1]
; %bb.37:                               ;   in Loop: Header=BB132_4 Depth=1
	v_cvt_i32_f32_e32 v5, v27
	v_fma_f32 v6, v27, s51, |v10|
	v_fmac_f32_e32 v6, 0xb3a22168, v27
	v_fmac_f32_e32 v6, 0xa7c234c4, v27
; %bb.38:                               ;   in Loop: Header=BB132_4 Depth=1
	s_or_b64 exec, exec, s[0:1]
                                        ; implicit-def: $vgpr13
                                        ; implicit-def: $vgpr26
	s_and_saveexec_b64 s[0:1], s[28:29]
	s_xor_b64 s[28:29], exec, s[0:1]
	s_cbranch_execz .LBB132_40
; %bb.39:                               ;   in Loop: Header=BB132_4 Depth=1
	v_mad_u64_u32 v[26:27], s[0:1], v8, s42, 0
	v_cmp_lt_u32_e32 vcc, 63, v25
	v_mov_b32_e32 v13, v27
	v_mad_u64_u32 v[27:28], s[0:1], v8, s43, v[13:14]
	v_mov_b32_e32 v13, v28
	v_mad_u64_u32 v[28:29], s[0:1], v8, s44, v[13:14]
	;; [unrolled: 2-line block ×3, first 2 shown]
	v_cndmask_b32_e32 v13, 0, v21, vcc
	v_add_u32_e32 v25, v13, v25
	v_mov_b32_e32 v13, v30
	v_mad_u64_u32 v[30:31], s[0:1], v8, s46, v[13:14]
	v_cmp_lt_u32_e64 s[0:1], 31, v25
	v_cndmask_b32_e64 v13, 0, v22, s[0:1]
	v_add_u32_e32 v25, v13, v25
	v_mov_b32_e32 v13, v31
	v_mad_u64_u32 v[31:32], s[2:3], v8, s47, v[13:14]
	v_cmp_lt_u32_e64 s[2:3], 31, v25
	v_cndmask_b32_e64 v13, 0, v22, s[2:3]
	v_add_u32_e32 v25, v13, v25
	v_mov_b32_e32 v13, v32
	v_mad_u64_u32 v[32:33], s[6:7], v8, s48, v[13:14]
	v_cndmask_b32_e32 v8, v30, v28, vcc
	v_cndmask_b32_e32 v13, v31, v29, vcc
	;; [unrolled: 1-line block ×4, first 2 shown]
	v_cndmask_b32_e64 v34, v13, v8, s[0:1]
	v_cndmask_b32_e64 v13, v30, v13, s[0:1]
	;; [unrolled: 1-line block ×3, first 2 shown]
	v_cndmask_b32_e32 v27, v29, v27, vcc
	v_cndmask_b32_e64 v30, v30, v13, s[2:3]
	v_cndmask_b32_e64 v13, v13, v34, s[2:3]
	v_sub_u32_e32 v31, 32, v25
	v_cndmask_b32_e64 v8, v8, v27, s[0:1]
	v_alignbit_b32 v32, v30, v13, v31
	v_cmp_eq_u32_e64 s[6:7], 0, v25
	v_cndmask_b32_e64 v29, v34, v8, s[2:3]
	v_cndmask_b32_e64 v25, v32, v30, s[6:7]
	v_alignbit_b32 v30, v13, v29, v31
	v_cndmask_b32_e32 v26, v28, v26, vcc
	v_cndmask_b32_e64 v13, v30, v13, s[6:7]
	v_bfe_u32 v33, v25, 29, 1
	v_cndmask_b32_e64 v26, v27, v26, s[0:1]
	v_alignbit_b32 v30, v25, v13, 30
	v_sub_u32_e32 v34, 0, v33
	v_cndmask_b32_e64 v8, v8, v26, s[2:3]
	v_xor_b32_e32 v30, v30, v34
	v_alignbit_b32 v26, v29, v8, v31
	v_cndmask_b32_e64 v26, v26, v29, s[6:7]
	v_ffbh_u32_e32 v27, v30
	v_alignbit_b32 v13, v13, v26, 30
	v_min_u32_e32 v27, 32, v27
	v_alignbit_b32 v8, v26, v8, 30
	v_xor_b32_e32 v13, v13, v34
	v_sub_u32_e32 v28, 31, v27
	v_xor_b32_e32 v8, v8, v34
	v_alignbit_b32 v29, v30, v13, v28
	v_alignbit_b32 v8, v13, v8, v28
	;; [unrolled: 1-line block ×3, first 2 shown]
	v_ffbh_u32_e32 v26, v13
	v_min_u32_e32 v26, 32, v26
	v_lshrrev_b32_e32 v32, 29, v25
	v_not_b32_e32 v28, v26
	v_alignbit_b32 v8, v13, v8, v28
	v_lshlrev_b32_e32 v13, 31, v32
	v_or_b32_e32 v28, 0x33000000, v13
	v_add_lshl_u32 v26, v26, v27, 23
	v_lshrrev_b32_e32 v8, 9, v8
	v_sub_u32_e32 v26, v28, v26
	v_or_b32_e32 v13, 0.5, v13
	v_lshlrev_b32_e32 v27, 23, v27
	v_or_b32_e32 v8, v26, v8
	v_lshrrev_b32_e32 v26, 9, v29
	v_sub_u32_e32 v13, v13, v27
	v_or_b32_e32 v13, v26, v13
	v_mul_f32_e32 v26, 0x3fc90fda, v13
	v_fma_f32 v27, v13, s49, -v26
	v_fmac_f32_e32 v27, 0x33a22168, v13
	v_fmac_f32_e32 v27, 0x3fc90fda, v8
	v_lshrrev_b32_e32 v8, 30, v25
	v_add_f32_e32 v26, v26, v27
	v_add_u32_e32 v13, v33, v8
                                        ; implicit-def: $vgpr27
	s_andn2_saveexec_b64 s[0:1], s[28:29]
	s_cbranch_execnz .LBB132_41
	s_branch .LBB132_42
.LBB132_40:                             ;   in Loop: Header=BB132_4 Depth=1
	s_andn2_saveexec_b64 s[0:1], s[28:29]
.LBB132_41:                             ;   in Loop: Header=BB132_4 Depth=1
	v_cvt_i32_f32_e32 v13, v27
	v_fma_f32 v26, v27, s51, |v10|
	v_fmac_f32_e32 v26, 0xb3a22168, v27
	v_fmac_f32_e32 v26, 0xa7c234c4, v27
.LBB132_42:                             ;   in Loop: Header=BB132_4 Depth=1
	s_or_b64 exec, exec, s[0:1]
	v_mul_f32_e32 v8, v6, v6
	v_mov_b32_e32 v25, 0x3c0881c4
	v_fmac_f32_e32 v25, 0xb94c1982, v8
	v_fma_f32 v25, v8, v25, v18
	v_mul_f32_e32 v25, v8, v25
	v_fmac_f32_e32 v6, v6, v25
	v_mov_b32_e32 v25, 0xbab64f3b
	v_fmac_f32_e32 v25, 0x37d75334, v8
	v_fma_f32 v25, v8, v25, v19
	v_fma_f32 v25, v8, v25, v20
	v_fma_f32 v8, v8, v25, 1.0
	v_and_b32_e32 v25, 1, v5
	v_cmp_eq_u32_e32 vcc, 0, v25
	v_lshlrev_b32_e32 v5, 30, v5
	v_cndmask_b32_e64 v6, -v6, v8, vcc
	v_and_b32_e32 v5, 0x80000000, v5
	v_xor_b32_e32 v5, v5, v6
	v_mul_f32_e32 v6, v26, v26
	v_mov_b32_e32 v8, 0x3c0881c4
	v_fmac_f32_e32 v8, 0xb94c1982, v6
	v_fma_f32 v8, v6, v8, v18
	v_mul_f32_e32 v8, v6, v8
	v_fmac_f32_e32 v26, v26, v8
	v_mov_b32_e32 v8, 0xbab64f3b
	v_fmac_f32_e32 v8, 0x37d75334, v6
	v_fma_f32 v8, v6, v8, v19
	v_fma_f32 v8, v6, v8, v20
	v_fma_f32 v6, v6, v8, 1.0
	v_and_b32_e32 v8, 1, v13
	v_cmp_eq_u32_e64 s[0:1], 0, v8
	v_lshlrev_b32_e32 v8, 30, v13
	v_cndmask_b32_e64 v6, v6, v26, s[0:1]
	v_and_or_b32 v7, v8, s55, v7
	v_xor_b32_e32 v6, v7, v6
	v_cmp_class_f32_e64 vcc, v10, s56
	v_xor_b32_e32 v6, v6, v10
	v_cndmask_b32_e32 v5, v24, v5, vcc
	v_cndmask_b32_e32 v6, v24, v6, vcc
.LBB132_43:                             ;   in Loop: Header=BB132_4 Depth=1
	s_or_b64 exec, exec, s[26:27]
.LBB132_44:                             ;   in Loop: Header=BB132_4 Depth=1
	s_andn2_saveexec_b64 s[0:1], s[24:25]
	s_cbranch_execz .LBB132_46
; %bb.45:                               ;   in Loop: Header=BB132_4 Depth=1
	v_mul_f32_e32 v5, 0x3fb8aa3b, v9
	v_rndne_f32_e32 v6, v5
	v_sub_f32_e32 v7, v5, v6
	v_fma_f32 v5, v9, s52, -v5
	v_fmac_f32_e32 v5, 0x32a5705f, v9
	v_add_f32_e32 v5, v7, v5
	v_cvt_i32_f32_e32 v6, v6
	v_exp_f32_e32 v5, v5
	v_cmp_ngt_f32_e32 vcc, s53, v9
	v_ldexp_f32 v5, v5, v6
	v_cndmask_b32_e32 v5, 0, v5, vcc
	v_cmp_nlt_f32_e32 vcc, s54, v9
	v_cndmask_b32_e32 v5, v23, v5, vcc
	v_mov_b32_e32 v6, v10
.LBB132_46:                             ;   in Loop: Header=BB132_4 Depth=1
	s_or_b64 exec, exec, s[0:1]
	v_and_b32_e32 v9, 0x7fffffff, v12
	v_cmp_ne_u32_e32 vcc, 0, v9
	s_and_saveexec_b64 s[0:1], vcc
	s_xor_b64 s[24:25], exec, s[0:1]
	s_cbranch_execz .LBB132_88
; %bb.47:                               ;   in Loop: Header=BB132_4 Depth=1
	v_and_b32_e32 v10, 0x7fffffff, v11
	v_cmp_ne_u32_e32 vcc, 0, v10
	s_and_saveexec_b64 s[0:1], vcc
	s_xor_b64 s[26:27], exec, s[0:1]
	s_cbranch_execz .LBB132_77
; %bb.48:                               ;   in Loop: Header=BB132_4 Depth=1
	v_cmp_gt_u32_e32 vcc, s33, v9
	s_and_saveexec_b64 s[0:1], vcc
	s_xor_b64 s[28:29], exec, s[0:1]
	s_cbranch_execz .LBB132_70
; %bb.49:                               ;   in Loop: Header=BB132_4 Depth=1
	v_add_u32_e32 v7, 0xbd4e8de8, v11
	v_cmp_lt_u32_e32 vcc, s40, v7
	s_and_saveexec_b64 s[0:1], vcc
	s_xor_b64 s[30:31], exec, s[0:1]
	s_cbranch_execz .LBB132_59
; %bb.50:                               ;   in Loop: Header=BB132_4 Depth=1
	v_cmp_nlt_f32_e64 s[34:35], |v12|, s41
                                        ; implicit-def: $vgpr7
                                        ; implicit-def: $vgpr8
	s_and_saveexec_b64 s[0:1], s[34:35]
	s_xor_b64 s[36:37], exec, s[0:1]
	s_cbranch_execz .LBB132_52
; %bb.51:                               ;   in Loop: Header=BB132_4 Depth=1
	v_and_b32_e32 v7, 0x7fffff, v9
	v_or_b32_e32 v10, 0x800000, v7
	v_mad_u64_u32 v[7:8], s[0:1], v10, s42, 0
	v_mov_b32_e32 v13, v8
	v_mad_u64_u32 v[25:26], s[0:1], v10, s43, v[13:14]
	v_lshrrev_b32_e32 v8, 23, v9
	v_add_u32_e32 v8, 0xffffff88, v8
	v_mov_b32_e32 v13, v26
	v_mad_u64_u32 v[26:27], s[0:1], v10, s44, v[13:14]
	v_cmp_lt_u32_e32 vcc, 63, v8
	v_mov_b32_e32 v13, v27
	v_mad_u64_u32 v[27:28], s[0:1], v10, s45, v[13:14]
	v_cndmask_b32_e32 v7, v26, v7, vcc
	v_mov_b32_e32 v13, v28
	v_mad_u64_u32 v[28:29], s[0:1], v10, s46, v[13:14]
	v_cndmask_b32_e32 v13, 0, v21, vcc
	v_add_u32_e32 v8, v13, v8
	v_mov_b32_e32 v13, v29
	v_mad_u64_u32 v[29:30], s[0:1], v10, s47, v[13:14]
	v_cmp_lt_u32_e64 s[0:1], 31, v8
	v_cndmask_b32_e64 v13, 0, v22, s[0:1]
	v_add_u32_e32 v8, v13, v8
	v_mov_b32_e32 v13, v30
	v_mad_u64_u32 v[30:31], s[2:3], v10, s48, v[13:14]
	v_cmp_lt_u32_e64 s[2:3], 31, v8
	v_cndmask_b32_e64 v10, 0, v22, s[2:3]
	v_add_u32_e32 v8, v10, v8
	v_cndmask_b32_e32 v10, v29, v27, vcc
	v_cndmask_b32_e32 v13, v30, v28, vcc
	;; [unrolled: 1-line block ×4, first 2 shown]
	v_cndmask_b32_e64 v30, v13, v10, s[0:1]
	v_cndmask_b32_e64 v13, v29, v13, s[0:1]
	;; [unrolled: 1-line block ×5, first 2 shown]
	v_sub_u32_e32 v30, 32, v8
	v_cmp_eq_u32_e64 s[6:7], 0, v8
	v_cndmask_b32_e32 v8, v27, v25, vcc
	v_cndmask_b32_e64 v25, v28, v8, s[0:1]
	v_alignbit_b32 v31, v13, v29, v30
	v_cndmask_b32_e64 v10, v10, v25, s[2:3]
	v_cndmask_b32_e64 v13, v31, v13, s[6:7]
	v_alignbit_b32 v27, v29, v10, v30
	v_cndmask_b32_e64 v27, v27, v29, s[6:7]
	v_bfe_u32 v31, v13, 29, 1
	v_cndmask_b32_e64 v7, v8, v7, s[0:1]
	v_alignbit_b32 v28, v13, v27, 30
	v_sub_u32_e32 v32, 0, v31
	v_cndmask_b32_e64 v7, v25, v7, s[2:3]
	v_xor_b32_e32 v28, v28, v32
	v_alignbit_b32 v8, v10, v7, v30
	v_cndmask_b32_e64 v8, v8, v10, s[6:7]
	v_ffbh_u32_e32 v25, v28
	v_alignbit_b32 v10, v27, v8, 30
	v_min_u32_e32 v25, 32, v25
	v_alignbit_b32 v7, v8, v7, 30
	v_xor_b32_e32 v10, v10, v32
	v_sub_u32_e32 v26, 31, v25
	v_xor_b32_e32 v7, v7, v32
	v_alignbit_b32 v27, v28, v10, v26
	v_alignbit_b32 v7, v10, v7, v26
	;; [unrolled: 1-line block ×3, first 2 shown]
	v_ffbh_u32_e32 v10, v8
	v_min_u32_e32 v10, 32, v10
	v_lshrrev_b32_e32 v29, 29, v13
	v_not_b32_e32 v26, v10
	v_alignbit_b32 v7, v8, v7, v26
	v_lshlrev_b32_e32 v8, 31, v29
	v_or_b32_e32 v26, 0x33000000, v8
	v_add_lshl_u32 v10, v10, v25, 23
	v_lshrrev_b32_e32 v7, 9, v7
	v_sub_u32_e32 v10, v26, v10
	v_or_b32_e32 v8, 0.5, v8
	v_lshlrev_b32_e32 v25, 23, v25
	v_or_b32_e32 v7, v10, v7
	v_lshrrev_b32_e32 v10, 9, v27
	v_sub_u32_e32 v8, v8, v25
	v_or_b32_e32 v8, v10, v8
	v_mul_f32_e32 v10, 0x3fc90fda, v8
	v_fma_f32 v25, v8, s49, -v10
	v_fmac_f32_e32 v25, 0x33a22168, v8
	v_fmac_f32_e32 v25, 0x3fc90fda, v7
	v_lshrrev_b32_e32 v7, 30, v13
	v_add_f32_e32 v8, v10, v25
	v_add_u32_e32 v7, v31, v7
	s_andn2_saveexec_b64 s[0:1], s[36:37]
	s_branch .LBB132_53
.LBB132_52:                             ;   in Loop: Header=BB132_4 Depth=1
	s_andn2_saveexec_b64 s[0:1], s[36:37]
.LBB132_53:                             ;   in Loop: Header=BB132_4 Depth=1
	v_mul_f32_e64 v7, |v12|, s50
	v_rndne_f32_e32 v10, v7
	v_cvt_i32_f32_e32 v7, v10
	v_fma_f32 v8, v10, s51, |v12|
	v_fmac_f32_e32 v8, 0xb3a22168, v10
	v_fmac_f32_e32 v8, 0xa7c234c4, v10
; %bb.54:                               ;   in Loop: Header=BB132_4 Depth=1
	s_or_b64 exec, exec, s[0:1]
                                        ; implicit-def: $vgpr10
                                        ; implicit-def: $vgpr13
	s_and_saveexec_b64 s[0:1], s[34:35]
	s_xor_b64 s[34:35], exec, s[0:1]
	s_cbranch_execz .LBB132_56
; %bb.55:                               ;   in Loop: Header=BB132_4 Depth=1
	v_and_b32_e32 v10, 0x7fffff, v9
	v_or_b32_e32 v10, 0x800000, v10
	v_mad_u64_u32 v[25:26], s[0:1], v10, s42, 0
	v_mov_b32_e32 v13, v26
	v_mad_u64_u32 v[26:27], s[0:1], v10, s43, v[13:14]
	v_mov_b32_e32 v13, v27
	;; [unrolled: 2-line block ×3, first 2 shown]
	v_mad_u64_u32 v[28:29], s[0:1], v10, s45, v[13:14]
	v_lshrrev_b32_e32 v13, 23, v9
	v_add_u32_e32 v31, 0xffffff88, v13
	v_mov_b32_e32 v13, v29
	v_mad_u64_u32 v[29:30], s[0:1], v10, s46, v[13:14]
	v_cmp_lt_u32_e32 vcc, 63, v31
	v_cndmask_b32_e32 v13, 0, v21, vcc
	v_add_u32_e32 v32, v13, v31
	v_mov_b32_e32 v13, v30
	v_mad_u64_u32 v[30:31], s[0:1], v10, s47, v[13:14]
	v_cmp_lt_u32_e64 s[0:1], 31, v32
	v_cndmask_b32_e64 v13, 0, v22, s[0:1]
	v_add_u32_e32 v33, v13, v32
	v_mov_b32_e32 v13, v31
	v_mad_u64_u32 v[31:32], s[2:3], v10, s48, v[13:14]
	v_cmp_lt_u32_e64 s[2:3], 31, v33
	v_cndmask_b32_e64 v10, 0, v22, s[2:3]
	v_cndmask_b32_e32 v13, v30, v28, vcc
	v_cndmask_b32_e32 v31, v31, v29, vcc
	;; [unrolled: 1-line block ×4, first 2 shown]
	v_add_u32_e32 v10, v10, v33
	v_cndmask_b32_e64 v32, v31, v13, s[0:1]
	v_cndmask_b32_e64 v30, v30, v31, s[0:1]
	;; [unrolled: 1-line block ×3, first 2 shown]
	v_cndmask_b32_e32 v26, v28, v26, vcc
	v_cndmask_b32_e64 v30, v30, v32, s[2:3]
	v_cndmask_b32_e64 v31, v32, v13, s[2:3]
	v_sub_u32_e32 v32, 32, v10
	v_cndmask_b32_e64 v28, v29, v26, s[0:1]
	v_alignbit_b32 v33, v30, v31, v32
	v_cmp_eq_u32_e64 s[6:7], 0, v10
	v_cndmask_b32_e64 v13, v13, v28, s[2:3]
	v_cndmask_b32_e64 v10, v33, v30, s[6:7]
	v_alignbit_b32 v29, v31, v13, v32
	v_cndmask_b32_e32 v25, v27, v25, vcc
	v_cndmask_b32_e64 v29, v29, v31, s[6:7]
	v_bfe_u32 v33, v10, 29, 1
	v_cndmask_b32_e64 v25, v26, v25, s[0:1]
	v_alignbit_b32 v30, v10, v29, 30
	v_sub_u32_e32 v34, 0, v33
	v_cndmask_b32_e64 v25, v28, v25, s[2:3]
	v_xor_b32_e32 v30, v30, v34
	v_alignbit_b32 v26, v13, v25, v32
	v_cndmask_b32_e64 v13, v26, v13, s[6:7]
	v_ffbh_u32_e32 v27, v30
	v_alignbit_b32 v26, v29, v13, 30
	v_min_u32_e32 v27, 32, v27
	v_alignbit_b32 v13, v13, v25, 30
	v_xor_b32_e32 v26, v26, v34
	v_sub_u32_e32 v28, 31, v27
	v_xor_b32_e32 v13, v13, v34
	v_alignbit_b32 v29, v30, v26, v28
	v_alignbit_b32 v13, v26, v13, v28
	;; [unrolled: 1-line block ×3, first 2 shown]
	v_ffbh_u32_e32 v26, v25
	v_min_u32_e32 v26, 32, v26
	v_lshrrev_b32_e32 v31, 29, v10
	v_not_b32_e32 v28, v26
	v_alignbit_b32 v13, v25, v13, v28
	v_lshlrev_b32_e32 v25, 31, v31
	v_or_b32_e32 v28, 0x33000000, v25
	v_add_lshl_u32 v26, v26, v27, 23
	v_lshrrev_b32_e32 v13, 9, v13
	v_sub_u32_e32 v26, v28, v26
	v_or_b32_e32 v25, 0.5, v25
	v_lshlrev_b32_e32 v27, 23, v27
	v_or_b32_e32 v13, v26, v13
	v_lshrrev_b32_e32 v26, 9, v29
	v_sub_u32_e32 v25, v25, v27
	v_or_b32_e32 v25, v26, v25
	v_mul_f32_e32 v26, 0x3fc90fda, v25
	v_fma_f32 v27, v25, s49, -v26
	v_fmac_f32_e32 v27, 0x33a22168, v25
	v_fmac_f32_e32 v27, 0x3fc90fda, v13
	v_lshrrev_b32_e32 v10, 30, v10
	v_add_f32_e32 v13, v26, v27
	v_add_u32_e32 v10, v33, v10
	s_andn2_saveexec_b64 s[0:1], s[34:35]
	s_cbranch_execnz .LBB132_57
	s_branch .LBB132_58
.LBB132_56:                             ;   in Loop: Header=BB132_4 Depth=1
	s_andn2_saveexec_b64 s[0:1], s[34:35]
.LBB132_57:                             ;   in Loop: Header=BB132_4 Depth=1
	v_mul_f32_e64 v10, |v12|, s50
	v_rndne_f32_e32 v25, v10
	v_cvt_i32_f32_e32 v10, v25
	v_fma_f32 v13, v25, s51, |v12|
	v_fmac_f32_e32 v13, 0xb3a22168, v25
	v_fmac_f32_e32 v13, 0xa7c234c4, v25
.LBB132_58:                             ;   in Loop: Header=BB132_4 Depth=1
	s_or_b64 exec, exec, s[0:1]
	v_mul_f32_e32 v25, 0x3fb8aa3b, v11
	v_rndne_f32_e32 v26, v25
	v_sub_f32_e32 v27, v25, v26
	v_fma_f32 v25, v11, s52, -v25
	v_fmac_f32_e32 v25, 0x32a5705f, v11
	v_add_f32_e32 v25, v27, v25
	v_cvt_i32_f32_e32 v26, v26
	v_exp_f32_e32 v25, v25
	v_cmp_ngt_f32_e32 vcc, s53, v11
	v_ldexp_f32 v25, v25, v26
	v_cndmask_b32_e32 v25, 0, v25, vcc
	v_cmp_nlt_f32_e32 vcc, s54, v11
	v_cndmask_b32_e32 v11, v23, v25, vcc
	v_mul_f32_e32 v25, v8, v8
	v_mov_b32_e32 v26, 0x3c0881c4
	v_fmac_f32_e32 v26, 0xb94c1982, v25
	v_fma_f32 v26, v25, v26, v18
	v_mul_f32_e32 v26, v25, v26
	v_fmac_f32_e32 v8, v8, v26
	v_mov_b32_e32 v26, 0xbab64f3b
	v_fmac_f32_e32 v26, 0x37d75334, v25
	v_fma_f32 v26, v25, v26, v19
	v_fma_f32 v26, v25, v26, v20
	v_fma_f32 v25, v25, v26, 1.0
	v_and_b32_e32 v26, 1, v7
	v_cmp_eq_u32_e32 vcc, 0, v26
	v_lshlrev_b32_e32 v7, 30, v7
	v_cndmask_b32_e64 v8, -v8, v25, vcc
	v_and_b32_e32 v7, 0x80000000, v7
	v_xor_b32_e32 v7, v7, v8
	v_mul_f32_e32 v8, v13, v13
	v_mov_b32_e32 v25, 0x3c0881c4
	v_fmac_f32_e32 v25, 0xb94c1982, v8
	v_fma_f32 v25, v8, v25, v18
	v_mul_f32_e32 v25, v8, v25
	v_fmac_f32_e32 v13, v13, v25
	v_mov_b32_e32 v25, 0xbab64f3b
	v_fmac_f32_e32 v25, 0x37d75334, v8
	v_fma_f32 v25, v8, v25, v19
	v_fma_f32 v25, v8, v25, v20
	v_fma_f32 v8, v8, v25, 1.0
	v_and_b32_e32 v25, 1, v10
	v_cmp_eq_u32_e64 s[0:1], 0, v25
	v_lshlrev_b32_e32 v10, 30, v10
	v_cndmask_b32_e64 v8, v8, v13, s[0:1]
	v_and_or_b32 v9, v10, s55, v9
	v_xor_b32_e32 v8, v9, v8
	v_cmp_class_f32_e64 vcc, v12, s56
	v_xor_b32_e32 v8, v8, v12
	v_cndmask_b32_e32 v7, v24, v7, vcc
	v_cndmask_b32_e32 v8, v24, v8, vcc
	v_mul_f32_e32 v7, v11, v7
	v_mul_f32_e32 v8, v11, v8
                                        ; implicit-def: $vgpr9_vgpr10_vgpr11_vgpr12
                                        ; implicit-def: $vgpr9
.LBB132_59:                             ;   in Loop: Header=BB132_4 Depth=1
	s_andn2_saveexec_b64 s[30:31], s[30:31]
	s_cbranch_execz .LBB132_69
; %bb.60:                               ;   in Loop: Header=BB132_4 Depth=1
	v_cmp_nlt_f32_e64 s[34:35], |v12|, s41
                                        ; implicit-def: $vgpr8
                                        ; implicit-def: $vgpr7
	s_and_saveexec_b64 s[0:1], s[34:35]
	s_xor_b64 s[36:37], exec, s[0:1]
	s_cbranch_execz .LBB132_62
; %bb.61:                               ;   in Loop: Header=BB132_4 Depth=1
	v_and_b32_e32 v7, 0x7fffff, v9
	v_or_b32_e32 v10, 0x800000, v7
	v_mad_u64_u32 v[7:8], s[0:1], v10, s42, 0
	v_mov_b32_e32 v13, v8
	v_mad_u64_u32 v[25:26], s[0:1], v10, s43, v[13:14]
	v_lshrrev_b32_e32 v8, 23, v9
	v_add_u32_e32 v8, 0xffffff88, v8
	v_mov_b32_e32 v13, v26
	v_mad_u64_u32 v[26:27], s[0:1], v10, s44, v[13:14]
	v_cmp_lt_u32_e32 vcc, 63, v8
	v_mov_b32_e32 v13, v27
	v_mad_u64_u32 v[27:28], s[0:1], v10, s45, v[13:14]
	v_cndmask_b32_e32 v7, v26, v7, vcc
	v_mov_b32_e32 v13, v28
	v_mad_u64_u32 v[28:29], s[0:1], v10, s46, v[13:14]
	v_cndmask_b32_e32 v13, 0, v21, vcc
	v_add_u32_e32 v8, v13, v8
	v_mov_b32_e32 v13, v29
	v_mad_u64_u32 v[29:30], s[0:1], v10, s47, v[13:14]
	v_cmp_lt_u32_e64 s[0:1], 31, v8
	v_cndmask_b32_e64 v13, 0, v22, s[0:1]
	v_add_u32_e32 v8, v13, v8
	v_mov_b32_e32 v13, v30
	v_mad_u64_u32 v[30:31], s[2:3], v10, s48, v[13:14]
	v_cmp_lt_u32_e64 s[2:3], 31, v8
	v_cndmask_b32_e64 v10, 0, v22, s[2:3]
	v_add_u32_e32 v8, v10, v8
	v_cndmask_b32_e32 v10, v29, v27, vcc
	v_cndmask_b32_e32 v13, v30, v28, vcc
	v_cndmask_b32_e32 v29, v31, v29, vcc
	v_cndmask_b32_e32 v28, v28, v26, vcc
	v_cndmask_b32_e64 v30, v13, v10, s[0:1]
	v_cndmask_b32_e64 v13, v29, v13, s[0:1]
	;; [unrolled: 1-line block ×5, first 2 shown]
	v_sub_u32_e32 v30, 32, v8
	v_alignbit_b32 v31, v13, v29, v30
	v_cmp_eq_u32_e64 s[6:7], 0, v8
	v_cndmask_b32_e64 v8, v31, v13, s[6:7]
	v_cndmask_b32_e32 v13, v27, v25, vcc
	v_cndmask_b32_e64 v25, v28, v13, s[0:1]
	v_cndmask_b32_e64 v10, v10, v25, s[2:3]
	v_alignbit_b32 v27, v29, v10, v30
	v_cndmask_b32_e64 v27, v27, v29, s[6:7]
	v_bfe_u32 v31, v8, 29, 1
	v_cndmask_b32_e64 v7, v13, v7, s[0:1]
	v_alignbit_b32 v28, v8, v27, 30
	v_sub_u32_e32 v32, 0, v31
	v_cndmask_b32_e64 v7, v25, v7, s[2:3]
	v_xor_b32_e32 v28, v28, v32
	v_alignbit_b32 v13, v10, v7, v30
	v_cndmask_b32_e64 v10, v13, v10, s[6:7]
	v_ffbh_u32_e32 v25, v28
	v_alignbit_b32 v13, v27, v10, 30
	v_min_u32_e32 v25, 32, v25
	v_alignbit_b32 v7, v10, v7, 30
	v_xor_b32_e32 v13, v13, v32
	v_sub_u32_e32 v26, 31, v25
	v_xor_b32_e32 v7, v7, v32
	v_alignbit_b32 v27, v28, v13, v26
	v_alignbit_b32 v7, v13, v7, v26
	;; [unrolled: 1-line block ×3, first 2 shown]
	v_ffbh_u32_e32 v13, v10
	v_min_u32_e32 v13, 32, v13
	v_lshrrev_b32_e32 v29, 29, v8
	v_not_b32_e32 v26, v13
	v_alignbit_b32 v7, v10, v7, v26
	v_lshlrev_b32_e32 v10, 31, v29
	v_or_b32_e32 v26, 0x33000000, v10
	v_add_lshl_u32 v13, v13, v25, 23
	v_lshrrev_b32_e32 v7, 9, v7
	v_sub_u32_e32 v13, v26, v13
	v_or_b32_e32 v10, 0.5, v10
	v_lshlrev_b32_e32 v25, 23, v25
	v_or_b32_e32 v7, v13, v7
	v_lshrrev_b32_e32 v13, 9, v27
	v_sub_u32_e32 v10, v10, v25
	v_or_b32_e32 v10, v13, v10
	v_mul_f32_e32 v13, 0x3fc90fda, v10
	v_fma_f32 v25, v10, s49, -v13
	v_fmac_f32_e32 v25, 0x33a22168, v10
	v_fmac_f32_e32 v25, 0x3fc90fda, v7
	v_lshrrev_b32_e32 v8, 30, v8
	v_add_f32_e32 v7, v13, v25
	v_add_u32_e32 v8, v31, v8
	s_andn2_saveexec_b64 s[0:1], s[36:37]
	s_branch .LBB132_63
.LBB132_62:                             ;   in Loop: Header=BB132_4 Depth=1
	s_andn2_saveexec_b64 s[0:1], s[36:37]
.LBB132_63:                             ;   in Loop: Header=BB132_4 Depth=1
	v_mul_f32_e64 v7, |v12|, s50
	v_rndne_f32_e32 v10, v7
	v_cvt_i32_f32_e32 v8, v10
	v_fma_f32 v7, v10, s51, |v12|
	v_fmac_f32_e32 v7, 0xb3a22168, v10
	v_fmac_f32_e32 v7, 0xa7c234c4, v10
; %bb.64:                               ;   in Loop: Header=BB132_4 Depth=1
	s_or_b64 exec, exec, s[0:1]
                                        ; implicit-def: $vgpr10
                                        ; implicit-def: $vgpr13
	s_and_saveexec_b64 s[0:1], s[34:35]
	s_xor_b64 s[34:35], exec, s[0:1]
	s_cbranch_execz .LBB132_66
; %bb.65:                               ;   in Loop: Header=BB132_4 Depth=1
	v_and_b32_e32 v10, 0x7fffff, v9
	v_or_b32_e32 v10, 0x800000, v10
	v_mad_u64_u32 v[25:26], s[0:1], v10, s42, 0
	v_mov_b32_e32 v13, v26
	v_mad_u64_u32 v[26:27], s[0:1], v10, s43, v[13:14]
	v_mov_b32_e32 v13, v27
	;; [unrolled: 2-line block ×3, first 2 shown]
	v_mad_u64_u32 v[28:29], s[0:1], v10, s45, v[13:14]
	v_lshrrev_b32_e32 v13, 23, v9
	v_add_u32_e32 v31, 0xffffff88, v13
	v_mov_b32_e32 v13, v29
	v_mad_u64_u32 v[29:30], s[0:1], v10, s46, v[13:14]
	v_cmp_lt_u32_e32 vcc, 63, v31
	v_cndmask_b32_e32 v13, 0, v21, vcc
	v_add_u32_e32 v32, v13, v31
	v_mov_b32_e32 v13, v30
	v_mad_u64_u32 v[30:31], s[0:1], v10, s47, v[13:14]
	v_cmp_lt_u32_e64 s[0:1], 31, v32
	v_cndmask_b32_e64 v13, 0, v22, s[0:1]
	v_add_u32_e32 v33, v13, v32
	v_mov_b32_e32 v13, v31
	v_mad_u64_u32 v[31:32], s[2:3], v10, s48, v[13:14]
	v_cmp_lt_u32_e64 s[2:3], 31, v33
	v_cndmask_b32_e64 v10, 0, v22, s[2:3]
	v_cndmask_b32_e32 v13, v30, v28, vcc
	v_cndmask_b32_e32 v31, v31, v29, vcc
	;; [unrolled: 1-line block ×4, first 2 shown]
	v_add_u32_e32 v10, v10, v33
	v_cndmask_b32_e64 v32, v31, v13, s[0:1]
	v_cndmask_b32_e64 v30, v30, v31, s[0:1]
	v_cndmask_b32_e64 v13, v13, v29, s[0:1]
	v_cndmask_b32_e32 v26, v28, v26, vcc
	v_cndmask_b32_e64 v30, v30, v32, s[2:3]
	v_cndmask_b32_e64 v31, v32, v13, s[2:3]
	v_sub_u32_e32 v32, 32, v10
	v_cndmask_b32_e64 v28, v29, v26, s[0:1]
	v_alignbit_b32 v33, v30, v31, v32
	v_cmp_eq_u32_e64 s[6:7], 0, v10
	v_cndmask_b32_e64 v13, v13, v28, s[2:3]
	v_cndmask_b32_e64 v10, v33, v30, s[6:7]
	v_alignbit_b32 v29, v31, v13, v32
	v_cndmask_b32_e32 v25, v27, v25, vcc
	v_cndmask_b32_e64 v29, v29, v31, s[6:7]
	v_bfe_u32 v33, v10, 29, 1
	v_cndmask_b32_e64 v25, v26, v25, s[0:1]
	v_alignbit_b32 v30, v10, v29, 30
	v_sub_u32_e32 v34, 0, v33
	v_cndmask_b32_e64 v25, v28, v25, s[2:3]
	v_xor_b32_e32 v30, v30, v34
	v_alignbit_b32 v26, v13, v25, v32
	v_cndmask_b32_e64 v13, v26, v13, s[6:7]
	v_ffbh_u32_e32 v27, v30
	v_alignbit_b32 v26, v29, v13, 30
	v_min_u32_e32 v27, 32, v27
	v_alignbit_b32 v13, v13, v25, 30
	v_xor_b32_e32 v26, v26, v34
	v_sub_u32_e32 v28, 31, v27
	v_xor_b32_e32 v13, v13, v34
	v_alignbit_b32 v29, v30, v26, v28
	v_alignbit_b32 v13, v26, v13, v28
	;; [unrolled: 1-line block ×3, first 2 shown]
	v_ffbh_u32_e32 v26, v25
	v_min_u32_e32 v26, 32, v26
	v_lshrrev_b32_e32 v31, 29, v10
	v_not_b32_e32 v28, v26
	v_alignbit_b32 v13, v25, v13, v28
	v_lshlrev_b32_e32 v25, 31, v31
	v_or_b32_e32 v28, 0x33000000, v25
	v_add_lshl_u32 v26, v26, v27, 23
	v_lshrrev_b32_e32 v13, 9, v13
	v_sub_u32_e32 v26, v28, v26
	v_or_b32_e32 v25, 0.5, v25
	v_lshlrev_b32_e32 v27, 23, v27
	v_or_b32_e32 v13, v26, v13
	v_lshrrev_b32_e32 v26, 9, v29
	v_sub_u32_e32 v25, v25, v27
	v_or_b32_e32 v25, v26, v25
	v_mul_f32_e32 v26, 0x3fc90fda, v25
	v_fma_f32 v27, v25, s49, -v26
	v_fmac_f32_e32 v27, 0x33a22168, v25
	v_fmac_f32_e32 v27, 0x3fc90fda, v13
	v_lshrrev_b32_e32 v10, 30, v10
	v_add_f32_e32 v13, v26, v27
	v_add_u32_e32 v10, v33, v10
	s_andn2_saveexec_b64 s[0:1], s[34:35]
	s_cbranch_execnz .LBB132_67
	s_branch .LBB132_68
.LBB132_66:                             ;   in Loop: Header=BB132_4 Depth=1
	s_andn2_saveexec_b64 s[0:1], s[34:35]
.LBB132_67:                             ;   in Loop: Header=BB132_4 Depth=1
	v_mul_f32_e64 v10, |v12|, s50
	v_rndne_f32_e32 v25, v10
	v_cvt_i32_f32_e32 v10, v25
	v_fma_f32 v13, v25, s51, |v12|
	v_fmac_f32_e32 v13, 0xb3a22168, v25
	v_fmac_f32_e32 v13, 0xa7c234c4, v25
.LBB132_68:                             ;   in Loop: Header=BB132_4 Depth=1
	s_or_b64 exec, exec, s[0:1]
	v_mul_f32_e32 v26, v7, v7
	v_mov_b32_e32 v27, 0xbab64f3b
	v_fmac_f32_e32 v27, 0x37d75334, v26
	v_mov_b32_e32 v28, 0x3c0881c4
	v_fma_f32 v27, v26, v27, v19
	v_fmac_f32_e32 v28, 0xb94c1982, v26
	v_lshlrev_b32_e32 v25, 30, v8
	v_and_b32_e32 v8, 1, v8
	v_fma_f32 v27, v26, v27, v20
	v_fma_f32 v28, v26, v28, v18
	v_fma_f32 v27, v26, v27, 1.0
	v_mul_f32_e32 v26, v26, v28
	v_cmp_eq_u32_e32 vcc, 0, v8
	v_add_f32_e32 v8, 0xc322e3bc, v11
	v_fmac_f32_e32 v7, v7, v26
	v_mul_f32_e32 v11, 0x3fb8aa3b, v8
	v_cndmask_b32_e64 v7, -v7, v27, vcc
	v_fma_f32 v26, v8, s52, -v11
	v_rndne_f32_e32 v27, v11
	v_fmac_f32_e32 v26, 0x32a5705f, v8
	v_sub_f32_e32 v11, v11, v27
	v_add_f32_e32 v11, v11, v26
	v_exp_f32_e32 v11, v11
	v_cvt_i32_f32_e32 v26, v27
	v_cmp_ngt_f32_e64 s[0:1], s53, v8
	v_and_b32_e32 v25, 0x80000000, v25
	v_xor_b32_e32 v7, v25, v7
	v_ldexp_f32 v11, v11, v26
	v_cndmask_b32_e64 v11, 0, v11, s[0:1]
	v_cmp_nlt_f32_e64 s[0:1], s54, v8
	v_cndmask_b32_e64 v8, v23, v11, s[0:1]
	v_and_b32_e32 v11, 0x7fffff, v8
	v_lshrrev_b32_e32 v8, 23, v8
	v_subrev_u32_e32 v8, 19, v8
	v_lshrrev_b16_e32 v25, 15, v8
	v_add_u16_e32 v25, v8, v25
	v_ashrrev_i16_e32 v25, 1, v25
	v_bfe_i32 v25, v25, 0, 16
	v_lshl_add_u32 v26, v25, 23, 1.0
	v_sub_u32_e32 v8, v8, v25
	v_mul_f32_e32 v25, v13, v13
	v_mov_b32_e32 v27, 0x3c0881c4
	v_fmac_f32_e32 v27, 0xb94c1982, v25
	v_fma_f32 v27, v25, v27, v18
	v_mul_f32_e32 v27, v25, v27
	v_fmac_f32_e32 v13, v13, v27
	v_mov_b32_e32 v27, 0xbab64f3b
	v_fmac_f32_e32 v27, 0x37d75334, v25
	v_fma_f32 v27, v25, v27, v19
	v_fma_f32 v27, v25, v27, v20
	v_fma_f32 v25, v25, v27, 1.0
	v_and_b32_e32 v27, 1, v10
	v_cmp_eq_u32_e64 s[0:1], 0, v27
	v_lshlrev_b32_e32 v10, 30, v10
	v_cndmask_b32_e64 v13, v25, v13, s[0:1]
	v_and_or_b32 v9, v10, s55, v9
	v_xor_b32_e32 v9, v9, v13
	v_cmp_class_f32_e64 vcc, v12, s56
	v_xor_b32_e32 v9, v9, v12
	v_cndmask_b32_e32 v7, v24, v7, vcc
	v_or_b32_e32 v11, 0x7f000000, v11
	v_cndmask_b32_e32 v9, v24, v9, vcc
	v_mul_f32_e32 v7, v7, v11
	v_mul_f32_e32 v9, v9, v11
	;; [unrolled: 1-line block ×3, first 2 shown]
	v_lshl_add_u32 v8, v8, 23, 1.0
	v_mul_f32_e32 v9, v9, v26
	v_mul_f32_e32 v7, v7, v8
	;; [unrolled: 1-line block ×3, first 2 shown]
.LBB132_69:                             ;   in Loop: Header=BB132_4 Depth=1
	s_or_b64 exec, exec, s[30:31]
                                        ; implicit-def: $vgpr9_vgpr10_vgpr11_vgpr12
                                        ; implicit-def: $vgpr10
.LBB132_70:                             ;   in Loop: Header=BB132_4 Depth=1
	s_andn2_saveexec_b64 s[0:1], s[28:29]
	s_cbranch_execz .LBB132_76
; %bb.71:                               ;   in Loop: Header=BB132_4 Depth=1
	v_cmp_ne_u32_e32 vcc, s33, v10
	v_sub_f32_e32 v8, v12, v12
	s_and_saveexec_b64 s[2:3], vcc
	s_xor_b64 s[2:3], exec, s[2:3]
; %bb.72:                               ;   in Loop: Header=BB132_4 Depth=1
                                        ; implicit-def: $vgpr9_vgpr10_vgpr11_vgpr12
; %bb.73:                               ;   in Loop: Header=BB132_4 Depth=1
	s_or_saveexec_b64 s[2:3], s[2:3]
	v_mov_b32_e32 v7, v8
	s_xor_b64 exec, exec, s[2:3]
; %bb.74:                               ;   in Loop: Header=BB132_4 Depth=1
	v_cmp_lt_i32_e32 vcc, -1, v11
	v_cndmask_b32_e32 v7, 0, v11, vcc
	v_cndmask_b32_e32 v8, 0, v8, vcc
; %bb.75:                               ;   in Loop: Header=BB132_4 Depth=1
	s_or_b64 exec, exec, s[2:3]
.LBB132_76:                             ;   in Loop: Header=BB132_4 Depth=1
	s_or_b64 exec, exec, s[0:1]
                                        ; implicit-def: $vgpr9_vgpr10_vgpr11_vgpr12
                                        ; implicit-def: $vgpr9
.LBB132_77:                             ;   in Loop: Header=BB132_4 Depth=1
	s_andn2_saveexec_b64 s[26:27], s[26:27]
	s_cbranch_execz .LBB132_87
; %bb.78:                               ;   in Loop: Header=BB132_4 Depth=1
	v_lshrrev_b32_e32 v7, 23, v9
	v_and_b32_e32 v8, 0x7fffff, v9
	v_cmp_nlt_f32_e64 s[28:29], |v12|, s41
	v_add_u32_e32 v11, 0xffffff88, v7
	v_or_b32_e32 v7, 0x800000, v8
                                        ; implicit-def: $vgpr8
                                        ; implicit-def: $vgpr10
	s_and_saveexec_b64 s[0:1], s[28:29]
	s_xor_b64 s[30:31], exec, s[0:1]
	s_cbranch_execz .LBB132_80
; %bb.79:                               ;   in Loop: Header=BB132_4 Depth=1
	v_mad_u64_u32 v[25:26], s[0:1], v7, s42, 0
	v_cmp_lt_u32_e32 vcc, 63, v11
	v_cndmask_b32_e32 v8, 0, v21, vcc
	v_mov_b32_e32 v13, v26
	v_mad_u64_u32 v[26:27], s[0:1], v7, s43, v[13:14]
	v_add_u32_e32 v8, v8, v11
	v_mov_b32_e32 v13, v27
	v_mad_u64_u32 v[27:28], s[0:1], v7, s44, v[13:14]
	v_mov_b32_e32 v13, v28
	v_mad_u64_u32 v[28:29], s[0:1], v7, s45, v[13:14]
	v_cndmask_b32_e32 v25, v27, v25, vcc
	v_mov_b32_e32 v13, v29
	v_mad_u64_u32 v[29:30], s[0:1], v7, s46, v[13:14]
	v_cmp_lt_u32_e64 s[0:1], 31, v8
	v_cndmask_b32_e64 v10, 0, v22, s[0:1]
	v_mov_b32_e32 v13, v30
	v_mad_u64_u32 v[30:31], s[2:3], v7, s47, v[13:14]
	v_add_u32_e32 v8, v10, v8
	v_cmp_lt_u32_e64 s[2:3], 31, v8
	v_mov_b32_e32 v13, v31
	v_mad_u64_u32 v[31:32], s[6:7], v7, s48, v[13:14]
	v_cndmask_b32_e64 v10, 0, v22, s[2:3]
	v_add_u32_e32 v8, v10, v8
	v_cndmask_b32_e32 v10, v29, v27, vcc
	v_cndmask_b32_e32 v13, v30, v28, vcc
	v_cndmask_b32_e32 v29, v31, v29, vcc
	v_cndmask_b32_e32 v30, v32, v30, vcc
	v_cndmask_b32_e64 v33, v13, v10, s[0:1]
	v_cndmask_b32_e64 v13, v29, v13, s[0:1]
	;; [unrolled: 1-line block ×3, first 2 shown]
	v_cndmask_b32_e32 v26, v28, v26, vcc
	v_cndmask_b32_e64 v29, v29, v13, s[2:3]
	v_cndmask_b32_e64 v13, v13, v33, s[2:3]
	v_sub_u32_e32 v30, 32, v8
	v_cndmask_b32_e64 v10, v10, v26, s[0:1]
	v_alignbit_b32 v31, v29, v13, v30
	v_cmp_eq_u32_e64 s[6:7], 0, v8
	v_cndmask_b32_e64 v28, v33, v10, s[2:3]
	v_cndmask_b32_e64 v8, v31, v29, s[6:7]
	v_alignbit_b32 v29, v13, v28, v30
	v_cndmask_b32_e64 v13, v29, v13, s[6:7]
	v_bfe_u32 v32, v8, 29, 1
	v_cndmask_b32_e64 v25, v26, v25, s[0:1]
	v_alignbit_b32 v29, v8, v13, 30
	v_sub_u32_e32 v33, 0, v32
	v_cndmask_b32_e64 v10, v10, v25, s[2:3]
	v_xor_b32_e32 v29, v29, v33
	v_alignbit_b32 v25, v28, v10, v30
	v_cndmask_b32_e64 v25, v25, v28, s[6:7]
	v_ffbh_u32_e32 v26, v29
	v_alignbit_b32 v13, v13, v25, 30
	v_min_u32_e32 v26, 32, v26
	v_alignbit_b32 v10, v25, v10, 30
	v_xor_b32_e32 v13, v13, v33
	v_sub_u32_e32 v27, 31, v26
	v_xor_b32_e32 v10, v10, v33
	v_alignbit_b32 v28, v29, v13, v27
	v_alignbit_b32 v10, v13, v10, v27
	;; [unrolled: 1-line block ×3, first 2 shown]
	v_ffbh_u32_e32 v25, v13
	v_min_u32_e32 v25, 32, v25
	v_lshrrev_b32_e32 v31, 29, v8
	v_not_b32_e32 v27, v25
	v_alignbit_b32 v10, v13, v10, v27
	v_lshlrev_b32_e32 v13, 31, v31
	v_or_b32_e32 v27, 0x33000000, v13
	v_add_lshl_u32 v25, v25, v26, 23
	v_lshrrev_b32_e32 v10, 9, v10
	v_sub_u32_e32 v25, v27, v25
	v_or_b32_e32 v13, 0.5, v13
	v_lshlrev_b32_e32 v26, 23, v26
	v_or_b32_e32 v10, v25, v10
	v_lshrrev_b32_e32 v25, 9, v28
	v_sub_u32_e32 v13, v13, v26
	v_or_b32_e32 v13, v25, v13
	v_mul_f32_e32 v25, 0x3fc90fda, v13
	v_fma_f32 v26, v13, s49, -v25
	v_fmac_f32_e32 v26, 0x33a22168, v13
	v_fmac_f32_e32 v26, 0x3fc90fda, v10
	v_lshrrev_b32_e32 v8, 30, v8
	v_add_f32_e32 v10, v25, v26
	v_add_u32_e32 v8, v32, v8
.LBB132_80:                             ;   in Loop: Header=BB132_4 Depth=1
	s_or_saveexec_b64 s[0:1], s[30:31]
	v_mul_f32_e64 v13, |v12|, s50
	v_rndne_f32_e32 v26, v13
	s_xor_b64 exec, exec, s[0:1]
; %bb.81:                               ;   in Loop: Header=BB132_4 Depth=1
	v_cvt_i32_f32_e32 v8, v26
	v_fma_f32 v10, v26, s51, |v12|
	v_fmac_f32_e32 v10, 0xb3a22168, v26
	v_fmac_f32_e32 v10, 0xa7c234c4, v26
; %bb.82:                               ;   in Loop: Header=BB132_4 Depth=1
	s_or_b64 exec, exec, s[0:1]
                                        ; implicit-def: $vgpr13
                                        ; implicit-def: $vgpr25
	s_and_saveexec_b64 s[0:1], s[28:29]
	s_xor_b64 s[28:29], exec, s[0:1]
	s_cbranch_execz .LBB132_84
; %bb.83:                               ;   in Loop: Header=BB132_4 Depth=1
	v_mad_u64_u32 v[25:26], s[0:1], v7, s42, 0
	v_cmp_lt_u32_e32 vcc, 63, v11
	v_mov_b32_e32 v13, v26
	v_mad_u64_u32 v[26:27], s[0:1], v7, s43, v[13:14]
	v_mov_b32_e32 v13, v27
	v_mad_u64_u32 v[27:28], s[0:1], v7, s44, v[13:14]
	;; [unrolled: 2-line block ×3, first 2 shown]
	v_cndmask_b32_e32 v13, 0, v21, vcc
	v_add_u32_e32 v11, v13, v11
	v_mov_b32_e32 v13, v29
	v_mad_u64_u32 v[29:30], s[0:1], v7, s46, v[13:14]
	v_cmp_lt_u32_e64 s[0:1], 31, v11
	v_cndmask_b32_e64 v13, 0, v22, s[0:1]
	v_add_u32_e32 v11, v13, v11
	v_mov_b32_e32 v13, v30
	v_mad_u64_u32 v[30:31], s[2:3], v7, s47, v[13:14]
	v_cmp_lt_u32_e64 s[2:3], 31, v11
	v_cndmask_b32_e64 v13, 0, v22, s[2:3]
	v_add_u32_e32 v11, v13, v11
	v_mov_b32_e32 v13, v31
	v_mad_u64_u32 v[31:32], s[6:7], v7, s48, v[13:14]
	v_cndmask_b32_e32 v7, v29, v27, vcc
	v_cndmask_b32_e32 v13, v30, v28, vcc
	;; [unrolled: 1-line block ×4, first 2 shown]
	v_cndmask_b32_e64 v33, v13, v7, s[0:1]
	v_cndmask_b32_e64 v13, v29, v13, s[0:1]
	;; [unrolled: 1-line block ×3, first 2 shown]
	v_cndmask_b32_e32 v26, v28, v26, vcc
	v_cndmask_b32_e64 v29, v29, v13, s[2:3]
	v_cndmask_b32_e64 v13, v13, v33, s[2:3]
	v_sub_u32_e32 v30, 32, v11
	v_cndmask_b32_e64 v7, v7, v26, s[0:1]
	v_alignbit_b32 v31, v29, v13, v30
	v_cmp_eq_u32_e64 s[6:7], 0, v11
	v_cndmask_b32_e64 v28, v33, v7, s[2:3]
	v_cndmask_b32_e64 v11, v31, v29, s[6:7]
	v_alignbit_b32 v29, v13, v28, v30
	v_cndmask_b32_e32 v25, v27, v25, vcc
	v_cndmask_b32_e64 v13, v29, v13, s[6:7]
	v_bfe_u32 v32, v11, 29, 1
	v_cndmask_b32_e64 v25, v26, v25, s[0:1]
	v_alignbit_b32 v29, v11, v13, 30
	v_sub_u32_e32 v33, 0, v32
	v_cndmask_b32_e64 v7, v7, v25, s[2:3]
	v_xor_b32_e32 v29, v29, v33
	v_alignbit_b32 v25, v28, v7, v30
	v_cndmask_b32_e64 v25, v25, v28, s[6:7]
	v_ffbh_u32_e32 v26, v29
	v_alignbit_b32 v13, v13, v25, 30
	v_min_u32_e32 v26, 32, v26
	v_alignbit_b32 v7, v25, v7, 30
	v_xor_b32_e32 v13, v13, v33
	v_sub_u32_e32 v27, 31, v26
	v_xor_b32_e32 v7, v7, v33
	v_alignbit_b32 v28, v29, v13, v27
	v_alignbit_b32 v7, v13, v7, v27
	;; [unrolled: 1-line block ×3, first 2 shown]
	v_ffbh_u32_e32 v25, v13
	v_min_u32_e32 v25, 32, v25
	v_lshrrev_b32_e32 v31, 29, v11
	v_not_b32_e32 v27, v25
	v_alignbit_b32 v7, v13, v7, v27
	v_lshlrev_b32_e32 v13, 31, v31
	v_or_b32_e32 v27, 0x33000000, v13
	v_add_lshl_u32 v25, v25, v26, 23
	v_lshrrev_b32_e32 v7, 9, v7
	v_sub_u32_e32 v25, v27, v25
	v_or_b32_e32 v13, 0.5, v13
	v_lshlrev_b32_e32 v26, 23, v26
	v_or_b32_e32 v7, v25, v7
	v_lshrrev_b32_e32 v25, 9, v28
	v_sub_u32_e32 v13, v13, v26
	v_or_b32_e32 v13, v25, v13
	v_mul_f32_e32 v25, 0x3fc90fda, v13
	v_fma_f32 v26, v13, s49, -v25
	v_fmac_f32_e32 v26, 0x33a22168, v13
	v_fmac_f32_e32 v26, 0x3fc90fda, v7
	v_lshrrev_b32_e32 v7, 30, v11
	v_add_f32_e32 v25, v25, v26
	v_add_u32_e32 v13, v32, v7
                                        ; implicit-def: $vgpr26
	s_andn2_saveexec_b64 s[0:1], s[28:29]
	s_cbranch_execnz .LBB132_85
	s_branch .LBB132_86
.LBB132_84:                             ;   in Loop: Header=BB132_4 Depth=1
	s_andn2_saveexec_b64 s[0:1], s[28:29]
.LBB132_85:                             ;   in Loop: Header=BB132_4 Depth=1
	v_cvt_i32_f32_e32 v13, v26
	v_fma_f32 v25, v26, s51, |v12|
	v_fmac_f32_e32 v25, 0xb3a22168, v26
	v_fmac_f32_e32 v25, 0xa7c234c4, v26
.LBB132_86:                             ;   in Loop: Header=BB132_4 Depth=1
	s_or_b64 exec, exec, s[0:1]
	v_mul_f32_e32 v7, v10, v10
	v_mov_b32_e32 v11, 0x3c0881c4
	v_fmac_f32_e32 v11, 0xb94c1982, v7
	v_fma_f32 v11, v7, v11, v18
	v_mul_f32_e32 v11, v7, v11
	v_fmac_f32_e32 v10, v10, v11
	v_mov_b32_e32 v11, 0xbab64f3b
	v_fmac_f32_e32 v11, 0x37d75334, v7
	v_fma_f32 v11, v7, v11, v19
	v_fma_f32 v11, v7, v11, v20
	v_fma_f32 v7, v7, v11, 1.0
	v_and_b32_e32 v11, 1, v8
	v_cmp_eq_u32_e32 vcc, 0, v11
	v_lshlrev_b32_e32 v8, 30, v8
	v_cndmask_b32_e64 v7, -v10, v7, vcc
	v_and_b32_e32 v8, 0x80000000, v8
	v_xor_b32_e32 v7, v8, v7
	v_mul_f32_e32 v8, v25, v25
	v_mov_b32_e32 v10, 0x3c0881c4
	v_fmac_f32_e32 v10, 0xb94c1982, v8
	v_fma_f32 v10, v8, v10, v18
	v_mul_f32_e32 v10, v8, v10
	v_fmac_f32_e32 v25, v25, v10
	v_mov_b32_e32 v10, 0xbab64f3b
	v_fmac_f32_e32 v10, 0x37d75334, v8
	v_fma_f32 v10, v8, v10, v19
	v_fma_f32 v10, v8, v10, v20
	v_fma_f32 v8, v8, v10, 1.0
	v_and_b32_e32 v10, 1, v13
	v_cmp_eq_u32_e64 s[0:1], 0, v10
	v_lshlrev_b32_e32 v10, 30, v13
	v_cndmask_b32_e64 v8, v8, v25, s[0:1]
	v_and_or_b32 v9, v10, s55, v9
	v_xor_b32_e32 v8, v9, v8
	v_cmp_class_f32_e64 vcc, v12, s56
	v_xor_b32_e32 v8, v8, v12
	v_cndmask_b32_e32 v7, v24, v7, vcc
	v_cndmask_b32_e32 v8, v24, v8, vcc
.LBB132_87:                             ;   in Loop: Header=BB132_4 Depth=1
	s_or_b64 exec, exec, s[26:27]
                                        ; implicit-def: $vgpr9_vgpr10_vgpr11_vgpr12
.LBB132_88:                             ;   in Loop: Header=BB132_4 Depth=1
	s_andn2_saveexec_b64 s[0:1], s[24:25]
	s_cbranch_execz .LBB132_90
; %bb.89:                               ;   in Loop: Header=BB132_4 Depth=1
	v_mul_f32_e32 v7, 0x3fb8aa3b, v11
	v_rndne_f32_e32 v8, v7
	v_sub_f32_e32 v9, v7, v8
	v_fma_f32 v7, v11, s52, -v7
	v_fmac_f32_e32 v7, 0x32a5705f, v11
	v_add_f32_e32 v7, v9, v7
	v_cvt_i32_f32_e32 v8, v8
	v_exp_f32_e32 v7, v7
	v_cmp_ngt_f32_e32 vcc, s53, v11
	v_ldexp_f32 v7, v7, v8
	v_cndmask_b32_e32 v7, 0, v7, vcc
	v_cmp_nlt_f32_e32 vcc, s54, v11
	v_cndmask_b32_e32 v7, v23, v7, vcc
	v_mov_b32_e32 v8, v12
.LBB132_90:                             ;   in Loop: Header=BB132_4 Depth=1
	s_or_b64 exec, exec, s[0:1]
	s_waitcnt vmcnt(0)
	v_and_b32_e32 v11, 0x7fffffff, v2
	v_cmp_ne_u32_e32 vcc, 0, v11
                                        ; implicit-def: $vgpr10
	s_and_saveexec_b64 s[0:1], vcc
	s_xor_b64 s[24:25], exec, s[0:1]
	s_cbranch_execz .LBB132_130
; %bb.91:                               ;   in Loop: Header=BB132_4 Depth=1
	v_and_b32_e32 v12, 0x7fffffff, v1
	v_cmp_ne_u32_e32 vcc, 0, v12
                                        ; implicit-def: $vgpr10
	s_and_saveexec_b64 s[0:1], vcc
	s_xor_b64 s[26:27], exec, s[0:1]
	s_cbranch_execz .LBB132_119
; %bb.92:                               ;   in Loop: Header=BB132_4 Depth=1
	v_cmp_gt_u32_e32 vcc, s33, v11
                                        ; implicit-def: $vgpr10
	s_and_saveexec_b64 s[0:1], vcc
	s_xor_b64 s[28:29], exec, s[0:1]
	s_cbranch_execz .LBB132_114
; %bb.93:                               ;   in Loop: Header=BB132_4 Depth=1
	v_add_u32_e32 v9, 0xbd4e8de8, v1
	v_cmp_lt_u32_e32 vcc, s40, v9
                                        ; implicit-def: $vgpr10
	s_and_saveexec_b64 s[0:1], vcc
	s_xor_b64 s[30:31], exec, s[0:1]
	s_cbranch_execz .LBB132_103
; %bb.94:                               ;   in Loop: Header=BB132_4 Depth=1
	v_cmp_nlt_f32_e64 s[34:35], |v2|, s41
                                        ; implicit-def: $vgpr9
                                        ; implicit-def: $vgpr10
	s_and_saveexec_b64 s[0:1], s[34:35]
	s_xor_b64 s[36:37], exec, s[0:1]
	s_cbranch_execz .LBB132_96
; %bb.95:                               ;   in Loop: Header=BB132_4 Depth=1
	v_and_b32_e32 v9, 0x7fffff, v11
	v_or_b32_e32 v30, 0x800000, v9
	v_mad_u64_u32 v[9:10], s[0:1], v30, s42, 0
	v_mov_b32_e32 v13, v10
	v_mad_u64_u32 v[12:13], s[0:1], v30, s43, v[13:14]
	v_lshrrev_b32_e32 v10, 23, v11
	v_add_u32_e32 v10, 0xffffff88, v10
	v_mad_u64_u32 v[25:26], s[0:1], v30, s44, v[13:14]
	v_cmp_lt_u32_e32 vcc, 63, v10
	v_mov_b32_e32 v13, v26
	v_mad_u64_u32 v[26:27], s[0:1], v30, s45, v[13:14]
	v_cndmask_b32_e32 v9, v25, v9, vcc
	v_mov_b32_e32 v13, v27
	v_mad_u64_u32 v[27:28], s[0:1], v30, s46, v[13:14]
	v_cndmask_b32_e32 v13, 0, v21, vcc
	v_add_u32_e32 v10, v13, v10
	v_mov_b32_e32 v13, v28
	v_mad_u64_u32 v[28:29], s[0:1], v30, s47, v[13:14]
	v_cmp_lt_u32_e64 s[0:1], 31, v10
	v_cndmask_b32_e64 v13, 0, v22, s[0:1]
	v_add_u32_e32 v10, v13, v10
	v_mov_b32_e32 v13, v29
	v_mad_u64_u32 v[29:30], s[2:3], v30, s48, v[13:14]
	v_cmp_lt_u32_e64 s[2:3], 31, v10
	v_cndmask_b32_e64 v13, 0, v22, s[2:3]
	v_add_u32_e32 v10, v13, v10
	v_cndmask_b32_e32 v13, v28, v26, vcc
	v_cndmask_b32_e32 v29, v29, v27, vcc
	;; [unrolled: 1-line block ×4, first 2 shown]
	v_cndmask_b32_e64 v30, v29, v13, s[0:1]
	v_cndmask_b32_e64 v28, v28, v29, s[0:1]
	;; [unrolled: 1-line block ×5, first 2 shown]
	v_sub_u32_e32 v30, 32, v10
	v_cmp_eq_u32_e64 s[6:7], 0, v10
	v_cndmask_b32_e32 v10, v26, v12, vcc
	v_cndmask_b32_e64 v12, v27, v10, s[0:1]
	v_alignbit_b32 v31, v28, v29, v30
	v_cndmask_b32_e64 v13, v13, v12, s[2:3]
	v_cndmask_b32_e64 v28, v31, v28, s[6:7]
	v_alignbit_b32 v26, v29, v13, v30
	v_cndmask_b32_e64 v26, v26, v29, s[6:7]
	v_bfe_u32 v31, v28, 29, 1
	v_cndmask_b32_e64 v9, v10, v9, s[0:1]
	v_alignbit_b32 v27, v28, v26, 30
	v_sub_u32_e32 v32, 0, v31
	v_cndmask_b32_e64 v9, v12, v9, s[2:3]
	v_xor_b32_e32 v27, v27, v32
	v_alignbit_b32 v10, v13, v9, v30
	v_cndmask_b32_e64 v10, v10, v13, s[6:7]
	v_ffbh_u32_e32 v13, v27
	v_alignbit_b32 v12, v26, v10, 30
	v_min_u32_e32 v13, 32, v13
	v_alignbit_b32 v9, v10, v9, 30
	v_xor_b32_e32 v12, v12, v32
	v_sub_u32_e32 v25, 31, v13
	v_xor_b32_e32 v9, v9, v32
	v_alignbit_b32 v26, v27, v12, v25
	v_alignbit_b32 v9, v12, v9, v25
	;; [unrolled: 1-line block ×3, first 2 shown]
	v_ffbh_u32_e32 v12, v10
	v_min_u32_e32 v12, 32, v12
	v_lshrrev_b32_e32 v29, 29, v28
	v_not_b32_e32 v25, v12
	v_alignbit_b32 v9, v10, v9, v25
	v_lshlrev_b32_e32 v10, 31, v29
	v_or_b32_e32 v25, 0x33000000, v10
	v_add_lshl_u32 v12, v12, v13, 23
	v_lshrrev_b32_e32 v9, 9, v9
	v_sub_u32_e32 v12, v25, v12
	v_or_b32_e32 v10, 0.5, v10
	v_lshlrev_b32_e32 v13, 23, v13
	v_or_b32_e32 v9, v12, v9
	v_lshrrev_b32_e32 v12, 9, v26
	v_sub_u32_e32 v10, v10, v13
	v_or_b32_e32 v10, v12, v10
	v_mul_f32_e32 v12, 0x3fc90fda, v10
	v_fma_f32 v13, v10, s49, -v12
	v_fmac_f32_e32 v13, 0x33a22168, v10
	v_fmac_f32_e32 v13, 0x3fc90fda, v9
	v_lshrrev_b32_e32 v9, 30, v28
	v_add_f32_e32 v10, v12, v13
	v_add_u32_e32 v9, v31, v9
	s_andn2_saveexec_b64 s[0:1], s[36:37]
	s_branch .LBB132_97
.LBB132_96:                             ;   in Loop: Header=BB132_4 Depth=1
	s_andn2_saveexec_b64 s[0:1], s[36:37]
.LBB132_97:                             ;   in Loop: Header=BB132_4 Depth=1
	v_mul_f32_e64 v9, |v2|, s50
	v_rndne_f32_e32 v12, v9
	v_cvt_i32_f32_e32 v9, v12
	v_fma_f32 v10, v12, s51, |v2|
	v_fmac_f32_e32 v10, 0xb3a22168, v12
	v_fmac_f32_e32 v10, 0xa7c234c4, v12
; %bb.98:                               ;   in Loop: Header=BB132_4 Depth=1
	s_or_b64 exec, exec, s[0:1]
                                        ; implicit-def: $vgpr12
                                        ; implicit-def: $vgpr13
	s_and_saveexec_b64 s[0:1], s[34:35]
	s_xor_b64 s[34:35], exec, s[0:1]
	s_cbranch_execz .LBB132_100
; %bb.99:                               ;   in Loop: Header=BB132_4 Depth=1
	v_and_b32_e32 v12, 0x7fffff, v11
	v_or_b32_e32 v31, 0x800000, v12
	v_mad_u64_u32 v[12:13], s[0:1], v31, s42, 0
	v_mad_u64_u32 v[25:26], s[0:1], v31, s43, v[13:14]
	v_mov_b32_e32 v13, v26
	v_mad_u64_u32 v[26:27], s[0:1], v31, s44, v[13:14]
	v_mov_b32_e32 v13, v27
	v_mad_u64_u32 v[27:28], s[0:1], v31, s45, v[13:14]
	v_lshrrev_b32_e32 v13, 23, v11
	v_add_u32_e32 v30, 0xffffff88, v13
	v_mov_b32_e32 v13, v28
	v_mad_u64_u32 v[28:29], s[0:1], v31, s46, v[13:14]
	v_cmp_lt_u32_e32 vcc, 63, v30
	v_cndmask_b32_e32 v13, 0, v21, vcc
	v_add_u32_e32 v32, v13, v30
	v_mov_b32_e32 v13, v29
	v_mad_u64_u32 v[29:30], s[0:1], v31, s47, v[13:14]
	v_cmp_lt_u32_e64 s[0:1], 31, v32
	v_cndmask_b32_e64 v13, 0, v22, s[0:1]
	v_add_u32_e32 v32, v13, v32
	v_mov_b32_e32 v13, v30
	v_mad_u64_u32 v[30:31], s[2:3], v31, s48, v[13:14]
	v_cmp_lt_u32_e64 s[2:3], 31, v32
	v_cndmask_b32_e64 v13, 0, v22, s[2:3]
	v_add_u32_e32 v13, v13, v32
	v_cndmask_b32_e32 v32, v29, v27, vcc
	v_cndmask_b32_e32 v30, v30, v28, vcc
	;; [unrolled: 1-line block ×4, first 2 shown]
	v_cndmask_b32_e64 v31, v30, v32, s[0:1]
	v_cndmask_b32_e64 v29, v29, v30, s[0:1]
	;; [unrolled: 1-line block ×3, first 2 shown]
	v_sub_u32_e32 v32, 32, v13
	v_cmp_eq_u32_e64 s[6:7], 0, v13
	v_cndmask_b32_e32 v13, v27, v25, vcc
	v_cndmask_b32_e64 v29, v29, v31, s[2:3]
	v_cndmask_b32_e64 v31, v31, v30, s[2:3]
	;; [unrolled: 1-line block ×3, first 2 shown]
	v_alignbit_b32 v33, v29, v31, v32
	v_cndmask_b32_e64 v27, v30, v25, s[2:3]
	v_cndmask_b32_e64 v29, v33, v29, s[6:7]
	v_alignbit_b32 v28, v31, v27, v32
	v_cndmask_b32_e32 v12, v26, v12, vcc
	v_cndmask_b32_e64 v28, v28, v31, s[6:7]
	v_bfe_u32 v33, v29, 29, 1
	v_cndmask_b32_e64 v12, v13, v12, s[0:1]
	v_alignbit_b32 v30, v29, v28, 30
	v_sub_u32_e32 v34, 0, v33
	v_cndmask_b32_e64 v12, v25, v12, s[2:3]
	v_xor_b32_e32 v30, v30, v34
	v_alignbit_b32 v13, v27, v12, v32
	v_cndmask_b32_e64 v13, v13, v27, s[6:7]
	v_ffbh_u32_e32 v26, v30
	v_alignbit_b32 v25, v28, v13, 30
	v_min_u32_e32 v26, 32, v26
	v_alignbit_b32 v12, v13, v12, 30
	v_xor_b32_e32 v25, v25, v34
	v_sub_u32_e32 v27, 31, v26
	v_xor_b32_e32 v12, v12, v34
	v_alignbit_b32 v28, v30, v25, v27
	v_alignbit_b32 v12, v25, v12, v27
	;; [unrolled: 1-line block ×3, first 2 shown]
	v_ffbh_u32_e32 v25, v13
	v_min_u32_e32 v25, 32, v25
	v_lshrrev_b32_e32 v31, 29, v29
	v_not_b32_e32 v27, v25
	v_alignbit_b32 v12, v13, v12, v27
	v_lshlrev_b32_e32 v13, 31, v31
	v_or_b32_e32 v27, 0x33000000, v13
	v_add_lshl_u32 v25, v25, v26, 23
	v_lshrrev_b32_e32 v12, 9, v12
	v_sub_u32_e32 v25, v27, v25
	v_or_b32_e32 v13, 0.5, v13
	v_lshlrev_b32_e32 v26, 23, v26
	v_or_b32_e32 v12, v25, v12
	v_lshrrev_b32_e32 v25, 9, v28
	v_sub_u32_e32 v13, v13, v26
	v_or_b32_e32 v13, v25, v13
	v_mul_f32_e32 v25, 0x3fc90fda, v13
	v_fma_f32 v26, v13, s49, -v25
	v_fmac_f32_e32 v26, 0x33a22168, v13
	v_fmac_f32_e32 v26, 0x3fc90fda, v12
	v_lshrrev_b32_e32 v12, 30, v29
	v_add_f32_e32 v13, v25, v26
	v_add_u32_e32 v12, v33, v12
	s_andn2_saveexec_b64 s[0:1], s[34:35]
	s_cbranch_execnz .LBB132_101
	s_branch .LBB132_102
.LBB132_100:                            ;   in Loop: Header=BB132_4 Depth=1
	s_andn2_saveexec_b64 s[0:1], s[34:35]
.LBB132_101:                            ;   in Loop: Header=BB132_4 Depth=1
	v_mul_f32_e64 v12, |v2|, s50
	v_rndne_f32_e32 v25, v12
	v_cvt_i32_f32_e32 v12, v25
	v_fma_f32 v13, v25, s51, |v2|
	v_fmac_f32_e32 v13, 0xb3a22168, v25
	v_fmac_f32_e32 v13, 0xa7c234c4, v25
.LBB132_102:                            ;   in Loop: Header=BB132_4 Depth=1
	s_or_b64 exec, exec, s[0:1]
	v_mul_f32_e32 v25, 0x3fb8aa3b, v1
	v_rndne_f32_e32 v26, v25
	v_sub_f32_e32 v27, v25, v26
	v_fma_f32 v25, v1, s52, -v25
	v_fmac_f32_e32 v25, 0x32a5705f, v1
	v_add_f32_e32 v25, v27, v25
	v_cvt_i32_f32_e32 v26, v26
	v_exp_f32_e32 v25, v25
	v_mov_b32_e32 v27, 0x3c0881c4
	v_cmp_ngt_f32_e32 vcc, s53, v1
	v_ldexp_f32 v25, v25, v26
	v_mul_f32_e32 v26, v10, v10
	v_fmac_f32_e32 v27, 0xb94c1982, v26
	v_fma_f32 v27, v26, v27, v18
	v_mul_f32_e32 v27, v26, v27
	v_fmac_f32_e32 v10, v10, v27
	v_mov_b32_e32 v27, 0xbab64f3b
	v_fmac_f32_e32 v27, 0x37d75334, v26
	v_fma_f32 v27, v26, v27, v19
	v_fma_f32 v27, v26, v27, v20
	v_cndmask_b32_e32 v25, 0, v25, vcc
	v_cmp_nlt_f32_e32 vcc, s54, v1
	v_fma_f32 v26, v26, v27, 1.0
	v_and_b32_e32 v27, 1, v9
	v_cndmask_b32_e32 v25, v23, v25, vcc
	v_cmp_eq_u32_e32 vcc, 0, v27
	v_lshlrev_b32_e32 v9, 30, v9
	v_cndmask_b32_e64 v10, -v10, v26, vcc
	v_and_b32_e32 v9, 0x80000000, v9
	v_xor_b32_e32 v9, v9, v10
	v_mul_f32_e32 v10, v13, v13
	v_mov_b32_e32 v26, 0x3c0881c4
	v_fmac_f32_e32 v26, 0xb94c1982, v10
	v_fma_f32 v26, v10, v26, v18
	v_mul_f32_e32 v26, v10, v26
	v_fmac_f32_e32 v13, v13, v26
	v_mov_b32_e32 v26, 0xbab64f3b
	v_fmac_f32_e32 v26, 0x37d75334, v10
	v_fma_f32 v26, v10, v26, v19
	v_fma_f32 v26, v10, v26, v20
	v_fma_f32 v10, v10, v26, 1.0
	v_and_b32_e32 v26, 1, v12
	v_cmp_eq_u32_e64 s[0:1], 0, v26
	v_lshlrev_b32_e32 v12, 30, v12
	v_cndmask_b32_e64 v10, v10, v13, s[0:1]
	v_and_or_b32 v11, v12, s55, v11
	v_xor_b32_e32 v10, v11, v10
	v_cmp_class_f32_e64 vcc, v2, s56
	v_xor_b32_e32 v10, v10, v2
	v_cndmask_b32_e32 v9, v24, v9, vcc
	v_cndmask_b32_e32 v10, v24, v10, vcc
	v_mul_f32_e32 v9, v25, v9
	v_mul_f32_e32 v10, v25, v10
                                        ; implicit-def: $vgpr11
.LBB132_103:                            ;   in Loop: Header=BB132_4 Depth=1
	s_andn2_saveexec_b64 s[30:31], s[30:31]
	s_cbranch_execz .LBB132_113
; %bb.104:                              ;   in Loop: Header=BB132_4 Depth=1
	v_cmp_nlt_f32_e64 s[34:35], |v2|, s41
                                        ; implicit-def: $vgpr10
                                        ; implicit-def: $vgpr9
	s_and_saveexec_b64 s[0:1], s[34:35]
	s_xor_b64 s[36:37], exec, s[0:1]
	s_cbranch_execz .LBB132_106
; %bb.105:                              ;   in Loop: Header=BB132_4 Depth=1
	v_and_b32_e32 v9, 0x7fffff, v11
	v_or_b32_e32 v30, 0x800000, v9
	v_mad_u64_u32 v[9:10], s[0:1], v30, s42, 0
	v_mov_b32_e32 v13, v10
	v_mad_u64_u32 v[12:13], s[0:1], v30, s43, v[13:14]
	v_lshrrev_b32_e32 v10, 23, v11
	v_add_u32_e32 v10, 0xffffff88, v10
	v_mad_u64_u32 v[25:26], s[0:1], v30, s44, v[13:14]
	v_cmp_lt_u32_e32 vcc, 63, v10
	v_mov_b32_e32 v13, v26
	v_mad_u64_u32 v[26:27], s[0:1], v30, s45, v[13:14]
	v_cndmask_b32_e32 v9, v25, v9, vcc
	v_mov_b32_e32 v13, v27
	v_mad_u64_u32 v[27:28], s[0:1], v30, s46, v[13:14]
	v_cndmask_b32_e32 v13, 0, v21, vcc
	v_add_u32_e32 v10, v13, v10
	v_mov_b32_e32 v13, v28
	v_mad_u64_u32 v[28:29], s[0:1], v30, s47, v[13:14]
	v_cmp_lt_u32_e64 s[0:1], 31, v10
	v_cndmask_b32_e64 v13, 0, v22, s[0:1]
	v_add_u32_e32 v10, v13, v10
	v_mov_b32_e32 v13, v29
	v_mad_u64_u32 v[29:30], s[2:3], v30, s48, v[13:14]
	v_cmp_lt_u32_e64 s[2:3], 31, v10
	v_cndmask_b32_e64 v13, 0, v22, s[2:3]
	v_add_u32_e32 v10, v13, v10
	v_cndmask_b32_e32 v13, v28, v26, vcc
	v_cndmask_b32_e32 v29, v29, v27, vcc
	;; [unrolled: 1-line block ×4, first 2 shown]
	v_cndmask_b32_e64 v30, v29, v13, s[0:1]
	v_cndmask_b32_e64 v28, v28, v29, s[0:1]
	;; [unrolled: 1-line block ×3, first 2 shown]
	v_cndmask_b32_e32 v12, v26, v12, vcc
	v_cndmask_b32_e64 v28, v28, v30, s[2:3]
	v_cndmask_b32_e64 v29, v30, v13, s[2:3]
	v_sub_u32_e32 v30, 32, v10
	v_cndmask_b32_e64 v26, v27, v12, s[0:1]
	v_alignbit_b32 v31, v28, v29, v30
	v_cmp_eq_u32_e64 s[6:7], 0, v10
	v_cndmask_b32_e64 v13, v13, v26, s[2:3]
	v_cndmask_b32_e64 v10, v31, v28, s[6:7]
	v_alignbit_b32 v27, v29, v13, v30
	v_cndmask_b32_e64 v27, v27, v29, s[6:7]
	v_bfe_u32 v31, v10, 29, 1
	v_cndmask_b32_e64 v9, v12, v9, s[0:1]
	v_alignbit_b32 v28, v10, v27, 30
	v_sub_u32_e32 v32, 0, v31
	v_cndmask_b32_e64 v9, v26, v9, s[2:3]
	v_xor_b32_e32 v28, v28, v32
	v_alignbit_b32 v12, v13, v9, v30
	v_cndmask_b32_e64 v12, v12, v13, s[6:7]
	v_ffbh_u32_e32 v25, v28
	v_alignbit_b32 v13, v27, v12, 30
	v_min_u32_e32 v25, 32, v25
	v_alignbit_b32 v9, v12, v9, 30
	v_xor_b32_e32 v13, v13, v32
	v_sub_u32_e32 v26, 31, v25
	v_xor_b32_e32 v9, v9, v32
	v_alignbit_b32 v27, v28, v13, v26
	v_alignbit_b32 v9, v13, v9, v26
	;; [unrolled: 1-line block ×3, first 2 shown]
	v_ffbh_u32_e32 v13, v12
	v_min_u32_e32 v13, 32, v13
	v_lshrrev_b32_e32 v29, 29, v10
	v_not_b32_e32 v26, v13
	v_alignbit_b32 v9, v12, v9, v26
	v_lshlrev_b32_e32 v12, 31, v29
	v_or_b32_e32 v26, 0x33000000, v12
	v_add_lshl_u32 v13, v13, v25, 23
	v_lshrrev_b32_e32 v9, 9, v9
	v_sub_u32_e32 v13, v26, v13
	v_or_b32_e32 v12, 0.5, v12
	v_lshlrev_b32_e32 v25, 23, v25
	v_or_b32_e32 v9, v13, v9
	v_lshrrev_b32_e32 v13, 9, v27
	v_sub_u32_e32 v12, v12, v25
	v_or_b32_e32 v12, v13, v12
	v_mul_f32_e32 v13, 0x3fc90fda, v12
	v_fma_f32 v25, v12, s49, -v13
	v_fmac_f32_e32 v25, 0x33a22168, v12
	v_fmac_f32_e32 v25, 0x3fc90fda, v9
	v_lshrrev_b32_e32 v10, 30, v10
	v_add_f32_e32 v9, v13, v25
	v_add_u32_e32 v10, v31, v10
	s_andn2_saveexec_b64 s[0:1], s[36:37]
	s_branch .LBB132_107
.LBB132_106:                            ;   in Loop: Header=BB132_4 Depth=1
	s_andn2_saveexec_b64 s[0:1], s[36:37]
.LBB132_107:                            ;   in Loop: Header=BB132_4 Depth=1
	v_mul_f32_e64 v9, |v2|, s50
	v_rndne_f32_e32 v12, v9
	v_cvt_i32_f32_e32 v10, v12
	v_fma_f32 v9, v12, s51, |v2|
	v_fmac_f32_e32 v9, 0xb3a22168, v12
	v_fmac_f32_e32 v9, 0xa7c234c4, v12
; %bb.108:                              ;   in Loop: Header=BB132_4 Depth=1
	s_or_b64 exec, exec, s[0:1]
                                        ; implicit-def: $vgpr12
                                        ; implicit-def: $vgpr13
	s_and_saveexec_b64 s[0:1], s[34:35]
	s_xor_b64 s[34:35], exec, s[0:1]
	s_cbranch_execz .LBB132_110
; %bb.109:                              ;   in Loop: Header=BB132_4 Depth=1
	v_and_b32_e32 v12, 0x7fffff, v11
	v_or_b32_e32 v31, 0x800000, v12
	v_mad_u64_u32 v[12:13], s[0:1], v31, s42, 0
	v_mad_u64_u32 v[25:26], s[0:1], v31, s43, v[13:14]
	v_mov_b32_e32 v13, v26
	v_mad_u64_u32 v[26:27], s[0:1], v31, s44, v[13:14]
	v_mov_b32_e32 v13, v27
	v_mad_u64_u32 v[27:28], s[0:1], v31, s45, v[13:14]
	v_lshrrev_b32_e32 v13, 23, v11
	v_add_u32_e32 v30, 0xffffff88, v13
	v_mov_b32_e32 v13, v28
	v_mad_u64_u32 v[28:29], s[0:1], v31, s46, v[13:14]
	v_cmp_lt_u32_e32 vcc, 63, v30
	v_cndmask_b32_e32 v13, 0, v21, vcc
	v_add_u32_e32 v32, v13, v30
	v_mov_b32_e32 v13, v29
	v_mad_u64_u32 v[29:30], s[0:1], v31, s47, v[13:14]
	v_cmp_lt_u32_e64 s[0:1], 31, v32
	v_cndmask_b32_e64 v13, 0, v22, s[0:1]
	v_add_u32_e32 v32, v13, v32
	v_mov_b32_e32 v13, v30
	v_mad_u64_u32 v[30:31], s[2:3], v31, s48, v[13:14]
	v_cmp_lt_u32_e64 s[2:3], 31, v32
	v_cndmask_b32_e64 v13, 0, v22, s[2:3]
	v_add_u32_e32 v13, v13, v32
	v_cndmask_b32_e32 v32, v29, v27, vcc
	v_cndmask_b32_e32 v30, v30, v28, vcc
	;; [unrolled: 1-line block ×4, first 2 shown]
	v_cndmask_b32_e64 v31, v30, v32, s[0:1]
	v_cndmask_b32_e64 v29, v29, v30, s[0:1]
	;; [unrolled: 1-line block ×3, first 2 shown]
	v_sub_u32_e32 v32, 32, v13
	v_cmp_eq_u32_e64 s[6:7], 0, v13
	v_cndmask_b32_e32 v13, v27, v25, vcc
	v_cndmask_b32_e64 v29, v29, v31, s[2:3]
	v_cndmask_b32_e64 v31, v31, v30, s[2:3]
	;; [unrolled: 1-line block ×3, first 2 shown]
	v_alignbit_b32 v33, v29, v31, v32
	v_cndmask_b32_e64 v27, v30, v25, s[2:3]
	v_cndmask_b32_e64 v29, v33, v29, s[6:7]
	v_alignbit_b32 v28, v31, v27, v32
	v_cndmask_b32_e32 v12, v26, v12, vcc
	v_cndmask_b32_e64 v28, v28, v31, s[6:7]
	v_bfe_u32 v33, v29, 29, 1
	v_cndmask_b32_e64 v12, v13, v12, s[0:1]
	v_alignbit_b32 v30, v29, v28, 30
	v_sub_u32_e32 v34, 0, v33
	v_cndmask_b32_e64 v12, v25, v12, s[2:3]
	v_xor_b32_e32 v30, v30, v34
	v_alignbit_b32 v13, v27, v12, v32
	v_cndmask_b32_e64 v13, v13, v27, s[6:7]
	v_ffbh_u32_e32 v26, v30
	v_alignbit_b32 v25, v28, v13, 30
	v_min_u32_e32 v26, 32, v26
	v_alignbit_b32 v12, v13, v12, 30
	v_xor_b32_e32 v25, v25, v34
	v_sub_u32_e32 v27, 31, v26
	v_xor_b32_e32 v12, v12, v34
	v_alignbit_b32 v28, v30, v25, v27
	v_alignbit_b32 v12, v25, v12, v27
	;; [unrolled: 1-line block ×3, first 2 shown]
	v_ffbh_u32_e32 v25, v13
	v_min_u32_e32 v25, 32, v25
	v_lshrrev_b32_e32 v31, 29, v29
	v_not_b32_e32 v27, v25
	v_alignbit_b32 v12, v13, v12, v27
	v_lshlrev_b32_e32 v13, 31, v31
	v_or_b32_e32 v27, 0x33000000, v13
	v_add_lshl_u32 v25, v25, v26, 23
	v_lshrrev_b32_e32 v12, 9, v12
	v_sub_u32_e32 v25, v27, v25
	v_or_b32_e32 v13, 0.5, v13
	v_lshlrev_b32_e32 v26, 23, v26
	v_or_b32_e32 v12, v25, v12
	v_lshrrev_b32_e32 v25, 9, v28
	v_sub_u32_e32 v13, v13, v26
	v_or_b32_e32 v13, v25, v13
	v_mul_f32_e32 v25, 0x3fc90fda, v13
	v_fma_f32 v26, v13, s49, -v25
	v_fmac_f32_e32 v26, 0x33a22168, v13
	v_fmac_f32_e32 v26, 0x3fc90fda, v12
	v_lshrrev_b32_e32 v12, 30, v29
	v_add_f32_e32 v13, v25, v26
	v_add_u32_e32 v12, v33, v12
	s_andn2_saveexec_b64 s[0:1], s[34:35]
	s_cbranch_execnz .LBB132_111
	s_branch .LBB132_112
.LBB132_110:                            ;   in Loop: Header=BB132_4 Depth=1
	s_andn2_saveexec_b64 s[0:1], s[34:35]
.LBB132_111:                            ;   in Loop: Header=BB132_4 Depth=1
	v_mul_f32_e64 v12, |v2|, s50
	v_rndne_f32_e32 v25, v12
	v_cvt_i32_f32_e32 v12, v25
	v_fma_f32 v13, v25, s51, |v2|
	v_fmac_f32_e32 v13, 0xb3a22168, v25
	v_fmac_f32_e32 v13, 0xa7c234c4, v25
.LBB132_112:                            ;   in Loop: Header=BB132_4 Depth=1
	s_or_b64 exec, exec, s[0:1]
	v_mul_f32_e32 v26, v9, v9
	v_mov_b32_e32 v27, 0xbab64f3b
	v_fmac_f32_e32 v27, 0x37d75334, v26
	v_mov_b32_e32 v28, 0x3c0881c4
	v_fma_f32 v27, v26, v27, v19
	v_fmac_f32_e32 v28, 0xb94c1982, v26
	v_lshlrev_b32_e32 v25, 30, v10
	v_and_b32_e32 v10, 1, v10
	v_fma_f32 v27, v26, v27, v20
	v_fma_f32 v28, v26, v28, v18
	v_fma_f32 v27, v26, v27, 1.0
	v_mul_f32_e32 v26, v26, v28
	v_cmp_eq_u32_e32 vcc, 0, v10
	v_add_f32_e32 v10, 0xc322e3bc, v1
	v_fmac_f32_e32 v9, v9, v26
	v_mul_f32_e32 v26, 0x3fb8aa3b, v10
	v_cndmask_b32_e64 v9, -v9, v27, vcc
	v_fma_f32 v27, v10, s52, -v26
	v_rndne_f32_e32 v28, v26
	v_fmac_f32_e32 v27, 0x32a5705f, v10
	v_sub_f32_e32 v26, v26, v28
	v_add_f32_e32 v26, v26, v27
	v_exp_f32_e32 v26, v26
	v_cvt_i32_f32_e32 v27, v28
	v_and_b32_e32 v25, 0x80000000, v25
	v_xor_b32_e32 v9, v25, v9
	v_cmp_ngt_f32_e64 s[0:1], s53, v10
	v_ldexp_f32 v25, v26, v27
	v_cndmask_b32_e64 v25, 0, v25, s[0:1]
	v_cmp_nlt_f32_e64 s[0:1], s54, v10
	v_cndmask_b32_e64 v10, v23, v25, s[0:1]
	v_and_b32_e32 v25, 0x7fffff, v10
	v_lshrrev_b32_e32 v10, 23, v10
	v_subrev_u32_e32 v10, 19, v10
	v_lshrrev_b16_e32 v26, 15, v10
	v_add_u16_e32 v26, v10, v26
	v_ashrrev_i16_e32 v26, 1, v26
	v_bfe_i32 v26, v26, 0, 16
	v_lshl_add_u32 v27, v26, 23, 1.0
	v_sub_u32_e32 v10, v10, v26
	v_mul_f32_e32 v26, v13, v13
	v_mov_b32_e32 v28, 0x3c0881c4
	v_fmac_f32_e32 v28, 0xb94c1982, v26
	v_fma_f32 v28, v26, v28, v18
	v_mul_f32_e32 v28, v26, v28
	v_fmac_f32_e32 v13, v13, v28
	v_mov_b32_e32 v28, 0xbab64f3b
	v_fmac_f32_e32 v28, 0x37d75334, v26
	v_fma_f32 v28, v26, v28, v19
	v_fma_f32 v28, v26, v28, v20
	v_fma_f32 v26, v26, v28, 1.0
	v_and_b32_e32 v28, 1, v12
	v_cmp_eq_u32_e64 s[0:1], 0, v28
	v_lshlrev_b32_e32 v12, 30, v12
	v_cndmask_b32_e64 v13, v26, v13, s[0:1]
	v_and_or_b32 v11, v12, s55, v11
	v_xor_b32_e32 v11, v11, v13
	v_cmp_class_f32_e64 vcc, v2, s56
	v_xor_b32_e32 v11, v11, v2
	v_cndmask_b32_e32 v9, v24, v9, vcc
	v_or_b32_e32 v25, 0x7f000000, v25
	v_cndmask_b32_e32 v11, v24, v11, vcc
	v_mul_f32_e32 v9, v9, v25
	v_mul_f32_e32 v11, v11, v25
	;; [unrolled: 1-line block ×3, first 2 shown]
	v_lshl_add_u32 v10, v10, 23, 1.0
	v_mul_f32_e32 v11, v11, v27
	v_mul_f32_e32 v9, v9, v10
	;; [unrolled: 1-line block ×3, first 2 shown]
.LBB132_113:                            ;   in Loop: Header=BB132_4 Depth=1
	s_or_b64 exec, exec, s[30:31]
                                        ; implicit-def: $vgpr12
.LBB132_114:                            ;   in Loop: Header=BB132_4 Depth=1
	s_andn2_saveexec_b64 s[0:1], s[28:29]
	s_cbranch_execz .LBB132_118
; %bb.115:                              ;   in Loop: Header=BB132_4 Depth=1
	v_cmp_ne_u32_e32 vcc, s33, v12
	v_sub_f32_e32 v10, v2, v2
	s_and_saveexec_b64 s[2:3], vcc
	s_xor_b64 s[2:3], exec, s[2:3]
	s_or_saveexec_b64 s[2:3], s[2:3]
	v_mov_b32_e32 v9, v10
	s_xor_b64 exec, exec, s[2:3]
; %bb.116:                              ;   in Loop: Header=BB132_4 Depth=1
	v_cmp_lt_i32_e32 vcc, -1, v1
	v_cndmask_b32_e32 v9, 0, v1, vcc
	v_cndmask_b32_e32 v10, 0, v10, vcc
; %bb.117:                              ;   in Loop: Header=BB132_4 Depth=1
	s_or_b64 exec, exec, s[2:3]
.LBB132_118:                            ;   in Loop: Header=BB132_4 Depth=1
	s_or_b64 exec, exec, s[0:1]
                                        ; implicit-def: $vgpr11
.LBB132_119:                            ;   in Loop: Header=BB132_4 Depth=1
	s_andn2_saveexec_b64 s[26:27], s[26:27]
	s_cbranch_execz .LBB132_129
; %bb.120:                              ;   in Loop: Header=BB132_4 Depth=1
	v_lshrrev_b32_e32 v9, 23, v11
	v_and_b32_e32 v10, 0x7fffff, v11
	v_cmp_nlt_f32_e64 s[28:29], |v2|, s41
	v_add_u32_e32 v25, 0xffffff88, v9
	v_or_b32_e32 v9, 0x800000, v10
                                        ; implicit-def: $vgpr10
                                        ; implicit-def: $vgpr12
	s_and_saveexec_b64 s[0:1], s[28:29]
	s_xor_b64 s[30:31], exec, s[0:1]
	s_cbranch_execz .LBB132_122
; %bb.121:                              ;   in Loop: Header=BB132_4 Depth=1
	v_mad_u64_u32 v[12:13], s[0:1], v9, s42, 0
	v_cmp_lt_u32_e32 vcc, 63, v25
	v_cndmask_b32_e32 v10, 0, v21, vcc
	v_mad_u64_u32 v[26:27], s[0:1], v9, s43, v[13:14]
	v_add_u32_e32 v10, v10, v25
	v_mov_b32_e32 v13, v27
	v_mad_u64_u32 v[27:28], s[0:1], v9, s44, v[13:14]
	v_mov_b32_e32 v13, v28
	v_mad_u64_u32 v[28:29], s[0:1], v9, s45, v[13:14]
	v_cndmask_b32_e32 v12, v27, v12, vcc
	v_mov_b32_e32 v13, v29
	v_mad_u64_u32 v[29:30], s[0:1], v9, s46, v[13:14]
	v_cmp_lt_u32_e64 s[0:1], 31, v10
	v_cndmask_b32_e64 v13, 0, v22, s[0:1]
	v_add_u32_e32 v10, v13, v10
	v_mov_b32_e32 v13, v30
	v_mad_u64_u32 v[30:31], s[2:3], v9, s47, v[13:14]
	v_cmp_lt_u32_e64 s[2:3], 31, v10
	v_cndmask_b32_e64 v13, 0, v22, s[2:3]
	v_add_u32_e32 v10, v13, v10
	v_mov_b32_e32 v13, v31
	v_mad_u64_u32 v[31:32], s[6:7], v9, s48, v[13:14]
	v_cndmask_b32_e32 v13, v29, v27, vcc
	v_cndmask_b32_e32 v33, v30, v28, vcc
	;; [unrolled: 1-line block ×4, first 2 shown]
	v_cndmask_b32_e64 v34, v33, v13, s[0:1]
	v_cndmask_b32_e64 v31, v29, v33, s[0:1]
	;; [unrolled: 1-line block ×3, first 2 shown]
	v_cndmask_b32_e32 v26, v28, v26, vcc
	v_cndmask_b32_e64 v29, v29, v31, s[2:3]
	v_cndmask_b32_e64 v30, v31, v34, s[2:3]
	v_sub_u32_e32 v31, 32, v10
	v_cndmask_b32_e64 v13, v13, v26, s[0:1]
	v_alignbit_b32 v32, v29, v30, v31
	v_cmp_eq_u32_e64 s[6:7], 0, v10
	v_cndmask_b32_e64 v28, v34, v13, s[2:3]
	v_cndmask_b32_e64 v10, v32, v29, s[6:7]
	v_alignbit_b32 v29, v30, v28, v31
	v_cndmask_b32_e64 v29, v29, v30, s[6:7]
	v_bfe_u32 v33, v10, 29, 1
	v_cndmask_b32_e64 v12, v26, v12, s[0:1]
	v_alignbit_b32 v30, v10, v29, 30
	v_sub_u32_e32 v34, 0, v33
	v_cndmask_b32_e64 v12, v13, v12, s[2:3]
	v_xor_b32_e32 v30, v30, v34
	v_alignbit_b32 v13, v28, v12, v31
	v_cndmask_b32_e64 v13, v13, v28, s[6:7]
	v_ffbh_u32_e32 v27, v30
	v_alignbit_b32 v26, v29, v13, 30
	v_min_u32_e32 v27, 32, v27
	v_alignbit_b32 v12, v13, v12, 30
	v_xor_b32_e32 v26, v26, v34
	v_sub_u32_e32 v28, 31, v27
	v_xor_b32_e32 v12, v12, v34
	v_alignbit_b32 v29, v30, v26, v28
	v_alignbit_b32 v12, v26, v12, v28
	;; [unrolled: 1-line block ×3, first 2 shown]
	v_ffbh_u32_e32 v26, v13
	v_min_u32_e32 v26, 32, v26
	v_lshrrev_b32_e32 v32, 29, v10
	v_not_b32_e32 v28, v26
	v_alignbit_b32 v12, v13, v12, v28
	v_lshlrev_b32_e32 v13, 31, v32
	v_or_b32_e32 v28, 0x33000000, v13
	v_add_lshl_u32 v26, v26, v27, 23
	v_lshrrev_b32_e32 v12, 9, v12
	v_sub_u32_e32 v26, v28, v26
	v_or_b32_e32 v13, 0.5, v13
	v_lshlrev_b32_e32 v27, 23, v27
	v_or_b32_e32 v12, v26, v12
	v_lshrrev_b32_e32 v26, 9, v29
	v_sub_u32_e32 v13, v13, v27
	v_or_b32_e32 v13, v26, v13
	v_mul_f32_e32 v26, 0x3fc90fda, v13
	v_fma_f32 v27, v13, s49, -v26
	v_fmac_f32_e32 v27, 0x33a22168, v13
	v_fmac_f32_e32 v27, 0x3fc90fda, v12
	v_lshrrev_b32_e32 v10, 30, v10
	v_add_f32_e32 v12, v26, v27
	v_add_u32_e32 v10, v33, v10
.LBB132_122:                            ;   in Loop: Header=BB132_4 Depth=1
	s_or_saveexec_b64 s[0:1], s[30:31]
	v_mul_f32_e64 v13, |v2|, s50
	v_rndne_f32_e32 v27, v13
	s_xor_b64 exec, exec, s[0:1]
; %bb.123:                              ;   in Loop: Header=BB132_4 Depth=1
	v_cvt_i32_f32_e32 v10, v27
	v_fma_f32 v12, v27, s51, |v2|
	v_fmac_f32_e32 v12, 0xb3a22168, v27
	v_fmac_f32_e32 v12, 0xa7c234c4, v27
; %bb.124:                              ;   in Loop: Header=BB132_4 Depth=1
	s_or_b64 exec, exec, s[0:1]
                                        ; implicit-def: $vgpr13
                                        ; implicit-def: $vgpr26
	s_and_saveexec_b64 s[0:1], s[28:29]
	s_xor_b64 s[28:29], exec, s[0:1]
	s_cbranch_execz .LBB132_126
; %bb.125:                              ;   in Loop: Header=BB132_4 Depth=1
	v_mad_u64_u32 v[26:27], s[0:1], v9, s42, 0
	v_cmp_lt_u32_e32 vcc, 63, v25
	v_mov_b32_e32 v13, v27
	v_mad_u64_u32 v[27:28], s[0:1], v9, s43, v[13:14]
	v_mov_b32_e32 v13, v28
	v_mad_u64_u32 v[28:29], s[0:1], v9, s44, v[13:14]
	v_mov_b32_e32 v13, v29
	v_mad_u64_u32 v[29:30], s[0:1], v9, s45, v[13:14]
	v_cndmask_b32_e32 v13, 0, v21, vcc
	v_add_u32_e32 v25, v13, v25
	v_mov_b32_e32 v13, v30
	v_mad_u64_u32 v[30:31], s[0:1], v9, s46, v[13:14]
	v_cmp_lt_u32_e64 s[0:1], 31, v25
	v_cndmask_b32_e64 v13, 0, v22, s[0:1]
	v_add_u32_e32 v25, v13, v25
	v_mov_b32_e32 v13, v31
	v_mad_u64_u32 v[31:32], s[2:3], v9, s47, v[13:14]
	v_cmp_lt_u32_e64 s[2:3], 31, v25
	v_cndmask_b32_e64 v13, 0, v22, s[2:3]
	v_add_u32_e32 v25, v13, v25
	v_mov_b32_e32 v13, v32
	v_mad_u64_u32 v[32:33], s[6:7], v9, s48, v[13:14]
	v_cndmask_b32_e32 v9, v30, v28, vcc
	v_cndmask_b32_e32 v13, v31, v29, vcc
	v_cndmask_b32_e32 v30, v32, v30, vcc
	v_cndmask_b32_e32 v31, v33, v31, vcc
	v_cndmask_b32_e64 v34, v13, v9, s[0:1]
	v_cndmask_b32_e64 v13, v30, v13, s[0:1]
	;; [unrolled: 1-line block ×3, first 2 shown]
	v_cndmask_b32_e32 v27, v29, v27, vcc
	v_cndmask_b32_e64 v30, v30, v13, s[2:3]
	v_cndmask_b32_e64 v13, v13, v34, s[2:3]
	v_sub_u32_e32 v31, 32, v25
	v_cndmask_b32_e64 v9, v9, v27, s[0:1]
	v_alignbit_b32 v32, v30, v13, v31
	v_cmp_eq_u32_e64 s[6:7], 0, v25
	v_cndmask_b32_e64 v29, v34, v9, s[2:3]
	v_cndmask_b32_e64 v25, v32, v30, s[6:7]
	v_alignbit_b32 v30, v13, v29, v31
	v_cndmask_b32_e32 v26, v28, v26, vcc
	v_cndmask_b32_e64 v13, v30, v13, s[6:7]
	v_bfe_u32 v33, v25, 29, 1
	v_cndmask_b32_e64 v26, v27, v26, s[0:1]
	v_alignbit_b32 v30, v25, v13, 30
	v_sub_u32_e32 v34, 0, v33
	v_cndmask_b32_e64 v9, v9, v26, s[2:3]
	v_xor_b32_e32 v30, v30, v34
	v_alignbit_b32 v26, v29, v9, v31
	v_cndmask_b32_e64 v26, v26, v29, s[6:7]
	v_ffbh_u32_e32 v27, v30
	v_alignbit_b32 v13, v13, v26, 30
	v_min_u32_e32 v27, 32, v27
	v_alignbit_b32 v9, v26, v9, 30
	v_xor_b32_e32 v13, v13, v34
	v_sub_u32_e32 v28, 31, v27
	v_xor_b32_e32 v9, v9, v34
	v_alignbit_b32 v29, v30, v13, v28
	v_alignbit_b32 v9, v13, v9, v28
	;; [unrolled: 1-line block ×3, first 2 shown]
	v_ffbh_u32_e32 v26, v13
	v_min_u32_e32 v26, 32, v26
	v_lshrrev_b32_e32 v32, 29, v25
	v_not_b32_e32 v28, v26
	v_alignbit_b32 v9, v13, v9, v28
	v_lshlrev_b32_e32 v13, 31, v32
	v_or_b32_e32 v28, 0x33000000, v13
	v_add_lshl_u32 v26, v26, v27, 23
	v_lshrrev_b32_e32 v9, 9, v9
	v_sub_u32_e32 v26, v28, v26
	v_or_b32_e32 v13, 0.5, v13
	v_lshlrev_b32_e32 v27, 23, v27
	v_or_b32_e32 v9, v26, v9
	v_lshrrev_b32_e32 v26, 9, v29
	v_sub_u32_e32 v13, v13, v27
	v_or_b32_e32 v13, v26, v13
	v_mul_f32_e32 v26, 0x3fc90fda, v13
	v_fma_f32 v27, v13, s49, -v26
	v_fmac_f32_e32 v27, 0x33a22168, v13
	v_fmac_f32_e32 v27, 0x3fc90fda, v9
	v_lshrrev_b32_e32 v9, 30, v25
	v_add_f32_e32 v26, v26, v27
	v_add_u32_e32 v13, v33, v9
                                        ; implicit-def: $vgpr27
	s_andn2_saveexec_b64 s[0:1], s[28:29]
	s_cbranch_execnz .LBB132_127
	s_branch .LBB132_128
.LBB132_126:                            ;   in Loop: Header=BB132_4 Depth=1
	s_andn2_saveexec_b64 s[0:1], s[28:29]
.LBB132_127:                            ;   in Loop: Header=BB132_4 Depth=1
	v_cvt_i32_f32_e32 v13, v27
	v_fma_f32 v26, v27, s51, |v2|
	v_fmac_f32_e32 v26, 0xb3a22168, v27
	v_fmac_f32_e32 v26, 0xa7c234c4, v27
.LBB132_128:                            ;   in Loop: Header=BB132_4 Depth=1
	s_or_b64 exec, exec, s[0:1]
	v_mul_f32_e32 v9, v12, v12
	v_mov_b32_e32 v25, 0x3c0881c4
	v_fmac_f32_e32 v25, 0xb94c1982, v9
	v_fma_f32 v25, v9, v25, v18
	v_mul_f32_e32 v25, v9, v25
	v_fmac_f32_e32 v12, v12, v25
	v_mov_b32_e32 v25, 0xbab64f3b
	v_fmac_f32_e32 v25, 0x37d75334, v9
	v_fma_f32 v25, v9, v25, v19
	v_fma_f32 v25, v9, v25, v20
	v_fma_f32 v9, v9, v25, 1.0
	v_and_b32_e32 v25, 1, v10
	v_cmp_eq_u32_e32 vcc, 0, v25
	v_lshlrev_b32_e32 v10, 30, v10
	v_cndmask_b32_e64 v9, -v12, v9, vcc
	v_and_b32_e32 v10, 0x80000000, v10
	v_xor_b32_e32 v9, v10, v9
	v_mul_f32_e32 v10, v26, v26
	v_mov_b32_e32 v12, 0x3c0881c4
	v_fmac_f32_e32 v12, 0xb94c1982, v10
	v_fma_f32 v12, v10, v12, v18
	v_mul_f32_e32 v12, v10, v12
	v_fmac_f32_e32 v26, v26, v12
	v_mov_b32_e32 v12, 0xbab64f3b
	v_fmac_f32_e32 v12, 0x37d75334, v10
	v_fma_f32 v12, v10, v12, v19
	v_fma_f32 v12, v10, v12, v20
	v_fma_f32 v10, v10, v12, 1.0
	v_and_b32_e32 v12, 1, v13
	v_cmp_eq_u32_e64 s[0:1], 0, v12
	v_lshlrev_b32_e32 v12, 30, v13
	v_cndmask_b32_e64 v10, v10, v26, s[0:1]
	v_and_or_b32 v11, v12, s55, v11
	v_xor_b32_e32 v10, v11, v10
	v_cmp_class_f32_e64 vcc, v2, s56
	v_xor_b32_e32 v10, v10, v2
	v_cndmask_b32_e32 v9, v24, v9, vcc
	v_cndmask_b32_e32 v10, v24, v10, vcc
.LBB132_129:                            ;   in Loop: Header=BB132_4 Depth=1
	s_or_b64 exec, exec, s[26:27]
.LBB132_130:                            ;   in Loop: Header=BB132_4 Depth=1
	s_andn2_saveexec_b64 s[0:1], s[24:25]
	s_cbranch_execz .LBB132_132
; %bb.131:                              ;   in Loop: Header=BB132_4 Depth=1
	v_mul_f32_e32 v9, 0x3fb8aa3b, v1
	v_rndne_f32_e32 v10, v9
	v_sub_f32_e32 v11, v9, v10
	v_fma_f32 v9, v1, s52, -v9
	v_fmac_f32_e32 v9, 0x32a5705f, v1
	v_add_f32_e32 v9, v11, v9
	v_cvt_i32_f32_e32 v10, v10
	v_exp_f32_e32 v9, v9
	v_cmp_ngt_f32_e32 vcc, s53, v1
	v_ldexp_f32 v9, v9, v10
	v_cndmask_b32_e32 v9, 0, v9, vcc
	v_cmp_nlt_f32_e32 vcc, s54, v1
	v_cndmask_b32_e32 v9, v23, v9, vcc
	v_mov_b32_e32 v10, v2
.LBB132_132:                            ;   in Loop: Header=BB132_4 Depth=1
	s_or_b64 exec, exec, s[0:1]
	v_and_b32_e32 v1, 0x7fffffff, v4
	v_cmp_ne_u32_e32 vcc, 0, v1
	s_and_saveexec_b64 s[0:1], vcc
	s_xor_b64 s[24:25], exec, s[0:1]
	s_cbranch_execz .LBB132_174
; %bb.133:                              ;   in Loop: Header=BB132_4 Depth=1
	v_and_b32_e32 v2, 0x7fffffff, v3
	v_cmp_ne_u32_e32 vcc, 0, v2
	s_and_saveexec_b64 s[0:1], vcc
	s_xor_b64 s[26:27], exec, s[0:1]
	s_cbranch_execz .LBB132_163
; %bb.134:                              ;   in Loop: Header=BB132_4 Depth=1
	v_cmp_gt_u32_e32 vcc, s33, v1
	s_and_saveexec_b64 s[0:1], vcc
	s_xor_b64 s[28:29], exec, s[0:1]
	s_cbranch_execz .LBB132_156
; %bb.135:                              ;   in Loop: Header=BB132_4 Depth=1
	v_add_u32_e32 v2, 0xbd4e8de8, v3
	v_cmp_lt_u32_e32 vcc, s40, v2
	s_and_saveexec_b64 s[0:1], vcc
	s_xor_b64 s[30:31], exec, s[0:1]
	s_cbranch_execz .LBB132_145
; %bb.136:                              ;   in Loop: Header=BB132_4 Depth=1
	v_cmp_nlt_f32_e64 s[34:35], |v4|, s41
                                        ; implicit-def: $vgpr2
                                        ; implicit-def: $vgpr11
	s_and_saveexec_b64 s[0:1], s[34:35]
	s_xor_b64 s[36:37], exec, s[0:1]
	s_cbranch_execz .LBB132_138
; %bb.137:                              ;   in Loop: Header=BB132_4 Depth=1
	v_and_b32_e32 v2, 0x7fffff, v1
	v_or_b32_e32 v2, 0x800000, v2
	v_mad_u64_u32 v[11:12], s[0:1], v2, s42, 0
	v_mov_b32_e32 v13, v12
	v_mad_u64_u32 v[12:13], s[0:1], v2, s43, v[13:14]
	v_mad_u64_u32 v[25:26], s[0:1], v2, s44, v[13:14]
	v_mov_b32_e32 v13, v26
	v_mad_u64_u32 v[26:27], s[0:1], v2, s45, v[13:14]
	v_lshrrev_b32_e32 v13, 23, v1
	v_add_u32_e32 v29, 0xffffff88, v13
	v_mov_b32_e32 v13, v27
	v_mad_u64_u32 v[27:28], s[0:1], v2, s46, v[13:14]
	v_cmp_lt_u32_e32 vcc, 63, v29
	v_cndmask_b32_e32 v13, 0, v21, vcc
	v_add_u32_e32 v30, v13, v29
	v_mov_b32_e32 v13, v28
	v_mad_u64_u32 v[28:29], s[0:1], v2, s47, v[13:14]
	v_cmp_lt_u32_e64 s[0:1], 31, v30
	v_cndmask_b32_e64 v13, 0, v22, s[0:1]
	v_add_u32_e32 v31, v13, v30
	v_mov_b32_e32 v13, v29
	v_mad_u64_u32 v[29:30], s[2:3], v2, s48, v[13:14]
	v_cmp_lt_u32_e64 s[2:3], 31, v31
	v_cndmask_b32_e64 v2, 0, v22, s[2:3]
	v_cndmask_b32_e32 v13, v28, v26, vcc
	v_cndmask_b32_e32 v29, v29, v27, vcc
	;; [unrolled: 1-line block ×4, first 2 shown]
	v_add_u32_e32 v2, v2, v31
	v_cndmask_b32_e64 v30, v29, v13, s[0:1]
	v_cndmask_b32_e64 v28, v28, v29, s[0:1]
	;; [unrolled: 1-line block ×3, first 2 shown]
	v_cndmask_b32_e32 v12, v26, v12, vcc
	v_cndmask_b32_e64 v28, v28, v30, s[2:3]
	v_cndmask_b32_e64 v29, v30, v13, s[2:3]
	v_sub_u32_e32 v30, 32, v2
	v_cndmask_b32_e64 v26, v27, v12, s[0:1]
	v_alignbit_b32 v31, v28, v29, v30
	v_cmp_eq_u32_e64 s[6:7], 0, v2
	v_cndmask_b32_e64 v13, v13, v26, s[2:3]
	v_cndmask_b32_e64 v2, v31, v28, s[6:7]
	v_alignbit_b32 v27, v29, v13, v30
	v_cndmask_b32_e32 v11, v25, v11, vcc
	v_cndmask_b32_e64 v27, v27, v29, s[6:7]
	v_bfe_u32 v31, v2, 29, 1
	v_cndmask_b32_e64 v11, v12, v11, s[0:1]
	v_alignbit_b32 v28, v2, v27, 30
	v_sub_u32_e32 v32, 0, v31
	v_cndmask_b32_e64 v11, v26, v11, s[2:3]
	v_xor_b32_e32 v28, v28, v32
	v_alignbit_b32 v12, v13, v11, v30
	v_cndmask_b32_e64 v12, v12, v13, s[6:7]
	v_ffbh_u32_e32 v25, v28
	v_alignbit_b32 v13, v27, v12, 30
	v_min_u32_e32 v25, 32, v25
	v_alignbit_b32 v11, v12, v11, 30
	v_xor_b32_e32 v13, v13, v32
	v_sub_u32_e32 v26, 31, v25
	v_xor_b32_e32 v11, v11, v32
	v_alignbit_b32 v27, v28, v13, v26
	v_alignbit_b32 v11, v13, v11, v26
	;; [unrolled: 1-line block ×3, first 2 shown]
	v_ffbh_u32_e32 v13, v12
	v_min_u32_e32 v13, 32, v13
	v_lshrrev_b32_e32 v29, 29, v2
	v_not_b32_e32 v26, v13
	v_alignbit_b32 v11, v12, v11, v26
	v_lshlrev_b32_e32 v12, 31, v29
	v_or_b32_e32 v26, 0x33000000, v12
	v_add_lshl_u32 v13, v13, v25, 23
	v_lshrrev_b32_e32 v11, 9, v11
	v_sub_u32_e32 v13, v26, v13
	v_or_b32_e32 v12, 0.5, v12
	v_lshlrev_b32_e32 v25, 23, v25
	v_or_b32_e32 v11, v13, v11
	v_lshrrev_b32_e32 v13, 9, v27
	v_sub_u32_e32 v12, v12, v25
	v_or_b32_e32 v12, v13, v12
	v_mul_f32_e32 v13, 0x3fc90fda, v12
	v_fma_f32 v25, v12, s49, -v13
	v_fmac_f32_e32 v25, 0x33a22168, v12
	v_fmac_f32_e32 v25, 0x3fc90fda, v11
	v_lshrrev_b32_e32 v2, 30, v2
	v_add_f32_e32 v11, v13, v25
	v_add_u32_e32 v2, v31, v2
	s_andn2_saveexec_b64 s[0:1], s[36:37]
	s_branch .LBB132_139
.LBB132_138:                            ;   in Loop: Header=BB132_4 Depth=1
	s_andn2_saveexec_b64 s[0:1], s[36:37]
.LBB132_139:                            ;   in Loop: Header=BB132_4 Depth=1
	v_mul_f32_e64 v2, |v4|, s50
	v_rndne_f32_e32 v12, v2
	v_cvt_i32_f32_e32 v2, v12
	v_fma_f32 v11, v12, s51, |v4|
	v_fmac_f32_e32 v11, 0xb3a22168, v12
	v_fmac_f32_e32 v11, 0xa7c234c4, v12
; %bb.140:                              ;   in Loop: Header=BB132_4 Depth=1
	s_or_b64 exec, exec, s[0:1]
                                        ; implicit-def: $vgpr12
                                        ; implicit-def: $vgpr13
	s_and_saveexec_b64 s[0:1], s[34:35]
	s_xor_b64 s[34:35], exec, s[0:1]
	s_cbranch_execz .LBB132_142
; %bb.141:                              ;   in Loop: Header=BB132_4 Depth=1
	v_and_b32_e32 v12, 0x7fffff, v1
	v_or_b32_e32 v31, 0x800000, v12
	v_mad_u64_u32 v[12:13], s[0:1], v31, s42, 0
	v_mad_u64_u32 v[25:26], s[0:1], v31, s43, v[13:14]
	v_mov_b32_e32 v13, v26
	v_mad_u64_u32 v[26:27], s[0:1], v31, s44, v[13:14]
	v_mov_b32_e32 v13, v27
	v_mad_u64_u32 v[27:28], s[0:1], v31, s45, v[13:14]
	v_lshrrev_b32_e32 v13, 23, v1
	v_add_u32_e32 v30, 0xffffff88, v13
	v_mov_b32_e32 v13, v28
	v_mad_u64_u32 v[28:29], s[0:1], v31, s46, v[13:14]
	v_cmp_lt_u32_e32 vcc, 63, v30
	v_cndmask_b32_e32 v13, 0, v21, vcc
	v_add_u32_e32 v32, v13, v30
	v_mov_b32_e32 v13, v29
	v_mad_u64_u32 v[29:30], s[0:1], v31, s47, v[13:14]
	v_cmp_lt_u32_e64 s[0:1], 31, v32
	v_cndmask_b32_e64 v13, 0, v22, s[0:1]
	v_add_u32_e32 v32, v13, v32
	v_mov_b32_e32 v13, v30
	v_mad_u64_u32 v[30:31], s[2:3], v31, s48, v[13:14]
	v_cmp_lt_u32_e64 s[2:3], 31, v32
	v_cndmask_b32_e64 v13, 0, v22, s[2:3]
	v_add_u32_e32 v13, v13, v32
	v_cndmask_b32_e32 v32, v29, v27, vcc
	v_cndmask_b32_e32 v30, v30, v28, vcc
	;; [unrolled: 1-line block ×4, first 2 shown]
	v_cndmask_b32_e64 v31, v30, v32, s[0:1]
	v_cndmask_b32_e64 v29, v29, v30, s[0:1]
	v_cndmask_b32_e64 v30, v32, v28, s[0:1]
	v_sub_u32_e32 v32, 32, v13
	v_cmp_eq_u32_e64 s[6:7], 0, v13
	v_cndmask_b32_e32 v13, v27, v25, vcc
	v_cndmask_b32_e64 v29, v29, v31, s[2:3]
	v_cndmask_b32_e64 v31, v31, v30, s[2:3]
	;; [unrolled: 1-line block ×3, first 2 shown]
	v_alignbit_b32 v33, v29, v31, v32
	v_cndmask_b32_e64 v27, v30, v25, s[2:3]
	v_cndmask_b32_e64 v29, v33, v29, s[6:7]
	v_alignbit_b32 v28, v31, v27, v32
	v_cndmask_b32_e32 v12, v26, v12, vcc
	v_cndmask_b32_e64 v28, v28, v31, s[6:7]
	v_bfe_u32 v33, v29, 29, 1
	v_cndmask_b32_e64 v12, v13, v12, s[0:1]
	v_alignbit_b32 v30, v29, v28, 30
	v_sub_u32_e32 v34, 0, v33
	v_cndmask_b32_e64 v12, v25, v12, s[2:3]
	v_xor_b32_e32 v30, v30, v34
	v_alignbit_b32 v13, v27, v12, v32
	v_cndmask_b32_e64 v13, v13, v27, s[6:7]
	v_ffbh_u32_e32 v26, v30
	v_alignbit_b32 v25, v28, v13, 30
	v_min_u32_e32 v26, 32, v26
	v_alignbit_b32 v12, v13, v12, 30
	v_xor_b32_e32 v25, v25, v34
	v_sub_u32_e32 v27, 31, v26
	v_xor_b32_e32 v12, v12, v34
	v_alignbit_b32 v28, v30, v25, v27
	v_alignbit_b32 v12, v25, v12, v27
	;; [unrolled: 1-line block ×3, first 2 shown]
	v_ffbh_u32_e32 v25, v13
	v_min_u32_e32 v25, 32, v25
	v_lshrrev_b32_e32 v31, 29, v29
	v_not_b32_e32 v27, v25
	v_alignbit_b32 v12, v13, v12, v27
	v_lshlrev_b32_e32 v13, 31, v31
	v_or_b32_e32 v27, 0x33000000, v13
	v_add_lshl_u32 v25, v25, v26, 23
	v_lshrrev_b32_e32 v12, 9, v12
	v_sub_u32_e32 v25, v27, v25
	v_or_b32_e32 v13, 0.5, v13
	v_lshlrev_b32_e32 v26, 23, v26
	v_or_b32_e32 v12, v25, v12
	v_lshrrev_b32_e32 v25, 9, v28
	v_sub_u32_e32 v13, v13, v26
	v_or_b32_e32 v13, v25, v13
	v_mul_f32_e32 v25, 0x3fc90fda, v13
	v_fma_f32 v26, v13, s49, -v25
	v_fmac_f32_e32 v26, 0x33a22168, v13
	v_fmac_f32_e32 v26, 0x3fc90fda, v12
	v_lshrrev_b32_e32 v12, 30, v29
	v_add_f32_e32 v13, v25, v26
	v_add_u32_e32 v12, v33, v12
	s_andn2_saveexec_b64 s[0:1], s[34:35]
	s_cbranch_execnz .LBB132_143
	s_branch .LBB132_144
.LBB132_142:                            ;   in Loop: Header=BB132_4 Depth=1
	s_andn2_saveexec_b64 s[0:1], s[34:35]
.LBB132_143:                            ;   in Loop: Header=BB132_4 Depth=1
	v_mul_f32_e64 v12, |v4|, s50
	v_rndne_f32_e32 v25, v12
	v_cvt_i32_f32_e32 v12, v25
	v_fma_f32 v13, v25, s51, |v4|
	v_fmac_f32_e32 v13, 0xb3a22168, v25
	v_fmac_f32_e32 v13, 0xa7c234c4, v25
.LBB132_144:                            ;   in Loop: Header=BB132_4 Depth=1
	s_or_b64 exec, exec, s[0:1]
	v_mul_f32_e32 v25, 0x3fb8aa3b, v3
	v_rndne_f32_e32 v26, v25
	v_sub_f32_e32 v27, v25, v26
	v_fma_f32 v25, v3, s52, -v25
	v_fmac_f32_e32 v25, 0x32a5705f, v3
	v_add_f32_e32 v25, v27, v25
	v_cvt_i32_f32_e32 v26, v26
	v_exp_f32_e32 v25, v25
	v_cmp_ngt_f32_e32 vcc, s53, v3
	v_ldexp_f32 v25, v25, v26
	v_cndmask_b32_e32 v25, 0, v25, vcc
	v_cmp_nlt_f32_e32 vcc, s54, v3
	v_cndmask_b32_e32 v3, v23, v25, vcc
	v_mul_f32_e32 v25, v11, v11
	v_mov_b32_e32 v26, 0x3c0881c4
	v_fmac_f32_e32 v26, 0xb94c1982, v25
	v_fma_f32 v26, v25, v26, v18
	v_mul_f32_e32 v26, v25, v26
	v_fmac_f32_e32 v11, v11, v26
	v_mov_b32_e32 v26, 0xbab64f3b
	v_fmac_f32_e32 v26, 0x37d75334, v25
	v_fma_f32 v26, v25, v26, v19
	v_fma_f32 v26, v25, v26, v20
	v_fma_f32 v25, v25, v26, 1.0
	v_and_b32_e32 v26, 1, v2
	v_cmp_eq_u32_e32 vcc, 0, v26
	v_lshlrev_b32_e32 v2, 30, v2
	v_cndmask_b32_e64 v11, -v11, v25, vcc
	v_and_b32_e32 v2, 0x80000000, v2
	v_xor_b32_e32 v2, v2, v11
	v_cmp_class_f32_e64 vcc, v4, s56
	v_cndmask_b32_e32 v2, v24, v2, vcc
	v_mul_f32_e32 v11, v3, v2
	v_mul_f32_e32 v2, v13, v13
	v_mov_b32_e32 v25, 0x3c0881c4
	v_fmac_f32_e32 v25, 0xb94c1982, v2
	v_fma_f32 v25, v2, v25, v18
	v_mul_f32_e32 v25, v2, v25
	v_fmac_f32_e32 v13, v13, v25
	v_mov_b32_e32 v25, 0xbab64f3b
	v_fmac_f32_e32 v25, 0x37d75334, v2
	v_fma_f32 v25, v2, v25, v19
	v_fma_f32 v25, v2, v25, v20
	v_fma_f32 v2, v2, v25, 1.0
	v_and_b32_e32 v25, 1, v12
	v_cmp_eq_u32_e64 s[0:1], 0, v25
	v_lshlrev_b32_e32 v12, 30, v12
	v_cndmask_b32_e64 v2, v2, v13, s[0:1]
	v_and_or_b32 v1, v12, s55, v1
	v_xor_b32_e32 v1, v1, v2
	v_xor_b32_e32 v1, v1, v4
	v_cndmask_b32_e32 v1, v24, v1, vcc
	v_mul_f32_e32 v12, v3, v1
                                        ; implicit-def: $vgpr1_vgpr2_vgpr3_vgpr4
                                        ; implicit-def: $vgpr1
.LBB132_145:                            ;   in Loop: Header=BB132_4 Depth=1
	s_andn2_saveexec_b64 s[30:31], s[30:31]
	s_cbranch_execz .LBB132_155
; %bb.146:                              ;   in Loop: Header=BB132_4 Depth=1
	v_cmp_nlt_f32_e64 s[34:35], |v4|, s41
                                        ; implicit-def: $vgpr11
                                        ; implicit-def: $vgpr2
	s_and_saveexec_b64 s[0:1], s[34:35]
	s_xor_b64 s[36:37], exec, s[0:1]
	s_cbranch_execz .LBB132_148
; %bb.147:                              ;   in Loop: Header=BB132_4 Depth=1
	v_and_b32_e32 v2, 0x7fffff, v1
	v_or_b32_e32 v2, 0x800000, v2
	v_mad_u64_u32 v[11:12], s[0:1], v2, s42, 0
	v_mov_b32_e32 v13, v12
	v_mad_u64_u32 v[12:13], s[0:1], v2, s43, v[13:14]
	v_mad_u64_u32 v[25:26], s[0:1], v2, s44, v[13:14]
	v_mov_b32_e32 v13, v26
	v_mad_u64_u32 v[26:27], s[0:1], v2, s45, v[13:14]
	v_lshrrev_b32_e32 v13, 23, v1
	v_add_u32_e32 v29, 0xffffff88, v13
	v_mov_b32_e32 v13, v27
	v_mad_u64_u32 v[27:28], s[0:1], v2, s46, v[13:14]
	v_cmp_lt_u32_e32 vcc, 63, v29
	v_cndmask_b32_e32 v13, 0, v21, vcc
	v_add_u32_e32 v30, v13, v29
	v_mov_b32_e32 v13, v28
	v_mad_u64_u32 v[28:29], s[0:1], v2, s47, v[13:14]
	v_cmp_lt_u32_e64 s[0:1], 31, v30
	v_cndmask_b32_e64 v13, 0, v22, s[0:1]
	v_add_u32_e32 v31, v13, v30
	v_mov_b32_e32 v13, v29
	v_mad_u64_u32 v[29:30], s[2:3], v2, s48, v[13:14]
	v_cmp_lt_u32_e64 s[2:3], 31, v31
	v_cndmask_b32_e64 v2, 0, v22, s[2:3]
	v_cndmask_b32_e32 v13, v28, v26, vcc
	v_cndmask_b32_e32 v29, v29, v27, vcc
	v_cndmask_b32_e32 v28, v30, v28, vcc
	v_cndmask_b32_e32 v27, v27, v25, vcc
	v_add_u32_e32 v2, v2, v31
	v_cndmask_b32_e64 v30, v29, v13, s[0:1]
	v_cndmask_b32_e64 v28, v28, v29, s[0:1]
	v_cndmask_b32_e64 v13, v13, v27, s[0:1]
	v_cndmask_b32_e64 v28, v28, v30, s[2:3]
	v_cndmask_b32_e64 v29, v30, v13, s[2:3]
	v_sub_u32_e32 v30, 32, v2
	v_cmp_eq_u32_e64 s[6:7], 0, v2
	v_cndmask_b32_e32 v2, v26, v12, vcc
	v_cndmask_b32_e64 v12, v27, v2, s[0:1]
	v_alignbit_b32 v31, v28, v29, v30
	v_cndmask_b32_e64 v13, v13, v12, s[2:3]
	v_cndmask_b32_e64 v28, v31, v28, s[6:7]
	v_alignbit_b32 v26, v29, v13, v30
	v_cndmask_b32_e32 v11, v25, v11, vcc
	v_cndmask_b32_e64 v26, v26, v29, s[6:7]
	v_bfe_u32 v31, v28, 29, 1
	v_cndmask_b32_e64 v2, v2, v11, s[0:1]
	v_alignbit_b32 v27, v28, v26, 30
	v_sub_u32_e32 v32, 0, v31
	v_cndmask_b32_e64 v2, v12, v2, s[2:3]
	v_xor_b32_e32 v27, v27, v32
	v_alignbit_b32 v11, v13, v2, v30
	v_cndmask_b32_e64 v11, v11, v13, s[6:7]
	v_ffbh_u32_e32 v13, v27
	v_alignbit_b32 v12, v26, v11, 30
	v_min_u32_e32 v13, 32, v13
	v_alignbit_b32 v2, v11, v2, 30
	v_xor_b32_e32 v12, v12, v32
	v_sub_u32_e32 v25, 31, v13
	v_xor_b32_e32 v2, v2, v32
	v_alignbit_b32 v26, v27, v12, v25
	v_alignbit_b32 v2, v12, v2, v25
	;; [unrolled: 1-line block ×3, first 2 shown]
	v_ffbh_u32_e32 v12, v11
	v_min_u32_e32 v12, 32, v12
	v_lshrrev_b32_e32 v29, 29, v28
	v_not_b32_e32 v25, v12
	v_alignbit_b32 v2, v11, v2, v25
	v_lshlrev_b32_e32 v11, 31, v29
	v_or_b32_e32 v25, 0x33000000, v11
	v_add_lshl_u32 v12, v12, v13, 23
	v_lshrrev_b32_e32 v2, 9, v2
	v_sub_u32_e32 v12, v25, v12
	v_or_b32_e32 v11, 0.5, v11
	v_lshlrev_b32_e32 v13, 23, v13
	v_or_b32_e32 v2, v12, v2
	v_lshrrev_b32_e32 v12, 9, v26
	v_sub_u32_e32 v11, v11, v13
	v_or_b32_e32 v11, v12, v11
	v_mul_f32_e32 v12, 0x3fc90fda, v11
	v_fma_f32 v13, v11, s49, -v12
	v_fmac_f32_e32 v13, 0x33a22168, v11
	v_fmac_f32_e32 v13, 0x3fc90fda, v2
	v_lshrrev_b32_e32 v11, 30, v28
	v_add_f32_e32 v2, v12, v13
	v_add_u32_e32 v11, v31, v11
	s_andn2_saveexec_b64 s[0:1], s[36:37]
	s_branch .LBB132_149
.LBB132_148:                            ;   in Loop: Header=BB132_4 Depth=1
	s_andn2_saveexec_b64 s[0:1], s[36:37]
.LBB132_149:                            ;   in Loop: Header=BB132_4 Depth=1
	v_mul_f32_e64 v2, |v4|, s50
	v_rndne_f32_e32 v12, v2
	v_cvt_i32_f32_e32 v11, v12
	v_fma_f32 v2, v12, s51, |v4|
	v_fmac_f32_e32 v2, 0xb3a22168, v12
	v_fmac_f32_e32 v2, 0xa7c234c4, v12
; %bb.150:                              ;   in Loop: Header=BB132_4 Depth=1
	s_or_b64 exec, exec, s[0:1]
                                        ; implicit-def: $vgpr12
                                        ; implicit-def: $vgpr13
	s_and_saveexec_b64 s[0:1], s[34:35]
	s_xor_b64 s[34:35], exec, s[0:1]
	s_cbranch_execz .LBB132_152
; %bb.151:                              ;   in Loop: Header=BB132_4 Depth=1
	v_and_b32_e32 v12, 0x7fffff, v1
	v_or_b32_e32 v31, 0x800000, v12
	v_mad_u64_u32 v[12:13], s[0:1], v31, s42, 0
	v_mad_u64_u32 v[25:26], s[0:1], v31, s43, v[13:14]
	v_mov_b32_e32 v13, v26
	v_mad_u64_u32 v[26:27], s[0:1], v31, s44, v[13:14]
	v_mov_b32_e32 v13, v27
	v_mad_u64_u32 v[27:28], s[0:1], v31, s45, v[13:14]
	v_lshrrev_b32_e32 v13, 23, v1
	v_add_u32_e32 v30, 0xffffff88, v13
	v_mov_b32_e32 v13, v28
	v_mad_u64_u32 v[28:29], s[0:1], v31, s46, v[13:14]
	v_cmp_lt_u32_e32 vcc, 63, v30
	v_cndmask_b32_e32 v13, 0, v21, vcc
	v_add_u32_e32 v32, v13, v30
	v_mov_b32_e32 v13, v29
	v_mad_u64_u32 v[29:30], s[0:1], v31, s47, v[13:14]
	v_cmp_lt_u32_e64 s[0:1], 31, v32
	v_cndmask_b32_e64 v13, 0, v22, s[0:1]
	v_add_u32_e32 v32, v13, v32
	v_mov_b32_e32 v13, v30
	v_mad_u64_u32 v[30:31], s[2:3], v31, s48, v[13:14]
	v_cmp_lt_u32_e64 s[2:3], 31, v32
	v_cndmask_b32_e64 v13, 0, v22, s[2:3]
	v_add_u32_e32 v13, v13, v32
	v_cndmask_b32_e32 v32, v29, v27, vcc
	v_cndmask_b32_e32 v30, v30, v28, vcc
	;; [unrolled: 1-line block ×4, first 2 shown]
	v_cndmask_b32_e64 v31, v30, v32, s[0:1]
	v_cndmask_b32_e64 v29, v29, v30, s[0:1]
	;; [unrolled: 1-line block ×3, first 2 shown]
	v_sub_u32_e32 v32, 32, v13
	v_cmp_eq_u32_e64 s[6:7], 0, v13
	v_cndmask_b32_e32 v13, v27, v25, vcc
	v_cndmask_b32_e64 v29, v29, v31, s[2:3]
	v_cndmask_b32_e64 v31, v31, v30, s[2:3]
	;; [unrolled: 1-line block ×3, first 2 shown]
	v_alignbit_b32 v33, v29, v31, v32
	v_cndmask_b32_e64 v27, v30, v25, s[2:3]
	v_cndmask_b32_e64 v29, v33, v29, s[6:7]
	v_alignbit_b32 v28, v31, v27, v32
	v_cndmask_b32_e32 v12, v26, v12, vcc
	v_cndmask_b32_e64 v28, v28, v31, s[6:7]
	v_bfe_u32 v33, v29, 29, 1
	v_cndmask_b32_e64 v12, v13, v12, s[0:1]
	v_alignbit_b32 v30, v29, v28, 30
	v_sub_u32_e32 v34, 0, v33
	v_cndmask_b32_e64 v12, v25, v12, s[2:3]
	v_xor_b32_e32 v30, v30, v34
	v_alignbit_b32 v13, v27, v12, v32
	v_cndmask_b32_e64 v13, v13, v27, s[6:7]
	v_ffbh_u32_e32 v26, v30
	v_alignbit_b32 v25, v28, v13, 30
	v_min_u32_e32 v26, 32, v26
	v_alignbit_b32 v12, v13, v12, 30
	v_xor_b32_e32 v25, v25, v34
	v_sub_u32_e32 v27, 31, v26
	v_xor_b32_e32 v12, v12, v34
	v_alignbit_b32 v28, v30, v25, v27
	v_alignbit_b32 v12, v25, v12, v27
	;; [unrolled: 1-line block ×3, first 2 shown]
	v_ffbh_u32_e32 v25, v13
	v_min_u32_e32 v25, 32, v25
	v_lshrrev_b32_e32 v31, 29, v29
	v_not_b32_e32 v27, v25
	v_alignbit_b32 v12, v13, v12, v27
	v_lshlrev_b32_e32 v13, 31, v31
	v_or_b32_e32 v27, 0x33000000, v13
	v_add_lshl_u32 v25, v25, v26, 23
	v_lshrrev_b32_e32 v12, 9, v12
	v_sub_u32_e32 v25, v27, v25
	v_or_b32_e32 v13, 0.5, v13
	v_lshlrev_b32_e32 v26, 23, v26
	v_or_b32_e32 v12, v25, v12
	v_lshrrev_b32_e32 v25, 9, v28
	v_sub_u32_e32 v13, v13, v26
	v_or_b32_e32 v13, v25, v13
	v_mul_f32_e32 v25, 0x3fc90fda, v13
	v_fma_f32 v26, v13, s49, -v25
	v_fmac_f32_e32 v26, 0x33a22168, v13
	v_fmac_f32_e32 v26, 0x3fc90fda, v12
	v_lshrrev_b32_e32 v12, 30, v29
	v_add_f32_e32 v13, v25, v26
	v_add_u32_e32 v12, v33, v12
	s_andn2_saveexec_b64 s[0:1], s[34:35]
	s_cbranch_execnz .LBB132_153
	s_branch .LBB132_154
.LBB132_152:                            ;   in Loop: Header=BB132_4 Depth=1
	s_andn2_saveexec_b64 s[0:1], s[34:35]
.LBB132_153:                            ;   in Loop: Header=BB132_4 Depth=1
	v_mul_f32_e64 v12, |v4|, s50
	v_rndne_f32_e32 v25, v12
	v_cvt_i32_f32_e32 v12, v25
	v_fma_f32 v13, v25, s51, |v4|
	v_fmac_f32_e32 v13, 0xb3a22168, v25
	v_fmac_f32_e32 v13, 0xa7c234c4, v25
.LBB132_154:                            ;   in Loop: Header=BB132_4 Depth=1
	s_or_b64 exec, exec, s[0:1]
	v_mul_f32_e32 v26, v2, v2
	v_mov_b32_e32 v27, 0xbab64f3b
	v_fmac_f32_e32 v27, 0x37d75334, v26
	v_mov_b32_e32 v28, 0x3c0881c4
	v_fma_f32 v27, v26, v27, v19
	v_fmac_f32_e32 v28, 0xb94c1982, v26
	v_fma_f32 v27, v26, v27, v20
	v_fma_f32 v28, v26, v28, v18
	v_lshlrev_b32_e32 v25, 30, v11
	v_and_b32_e32 v11, 1, v11
	v_fma_f32 v27, v26, v27, 1.0
	v_mul_f32_e32 v26, v26, v28
	v_add_f32_e32 v3, 0xc322e3bc, v3
	v_fmac_f32_e32 v2, v2, v26
	v_cmp_eq_u32_e32 vcc, 0, v11
	v_mul_f32_e32 v11, 0x3fb8aa3b, v3
	v_cndmask_b32_e64 v2, -v2, v27, vcc
	v_fma_f32 v26, v3, s52, -v11
	v_rndne_f32_e32 v27, v11
	v_fmac_f32_e32 v26, 0x32a5705f, v3
	v_sub_f32_e32 v11, v11, v27
	v_add_f32_e32 v11, v11, v26
	v_exp_f32_e32 v11, v11
	v_cvt_i32_f32_e32 v26, v27
	v_cmp_ngt_f32_e64 s[0:1], s53, v3
	v_and_b32_e32 v25, 0x80000000, v25
	v_xor_b32_e32 v2, v25, v2
	v_ldexp_f32 v11, v11, v26
	v_cndmask_b32_e64 v11, 0, v11, s[0:1]
	v_cmp_nlt_f32_e64 s[0:1], s54, v3
	v_cndmask_b32_e64 v3, v23, v11, s[0:1]
	v_and_b32_e32 v11, 0x7fffff, v3
	v_lshrrev_b32_e32 v3, 23, v3
	v_subrev_u32_e32 v3, 19, v3
	v_or_b32_e32 v25, 0x7f000000, v11
	v_lshrrev_b16_e32 v11, 15, v3
	v_add_u16_e32 v11, v3, v11
	v_cmp_class_f32_e64 vcc, v4, s56
	v_ashrrev_i16_e32 v11, 1, v11
	v_cndmask_b32_e32 v2, v24, v2, vcc
	v_bfe_i32 v11, v11, 0, 16
	v_mul_f32_e32 v2, v2, v25
	v_lshl_add_u32 v26, v11, 23, 1.0
	v_sub_u32_e32 v3, v3, v11
	v_mul_f32_e32 v2, v2, v26
	v_lshl_add_u32 v3, v3, 23, 1.0
	v_mul_f32_e32 v11, v2, v3
	v_mul_f32_e32 v2, v13, v13
	v_mov_b32_e32 v27, 0x3c0881c4
	v_fmac_f32_e32 v27, 0xb94c1982, v2
	v_fma_f32 v27, v2, v27, v18
	v_mul_f32_e32 v27, v2, v27
	v_fmac_f32_e32 v13, v13, v27
	v_mov_b32_e32 v27, 0xbab64f3b
	v_fmac_f32_e32 v27, 0x37d75334, v2
	v_fma_f32 v27, v2, v27, v19
	v_fma_f32 v27, v2, v27, v20
	v_fma_f32 v2, v2, v27, 1.0
	v_and_b32_e32 v27, 1, v12
	v_cmp_eq_u32_e64 s[0:1], 0, v27
	v_lshlrev_b32_e32 v12, 30, v12
	v_cndmask_b32_e64 v2, v2, v13, s[0:1]
	v_and_or_b32 v1, v12, s55, v1
	v_xor_b32_e32 v1, v1, v2
	v_xor_b32_e32 v1, v1, v4
	v_cndmask_b32_e32 v1, v24, v1, vcc
	v_mul_f32_e32 v1, v1, v25
	v_mul_f32_e32 v1, v1, v26
	;; [unrolled: 1-line block ×3, first 2 shown]
.LBB132_155:                            ;   in Loop: Header=BB132_4 Depth=1
	s_or_b64 exec, exec, s[30:31]
                                        ; implicit-def: $vgpr1_vgpr2_vgpr3_vgpr4
                                        ; implicit-def: $vgpr2
.LBB132_156:                            ;   in Loop: Header=BB132_4 Depth=1
	s_andn2_saveexec_b64 s[0:1], s[28:29]
	s_cbranch_execz .LBB132_162
; %bb.157:                              ;   in Loop: Header=BB132_4 Depth=1
	v_cmp_ne_u32_e32 vcc, s33, v2
	v_sub_f32_e32 v12, v4, v4
	s_and_saveexec_b64 s[2:3], vcc
	s_xor_b64 s[2:3], exec, s[2:3]
; %bb.158:                              ;   in Loop: Header=BB132_4 Depth=1
                                        ; implicit-def: $vgpr1_vgpr2_vgpr3_vgpr4
; %bb.159:                              ;   in Loop: Header=BB132_4 Depth=1
	s_or_saveexec_b64 s[2:3], s[2:3]
	v_mov_b32_e32 v11, v12
	s_xor_b64 exec, exec, s[2:3]
; %bb.160:                              ;   in Loop: Header=BB132_4 Depth=1
	v_cmp_lt_i32_e32 vcc, -1, v3
	v_cndmask_b32_e32 v11, 0, v3, vcc
	v_cndmask_b32_e32 v12, 0, v12, vcc
; %bb.161:                              ;   in Loop: Header=BB132_4 Depth=1
	s_or_b64 exec, exec, s[2:3]
.LBB132_162:                            ;   in Loop: Header=BB132_4 Depth=1
	s_or_b64 exec, exec, s[0:1]
                                        ; implicit-def: $vgpr1_vgpr2_vgpr3_vgpr4
                                        ; implicit-def: $vgpr1
.LBB132_163:                            ;   in Loop: Header=BB132_4 Depth=1
	s_andn2_saveexec_b64 s[26:27], s[26:27]
	s_cbranch_execz .LBB132_173
; %bb.164:                              ;   in Loop: Header=BB132_4 Depth=1
	v_lshrrev_b32_e32 v2, 23, v1
	v_and_b32_e32 v3, 0x7fffff, v1
	v_cmp_nlt_f32_e64 s[28:29], |v4|, s41
	v_add_u32_e32 v12, 0xffffff88, v2
	v_or_b32_e32 v2, 0x800000, v3
                                        ; implicit-def: $vgpr3
                                        ; implicit-def: $vgpr11
	s_and_saveexec_b64 s[0:1], s[28:29]
	s_xor_b64 s[30:31], exec, s[0:1]
	s_cbranch_execz .LBB132_166
; %bb.165:                              ;   in Loop: Header=BB132_4 Depth=1
	v_mad_u64_u32 v[25:26], s[0:1], v2, s42, 0
	v_cmp_lt_u32_e32 vcc, 63, v12
	v_cndmask_b32_e32 v3, 0, v21, vcc
	v_mov_b32_e32 v13, v26
	v_mad_u64_u32 v[26:27], s[0:1], v2, s43, v[13:14]
	v_add_u32_e32 v3, v3, v12
	v_mov_b32_e32 v13, v27
	v_mad_u64_u32 v[27:28], s[0:1], v2, s44, v[13:14]
	v_mov_b32_e32 v13, v28
	v_mad_u64_u32 v[28:29], s[0:1], v2, s45, v[13:14]
	v_cndmask_b32_e32 v25, v27, v25, vcc
	v_mov_b32_e32 v13, v29
	v_mad_u64_u32 v[29:30], s[0:1], v2, s46, v[13:14]
	v_cmp_lt_u32_e64 s[0:1], 31, v3
	v_cndmask_b32_e64 v11, 0, v22, s[0:1]
	v_mov_b32_e32 v13, v30
	v_mad_u64_u32 v[30:31], s[2:3], v2, s47, v[13:14]
	v_add_u32_e32 v3, v11, v3
	v_cmp_lt_u32_e64 s[2:3], 31, v3
	v_mov_b32_e32 v13, v31
	v_mad_u64_u32 v[31:32], s[6:7], v2, s48, v[13:14]
	v_cndmask_b32_e64 v11, 0, v22, s[2:3]
	v_add_u32_e32 v3, v11, v3
	v_cndmask_b32_e32 v11, v29, v27, vcc
	v_cndmask_b32_e32 v13, v30, v28, vcc
	;; [unrolled: 1-line block ×4, first 2 shown]
	v_cndmask_b32_e64 v33, v13, v11, s[0:1]
	v_cndmask_b32_e64 v13, v29, v13, s[0:1]
	;; [unrolled: 1-line block ×3, first 2 shown]
	v_cndmask_b32_e32 v26, v28, v26, vcc
	v_cndmask_b32_e64 v29, v29, v13, s[2:3]
	v_cndmask_b32_e64 v13, v13, v33, s[2:3]
	v_sub_u32_e32 v30, 32, v3
	v_cndmask_b32_e64 v11, v11, v26, s[0:1]
	v_alignbit_b32 v31, v29, v13, v30
	v_cmp_eq_u32_e64 s[6:7], 0, v3
	v_cndmask_b32_e64 v28, v33, v11, s[2:3]
	v_cndmask_b32_e64 v3, v31, v29, s[6:7]
	v_alignbit_b32 v29, v13, v28, v30
	v_cndmask_b32_e64 v13, v29, v13, s[6:7]
	v_bfe_u32 v32, v3, 29, 1
	v_cndmask_b32_e64 v25, v26, v25, s[0:1]
	v_alignbit_b32 v29, v3, v13, 30
	v_sub_u32_e32 v33, 0, v32
	v_cndmask_b32_e64 v11, v11, v25, s[2:3]
	v_xor_b32_e32 v29, v29, v33
	v_alignbit_b32 v25, v28, v11, v30
	v_cndmask_b32_e64 v25, v25, v28, s[6:7]
	v_ffbh_u32_e32 v26, v29
	v_alignbit_b32 v13, v13, v25, 30
	v_min_u32_e32 v26, 32, v26
	v_alignbit_b32 v11, v25, v11, 30
	v_xor_b32_e32 v13, v13, v33
	v_sub_u32_e32 v27, 31, v26
	v_xor_b32_e32 v11, v11, v33
	v_alignbit_b32 v28, v29, v13, v27
	v_alignbit_b32 v11, v13, v11, v27
	;; [unrolled: 1-line block ×3, first 2 shown]
	v_ffbh_u32_e32 v25, v13
	v_min_u32_e32 v25, 32, v25
	v_lshrrev_b32_e32 v31, 29, v3
	v_not_b32_e32 v27, v25
	v_alignbit_b32 v11, v13, v11, v27
	v_lshlrev_b32_e32 v13, 31, v31
	v_or_b32_e32 v27, 0x33000000, v13
	v_add_lshl_u32 v25, v25, v26, 23
	v_lshrrev_b32_e32 v11, 9, v11
	v_sub_u32_e32 v25, v27, v25
	v_or_b32_e32 v13, 0.5, v13
	v_lshlrev_b32_e32 v26, 23, v26
	v_or_b32_e32 v11, v25, v11
	v_lshrrev_b32_e32 v25, 9, v28
	v_sub_u32_e32 v13, v13, v26
	v_or_b32_e32 v13, v25, v13
	v_mul_f32_e32 v25, 0x3fc90fda, v13
	v_fma_f32 v26, v13, s49, -v25
	v_fmac_f32_e32 v26, 0x33a22168, v13
	v_fmac_f32_e32 v26, 0x3fc90fda, v11
	v_lshrrev_b32_e32 v3, 30, v3
	v_add_f32_e32 v11, v25, v26
	v_add_u32_e32 v3, v32, v3
.LBB132_166:                            ;   in Loop: Header=BB132_4 Depth=1
	s_or_saveexec_b64 s[0:1], s[30:31]
	v_mul_f32_e64 v13, |v4|, s50
	v_rndne_f32_e32 v26, v13
	s_xor_b64 exec, exec, s[0:1]
; %bb.167:                              ;   in Loop: Header=BB132_4 Depth=1
	v_cvt_i32_f32_e32 v3, v26
	v_fma_f32 v11, v26, s51, |v4|
	v_fmac_f32_e32 v11, 0xb3a22168, v26
	v_fmac_f32_e32 v11, 0xa7c234c4, v26
; %bb.168:                              ;   in Loop: Header=BB132_4 Depth=1
	s_or_b64 exec, exec, s[0:1]
                                        ; implicit-def: $vgpr13
                                        ; implicit-def: $vgpr25
	s_and_saveexec_b64 s[0:1], s[28:29]
	s_xor_b64 s[28:29], exec, s[0:1]
	s_cbranch_execz .LBB132_170
; %bb.169:                              ;   in Loop: Header=BB132_4 Depth=1
	v_mad_u64_u32 v[25:26], s[0:1], v2, s42, 0
	v_cmp_lt_u32_e32 vcc, 63, v12
	v_mov_b32_e32 v13, v26
	v_mad_u64_u32 v[26:27], s[0:1], v2, s43, v[13:14]
	v_mov_b32_e32 v13, v27
	v_mad_u64_u32 v[27:28], s[0:1], v2, s44, v[13:14]
	;; [unrolled: 2-line block ×3, first 2 shown]
	v_cndmask_b32_e32 v13, 0, v21, vcc
	v_add_u32_e32 v30, v13, v12
	v_mov_b32_e32 v13, v29
	v_mad_u64_u32 v[12:13], s[0:1], v2, s46, v[13:14]
	v_cmp_lt_u32_e64 s[0:1], 31, v30
	v_cndmask_b32_e64 v29, 0, v22, s[0:1]
	v_add_u32_e32 v31, v29, v30
	v_mad_u64_u32 v[29:30], s[2:3], v2, s47, v[13:14]
	v_cmp_lt_u32_e64 s[2:3], 31, v31
	v_cndmask_b32_e64 v13, 0, v22, s[2:3]
	v_add_u32_e32 v32, v13, v31
	v_mov_b32_e32 v13, v30
	v_mad_u64_u32 v[30:31], s[6:7], v2, s48, v[13:14]
	v_cndmask_b32_e32 v2, v12, v27, vcc
	v_cndmask_b32_e32 v13, v29, v28, vcc
	;; [unrolled: 1-line block ×4, first 2 shown]
	v_cndmask_b32_e64 v33, v13, v2, s[0:1]
	v_cndmask_b32_e64 v13, v12, v13, s[0:1]
	;; [unrolled: 1-line block ×3, first 2 shown]
	v_cndmask_b32_e32 v26, v28, v26, vcc
	v_cndmask_b32_e64 v12, v12, v13, s[2:3]
	v_cndmask_b32_e64 v13, v13, v33, s[2:3]
	v_sub_u32_e32 v29, 32, v32
	v_cndmask_b32_e64 v2, v2, v26, s[0:1]
	v_alignbit_b32 v30, v12, v13, v29
	v_cmp_eq_u32_e64 s[6:7], 0, v32
	v_cndmask_b32_e64 v28, v33, v2, s[2:3]
	v_cndmask_b32_e64 v12, v30, v12, s[6:7]
	v_alignbit_b32 v30, v13, v28, v29
	v_cndmask_b32_e32 v25, v27, v25, vcc
	v_cndmask_b32_e64 v13, v30, v13, s[6:7]
	v_bfe_u32 v32, v12, 29, 1
	v_cndmask_b32_e64 v25, v26, v25, s[0:1]
	v_alignbit_b32 v30, v12, v13, 30
	v_sub_u32_e32 v33, 0, v32
	v_cndmask_b32_e64 v2, v2, v25, s[2:3]
	v_xor_b32_e32 v30, v30, v33
	v_alignbit_b32 v25, v28, v2, v29
	v_cndmask_b32_e64 v25, v25, v28, s[6:7]
	v_ffbh_u32_e32 v26, v30
	v_alignbit_b32 v13, v13, v25, 30
	v_min_u32_e32 v26, 32, v26
	v_alignbit_b32 v2, v25, v2, 30
	v_xor_b32_e32 v13, v13, v33
	v_sub_u32_e32 v27, 31, v26
	v_xor_b32_e32 v2, v2, v33
	v_alignbit_b32 v28, v30, v13, v27
	v_alignbit_b32 v2, v13, v2, v27
	;; [unrolled: 1-line block ×3, first 2 shown]
	v_ffbh_u32_e32 v25, v13
	v_min_u32_e32 v25, 32, v25
	v_lshrrev_b32_e32 v31, 29, v12
	v_not_b32_e32 v27, v25
	v_alignbit_b32 v2, v13, v2, v27
	v_lshlrev_b32_e32 v13, 31, v31
	v_or_b32_e32 v27, 0x33000000, v13
	v_add_lshl_u32 v25, v25, v26, 23
	v_lshrrev_b32_e32 v2, 9, v2
	v_sub_u32_e32 v25, v27, v25
	v_or_b32_e32 v13, 0.5, v13
	v_lshlrev_b32_e32 v26, 23, v26
	v_or_b32_e32 v2, v25, v2
	v_lshrrev_b32_e32 v25, 9, v28
	v_sub_u32_e32 v13, v13, v26
	v_or_b32_e32 v13, v25, v13
	v_mul_f32_e32 v25, 0x3fc90fda, v13
	v_fma_f32 v26, v13, s49, -v25
	v_fmac_f32_e32 v26, 0x33a22168, v13
	v_fmac_f32_e32 v26, 0x3fc90fda, v2
	v_lshrrev_b32_e32 v2, 30, v12
	v_add_f32_e32 v25, v25, v26
	v_add_u32_e32 v13, v32, v2
                                        ; implicit-def: $vgpr26
	s_andn2_saveexec_b64 s[0:1], s[28:29]
	s_cbranch_execnz .LBB132_171
	s_branch .LBB132_172
.LBB132_170:                            ;   in Loop: Header=BB132_4 Depth=1
	s_andn2_saveexec_b64 s[0:1], s[28:29]
.LBB132_171:                            ;   in Loop: Header=BB132_4 Depth=1
	v_cvt_i32_f32_e32 v13, v26
	v_fma_f32 v25, v26, s51, |v4|
	v_fmac_f32_e32 v25, 0xb3a22168, v26
	v_fmac_f32_e32 v25, 0xa7c234c4, v26
.LBB132_172:                            ;   in Loop: Header=BB132_4 Depth=1
	s_or_b64 exec, exec, s[0:1]
	v_mul_f32_e32 v2, v11, v11
	v_mov_b32_e32 v12, 0x3c0881c4
	v_fmac_f32_e32 v12, 0xb94c1982, v2
	v_fma_f32 v12, v2, v12, v18
	v_mul_f32_e32 v12, v2, v12
	v_fmac_f32_e32 v11, v11, v12
	v_mov_b32_e32 v12, 0xbab64f3b
	v_fmac_f32_e32 v12, 0x37d75334, v2
	v_fma_f32 v12, v2, v12, v19
	v_fma_f32 v12, v2, v12, v20
	v_fma_f32 v2, v2, v12, 1.0
	v_and_b32_e32 v12, 1, v3
	v_cmp_eq_u32_e32 vcc, 0, v12
	v_lshlrev_b32_e32 v3, 30, v3
	v_cndmask_b32_e64 v2, -v11, v2, vcc
	v_and_b32_e32 v3, 0x80000000, v3
	v_xor_b32_e32 v2, v3, v2
	v_cmp_class_f32_e64 vcc, v4, s56
	v_cndmask_b32_e32 v11, v24, v2, vcc
	v_mul_f32_e32 v2, v25, v25
	v_mov_b32_e32 v3, 0x3c0881c4
	v_fmac_f32_e32 v3, 0xb94c1982, v2
	v_fma_f32 v3, v2, v3, v18
	v_mul_f32_e32 v3, v2, v3
	v_fmac_f32_e32 v25, v25, v3
	v_mov_b32_e32 v3, 0xbab64f3b
	v_fmac_f32_e32 v3, 0x37d75334, v2
	v_fma_f32 v3, v2, v3, v19
	v_fma_f32 v3, v2, v3, v20
	v_fma_f32 v2, v2, v3, 1.0
	v_and_b32_e32 v3, 1, v13
	v_cmp_eq_u32_e64 s[0:1], 0, v3
	v_lshlrev_b32_e32 v3, 30, v13
	v_cndmask_b32_e64 v2, v2, v25, s[0:1]
	v_and_or_b32 v1, v3, s55, v1
	v_xor_b32_e32 v1, v1, v2
	v_xor_b32_e32 v1, v1, v4
	v_cndmask_b32_e32 v12, v24, v1, vcc
.LBB132_173:                            ;   in Loop: Header=BB132_4 Depth=1
	s_or_b64 exec, exec, s[26:27]
                                        ; implicit-def: $vgpr1_vgpr2_vgpr3_vgpr4
.LBB132_174:                            ;   in Loop: Header=BB132_4 Depth=1
	s_andn2_saveexec_b64 s[0:1], s[24:25]
	s_cbranch_execz .LBB132_3
; %bb.175:                              ;   in Loop: Header=BB132_4 Depth=1
	v_mul_f32_e32 v1, 0x3fb8aa3b, v3
	v_rndne_f32_e32 v2, v1
	v_sub_f32_e32 v11, v1, v2
	v_fma_f32 v1, v3, s52, -v1
	v_fmac_f32_e32 v1, 0x32a5705f, v3
	v_add_f32_e32 v1, v11, v1
	v_cvt_i32_f32_e32 v2, v2
	v_exp_f32_e32 v1, v1
	v_cmp_ngt_f32_e32 vcc, s53, v3
	v_mov_b32_e32 v12, v4
	v_ldexp_f32 v1, v1, v2
	v_cndmask_b32_e32 v1, 0, v1, vcc
	v_cmp_nlt_f32_e32 vcc, s54, v3
	v_cndmask_b32_e32 v11, v23, v1, vcc
	s_branch .LBB132_3
.LBB132_176:
	s_or_b64 exec, exec, s[12:13]
	s_mov_b64 s[0:1], 0
.LBB132_177:
	s_andn2_b64 vcc, exec, s[0:1]
	s_cbranch_vccnz .LBB132_373
; %bb.178:
	v_cmp_lt_i64_e64 s[0:1], s[8:9], 1
	s_and_b64 vcc, exec, s[0:1]
	s_cbranch_vccnz .LBB132_373
; %bb.179:
	v_mov_b32_e32 v3, 0x10000
	s_load_dword s2, s[4:5], 0xc5c
	v_mov_b32_e32 v4, 0
	v_cmp_lt_i64_e32 vcc, s[8:9], v[3:4]
	v_mov_b32_e32 v2, 0
	s_and_b64 s[0:1], vcc, exec
	v_cmp_lt_u64_e32 vcc, s[8:9], v[3:4]
	s_cselect_b32 s19, s9, 0
	s_cselect_b32 s18, s8, 0x10000
	s_waitcnt lgkmcnt(0)
	s_and_b32 s33, s2, 0xffff
	s_and_b64 s[0:1], vcc, exec
	s_cselect_b32 s21, s9, 0
	s_cselect_b32 s20, s8, 0x10000
	s_lshl_b32 s38, s33, 1
	s_mul_i32 s39, s33, 3
	s_lshl_b32 s40, s33, 2
	s_mov_b64 s[22:23], 0
	s_mov_b32 s41, 0x7f800000
	s_mov_b32 s42, 0x8e8e5c
	s_brev_b32 s43, 18
	s_mov_b32 s44, 0xfe5163ab
	s_mov_b32 s45, 0x3c439041
	;; [unrolled: 1-line block ×13, first 2 shown]
	v_mov_b32_e32 v21, 0xbe2aaa9d
	v_mov_b32_e32 v22, 0x3d2aabf7
	;; [unrolled: 1-line block ×3, first 2 shown]
	s_brev_b32 s57, 1
	s_movk_i32 s58, 0x1f8
	v_not_b32_e32 v24, 63
	v_not_b32_e32 v25, 31
	v_mov_b32_e32 v26, 0x7f800000
	v_mov_b32_e32 v27, 0x7fc00000
	s_branch .LBB132_181
.LBB132_180:                            ;   in Loop: Header=BB132_181 Depth=1
	s_or_b64 exec, exec, s[0:1]
	s_add_u32 s22, s22, s40
	v_mov_b32_e32 v3, s18
	s_addc_u32 s23, s23, 0
	v_mov_b32_e32 v4, s19
	v_cmp_ge_i64_e32 vcc, s[22:23], v[3:4]
	s_cbranch_vccnz .LBB132_373
.LBB132_181:                            ; =>This Inner Loop Header: Depth=1
	v_mov_b32_e32 v1, s23
	v_add_co_u32_e32 v3, vcc, s22, v0
	v_addc_co_u32_e32 v4, vcc, 0, v1, vcc
	v_cmp_gt_u64_e32 vcc, s[20:21], v[3:4]
	v_mov_b32_e32 v18, 0
	v_mov_b32_e32 v17, 0
	s_and_saveexec_b64 s[2:3], vcc
	s_cbranch_execz .LBB132_183
; %bb.182:                              ;   in Loop: Header=BB132_181 Depth=1
	v_lshlrev_b64 v[5:6], 3, v[3:4]
	v_mov_b32_e32 v1, s15
	v_add_co_u32_e64 v5, s[0:1], s14, v5
	v_addc_co_u32_e64 v6, s[0:1], v1, v6, s[0:1]
	global_load_dwordx2 v[17:18], v[5:6], off
.LBB132_183:                            ;   in Loop: Header=BB132_181 Depth=1
	s_or_b64 exec, exec, s[2:3]
	v_add_co_u32_e64 v5, s[0:1], s33, v3
	v_addc_co_u32_e64 v6, s[0:1], 0, v4, s[0:1]
	v_cmp_gt_u64_e64 s[0:1], s[20:21], v[5:6]
	v_mov_b32_e32 v16, 0
	v_mov_b32_e32 v20, 0
	;; [unrolled: 1-line block ×3, first 2 shown]
	s_and_saveexec_b64 s[4:5], s[0:1]
	s_cbranch_execz .LBB132_185
; %bb.184:                              ;   in Loop: Header=BB132_181 Depth=1
	v_lshlrev_b64 v[7:8], 3, v[5:6]
	v_mov_b32_e32 v1, s15
	v_add_co_u32_e64 v7, s[2:3], s14, v7
	v_addc_co_u32_e64 v8, s[2:3], v1, v8, s[2:3]
	global_load_dwordx2 v[19:20], v[7:8], off
.LBB132_185:                            ;   in Loop: Header=BB132_181 Depth=1
	s_or_b64 exec, exec, s[4:5]
	v_add_co_u32_e64 v7, s[2:3], s38, v3
	v_addc_co_u32_e64 v8, s[2:3], 0, v4, s[2:3]
	v_cmp_gt_u64_e64 s[2:3], s[20:21], v[7:8]
	v_mov_b32_e32 v15, 0
	s_and_saveexec_b64 s[6:7], s[2:3]
	s_cbranch_execz .LBB132_187
; %bb.186:                              ;   in Loop: Header=BB132_181 Depth=1
	v_lshlrev_b64 v[9:10], 3, v[7:8]
	v_mov_b32_e32 v1, s15
	v_add_co_u32_e64 v9, s[4:5], s14, v9
	v_addc_co_u32_e64 v10, s[4:5], v1, v10, s[4:5]
	global_load_dwordx2 v[15:16], v[9:10], off
.LBB132_187:                            ;   in Loop: Header=BB132_181 Depth=1
	s_or_b64 exec, exec, s[6:7]
	v_add_co_u32_e64 v9, s[4:5], s39, v3
	v_addc_co_u32_e64 v10, s[4:5], 0, v4, s[4:5]
	v_cmp_gt_u64_e64 s[4:5], s[20:21], v[9:10]
	v_mov_b32_e32 v12, 0
	v_mov_b32_e32 v11, 0
	s_and_saveexec_b64 s[8:9], s[4:5]
	s_cbranch_execz .LBB132_189
; %bb.188:                              ;   in Loop: Header=BB132_181 Depth=1
	v_lshlrev_b64 v[11:12], 3, v[9:10]
	v_mov_b32_e32 v1, s15
	v_add_co_u32_e64 v11, s[6:7], s14, v11
	v_addc_co_u32_e64 v12, s[6:7], v1, v12, s[6:7]
	global_load_dwordx2 v[11:12], v[11:12], off
.LBB132_189:                            ;   in Loop: Header=BB132_181 Depth=1
	s_or_b64 exec, exec, s[8:9]
	s_waitcnt vmcnt(0)
	v_and_b32_e32 v28, 0x7fffffff, v18
	v_cmp_ne_u32_e64 s[6:7], 0, v28
                                        ; implicit-def: $vgpr14
	s_and_saveexec_b64 s[8:9], s[6:7]
	s_xor_b64 s[24:25], exec, s[8:9]
	s_cbranch_execz .LBB132_230
; %bb.190:                              ;   in Loop: Header=BB132_181 Depth=1
	v_and_b32_e32 v1, 0x7fffffff, v17
	v_cmp_ne_u32_e64 s[6:7], 0, v1
                                        ; implicit-def: $vgpr14
	s_and_saveexec_b64 s[8:9], s[6:7]
	s_xor_b64 s[26:27], exec, s[8:9]
	s_cbranch_execz .LBB132_219
; %bb.191:                              ;   in Loop: Header=BB132_181 Depth=1
	v_cmp_gt_u32_e64 s[6:7], s41, v28
                                        ; implicit-def: $vgpr14
	s_and_saveexec_b64 s[8:9], s[6:7]
	s_xor_b64 s[28:29], exec, s[8:9]
	s_cbranch_execz .LBB132_212
; %bb.192:                              ;   in Loop: Header=BB132_181 Depth=1
	v_add_u32_e32 v1, 0xbd4e8de8, v17
	v_cmp_lt_u32_e64 s[6:7], s42, v1
                                        ; implicit-def: $vgpr14
	s_and_saveexec_b64 s[8:9], s[6:7]
	s_xor_b64 s[30:31], exec, s[8:9]
	s_cbranch_execz .LBB132_202
; %bb.193:                              ;   in Loop: Header=BB132_181 Depth=1
	v_cmp_nlt_f32_e64 s[34:35], |v18|, s43
                                        ; implicit-def: $vgpr13
                                        ; implicit-def: $vgpr14
	s_and_saveexec_b64 s[6:7], s[34:35]
	s_xor_b64 s[36:37], exec, s[6:7]
	s_cbranch_execz .LBB132_195
; %bb.194:                              ;   in Loop: Header=BB132_181 Depth=1
	v_and_b32_e32 v1, 0x7fffff, v28
	v_or_b32_e32 v35, 0x800000, v1
	v_mad_u64_u32 v[13:14], s[6:7], v35, s44, 0
	v_mov_b32_e32 v1, v14
	v_mad_u64_u32 v[29:30], s[6:7], v35, s45, v[1:2]
	v_mov_b32_e32 v1, v30
	v_mad_u64_u32 v[30:31], s[6:7], v35, s46, v[1:2]
	v_mov_b32_e32 v1, v31
	v_mad_u64_u32 v[31:32], s[6:7], v35, s47, v[1:2]
	v_lshrrev_b32_e32 v1, 23, v28
	v_add_u32_e32 v14, 0xffffff88, v1
	v_mov_b32_e32 v1, v32
	v_mad_u64_u32 v[32:33], s[6:7], v35, s48, v[1:2]
	v_cmp_lt_u32_e64 s[6:7], 63, v14
	v_cndmask_b32_e64 v1, 0, v24, s[6:7]
	v_add_u32_e32 v14, v1, v14
	v_mov_b32_e32 v1, v33
	v_mad_u64_u32 v[33:34], s[8:9], v35, s49, v[1:2]
	v_cmp_lt_u32_e64 s[8:9], 31, v14
	v_cndmask_b32_e64 v1, 0, v25, s[8:9]
	;; [unrolled: 5-line block ×3, first 2 shown]
	v_add_u32_e32 v1, v1, v14
	v_cndmask_b32_e64 v14, v33, v31, s[6:7]
	v_cndmask_b32_e64 v34, v34, v32, s[6:7]
	;; [unrolled: 1-line block ×10, first 2 shown]
	v_sub_u32_e32 v35, 32, v1
	v_cndmask_b32_e64 v31, v32, v29, s[8:9]
	v_alignbit_b32 v36, v33, v34, v35
	v_cmp_eq_u32_e64 s[12:13], 0, v1
	v_cndmask_b32_e64 v14, v14, v31, s[10:11]
	v_cndmask_b32_e64 v1, v36, v33, s[12:13]
	v_alignbit_b32 v32, v34, v14, v35
	v_cndmask_b32_e64 v13, v30, v13, s[6:7]
	v_cndmask_b32_e64 v32, v32, v34, s[12:13]
	v_bfe_u32 v36, v1, 29, 1
	v_cndmask_b32_e64 v13, v29, v13, s[8:9]
	v_alignbit_b32 v33, v1, v32, 30
	v_sub_u32_e32 v37, 0, v36
	v_cndmask_b32_e64 v13, v31, v13, s[10:11]
	v_xor_b32_e32 v33, v33, v37
	v_alignbit_b32 v29, v14, v13, v35
	v_cndmask_b32_e64 v14, v29, v14, s[12:13]
	v_ffbh_u32_e32 v30, v33
	v_alignbit_b32 v29, v32, v14, 30
	v_min_u32_e32 v30, 32, v30
	v_alignbit_b32 v13, v14, v13, 30
	v_xor_b32_e32 v29, v29, v37
	v_sub_u32_e32 v31, 31, v30
	v_xor_b32_e32 v13, v13, v37
	v_alignbit_b32 v32, v33, v29, v31
	v_alignbit_b32 v13, v29, v13, v31
	;; [unrolled: 1-line block ×3, first 2 shown]
	v_ffbh_u32_e32 v29, v14
	v_min_u32_e32 v29, 32, v29
	v_lshrrev_b32_e32 v34, 29, v1
	v_not_b32_e32 v31, v29
	v_alignbit_b32 v13, v14, v13, v31
	v_lshlrev_b32_e32 v14, 31, v34
	v_or_b32_e32 v31, 0x33000000, v14
	v_add_lshl_u32 v29, v29, v30, 23
	v_lshrrev_b32_e32 v13, 9, v13
	v_sub_u32_e32 v29, v31, v29
	v_or_b32_e32 v14, 0.5, v14
	v_lshlrev_b32_e32 v30, 23, v30
	v_or_b32_e32 v13, v29, v13
	v_lshrrev_b32_e32 v29, 9, v32
	v_sub_u32_e32 v14, v14, v30
	v_or_b32_e32 v14, v29, v14
	v_mul_f32_e32 v29, 0x3fc90fda, v14
	v_fma_f32 v30, v14, s51, -v29
	v_fmac_f32_e32 v30, 0x33a22168, v14
	v_fmac_f32_e32 v30, 0x3fc90fda, v13
	v_lshrrev_b32_e32 v1, 30, v1
	v_add_f32_e32 v14, v29, v30
	v_add_u32_e32 v13, v36, v1
	s_andn2_saveexec_b64 s[6:7], s[36:37]
	s_branch .LBB132_196
.LBB132_195:                            ;   in Loop: Header=BB132_181 Depth=1
	s_andn2_saveexec_b64 s[6:7], s[36:37]
.LBB132_196:                            ;   in Loop: Header=BB132_181 Depth=1
	v_mul_f32_e64 v1, |v18|, s52
	v_rndne_f32_e32 v1, v1
	v_cvt_i32_f32_e32 v13, v1
	v_fma_f32 v14, v1, s53, |v18|
	v_fmac_f32_e32 v14, 0xb3a22168, v1
	v_fmac_f32_e32 v14, 0xa7c234c4, v1
; %bb.197:                              ;   in Loop: Header=BB132_181 Depth=1
	s_or_b64 exec, exec, s[6:7]
                                        ; implicit-def: $vgpr1
                                        ; implicit-def: $vgpr29
	s_and_saveexec_b64 s[6:7], s[34:35]
	s_xor_b64 s[34:35], exec, s[6:7]
	s_cbranch_execz .LBB132_199
; %bb.198:                              ;   in Loop: Header=BB132_181 Depth=1
	v_and_b32_e32 v1, 0x7fffff, v28
	v_or_b32_e32 v36, 0x800000, v1
	v_mad_u64_u32 v[29:30], s[6:7], v36, s44, 0
	v_mov_b32_e32 v1, v30
	v_mad_u64_u32 v[30:31], s[6:7], v36, s45, v[1:2]
	v_mov_b32_e32 v1, v31
	;; [unrolled: 2-line block ×3, first 2 shown]
	v_mad_u64_u32 v[32:33], s[6:7], v36, s47, v[1:2]
	v_lshrrev_b32_e32 v1, 23, v28
	v_add_u32_e32 v35, 0xffffff88, v1
	v_mov_b32_e32 v1, v33
	v_mad_u64_u32 v[33:34], s[6:7], v36, s48, v[1:2]
	v_cmp_lt_u32_e64 s[6:7], 63, v35
	v_cndmask_b32_e64 v1, 0, v24, s[6:7]
	v_add_u32_e32 v37, v1, v35
	v_mov_b32_e32 v1, v34
	v_mad_u64_u32 v[34:35], s[8:9], v36, s49, v[1:2]
	v_cmp_lt_u32_e64 s[8:9], 31, v37
	v_cndmask_b32_e64 v1, 0, v25, s[8:9]
	v_add_u32_e32 v37, v1, v37
	v_mov_b32_e32 v1, v35
	v_mad_u64_u32 v[35:36], s[10:11], v36, s50, v[1:2]
	v_cmp_lt_u32_e64 s[10:11], 31, v37
	v_cndmask_b32_e64 v1, 0, v25, s[10:11]
	v_add_u32_e32 v1, v1, v37
	v_cndmask_b32_e64 v37, v34, v32, s[6:7]
	v_cndmask_b32_e64 v35, v35, v33, s[6:7]
	;; [unrolled: 1-line block ×10, first 2 shown]
	v_sub_u32_e32 v37, 32, v1
	v_cndmask_b32_e64 v32, v33, v30, s[8:9]
	v_alignbit_b32 v38, v34, v36, v37
	v_cmp_eq_u32_e64 s[12:13], 0, v1
	v_cndmask_b32_e64 v33, v35, v32, s[10:11]
	v_cndmask_b32_e64 v1, v38, v34, s[12:13]
	v_alignbit_b32 v34, v36, v33, v37
	v_cndmask_b32_e64 v29, v31, v29, s[6:7]
	v_cndmask_b32_e64 v34, v34, v36, s[12:13]
	v_bfe_u32 v38, v1, 29, 1
	v_cndmask_b32_e64 v29, v30, v29, s[8:9]
	v_alignbit_b32 v35, v1, v34, 30
	v_sub_u32_e32 v39, 0, v38
	v_cndmask_b32_e64 v29, v32, v29, s[10:11]
	v_xor_b32_e32 v35, v35, v39
	v_alignbit_b32 v30, v33, v29, v37
	v_cndmask_b32_e64 v30, v30, v33, s[12:13]
	v_ffbh_u32_e32 v32, v35
	v_alignbit_b32 v31, v34, v30, 30
	v_min_u32_e32 v32, 32, v32
	v_alignbit_b32 v29, v30, v29, 30
	v_xor_b32_e32 v31, v31, v39
	v_sub_u32_e32 v33, 31, v32
	v_xor_b32_e32 v29, v29, v39
	v_alignbit_b32 v34, v35, v31, v33
	v_alignbit_b32 v29, v31, v29, v33
	;; [unrolled: 1-line block ×3, first 2 shown]
	v_ffbh_u32_e32 v31, v30
	v_min_u32_e32 v31, 32, v31
	v_lshrrev_b32_e32 v36, 29, v1
	v_not_b32_e32 v33, v31
	v_alignbit_b32 v29, v30, v29, v33
	v_lshlrev_b32_e32 v30, 31, v36
	v_or_b32_e32 v33, 0x33000000, v30
	v_add_lshl_u32 v31, v31, v32, 23
	v_lshrrev_b32_e32 v29, 9, v29
	v_sub_u32_e32 v31, v33, v31
	v_or_b32_e32 v30, 0.5, v30
	v_lshlrev_b32_e32 v32, 23, v32
	v_or_b32_e32 v29, v31, v29
	v_lshrrev_b32_e32 v31, 9, v34
	v_sub_u32_e32 v30, v30, v32
	v_or_b32_e32 v30, v31, v30
	v_mul_f32_e32 v31, 0x3fc90fda, v30
	v_fma_f32 v32, v30, s51, -v31
	v_fmac_f32_e32 v32, 0x33a22168, v30
	v_fmac_f32_e32 v32, 0x3fc90fda, v29
	v_lshrrev_b32_e32 v1, 30, v1
	v_add_f32_e32 v29, v31, v32
	v_add_u32_e32 v1, v38, v1
	s_andn2_saveexec_b64 s[6:7], s[34:35]
	s_cbranch_execnz .LBB132_200
	s_branch .LBB132_201
.LBB132_199:                            ;   in Loop: Header=BB132_181 Depth=1
	s_andn2_saveexec_b64 s[6:7], s[34:35]
.LBB132_200:                            ;   in Loop: Header=BB132_181 Depth=1
	v_mul_f32_e64 v1, |v18|, s52
	v_rndne_f32_e32 v30, v1
	v_cvt_i32_f32_e32 v1, v30
	v_fma_f32 v29, v30, s53, |v18|
	v_fmac_f32_e32 v29, 0xb3a22168, v30
	v_fmac_f32_e32 v29, 0xa7c234c4, v30
.LBB132_201:                            ;   in Loop: Header=BB132_181 Depth=1
	s_or_b64 exec, exec, s[6:7]
	v_mul_f32_e32 v30, 0x3fb8aa3b, v17
	v_rndne_f32_e32 v31, v30
	v_sub_f32_e32 v32, v30, v31
	v_fma_f32 v30, v17, s54, -v30
	v_fmac_f32_e32 v30, 0x32a5705f, v17
	v_add_f32_e32 v30, v32, v30
	v_cvt_i32_f32_e32 v31, v31
	v_exp_f32_e32 v30, v30
	v_cmp_ngt_f32_e64 s[6:7], s55, v17
	v_ldexp_f32 v30, v30, v31
	v_cndmask_b32_e64 v30, 0, v30, s[6:7]
	v_cmp_nlt_f32_e64 s[6:7], s56, v17
	v_cndmask_b32_e64 v17, v26, v30, s[6:7]
	v_mul_f32_e32 v30, v14, v14
	v_mov_b32_e32 v31, 0x3c0881c4
	v_fmac_f32_e32 v31, 0xb94c1982, v30
	v_fma_f32 v31, v30, v31, v21
	v_mul_f32_e32 v31, v30, v31
	v_fmac_f32_e32 v14, v14, v31
	v_mov_b32_e32 v31, 0xbab64f3b
	v_fmac_f32_e32 v31, 0x37d75334, v30
	v_fma_f32 v31, v30, v31, v22
	v_fma_f32 v31, v30, v31, v23
	v_fma_f32 v30, v30, v31, 1.0
	v_and_b32_e32 v31, 1, v13
	v_cmp_eq_u32_e64 s[6:7], 0, v31
	v_lshlrev_b32_e32 v13, 30, v13
	v_cndmask_b32_e64 v14, -v14, v30, s[6:7]
	v_and_b32_e32 v13, 0x80000000, v13
	v_xor_b32_e32 v13, v13, v14
	v_mul_f32_e32 v14, v29, v29
	v_mov_b32_e32 v30, 0x3c0881c4
	v_fmac_f32_e32 v30, 0xb94c1982, v14
	v_fma_f32 v30, v14, v30, v21
	v_mul_f32_e32 v30, v14, v30
	v_fmac_f32_e32 v29, v29, v30
	v_mov_b32_e32 v30, 0xbab64f3b
	v_fmac_f32_e32 v30, 0x37d75334, v14
	v_fma_f32 v30, v14, v30, v22
	v_fma_f32 v30, v14, v30, v23
	v_fma_f32 v14, v14, v30, 1.0
	v_and_b32_e32 v30, 1, v1
	v_cmp_eq_u32_e64 s[8:9], 0, v30
	v_lshlrev_b32_e32 v1, 30, v1
	v_cndmask_b32_e64 v14, v14, v29, s[8:9]
	v_and_or_b32 v1, v1, s57, v28
	v_xor_b32_e32 v1, v1, v14
	v_cmp_class_f32_e64 s[6:7], v18, s58
	v_xor_b32_e32 v1, v1, v18
	v_cndmask_b32_e64 v13, v27, v13, s[6:7]
	v_cndmask_b32_e64 v1, v27, v1, s[6:7]
	v_mul_f32_e32 v13, v17, v13
	v_mul_f32_e32 v14, v17, v1
                                        ; implicit-def: $vgpr18
                                        ; implicit-def: $vgpr28
.LBB132_202:                            ;   in Loop: Header=BB132_181 Depth=1
	s_andn2_saveexec_b64 s[30:31], s[30:31]
	s_cbranch_execz .LBB132_238
; %bb.203:                              ;   in Loop: Header=BB132_181 Depth=1
	v_cmp_nlt_f32_e64 s[34:35], |v18|, s43
                                        ; implicit-def: $vgpr14
                                        ; implicit-def: $vgpr13
	s_and_saveexec_b64 s[6:7], s[34:35]
	s_xor_b64 s[36:37], exec, s[6:7]
	s_cbranch_execz .LBB132_205
; %bb.204:                              ;   in Loop: Header=BB132_181 Depth=1
	v_and_b32_e32 v1, 0x7fffff, v28
	v_or_b32_e32 v35, 0x800000, v1
	v_mad_u64_u32 v[13:14], s[6:7], v35, s44, 0
	v_mov_b32_e32 v1, v14
	v_mad_u64_u32 v[29:30], s[6:7], v35, s45, v[1:2]
	v_mov_b32_e32 v1, v30
	;; [unrolled: 2-line block ×3, first 2 shown]
	v_mad_u64_u32 v[31:32], s[6:7], v35, s47, v[1:2]
	v_lshrrev_b32_e32 v1, 23, v28
	v_add_u32_e32 v14, 0xffffff88, v1
	v_mov_b32_e32 v1, v32
	v_mad_u64_u32 v[32:33], s[6:7], v35, s48, v[1:2]
	v_cmp_lt_u32_e64 s[6:7], 63, v14
	v_cndmask_b32_e64 v1, 0, v24, s[6:7]
	v_add_u32_e32 v14, v1, v14
	v_mov_b32_e32 v1, v33
	v_mad_u64_u32 v[33:34], s[8:9], v35, s49, v[1:2]
	v_cmp_lt_u32_e64 s[8:9], 31, v14
	v_cndmask_b32_e64 v1, 0, v25, s[8:9]
	;; [unrolled: 5-line block ×3, first 2 shown]
	v_add_u32_e32 v1, v1, v14
	v_cndmask_b32_e64 v14, v33, v31, s[6:7]
	v_cndmask_b32_e64 v34, v34, v32, s[6:7]
	;; [unrolled: 1-line block ×10, first 2 shown]
	v_sub_u32_e32 v35, 32, v1
	v_cndmask_b32_e64 v31, v32, v29, s[8:9]
	v_alignbit_b32 v36, v33, v34, v35
	v_cmp_eq_u32_e64 s[12:13], 0, v1
	v_cndmask_b32_e64 v14, v14, v31, s[10:11]
	v_cndmask_b32_e64 v1, v36, v33, s[12:13]
	v_alignbit_b32 v32, v34, v14, v35
	v_cndmask_b32_e64 v13, v30, v13, s[6:7]
	v_cndmask_b32_e64 v32, v32, v34, s[12:13]
	v_bfe_u32 v36, v1, 29, 1
	v_cndmask_b32_e64 v13, v29, v13, s[8:9]
	v_alignbit_b32 v33, v1, v32, 30
	v_sub_u32_e32 v37, 0, v36
	v_cndmask_b32_e64 v13, v31, v13, s[10:11]
	v_xor_b32_e32 v33, v33, v37
	v_alignbit_b32 v29, v14, v13, v35
	v_cndmask_b32_e64 v14, v29, v14, s[12:13]
	v_ffbh_u32_e32 v30, v33
	v_alignbit_b32 v29, v32, v14, 30
	v_min_u32_e32 v30, 32, v30
	v_alignbit_b32 v13, v14, v13, 30
	v_xor_b32_e32 v29, v29, v37
	v_sub_u32_e32 v31, 31, v30
	v_xor_b32_e32 v13, v13, v37
	v_alignbit_b32 v32, v33, v29, v31
	v_alignbit_b32 v13, v29, v13, v31
	;; [unrolled: 1-line block ×3, first 2 shown]
	v_ffbh_u32_e32 v29, v14
	v_min_u32_e32 v29, 32, v29
	v_lshrrev_b32_e32 v34, 29, v1
	v_not_b32_e32 v31, v29
	v_alignbit_b32 v13, v14, v13, v31
	v_lshlrev_b32_e32 v14, 31, v34
	v_or_b32_e32 v31, 0x33000000, v14
	v_add_lshl_u32 v29, v29, v30, 23
	v_lshrrev_b32_e32 v13, 9, v13
	v_sub_u32_e32 v29, v31, v29
	v_or_b32_e32 v14, 0.5, v14
	v_lshlrev_b32_e32 v30, 23, v30
	v_or_b32_e32 v13, v29, v13
	v_lshrrev_b32_e32 v29, 9, v32
	v_sub_u32_e32 v14, v14, v30
	v_or_b32_e32 v14, v29, v14
	v_mul_f32_e32 v29, 0x3fc90fda, v14
	v_fma_f32 v30, v14, s51, -v29
	v_fmac_f32_e32 v30, 0x33a22168, v14
	v_fmac_f32_e32 v30, 0x3fc90fda, v13
	v_lshrrev_b32_e32 v1, 30, v1
	v_add_f32_e32 v13, v29, v30
	v_add_u32_e32 v14, v36, v1
	s_andn2_saveexec_b64 s[6:7], s[36:37]
	s_branch .LBB132_206
.LBB132_205:                            ;   in Loop: Header=BB132_181 Depth=1
	s_andn2_saveexec_b64 s[6:7], s[36:37]
.LBB132_206:                            ;   in Loop: Header=BB132_181 Depth=1
	v_mul_f32_e64 v1, |v18|, s52
	v_rndne_f32_e32 v1, v1
	v_cvt_i32_f32_e32 v14, v1
	v_fma_f32 v13, v1, s53, |v18|
	v_fmac_f32_e32 v13, 0xb3a22168, v1
	v_fmac_f32_e32 v13, 0xa7c234c4, v1
; %bb.207:                              ;   in Loop: Header=BB132_181 Depth=1
	s_or_b64 exec, exec, s[6:7]
                                        ; implicit-def: $vgpr1
                                        ; implicit-def: $vgpr29
	s_and_saveexec_b64 s[6:7], s[34:35]
	s_xor_b64 s[34:35], exec, s[6:7]
	s_cbranch_execz .LBB132_209
; %bb.208:                              ;   in Loop: Header=BB132_181 Depth=1
	v_and_b32_e32 v1, 0x7fffff, v28
	v_or_b32_e32 v36, 0x800000, v1
	v_mad_u64_u32 v[29:30], s[6:7], v36, s44, 0
	v_mov_b32_e32 v1, v30
	v_mad_u64_u32 v[30:31], s[6:7], v36, s45, v[1:2]
	v_mov_b32_e32 v1, v31
	;; [unrolled: 2-line block ×3, first 2 shown]
	v_mad_u64_u32 v[32:33], s[6:7], v36, s47, v[1:2]
	v_lshrrev_b32_e32 v1, 23, v28
	v_add_u32_e32 v35, 0xffffff88, v1
	v_mov_b32_e32 v1, v33
	v_mad_u64_u32 v[33:34], s[8:9], v36, s48, v[1:2]
	v_cmp_lt_u32_e64 s[6:7], 63, v35
	v_cndmask_b32_e64 v1, 0, v24, s[6:7]
	v_add_u32_e32 v37, v1, v35
	v_mov_b32_e32 v1, v34
	v_mad_u64_u32 v[34:35], s[10:11], v36, s49, v[1:2]
	v_cmp_lt_u32_e64 s[8:9], 31, v37
	v_cndmask_b32_e64 v1, 0, v25, s[8:9]
	;; [unrolled: 5-line block ×3, first 2 shown]
	v_add_u32_e32 v1, v1, v37
	v_cndmask_b32_e64 v37, v34, v32, s[6:7]
	v_cndmask_b32_e64 v35, v35, v33, s[6:7]
	;; [unrolled: 1-line block ×10, first 2 shown]
	v_sub_u32_e32 v37, 32, v1
	v_cndmask_b32_e64 v32, v33, v30, s[8:9]
	v_alignbit_b32 v38, v34, v36, v37
	v_cmp_eq_u32_e64 s[12:13], 0, v1
	v_cndmask_b32_e64 v33, v35, v32, s[10:11]
	v_cndmask_b32_e64 v1, v38, v34, s[12:13]
	v_alignbit_b32 v34, v36, v33, v37
	v_cndmask_b32_e64 v29, v31, v29, s[6:7]
	v_cndmask_b32_e64 v34, v34, v36, s[12:13]
	v_bfe_u32 v38, v1, 29, 1
	v_cndmask_b32_e64 v29, v30, v29, s[8:9]
	v_alignbit_b32 v35, v1, v34, 30
	v_sub_u32_e32 v39, 0, v38
	v_cndmask_b32_e64 v29, v32, v29, s[10:11]
	v_xor_b32_e32 v35, v35, v39
	v_alignbit_b32 v30, v33, v29, v37
	v_cndmask_b32_e64 v30, v30, v33, s[12:13]
	v_ffbh_u32_e32 v32, v35
	v_alignbit_b32 v31, v34, v30, 30
	v_min_u32_e32 v32, 32, v32
	v_alignbit_b32 v29, v30, v29, 30
	v_xor_b32_e32 v31, v31, v39
	v_sub_u32_e32 v33, 31, v32
	v_xor_b32_e32 v29, v29, v39
	v_alignbit_b32 v34, v35, v31, v33
	v_alignbit_b32 v29, v31, v29, v33
	;; [unrolled: 1-line block ×3, first 2 shown]
	v_ffbh_u32_e32 v31, v30
	v_min_u32_e32 v31, 32, v31
	v_lshrrev_b32_e32 v36, 29, v1
	v_not_b32_e32 v33, v31
	v_alignbit_b32 v29, v30, v29, v33
	v_lshlrev_b32_e32 v30, 31, v36
	v_or_b32_e32 v33, 0x33000000, v30
	v_add_lshl_u32 v31, v31, v32, 23
	v_lshrrev_b32_e32 v29, 9, v29
	v_sub_u32_e32 v31, v33, v31
	v_or_b32_e32 v30, 0.5, v30
	v_lshlrev_b32_e32 v32, 23, v32
	v_or_b32_e32 v29, v31, v29
	v_lshrrev_b32_e32 v31, 9, v34
	v_sub_u32_e32 v30, v30, v32
	v_or_b32_e32 v30, v31, v30
	v_mul_f32_e32 v31, 0x3fc90fda, v30
	v_fma_f32 v32, v30, s51, -v31
	v_fmac_f32_e32 v32, 0x33a22168, v30
	v_fmac_f32_e32 v32, 0x3fc90fda, v29
	v_lshrrev_b32_e32 v1, 30, v1
	v_add_f32_e32 v29, v31, v32
	v_add_u32_e32 v1, v38, v1
	s_andn2_saveexec_b64 s[6:7], s[34:35]
	s_cbranch_execnz .LBB132_210
	s_branch .LBB132_211
.LBB132_209:                            ;   in Loop: Header=BB132_181 Depth=1
	s_andn2_saveexec_b64 s[6:7], s[34:35]
.LBB132_210:                            ;   in Loop: Header=BB132_181 Depth=1
	v_mul_f32_e64 v1, |v18|, s52
	v_rndne_f32_e32 v30, v1
	v_cvt_i32_f32_e32 v1, v30
	v_fma_f32 v29, v30, s53, |v18|
	v_fmac_f32_e32 v29, 0xb3a22168, v30
	v_fmac_f32_e32 v29, 0xa7c234c4, v30
.LBB132_211:                            ;   in Loop: Header=BB132_181 Depth=1
	s_or_b64 exec, exec, s[6:7]
	v_mul_f32_e32 v31, v13, v13
	v_mov_b32_e32 v32, 0xbab64f3b
	v_fmac_f32_e32 v32, 0x37d75334, v31
	v_mov_b32_e32 v33, 0x3c0881c4
	v_fma_f32 v32, v31, v32, v22
	v_fmac_f32_e32 v33, 0xb94c1982, v31
	v_lshlrev_b32_e32 v30, 30, v14
	v_and_b32_e32 v14, 1, v14
	v_fma_f32 v32, v31, v32, v23
	v_fma_f32 v33, v31, v33, v21
	v_fma_f32 v32, v31, v32, 1.0
	v_mul_f32_e32 v31, v31, v33
	v_cmp_eq_u32_e64 s[6:7], 0, v14
	v_add_f32_e32 v14, 0xc322e3bc, v17
	v_fmac_f32_e32 v13, v13, v31
	v_mul_f32_e32 v17, 0x3fb8aa3b, v14
	v_cndmask_b32_e64 v13, -v13, v32, s[6:7]
	v_fma_f32 v31, v14, s54, -v17
	v_rndne_f32_e32 v32, v17
	v_fmac_f32_e32 v31, 0x32a5705f, v14
	v_sub_f32_e32 v17, v17, v32
	v_add_f32_e32 v17, v17, v31
	v_exp_f32_e32 v17, v17
	v_cvt_i32_f32_e32 v31, v32
	v_cmp_ngt_f32_e64 s[8:9], s55, v14
	v_and_b32_e32 v30, 0x80000000, v30
	v_xor_b32_e32 v13, v30, v13
	v_ldexp_f32 v17, v17, v31
	v_cndmask_b32_e64 v17, 0, v17, s[8:9]
	v_cmp_nlt_f32_e64 s[8:9], s56, v14
	v_cndmask_b32_e64 v14, v26, v17, s[8:9]
	v_and_b32_e32 v17, 0x7fffff, v14
	v_lshrrev_b32_e32 v14, 23, v14
	v_subrev_u32_e32 v14, 19, v14
	v_lshrrev_b16_e32 v30, 15, v14
	v_add_u16_e32 v30, v14, v30
	v_ashrrev_i16_e32 v30, 1, v30
	v_bfe_i32 v30, v30, 0, 16
	v_lshl_add_u32 v31, v30, 23, 1.0
	v_sub_u32_e32 v14, v14, v30
	v_mul_f32_e32 v30, v29, v29
	v_mov_b32_e32 v32, 0x3c0881c4
	v_fmac_f32_e32 v32, 0xb94c1982, v30
	v_fma_f32 v32, v30, v32, v21
	v_mul_f32_e32 v32, v30, v32
	v_fmac_f32_e32 v29, v29, v32
	v_mov_b32_e32 v32, 0xbab64f3b
	v_fmac_f32_e32 v32, 0x37d75334, v30
	v_fma_f32 v32, v30, v32, v22
	v_fma_f32 v32, v30, v32, v23
	v_fma_f32 v30, v30, v32, 1.0
	v_and_b32_e32 v32, 1, v1
	v_cmp_eq_u32_e64 s[8:9], 0, v32
	v_lshlrev_b32_e32 v1, 30, v1
	v_cndmask_b32_e64 v29, v30, v29, s[8:9]
	v_and_or_b32 v1, v1, s57, v28
	v_xor_b32_e32 v1, v1, v29
	v_cmp_class_f32_e64 s[6:7], v18, s58
	v_xor_b32_e32 v1, v1, v18
	v_cndmask_b32_e64 v13, v27, v13, s[6:7]
	v_or_b32_e32 v17, 0x7f000000, v17
	v_cndmask_b32_e64 v1, v27, v1, s[6:7]
	v_mul_f32_e32 v13, v13, v17
	v_mul_f32_e32 v1, v1, v17
	;; [unrolled: 1-line block ×3, first 2 shown]
	v_lshl_add_u32 v14, v14, 23, 1.0
	v_mul_f32_e32 v1, v1, v31
	v_mul_f32_e32 v13, v13, v14
	;; [unrolled: 1-line block ×3, first 2 shown]
	s_or_b64 exec, exec, s[30:31]
                                        ; implicit-def: $vgpr17
                                        ; implicit-def: $vgpr1
.LBB132_212:                            ;   in Loop: Header=BB132_181 Depth=1
	s_andn2_saveexec_b64 s[8:9], s[28:29]
	s_cbranch_execz .LBB132_218
.LBB132_213:                            ;   in Loop: Header=BB132_181 Depth=1
	v_cmp_ne_u32_e64 s[6:7], s41, v1
                                        ; implicit-def: $vgpr14
	s_and_saveexec_b64 s[10:11], s[6:7]
	s_xor_b64 s[6:7], exec, s[10:11]
; %bb.214:                              ;   in Loop: Header=BB132_181 Depth=1
	v_sub_f32_e32 v14, v18, v18
                                        ; implicit-def: $vgpr17
; %bb.215:                              ;   in Loop: Header=BB132_181 Depth=1
	s_or_saveexec_b64 s[10:11], s[6:7]
	v_mov_b32_e32 v13, v14
	s_xor_b64 exec, exec, s[10:11]
; %bb.216:                              ;   in Loop: Header=BB132_181 Depth=1
	v_sub_f32_e32 v1, v18, v18
	v_cmp_lt_i32_e64 s[6:7], -1, v17
	v_cndmask_b32_e64 v13, 0, v17, s[6:7]
	v_cndmask_b32_e64 v14, 0, v1, s[6:7]
; %bb.217:                              ;   in Loop: Header=BB132_181 Depth=1
	s_or_b64 exec, exec, s[10:11]
.LBB132_218:                            ;   in Loop: Header=BB132_181 Depth=1
	s_or_b64 exec, exec, s[8:9]
                                        ; implicit-def: $vgpr18
                                        ; implicit-def: $vgpr28
.LBB132_219:                            ;   in Loop: Header=BB132_181 Depth=1
	s_andn2_saveexec_b64 s[26:27], s[26:27]
	s_cbranch_execz .LBB132_229
; %bb.220:                              ;   in Loop: Header=BB132_181 Depth=1
	v_cmp_nlt_f32_e64 s[28:29], |v18|, s43
                                        ; implicit-def: $vgpr13
                                        ; implicit-def: $vgpr14
	s_and_saveexec_b64 s[6:7], s[28:29]
	s_xor_b64 s[30:31], exec, s[6:7]
	s_cbranch_execz .LBB132_222
; %bb.221:                              ;   in Loop: Header=BB132_181 Depth=1
	v_and_b32_e32 v1, 0x7fffff, v28
	v_or_b32_e32 v17, 0x800000, v1
	v_mad_u64_u32 v[13:14], s[6:7], v17, s44, 0
	v_mov_b32_e32 v1, v14
	v_mad_u64_u32 v[29:30], s[6:7], v17, s45, v[1:2]
	v_mov_b32_e32 v1, v30
	;; [unrolled: 2-line block ×3, first 2 shown]
	v_mad_u64_u32 v[31:32], s[6:7], v17, s47, v[1:2]
	v_lshrrev_b32_e32 v1, 23, v28
	v_add_u32_e32 v14, 0xffffff88, v1
	v_mov_b32_e32 v1, v32
	v_mad_u64_u32 v[32:33], s[6:7], v17, s48, v[1:2]
	v_cmp_lt_u32_e64 s[6:7], 63, v14
	v_cndmask_b32_e64 v1, 0, v24, s[6:7]
	v_add_u32_e32 v14, v1, v14
	v_mov_b32_e32 v1, v33
	v_mad_u64_u32 v[33:34], s[8:9], v17, s49, v[1:2]
	v_cmp_lt_u32_e64 s[8:9], 31, v14
	v_cndmask_b32_e64 v1, 0, v25, s[8:9]
	;; [unrolled: 5-line block ×3, first 2 shown]
	v_add_u32_e32 v1, v1, v14
	v_cndmask_b32_e64 v14, v33, v31, s[6:7]
	v_cndmask_b32_e64 v17, v34, v32, s[6:7]
	;; [unrolled: 1-line block ×9, first 2 shown]
	v_sub_u32_e32 v34, 32, v1
	v_alignbit_b32 v35, v17, v33, v34
	v_cmp_eq_u32_e64 s[12:13], 0, v1
	v_cndmask_b32_e64 v1, v35, v17, s[12:13]
	v_cndmask_b32_e64 v17, v31, v29, s[6:7]
	;; [unrolled: 1-line block ×4, first 2 shown]
	v_alignbit_b32 v31, v33, v14, v34
	v_cndmask_b32_e64 v13, v30, v13, s[6:7]
	v_cndmask_b32_e64 v31, v31, v33, s[12:13]
	v_bfe_u32 v35, v1, 29, 1
	v_cndmask_b32_e64 v13, v17, v13, s[8:9]
	v_alignbit_b32 v32, v1, v31, 30
	v_sub_u32_e32 v36, 0, v35
	v_cndmask_b32_e64 v13, v29, v13, s[10:11]
	v_xor_b32_e32 v32, v32, v36
	v_alignbit_b32 v17, v14, v13, v34
	v_cndmask_b32_e64 v14, v17, v14, s[12:13]
	v_ffbh_u32_e32 v29, v32
	v_alignbit_b32 v17, v31, v14, 30
	v_min_u32_e32 v29, 32, v29
	v_alignbit_b32 v13, v14, v13, 30
	v_xor_b32_e32 v17, v17, v36
	v_sub_u32_e32 v30, 31, v29
	v_xor_b32_e32 v13, v13, v36
	v_alignbit_b32 v31, v32, v17, v30
	v_alignbit_b32 v13, v17, v13, v30
	;; [unrolled: 1-line block ×3, first 2 shown]
	v_ffbh_u32_e32 v17, v14
	v_min_u32_e32 v17, 32, v17
	v_lshrrev_b32_e32 v33, 29, v1
	v_not_b32_e32 v30, v17
	v_alignbit_b32 v13, v14, v13, v30
	v_lshlrev_b32_e32 v14, 31, v33
	v_or_b32_e32 v30, 0x33000000, v14
	v_add_lshl_u32 v17, v17, v29, 23
	v_lshrrev_b32_e32 v13, 9, v13
	v_sub_u32_e32 v17, v30, v17
	v_or_b32_e32 v14, 0.5, v14
	v_lshlrev_b32_e32 v29, 23, v29
	v_or_b32_e32 v13, v17, v13
	v_lshrrev_b32_e32 v17, 9, v31
	v_sub_u32_e32 v14, v14, v29
	v_or_b32_e32 v14, v17, v14
	v_mul_f32_e32 v17, 0x3fc90fda, v14
	v_fma_f32 v29, v14, s51, -v17
	v_fmac_f32_e32 v29, 0x33a22168, v14
	v_fmac_f32_e32 v29, 0x3fc90fda, v13
	v_lshrrev_b32_e32 v1, 30, v1
	v_add_f32_e32 v14, v17, v29
	v_add_u32_e32 v13, v35, v1
	s_andn2_saveexec_b64 s[6:7], s[30:31]
	s_branch .LBB132_223
.LBB132_222:                            ;   in Loop: Header=BB132_181 Depth=1
	s_andn2_saveexec_b64 s[6:7], s[30:31]
.LBB132_223:                            ;   in Loop: Header=BB132_181 Depth=1
	v_mul_f32_e64 v1, |v18|, s52
	v_rndne_f32_e32 v1, v1
	v_cvt_i32_f32_e32 v13, v1
	v_fma_f32 v14, v1, s53, |v18|
	v_fmac_f32_e32 v14, 0xb3a22168, v1
	v_fmac_f32_e32 v14, 0xa7c234c4, v1
; %bb.224:                              ;   in Loop: Header=BB132_181 Depth=1
	s_or_b64 exec, exec, s[6:7]
                                        ; implicit-def: $vgpr1
                                        ; implicit-def: $vgpr17
	s_and_saveexec_b64 s[6:7], s[28:29]
	s_xor_b64 s[28:29], exec, s[6:7]
	s_cbranch_execz .LBB132_226
; %bb.225:                              ;   in Loop: Header=BB132_181 Depth=1
	v_and_b32_e32 v1, 0x7fffff, v28
	v_or_b32_e32 v17, 0x800000, v1
	v_mad_u64_u32 v[29:30], s[6:7], v17, s44, 0
	v_mov_b32_e32 v1, v30
	v_mad_u64_u32 v[30:31], s[6:7], v17, s45, v[1:2]
	v_mov_b32_e32 v1, v31
	v_mad_u64_u32 v[31:32], s[6:7], v17, s46, v[1:2]
	v_mov_b32_e32 v1, v32
	v_mad_u64_u32 v[32:33], s[6:7], v17, s47, v[1:2]
	v_lshrrev_b32_e32 v1, 23, v28
	v_add_u32_e32 v35, 0xffffff88, v1
	v_mov_b32_e32 v1, v33
	v_mad_u64_u32 v[33:34], s[6:7], v17, s48, v[1:2]
	v_cmp_lt_u32_e64 s[6:7], 63, v35
	v_cndmask_b32_e64 v1, 0, v24, s[6:7]
	v_add_u32_e32 v36, v1, v35
	v_mov_b32_e32 v1, v34
	v_mad_u64_u32 v[34:35], s[8:9], v17, s49, v[1:2]
	v_cmp_lt_u32_e64 s[8:9], 31, v36
	v_cndmask_b32_e64 v1, 0, v25, s[8:9]
	;; [unrolled: 5-line block ×3, first 2 shown]
	v_cndmask_b32_e64 v17, v34, v32, s[6:7]
	v_cndmask_b32_e64 v35, v35, v33, s[6:7]
	;; [unrolled: 1-line block ×4, first 2 shown]
	v_add_u32_e32 v1, v1, v37
	v_cndmask_b32_e64 v36, v35, v17, s[8:9]
	v_cndmask_b32_e64 v34, v34, v35, s[8:9]
	;; [unrolled: 1-line block ×6, first 2 shown]
	v_sub_u32_e32 v36, 32, v1
	v_cndmask_b32_e64 v32, v33, v30, s[8:9]
	v_alignbit_b32 v37, v34, v35, v36
	v_cmp_eq_u32_e64 s[12:13], 0, v1
	v_cndmask_b32_e64 v17, v17, v32, s[10:11]
	v_cndmask_b32_e64 v1, v37, v34, s[12:13]
	v_alignbit_b32 v33, v35, v17, v36
	v_cndmask_b32_e64 v29, v31, v29, s[6:7]
	v_cndmask_b32_e64 v33, v33, v35, s[12:13]
	v_bfe_u32 v37, v1, 29, 1
	v_cndmask_b32_e64 v29, v30, v29, s[8:9]
	v_alignbit_b32 v34, v1, v33, 30
	v_sub_u32_e32 v38, 0, v37
	v_cndmask_b32_e64 v29, v32, v29, s[10:11]
	v_xor_b32_e32 v34, v34, v38
	v_alignbit_b32 v30, v17, v29, v36
	v_cndmask_b32_e64 v17, v30, v17, s[12:13]
	v_ffbh_u32_e32 v31, v34
	v_alignbit_b32 v30, v33, v17, 30
	v_min_u32_e32 v31, 32, v31
	v_alignbit_b32 v17, v17, v29, 30
	v_xor_b32_e32 v30, v30, v38
	v_sub_u32_e32 v32, 31, v31
	v_xor_b32_e32 v17, v17, v38
	v_alignbit_b32 v33, v34, v30, v32
	v_alignbit_b32 v17, v30, v17, v32
	;; [unrolled: 1-line block ×3, first 2 shown]
	v_ffbh_u32_e32 v30, v29
	v_min_u32_e32 v30, 32, v30
	v_lshrrev_b32_e32 v35, 29, v1
	v_not_b32_e32 v32, v30
	v_alignbit_b32 v17, v29, v17, v32
	v_lshlrev_b32_e32 v29, 31, v35
	v_or_b32_e32 v32, 0x33000000, v29
	v_add_lshl_u32 v30, v30, v31, 23
	v_lshrrev_b32_e32 v17, 9, v17
	v_sub_u32_e32 v30, v32, v30
	v_or_b32_e32 v29, 0.5, v29
	v_lshlrev_b32_e32 v31, 23, v31
	v_or_b32_e32 v17, v30, v17
	v_lshrrev_b32_e32 v30, 9, v33
	v_sub_u32_e32 v29, v29, v31
	v_or_b32_e32 v29, v30, v29
	v_mul_f32_e32 v30, 0x3fc90fda, v29
	v_fma_f32 v31, v29, s51, -v30
	v_fmac_f32_e32 v31, 0x33a22168, v29
	v_fmac_f32_e32 v31, 0x3fc90fda, v17
	v_lshrrev_b32_e32 v1, 30, v1
	v_add_f32_e32 v17, v30, v31
	v_add_u32_e32 v1, v37, v1
	s_andn2_saveexec_b64 s[6:7], s[28:29]
	s_cbranch_execnz .LBB132_227
	s_branch .LBB132_228
.LBB132_226:                            ;   in Loop: Header=BB132_181 Depth=1
	s_andn2_saveexec_b64 s[6:7], s[28:29]
.LBB132_227:                            ;   in Loop: Header=BB132_181 Depth=1
	v_mul_f32_e64 v1, |v18|, s52
	v_rndne_f32_e32 v29, v1
	v_cvt_i32_f32_e32 v1, v29
	v_fma_f32 v17, v29, s53, |v18|
	v_fmac_f32_e32 v17, 0xb3a22168, v29
	v_fmac_f32_e32 v17, 0xa7c234c4, v29
.LBB132_228:                            ;   in Loop: Header=BB132_181 Depth=1
	s_or_b64 exec, exec, s[6:7]
	v_mul_f32_e32 v29, v14, v14
	v_mov_b32_e32 v30, 0x3c0881c4
	v_fmac_f32_e32 v30, 0xb94c1982, v29
	v_fma_f32 v30, v29, v30, v21
	v_mul_f32_e32 v30, v29, v30
	v_fmac_f32_e32 v14, v14, v30
	v_mov_b32_e32 v30, 0xbab64f3b
	v_fmac_f32_e32 v30, 0x37d75334, v29
	v_fma_f32 v30, v29, v30, v22
	v_fma_f32 v30, v29, v30, v23
	v_fma_f32 v29, v29, v30, 1.0
	v_and_b32_e32 v30, 1, v13
	v_cmp_eq_u32_e64 s[6:7], 0, v30
	v_lshlrev_b32_e32 v13, 30, v13
	v_cndmask_b32_e64 v14, -v14, v29, s[6:7]
	v_and_b32_e32 v13, 0x80000000, v13
	v_xor_b32_e32 v13, v13, v14
	v_mul_f32_e32 v14, v17, v17
	v_mov_b32_e32 v29, 0x3c0881c4
	v_fmac_f32_e32 v29, 0xb94c1982, v14
	v_fma_f32 v29, v14, v29, v21
	v_mul_f32_e32 v29, v14, v29
	v_fmac_f32_e32 v17, v17, v29
	v_mov_b32_e32 v29, 0xbab64f3b
	v_fmac_f32_e32 v29, 0x37d75334, v14
	v_fma_f32 v29, v14, v29, v22
	v_fma_f32 v29, v14, v29, v23
	v_fma_f32 v14, v14, v29, 1.0
	v_and_b32_e32 v29, 1, v1
	v_cmp_eq_u32_e64 s[8:9], 0, v29
	v_lshlrev_b32_e32 v1, 30, v1
	v_cndmask_b32_e64 v14, v14, v17, s[8:9]
	v_and_or_b32 v1, v1, s57, v28
	v_xor_b32_e32 v1, v1, v14
	v_cmp_class_f32_e64 s[6:7], v18, s58
	v_xor_b32_e32 v1, v1, v18
	v_cndmask_b32_e64 v13, v27, v13, s[6:7]
	v_cndmask_b32_e64 v14, v27, v1, s[6:7]
.LBB132_229:                            ;   in Loop: Header=BB132_181 Depth=1
	s_or_b64 exec, exec, s[26:27]
                                        ; implicit-def: $vgpr17
.LBB132_230:                            ;   in Loop: Header=BB132_181 Depth=1
	s_andn2_saveexec_b64 s[8:9], s[24:25]
	s_cbranch_execz .LBB132_232
; %bb.231:                              ;   in Loop: Header=BB132_181 Depth=1
	v_mul_f32_e32 v1, 0x3fb8aa3b, v17
	v_rndne_f32_e32 v13, v1
	v_sub_f32_e32 v14, v1, v13
	v_fma_f32 v1, v17, s54, -v1
	v_fmac_f32_e32 v1, 0x32a5705f, v17
	v_add_f32_e32 v1, v14, v1
	v_cvt_i32_f32_e32 v13, v13
	v_exp_f32_e32 v1, v1
	v_cmp_ngt_f32_e64 s[6:7], s55, v17
	v_mov_b32_e32 v14, v18
	v_ldexp_f32 v1, v1, v13
	v_cndmask_b32_e64 v1, 0, v1, s[6:7]
	v_cmp_nlt_f32_e64 s[6:7], s56, v17
	v_cndmask_b32_e64 v13, v26, v1, s[6:7]
.LBB132_232:                            ;   in Loop: Header=BB132_181 Depth=1
	s_or_b64 exec, exec, s[8:9]
	v_and_b32_e32 v28, 0x7fffffff, v20
	v_cmp_ne_u32_e64 s[6:7], 0, v28
                                        ; implicit-def: $vgpr18
	s_and_saveexec_b64 s[8:9], s[6:7]
	s_xor_b64 s[24:25], exec, s[8:9]
	s_cbranch_execz .LBB132_275
; %bb.233:                              ;   in Loop: Header=BB132_181 Depth=1
	v_and_b32_e32 v1, 0x7fffffff, v19
	v_cmp_ne_u32_e64 s[6:7], 0, v1
                                        ; implicit-def: $vgpr18
	s_and_saveexec_b64 s[8:9], s[6:7]
	s_xor_b64 s[26:27], exec, s[8:9]
	s_cbranch_execz .LBB132_264
; %bb.234:                              ;   in Loop: Header=BB132_181 Depth=1
	v_cmp_gt_u32_e64 s[6:7], s41, v28
                                        ; implicit-def: $vgpr18
	s_and_saveexec_b64 s[8:9], s[6:7]
	s_xor_b64 s[28:29], exec, s[8:9]
	s_cbranch_execz .LBB132_257
; %bb.235:                              ;   in Loop: Header=BB132_181 Depth=1
	v_add_u32_e32 v1, 0xbd4e8de8, v19
	v_cmp_lt_u32_e64 s[6:7], s42, v1
                                        ; implicit-def: $vgpr18
	s_and_saveexec_b64 s[8:9], s[6:7]
	s_xor_b64 s[30:31], exec, s[8:9]
	s_cbranch_execz .LBB132_246
; %bb.236:                              ;   in Loop: Header=BB132_181 Depth=1
	v_cmp_nlt_f32_e64 s[34:35], |v20|, s43
                                        ; implicit-def: $vgpr17
                                        ; implicit-def: $vgpr18
	s_and_saveexec_b64 s[6:7], s[34:35]
	s_xor_b64 s[36:37], exec, s[6:7]
	s_cbranch_execz .LBB132_239
; %bb.237:                              ;   in Loop: Header=BB132_181 Depth=1
	v_and_b32_e32 v1, 0x7fffff, v28
	v_or_b32_e32 v35, 0x800000, v1
	v_mad_u64_u32 v[17:18], s[6:7], v35, s44, 0
	v_mov_b32_e32 v1, v18
	v_mad_u64_u32 v[29:30], s[6:7], v35, s45, v[1:2]
	v_mov_b32_e32 v1, v30
	;; [unrolled: 2-line block ×3, first 2 shown]
	v_mad_u64_u32 v[31:32], s[6:7], v35, s47, v[1:2]
	v_lshrrev_b32_e32 v1, 23, v28
	v_add_u32_e32 v18, 0xffffff88, v1
	v_mov_b32_e32 v1, v32
	v_mad_u64_u32 v[32:33], s[6:7], v35, s48, v[1:2]
	v_cmp_lt_u32_e64 s[6:7], 63, v18
	v_cndmask_b32_e64 v1, 0, v24, s[6:7]
	v_add_u32_e32 v18, v1, v18
	v_mov_b32_e32 v1, v33
	v_mad_u64_u32 v[33:34], s[8:9], v35, s49, v[1:2]
	v_cmp_lt_u32_e64 s[8:9], 31, v18
	v_cndmask_b32_e64 v1, 0, v25, s[8:9]
	;; [unrolled: 5-line block ×3, first 2 shown]
	v_add_u32_e32 v1, v1, v18
	v_cndmask_b32_e64 v18, v33, v31, s[6:7]
	v_cndmask_b32_e64 v34, v34, v32, s[6:7]
	;; [unrolled: 1-line block ×10, first 2 shown]
	v_sub_u32_e32 v35, 32, v1
	v_cndmask_b32_e64 v31, v32, v29, s[8:9]
	v_alignbit_b32 v36, v33, v34, v35
	v_cmp_eq_u32_e64 s[12:13], 0, v1
	v_cndmask_b32_e64 v18, v18, v31, s[10:11]
	v_cndmask_b32_e64 v1, v36, v33, s[12:13]
	v_alignbit_b32 v32, v34, v18, v35
	v_cndmask_b32_e64 v17, v30, v17, s[6:7]
	v_cndmask_b32_e64 v32, v32, v34, s[12:13]
	v_bfe_u32 v36, v1, 29, 1
	v_cndmask_b32_e64 v17, v29, v17, s[8:9]
	v_alignbit_b32 v33, v1, v32, 30
	v_sub_u32_e32 v37, 0, v36
	v_cndmask_b32_e64 v17, v31, v17, s[10:11]
	v_xor_b32_e32 v33, v33, v37
	v_alignbit_b32 v29, v18, v17, v35
	v_cndmask_b32_e64 v18, v29, v18, s[12:13]
	v_ffbh_u32_e32 v30, v33
	v_alignbit_b32 v29, v32, v18, 30
	v_min_u32_e32 v30, 32, v30
	v_alignbit_b32 v17, v18, v17, 30
	v_xor_b32_e32 v29, v29, v37
	v_sub_u32_e32 v31, 31, v30
	v_xor_b32_e32 v17, v17, v37
	v_alignbit_b32 v32, v33, v29, v31
	v_alignbit_b32 v17, v29, v17, v31
	;; [unrolled: 1-line block ×3, first 2 shown]
	v_ffbh_u32_e32 v29, v18
	v_min_u32_e32 v29, 32, v29
	v_lshrrev_b32_e32 v34, 29, v1
	v_not_b32_e32 v31, v29
	v_alignbit_b32 v17, v18, v17, v31
	v_lshlrev_b32_e32 v18, 31, v34
	v_or_b32_e32 v31, 0x33000000, v18
	v_add_lshl_u32 v29, v29, v30, 23
	v_lshrrev_b32_e32 v17, 9, v17
	v_sub_u32_e32 v29, v31, v29
	v_or_b32_e32 v18, 0.5, v18
	v_lshlrev_b32_e32 v30, 23, v30
	v_or_b32_e32 v17, v29, v17
	v_lshrrev_b32_e32 v29, 9, v32
	v_sub_u32_e32 v18, v18, v30
	v_or_b32_e32 v18, v29, v18
	v_mul_f32_e32 v29, 0x3fc90fda, v18
	v_fma_f32 v30, v18, s51, -v29
	v_fmac_f32_e32 v30, 0x33a22168, v18
	v_fmac_f32_e32 v30, 0x3fc90fda, v17
	v_lshrrev_b32_e32 v1, 30, v1
	v_add_f32_e32 v18, v29, v30
	v_add_u32_e32 v17, v36, v1
	s_andn2_saveexec_b64 s[6:7], s[36:37]
	s_branch .LBB132_240
.LBB132_238:                            ;   in Loop: Header=BB132_181 Depth=1
	s_or_b64 exec, exec, s[30:31]
                                        ; implicit-def: $vgpr17
                                        ; implicit-def: $vgpr1
	s_andn2_saveexec_b64 s[8:9], s[28:29]
	s_cbranch_execnz .LBB132_213
	s_branch .LBB132_218
.LBB132_239:                            ;   in Loop: Header=BB132_181 Depth=1
	s_andn2_saveexec_b64 s[6:7], s[36:37]
.LBB132_240:                            ;   in Loop: Header=BB132_181 Depth=1
	v_mul_f32_e64 v1, |v20|, s52
	v_rndne_f32_e32 v1, v1
	v_cvt_i32_f32_e32 v17, v1
	v_fma_f32 v18, v1, s53, |v20|
	v_fmac_f32_e32 v18, 0xb3a22168, v1
	v_fmac_f32_e32 v18, 0xa7c234c4, v1
; %bb.241:                              ;   in Loop: Header=BB132_181 Depth=1
	s_or_b64 exec, exec, s[6:7]
                                        ; implicit-def: $vgpr1
                                        ; implicit-def: $vgpr29
	s_and_saveexec_b64 s[6:7], s[34:35]
	s_xor_b64 s[34:35], exec, s[6:7]
	s_cbranch_execz .LBB132_243
; %bb.242:                              ;   in Loop: Header=BB132_181 Depth=1
	v_and_b32_e32 v1, 0x7fffff, v28
	v_or_b32_e32 v36, 0x800000, v1
	v_mad_u64_u32 v[29:30], s[6:7], v36, s44, 0
	v_mov_b32_e32 v1, v30
	v_mad_u64_u32 v[30:31], s[6:7], v36, s45, v[1:2]
	v_mov_b32_e32 v1, v31
	;; [unrolled: 2-line block ×3, first 2 shown]
	v_mad_u64_u32 v[32:33], s[6:7], v36, s47, v[1:2]
	v_lshrrev_b32_e32 v1, 23, v28
	v_add_u32_e32 v35, 0xffffff88, v1
	v_mov_b32_e32 v1, v33
	v_mad_u64_u32 v[33:34], s[6:7], v36, s48, v[1:2]
	v_cmp_lt_u32_e64 s[6:7], 63, v35
	v_cndmask_b32_e64 v1, 0, v24, s[6:7]
	v_add_u32_e32 v37, v1, v35
	v_mov_b32_e32 v1, v34
	v_mad_u64_u32 v[34:35], s[8:9], v36, s49, v[1:2]
	v_cmp_lt_u32_e64 s[8:9], 31, v37
	v_cndmask_b32_e64 v1, 0, v25, s[8:9]
	;; [unrolled: 5-line block ×3, first 2 shown]
	v_add_u32_e32 v1, v1, v37
	v_cndmask_b32_e64 v37, v34, v32, s[6:7]
	v_cndmask_b32_e64 v35, v35, v33, s[6:7]
	;; [unrolled: 1-line block ×10, first 2 shown]
	v_sub_u32_e32 v37, 32, v1
	v_cndmask_b32_e64 v32, v33, v30, s[8:9]
	v_alignbit_b32 v38, v34, v36, v37
	v_cmp_eq_u32_e64 s[12:13], 0, v1
	v_cndmask_b32_e64 v33, v35, v32, s[10:11]
	v_cndmask_b32_e64 v1, v38, v34, s[12:13]
	v_alignbit_b32 v34, v36, v33, v37
	v_cndmask_b32_e64 v29, v31, v29, s[6:7]
	v_cndmask_b32_e64 v34, v34, v36, s[12:13]
	v_bfe_u32 v38, v1, 29, 1
	v_cndmask_b32_e64 v29, v30, v29, s[8:9]
	v_alignbit_b32 v35, v1, v34, 30
	v_sub_u32_e32 v39, 0, v38
	v_cndmask_b32_e64 v29, v32, v29, s[10:11]
	v_xor_b32_e32 v35, v35, v39
	v_alignbit_b32 v30, v33, v29, v37
	v_cndmask_b32_e64 v30, v30, v33, s[12:13]
	v_ffbh_u32_e32 v32, v35
	v_alignbit_b32 v31, v34, v30, 30
	v_min_u32_e32 v32, 32, v32
	v_alignbit_b32 v29, v30, v29, 30
	v_xor_b32_e32 v31, v31, v39
	v_sub_u32_e32 v33, 31, v32
	v_xor_b32_e32 v29, v29, v39
	v_alignbit_b32 v34, v35, v31, v33
	v_alignbit_b32 v29, v31, v29, v33
	;; [unrolled: 1-line block ×3, first 2 shown]
	v_ffbh_u32_e32 v31, v30
	v_min_u32_e32 v31, 32, v31
	v_lshrrev_b32_e32 v36, 29, v1
	v_not_b32_e32 v33, v31
	v_alignbit_b32 v29, v30, v29, v33
	v_lshlrev_b32_e32 v30, 31, v36
	v_or_b32_e32 v33, 0x33000000, v30
	v_add_lshl_u32 v31, v31, v32, 23
	v_lshrrev_b32_e32 v29, 9, v29
	v_sub_u32_e32 v31, v33, v31
	v_or_b32_e32 v30, 0.5, v30
	v_lshlrev_b32_e32 v32, 23, v32
	v_or_b32_e32 v29, v31, v29
	v_lshrrev_b32_e32 v31, 9, v34
	v_sub_u32_e32 v30, v30, v32
	v_or_b32_e32 v30, v31, v30
	v_mul_f32_e32 v31, 0x3fc90fda, v30
	v_fma_f32 v32, v30, s51, -v31
	v_fmac_f32_e32 v32, 0x33a22168, v30
	v_fmac_f32_e32 v32, 0x3fc90fda, v29
	v_lshrrev_b32_e32 v1, 30, v1
	v_add_f32_e32 v29, v31, v32
	v_add_u32_e32 v1, v38, v1
	s_andn2_saveexec_b64 s[6:7], s[34:35]
	s_cbranch_execnz .LBB132_244
	s_branch .LBB132_245
.LBB132_243:                            ;   in Loop: Header=BB132_181 Depth=1
	s_andn2_saveexec_b64 s[6:7], s[34:35]
.LBB132_244:                            ;   in Loop: Header=BB132_181 Depth=1
	v_mul_f32_e64 v1, |v20|, s52
	v_rndne_f32_e32 v30, v1
	v_cvt_i32_f32_e32 v1, v30
	v_fma_f32 v29, v30, s53, |v20|
	v_fmac_f32_e32 v29, 0xb3a22168, v30
	v_fmac_f32_e32 v29, 0xa7c234c4, v30
.LBB132_245:                            ;   in Loop: Header=BB132_181 Depth=1
	s_or_b64 exec, exec, s[6:7]
	v_mul_f32_e32 v30, 0x3fb8aa3b, v19
	v_rndne_f32_e32 v31, v30
	v_sub_f32_e32 v32, v30, v31
	v_fma_f32 v30, v19, s54, -v30
	v_fmac_f32_e32 v30, 0x32a5705f, v19
	v_add_f32_e32 v30, v32, v30
	v_cvt_i32_f32_e32 v31, v31
	v_exp_f32_e32 v30, v30
	v_cmp_ngt_f32_e64 s[6:7], s55, v19
	v_ldexp_f32 v30, v30, v31
	v_cndmask_b32_e64 v30, 0, v30, s[6:7]
	v_cmp_nlt_f32_e64 s[6:7], s56, v19
	v_cndmask_b32_e64 v19, v26, v30, s[6:7]
	v_mul_f32_e32 v30, v18, v18
	v_mov_b32_e32 v31, 0x3c0881c4
	v_fmac_f32_e32 v31, 0xb94c1982, v30
	v_fma_f32 v31, v30, v31, v21
	v_mul_f32_e32 v31, v30, v31
	v_fmac_f32_e32 v18, v18, v31
	v_mov_b32_e32 v31, 0xbab64f3b
	v_fmac_f32_e32 v31, 0x37d75334, v30
	v_fma_f32 v31, v30, v31, v22
	v_fma_f32 v31, v30, v31, v23
	v_fma_f32 v30, v30, v31, 1.0
	v_and_b32_e32 v31, 1, v17
	v_cmp_eq_u32_e64 s[6:7], 0, v31
	v_lshlrev_b32_e32 v17, 30, v17
	v_cndmask_b32_e64 v18, -v18, v30, s[6:7]
	v_and_b32_e32 v17, 0x80000000, v17
	v_xor_b32_e32 v17, v17, v18
	v_mul_f32_e32 v18, v29, v29
	v_mov_b32_e32 v30, 0x3c0881c4
	v_fmac_f32_e32 v30, 0xb94c1982, v18
	v_fma_f32 v30, v18, v30, v21
	v_mul_f32_e32 v30, v18, v30
	v_fmac_f32_e32 v29, v29, v30
	v_mov_b32_e32 v30, 0xbab64f3b
	v_fmac_f32_e32 v30, 0x37d75334, v18
	v_fma_f32 v30, v18, v30, v22
	v_fma_f32 v30, v18, v30, v23
	v_fma_f32 v18, v18, v30, 1.0
	v_and_b32_e32 v30, 1, v1
	v_cmp_eq_u32_e64 s[8:9], 0, v30
	v_lshlrev_b32_e32 v1, 30, v1
	v_cndmask_b32_e64 v18, v18, v29, s[8:9]
	v_and_or_b32 v1, v1, s57, v28
	v_xor_b32_e32 v1, v1, v18
	v_cmp_class_f32_e64 s[6:7], v20, s58
	v_xor_b32_e32 v1, v1, v20
	v_cndmask_b32_e64 v17, v27, v17, s[6:7]
	v_cndmask_b32_e64 v1, v27, v1, s[6:7]
	v_mul_f32_e32 v17, v19, v17
	v_mul_f32_e32 v18, v19, v1
                                        ; implicit-def: $vgpr20
                                        ; implicit-def: $vgpr28
.LBB132_246:                            ;   in Loop: Header=BB132_181 Depth=1
	s_andn2_saveexec_b64 s[30:31], s[30:31]
	s_cbranch_execz .LBB132_256
; %bb.247:                              ;   in Loop: Header=BB132_181 Depth=1
	v_cmp_nlt_f32_e64 s[34:35], |v20|, s43
                                        ; implicit-def: $vgpr18
                                        ; implicit-def: $vgpr17
	s_and_saveexec_b64 s[6:7], s[34:35]
	s_xor_b64 s[36:37], exec, s[6:7]
	s_cbranch_execz .LBB132_249
; %bb.248:                              ;   in Loop: Header=BB132_181 Depth=1
	v_and_b32_e32 v1, 0x7fffff, v28
	v_or_b32_e32 v35, 0x800000, v1
	v_mad_u64_u32 v[17:18], s[6:7], v35, s44, 0
	v_mov_b32_e32 v1, v18
	v_mad_u64_u32 v[29:30], s[6:7], v35, s45, v[1:2]
	v_mov_b32_e32 v1, v30
	;; [unrolled: 2-line block ×3, first 2 shown]
	v_mad_u64_u32 v[31:32], s[6:7], v35, s47, v[1:2]
	v_lshrrev_b32_e32 v1, 23, v28
	v_add_u32_e32 v18, 0xffffff88, v1
	v_mov_b32_e32 v1, v32
	v_mad_u64_u32 v[32:33], s[6:7], v35, s48, v[1:2]
	v_cmp_lt_u32_e64 s[6:7], 63, v18
	v_cndmask_b32_e64 v1, 0, v24, s[6:7]
	v_add_u32_e32 v18, v1, v18
	v_mov_b32_e32 v1, v33
	v_mad_u64_u32 v[33:34], s[8:9], v35, s49, v[1:2]
	v_cmp_lt_u32_e64 s[8:9], 31, v18
	v_cndmask_b32_e64 v1, 0, v25, s[8:9]
	;; [unrolled: 5-line block ×3, first 2 shown]
	v_add_u32_e32 v1, v1, v18
	v_cndmask_b32_e64 v18, v33, v31, s[6:7]
	v_cndmask_b32_e64 v34, v34, v32, s[6:7]
	v_cndmask_b32_e64 v33, v35, v33, s[6:7]
	v_cndmask_b32_e64 v32, v32, v30, s[6:7]
	v_cndmask_b32_e64 v35, v34, v18, s[8:9]
	v_cndmask_b32_e64 v33, v33, v34, s[8:9]
	v_cndmask_b32_e64 v18, v18, v32, s[8:9]
	v_cndmask_b32_e64 v29, v31, v29, s[6:7]
	v_cndmask_b32_e64 v33, v33, v35, s[10:11]
	v_cndmask_b32_e64 v34, v35, v18, s[10:11]
	v_sub_u32_e32 v35, 32, v1
	v_cndmask_b32_e64 v31, v32, v29, s[8:9]
	v_alignbit_b32 v36, v33, v34, v35
	v_cmp_eq_u32_e64 s[12:13], 0, v1
	v_cndmask_b32_e64 v18, v18, v31, s[10:11]
	v_cndmask_b32_e64 v1, v36, v33, s[12:13]
	v_alignbit_b32 v32, v34, v18, v35
	v_cndmask_b32_e64 v17, v30, v17, s[6:7]
	v_cndmask_b32_e64 v32, v32, v34, s[12:13]
	v_bfe_u32 v36, v1, 29, 1
	v_cndmask_b32_e64 v17, v29, v17, s[8:9]
	v_alignbit_b32 v33, v1, v32, 30
	v_sub_u32_e32 v37, 0, v36
	v_cndmask_b32_e64 v17, v31, v17, s[10:11]
	v_xor_b32_e32 v33, v33, v37
	v_alignbit_b32 v29, v18, v17, v35
	v_cndmask_b32_e64 v18, v29, v18, s[12:13]
	v_ffbh_u32_e32 v30, v33
	v_alignbit_b32 v29, v32, v18, 30
	v_min_u32_e32 v30, 32, v30
	v_alignbit_b32 v17, v18, v17, 30
	v_xor_b32_e32 v29, v29, v37
	v_sub_u32_e32 v31, 31, v30
	v_xor_b32_e32 v17, v17, v37
	v_alignbit_b32 v32, v33, v29, v31
	v_alignbit_b32 v17, v29, v17, v31
	;; [unrolled: 1-line block ×3, first 2 shown]
	v_ffbh_u32_e32 v29, v18
	v_min_u32_e32 v29, 32, v29
	v_lshrrev_b32_e32 v34, 29, v1
	v_not_b32_e32 v31, v29
	v_alignbit_b32 v17, v18, v17, v31
	v_lshlrev_b32_e32 v18, 31, v34
	v_or_b32_e32 v31, 0x33000000, v18
	v_add_lshl_u32 v29, v29, v30, 23
	v_lshrrev_b32_e32 v17, 9, v17
	v_sub_u32_e32 v29, v31, v29
	v_or_b32_e32 v18, 0.5, v18
	v_lshlrev_b32_e32 v30, 23, v30
	v_or_b32_e32 v17, v29, v17
	v_lshrrev_b32_e32 v29, 9, v32
	v_sub_u32_e32 v18, v18, v30
	v_or_b32_e32 v18, v29, v18
	v_mul_f32_e32 v29, 0x3fc90fda, v18
	v_fma_f32 v30, v18, s51, -v29
	v_fmac_f32_e32 v30, 0x33a22168, v18
	v_fmac_f32_e32 v30, 0x3fc90fda, v17
	v_lshrrev_b32_e32 v1, 30, v1
	v_add_f32_e32 v17, v29, v30
	v_add_u32_e32 v18, v36, v1
	s_andn2_saveexec_b64 s[6:7], s[36:37]
	s_branch .LBB132_250
.LBB132_249:                            ;   in Loop: Header=BB132_181 Depth=1
	s_andn2_saveexec_b64 s[6:7], s[36:37]
.LBB132_250:                            ;   in Loop: Header=BB132_181 Depth=1
	v_mul_f32_e64 v1, |v20|, s52
	v_rndne_f32_e32 v1, v1
	v_cvt_i32_f32_e32 v18, v1
	v_fma_f32 v17, v1, s53, |v20|
	v_fmac_f32_e32 v17, 0xb3a22168, v1
	v_fmac_f32_e32 v17, 0xa7c234c4, v1
; %bb.251:                              ;   in Loop: Header=BB132_181 Depth=1
	s_or_b64 exec, exec, s[6:7]
                                        ; implicit-def: $vgpr1
                                        ; implicit-def: $vgpr29
	s_and_saveexec_b64 s[6:7], s[34:35]
	s_xor_b64 s[34:35], exec, s[6:7]
	s_cbranch_execz .LBB132_253
; %bb.252:                              ;   in Loop: Header=BB132_181 Depth=1
	v_and_b32_e32 v1, 0x7fffff, v28
	v_or_b32_e32 v36, 0x800000, v1
	v_mad_u64_u32 v[29:30], s[6:7], v36, s44, 0
	v_mov_b32_e32 v1, v30
	v_mad_u64_u32 v[30:31], s[6:7], v36, s45, v[1:2]
	v_mov_b32_e32 v1, v31
	;; [unrolled: 2-line block ×3, first 2 shown]
	v_mad_u64_u32 v[32:33], s[6:7], v36, s47, v[1:2]
	v_lshrrev_b32_e32 v1, 23, v28
	v_add_u32_e32 v35, 0xffffff88, v1
	v_mov_b32_e32 v1, v33
	v_mad_u64_u32 v[33:34], s[6:7], v36, s48, v[1:2]
	v_cmp_lt_u32_e64 s[6:7], 63, v35
	v_cndmask_b32_e64 v1, 0, v24, s[6:7]
	v_add_u32_e32 v37, v1, v35
	v_mov_b32_e32 v1, v34
	v_mad_u64_u32 v[34:35], s[8:9], v36, s49, v[1:2]
	v_cmp_lt_u32_e64 s[8:9], 31, v37
	v_cndmask_b32_e64 v1, 0, v25, s[8:9]
	;; [unrolled: 5-line block ×3, first 2 shown]
	v_add_u32_e32 v1, v1, v37
	v_cndmask_b32_e64 v37, v34, v32, s[6:7]
	v_cndmask_b32_e64 v35, v35, v33, s[6:7]
	;; [unrolled: 1-line block ×10, first 2 shown]
	v_sub_u32_e32 v37, 32, v1
	v_cndmask_b32_e64 v32, v33, v30, s[8:9]
	v_alignbit_b32 v38, v34, v36, v37
	v_cmp_eq_u32_e64 s[12:13], 0, v1
	v_cndmask_b32_e64 v33, v35, v32, s[10:11]
	v_cndmask_b32_e64 v1, v38, v34, s[12:13]
	v_alignbit_b32 v34, v36, v33, v37
	v_cndmask_b32_e64 v29, v31, v29, s[6:7]
	v_cndmask_b32_e64 v34, v34, v36, s[12:13]
	v_bfe_u32 v38, v1, 29, 1
	v_cndmask_b32_e64 v29, v30, v29, s[8:9]
	v_alignbit_b32 v35, v1, v34, 30
	v_sub_u32_e32 v39, 0, v38
	v_cndmask_b32_e64 v29, v32, v29, s[10:11]
	v_xor_b32_e32 v35, v35, v39
	v_alignbit_b32 v30, v33, v29, v37
	v_cndmask_b32_e64 v30, v30, v33, s[12:13]
	v_ffbh_u32_e32 v32, v35
	v_alignbit_b32 v31, v34, v30, 30
	v_min_u32_e32 v32, 32, v32
	v_alignbit_b32 v29, v30, v29, 30
	v_xor_b32_e32 v31, v31, v39
	v_sub_u32_e32 v33, 31, v32
	v_xor_b32_e32 v29, v29, v39
	v_alignbit_b32 v34, v35, v31, v33
	v_alignbit_b32 v29, v31, v29, v33
	;; [unrolled: 1-line block ×3, first 2 shown]
	v_ffbh_u32_e32 v31, v30
	v_min_u32_e32 v31, 32, v31
	v_lshrrev_b32_e32 v36, 29, v1
	v_not_b32_e32 v33, v31
	v_alignbit_b32 v29, v30, v29, v33
	v_lshlrev_b32_e32 v30, 31, v36
	v_or_b32_e32 v33, 0x33000000, v30
	v_add_lshl_u32 v31, v31, v32, 23
	v_lshrrev_b32_e32 v29, 9, v29
	v_sub_u32_e32 v31, v33, v31
	v_or_b32_e32 v30, 0.5, v30
	v_lshlrev_b32_e32 v32, 23, v32
	v_or_b32_e32 v29, v31, v29
	v_lshrrev_b32_e32 v31, 9, v34
	v_sub_u32_e32 v30, v30, v32
	v_or_b32_e32 v30, v31, v30
	v_mul_f32_e32 v31, 0x3fc90fda, v30
	v_fma_f32 v32, v30, s51, -v31
	v_fmac_f32_e32 v32, 0x33a22168, v30
	v_fmac_f32_e32 v32, 0x3fc90fda, v29
	v_lshrrev_b32_e32 v1, 30, v1
	v_add_f32_e32 v29, v31, v32
	v_add_u32_e32 v1, v38, v1
	s_andn2_saveexec_b64 s[6:7], s[34:35]
	s_cbranch_execnz .LBB132_254
	s_branch .LBB132_255
.LBB132_253:                            ;   in Loop: Header=BB132_181 Depth=1
	s_andn2_saveexec_b64 s[6:7], s[34:35]
.LBB132_254:                            ;   in Loop: Header=BB132_181 Depth=1
	v_mul_f32_e64 v1, |v20|, s52
	v_rndne_f32_e32 v30, v1
	v_cvt_i32_f32_e32 v1, v30
	v_fma_f32 v29, v30, s53, |v20|
	v_fmac_f32_e32 v29, 0xb3a22168, v30
	v_fmac_f32_e32 v29, 0xa7c234c4, v30
.LBB132_255:                            ;   in Loop: Header=BB132_181 Depth=1
	s_or_b64 exec, exec, s[6:7]
	v_mul_f32_e32 v31, v17, v17
	v_mov_b32_e32 v32, 0xbab64f3b
	v_fmac_f32_e32 v32, 0x37d75334, v31
	v_mov_b32_e32 v33, 0x3c0881c4
	v_fma_f32 v32, v31, v32, v22
	v_fmac_f32_e32 v33, 0xb94c1982, v31
	v_lshlrev_b32_e32 v30, 30, v18
	v_and_b32_e32 v18, 1, v18
	v_fma_f32 v32, v31, v32, v23
	v_fma_f32 v33, v31, v33, v21
	v_fma_f32 v32, v31, v32, 1.0
	v_mul_f32_e32 v31, v31, v33
	v_cmp_eq_u32_e64 s[6:7], 0, v18
	v_add_f32_e32 v18, 0xc322e3bc, v19
	v_fmac_f32_e32 v17, v17, v31
	v_mul_f32_e32 v19, 0x3fb8aa3b, v18
	v_cndmask_b32_e64 v17, -v17, v32, s[6:7]
	v_fma_f32 v31, v18, s54, -v19
	v_rndne_f32_e32 v32, v19
	v_fmac_f32_e32 v31, 0x32a5705f, v18
	v_sub_f32_e32 v19, v19, v32
	v_add_f32_e32 v19, v19, v31
	v_exp_f32_e32 v19, v19
	v_cvt_i32_f32_e32 v31, v32
	v_cmp_ngt_f32_e64 s[8:9], s55, v18
	v_and_b32_e32 v30, 0x80000000, v30
	v_xor_b32_e32 v17, v30, v17
	v_ldexp_f32 v19, v19, v31
	v_cndmask_b32_e64 v19, 0, v19, s[8:9]
	v_cmp_nlt_f32_e64 s[8:9], s56, v18
	v_cndmask_b32_e64 v18, v26, v19, s[8:9]
	v_and_b32_e32 v19, 0x7fffff, v18
	v_lshrrev_b32_e32 v18, 23, v18
	v_subrev_u32_e32 v18, 19, v18
	v_lshrrev_b16_e32 v30, 15, v18
	v_add_u16_e32 v30, v18, v30
	v_ashrrev_i16_e32 v30, 1, v30
	v_bfe_i32 v30, v30, 0, 16
	v_lshl_add_u32 v31, v30, 23, 1.0
	v_sub_u32_e32 v18, v18, v30
	v_mul_f32_e32 v30, v29, v29
	v_mov_b32_e32 v32, 0x3c0881c4
	v_fmac_f32_e32 v32, 0xb94c1982, v30
	v_fma_f32 v32, v30, v32, v21
	v_mul_f32_e32 v32, v30, v32
	v_fmac_f32_e32 v29, v29, v32
	v_mov_b32_e32 v32, 0xbab64f3b
	v_fmac_f32_e32 v32, 0x37d75334, v30
	v_fma_f32 v32, v30, v32, v22
	v_fma_f32 v32, v30, v32, v23
	v_fma_f32 v30, v30, v32, 1.0
	v_and_b32_e32 v32, 1, v1
	v_cmp_eq_u32_e64 s[8:9], 0, v32
	v_lshlrev_b32_e32 v1, 30, v1
	v_cndmask_b32_e64 v29, v30, v29, s[8:9]
	v_and_or_b32 v1, v1, s57, v28
	v_xor_b32_e32 v1, v1, v29
	v_cmp_class_f32_e64 s[6:7], v20, s58
	v_xor_b32_e32 v1, v1, v20
	v_cndmask_b32_e64 v17, v27, v17, s[6:7]
	v_or_b32_e32 v19, 0x7f000000, v19
	v_cndmask_b32_e64 v1, v27, v1, s[6:7]
	v_mul_f32_e32 v17, v17, v19
	v_mul_f32_e32 v1, v1, v19
	;; [unrolled: 1-line block ×3, first 2 shown]
	v_lshl_add_u32 v18, v18, 23, 1.0
	v_mul_f32_e32 v1, v1, v31
	v_mul_f32_e32 v17, v17, v18
	v_mul_f32_e32 v18, v1, v18
.LBB132_256:                            ;   in Loop: Header=BB132_181 Depth=1
	s_or_b64 exec, exec, s[30:31]
                                        ; implicit-def: $vgpr19
                                        ; implicit-def: $vgpr1
.LBB132_257:                            ;   in Loop: Header=BB132_181 Depth=1
	s_andn2_saveexec_b64 s[8:9], s[28:29]
	s_cbranch_execz .LBB132_263
; %bb.258:                              ;   in Loop: Header=BB132_181 Depth=1
	v_cmp_ne_u32_e64 s[6:7], s41, v1
                                        ; implicit-def: $vgpr18
	s_and_saveexec_b64 s[10:11], s[6:7]
	s_xor_b64 s[6:7], exec, s[10:11]
; %bb.259:                              ;   in Loop: Header=BB132_181 Depth=1
	v_sub_f32_e32 v18, v20, v20
                                        ; implicit-def: $vgpr19
; %bb.260:                              ;   in Loop: Header=BB132_181 Depth=1
	s_or_saveexec_b64 s[10:11], s[6:7]
	v_mov_b32_e32 v17, v18
	s_xor_b64 exec, exec, s[10:11]
; %bb.261:                              ;   in Loop: Header=BB132_181 Depth=1
	v_sub_f32_e32 v1, v20, v20
	v_cmp_lt_i32_e64 s[6:7], -1, v19
	v_cndmask_b32_e64 v17, 0, v19, s[6:7]
	v_cndmask_b32_e64 v18, 0, v1, s[6:7]
; %bb.262:                              ;   in Loop: Header=BB132_181 Depth=1
	s_or_b64 exec, exec, s[10:11]
.LBB132_263:                            ;   in Loop: Header=BB132_181 Depth=1
	s_or_b64 exec, exec, s[8:9]
                                        ; implicit-def: $vgpr20
                                        ; implicit-def: $vgpr28
.LBB132_264:                            ;   in Loop: Header=BB132_181 Depth=1
	s_andn2_saveexec_b64 s[26:27], s[26:27]
	s_cbranch_execz .LBB132_274
; %bb.265:                              ;   in Loop: Header=BB132_181 Depth=1
	v_cmp_nlt_f32_e64 s[28:29], |v20|, s43
                                        ; implicit-def: $vgpr17
                                        ; implicit-def: $vgpr18
	s_and_saveexec_b64 s[6:7], s[28:29]
	s_xor_b64 s[30:31], exec, s[6:7]
	s_cbranch_execz .LBB132_267
; %bb.266:                              ;   in Loop: Header=BB132_181 Depth=1
	v_and_b32_e32 v1, 0x7fffff, v28
	v_or_b32_e32 v34, 0x800000, v1
	v_mad_u64_u32 v[17:18], s[6:7], v34, s44, 0
	v_mov_b32_e32 v1, v18
	v_mad_u64_u32 v[18:19], s[6:7], v34, s45, v[1:2]
	v_mov_b32_e32 v1, v19
	;; [unrolled: 2-line block ×3, first 2 shown]
	v_mad_u64_u32 v[30:31], s[6:7], v34, s47, v[1:2]
	v_lshrrev_b32_e32 v1, 23, v28
	v_add_u32_e32 v19, 0xffffff88, v1
	v_mov_b32_e32 v1, v31
	v_mad_u64_u32 v[31:32], s[6:7], v34, s48, v[1:2]
	v_cmp_lt_u32_e64 s[6:7], 63, v19
	v_cndmask_b32_e64 v1, 0, v24, s[6:7]
	v_add_u32_e32 v19, v1, v19
	v_mov_b32_e32 v1, v32
	v_mad_u64_u32 v[32:33], s[8:9], v34, s49, v[1:2]
	v_cmp_lt_u32_e64 s[8:9], 31, v19
	v_cndmask_b32_e64 v1, 0, v25, s[8:9]
	;; [unrolled: 5-line block ×3, first 2 shown]
	v_add_u32_e32 v1, v1, v19
	v_cndmask_b32_e64 v19, v32, v30, s[6:7]
	v_cndmask_b32_e64 v33, v33, v31, s[6:7]
	;; [unrolled: 1-line block ×10, first 2 shown]
	v_sub_u32_e32 v34, 32, v1
	v_cndmask_b32_e64 v30, v31, v18, s[8:9]
	v_alignbit_b32 v35, v32, v33, v34
	v_cmp_eq_u32_e64 s[12:13], 0, v1
	v_cndmask_b32_e64 v19, v19, v30, s[10:11]
	v_cndmask_b32_e64 v1, v35, v32, s[12:13]
	v_alignbit_b32 v31, v33, v19, v34
	v_cndmask_b32_e64 v17, v29, v17, s[6:7]
	v_cndmask_b32_e64 v31, v31, v33, s[12:13]
	v_bfe_u32 v35, v1, 29, 1
	v_cndmask_b32_e64 v17, v18, v17, s[8:9]
	v_alignbit_b32 v32, v1, v31, 30
	v_sub_u32_e32 v36, 0, v35
	v_cndmask_b32_e64 v17, v30, v17, s[10:11]
	v_xor_b32_e32 v32, v32, v36
	v_alignbit_b32 v18, v19, v17, v34
	v_cndmask_b32_e64 v18, v18, v19, s[12:13]
	v_ffbh_u32_e32 v29, v32
	v_alignbit_b32 v19, v31, v18, 30
	v_min_u32_e32 v29, 32, v29
	v_alignbit_b32 v17, v18, v17, 30
	v_xor_b32_e32 v19, v19, v36
	v_sub_u32_e32 v30, 31, v29
	v_xor_b32_e32 v17, v17, v36
	v_alignbit_b32 v31, v32, v19, v30
	v_alignbit_b32 v17, v19, v17, v30
	;; [unrolled: 1-line block ×3, first 2 shown]
	v_ffbh_u32_e32 v19, v18
	v_min_u32_e32 v19, 32, v19
	v_lshrrev_b32_e32 v33, 29, v1
	v_not_b32_e32 v30, v19
	v_alignbit_b32 v17, v18, v17, v30
	v_lshlrev_b32_e32 v18, 31, v33
	v_or_b32_e32 v30, 0x33000000, v18
	v_add_lshl_u32 v19, v19, v29, 23
	v_lshrrev_b32_e32 v17, 9, v17
	v_sub_u32_e32 v19, v30, v19
	v_or_b32_e32 v18, 0.5, v18
	v_lshlrev_b32_e32 v29, 23, v29
	v_or_b32_e32 v17, v19, v17
	v_lshrrev_b32_e32 v19, 9, v31
	v_sub_u32_e32 v18, v18, v29
	v_or_b32_e32 v18, v19, v18
	v_mul_f32_e32 v19, 0x3fc90fda, v18
	v_fma_f32 v29, v18, s51, -v19
	v_fmac_f32_e32 v29, 0x33a22168, v18
	v_fmac_f32_e32 v29, 0x3fc90fda, v17
	v_lshrrev_b32_e32 v1, 30, v1
	v_add_f32_e32 v18, v19, v29
	v_add_u32_e32 v17, v35, v1
	s_andn2_saveexec_b64 s[6:7], s[30:31]
	s_branch .LBB132_268
.LBB132_267:                            ;   in Loop: Header=BB132_181 Depth=1
	s_andn2_saveexec_b64 s[6:7], s[30:31]
.LBB132_268:                            ;   in Loop: Header=BB132_181 Depth=1
	v_mul_f32_e64 v1, |v20|, s52
	v_rndne_f32_e32 v1, v1
	v_cvt_i32_f32_e32 v17, v1
	v_fma_f32 v18, v1, s53, |v20|
	v_fmac_f32_e32 v18, 0xb3a22168, v1
	v_fmac_f32_e32 v18, 0xa7c234c4, v1
; %bb.269:                              ;   in Loop: Header=BB132_181 Depth=1
	s_or_b64 exec, exec, s[6:7]
                                        ; implicit-def: $vgpr1
                                        ; implicit-def: $vgpr19
	s_and_saveexec_b64 s[6:7], s[28:29]
	s_xor_b64 s[28:29], exec, s[6:7]
	s_cbranch_execz .LBB132_271
; %bb.270:                              ;   in Loop: Header=BB132_181 Depth=1
	v_and_b32_e32 v1, 0x7fffff, v28
	v_or_b32_e32 v19, 0x800000, v1
	v_mad_u64_u32 v[29:30], s[6:7], v19, s44, 0
	v_mov_b32_e32 v1, v30
	v_mad_u64_u32 v[30:31], s[6:7], v19, s45, v[1:2]
	v_mov_b32_e32 v1, v31
	;; [unrolled: 2-line block ×3, first 2 shown]
	v_mad_u64_u32 v[32:33], s[6:7], v19, s47, v[1:2]
	v_lshrrev_b32_e32 v1, 23, v28
	v_add_u32_e32 v35, 0xffffff88, v1
	v_mov_b32_e32 v1, v33
	v_mad_u64_u32 v[33:34], s[6:7], v19, s48, v[1:2]
	v_cmp_lt_u32_e64 s[6:7], 63, v35
	v_cndmask_b32_e64 v1, 0, v24, s[6:7]
	v_add_u32_e32 v36, v1, v35
	v_mov_b32_e32 v1, v34
	v_mad_u64_u32 v[34:35], s[8:9], v19, s49, v[1:2]
	v_cmp_lt_u32_e64 s[8:9], 31, v36
	v_cndmask_b32_e64 v1, 0, v25, s[8:9]
	;; [unrolled: 5-line block ×3, first 2 shown]
	v_cndmask_b32_e64 v19, v34, v32, s[6:7]
	v_cndmask_b32_e64 v35, v35, v33, s[6:7]
	;; [unrolled: 1-line block ×4, first 2 shown]
	v_add_u32_e32 v1, v1, v37
	v_cndmask_b32_e64 v36, v35, v19, s[8:9]
	v_cndmask_b32_e64 v34, v34, v35, s[8:9]
	;; [unrolled: 1-line block ×6, first 2 shown]
	v_sub_u32_e32 v36, 32, v1
	v_cndmask_b32_e64 v32, v33, v30, s[8:9]
	v_alignbit_b32 v37, v34, v35, v36
	v_cmp_eq_u32_e64 s[12:13], 0, v1
	v_cndmask_b32_e64 v19, v19, v32, s[10:11]
	v_cndmask_b32_e64 v1, v37, v34, s[12:13]
	v_alignbit_b32 v33, v35, v19, v36
	v_cndmask_b32_e64 v29, v31, v29, s[6:7]
	v_cndmask_b32_e64 v33, v33, v35, s[12:13]
	v_bfe_u32 v37, v1, 29, 1
	v_cndmask_b32_e64 v29, v30, v29, s[8:9]
	v_alignbit_b32 v34, v1, v33, 30
	v_sub_u32_e32 v38, 0, v37
	v_cndmask_b32_e64 v29, v32, v29, s[10:11]
	v_xor_b32_e32 v34, v34, v38
	v_alignbit_b32 v30, v19, v29, v36
	v_cndmask_b32_e64 v19, v30, v19, s[12:13]
	v_ffbh_u32_e32 v31, v34
	v_alignbit_b32 v30, v33, v19, 30
	v_min_u32_e32 v31, 32, v31
	v_alignbit_b32 v19, v19, v29, 30
	v_xor_b32_e32 v30, v30, v38
	v_sub_u32_e32 v32, 31, v31
	v_xor_b32_e32 v19, v19, v38
	v_alignbit_b32 v33, v34, v30, v32
	v_alignbit_b32 v19, v30, v19, v32
	;; [unrolled: 1-line block ×3, first 2 shown]
	v_ffbh_u32_e32 v30, v29
	v_min_u32_e32 v30, 32, v30
	v_lshrrev_b32_e32 v35, 29, v1
	v_not_b32_e32 v32, v30
	v_alignbit_b32 v19, v29, v19, v32
	v_lshlrev_b32_e32 v29, 31, v35
	v_or_b32_e32 v32, 0x33000000, v29
	v_add_lshl_u32 v30, v30, v31, 23
	v_lshrrev_b32_e32 v19, 9, v19
	v_sub_u32_e32 v30, v32, v30
	v_or_b32_e32 v29, 0.5, v29
	v_lshlrev_b32_e32 v31, 23, v31
	v_or_b32_e32 v19, v30, v19
	v_lshrrev_b32_e32 v30, 9, v33
	v_sub_u32_e32 v29, v29, v31
	v_or_b32_e32 v29, v30, v29
	v_mul_f32_e32 v30, 0x3fc90fda, v29
	v_fma_f32 v31, v29, s51, -v30
	v_fmac_f32_e32 v31, 0x33a22168, v29
	v_fmac_f32_e32 v31, 0x3fc90fda, v19
	v_lshrrev_b32_e32 v1, 30, v1
	v_add_f32_e32 v19, v30, v31
	v_add_u32_e32 v1, v37, v1
	s_andn2_saveexec_b64 s[6:7], s[28:29]
	s_cbranch_execnz .LBB132_272
	s_branch .LBB132_273
.LBB132_271:                            ;   in Loop: Header=BB132_181 Depth=1
	s_andn2_saveexec_b64 s[6:7], s[28:29]
.LBB132_272:                            ;   in Loop: Header=BB132_181 Depth=1
	v_mul_f32_e64 v1, |v20|, s52
	v_rndne_f32_e32 v29, v1
	v_cvt_i32_f32_e32 v1, v29
	v_fma_f32 v19, v29, s53, |v20|
	v_fmac_f32_e32 v19, 0xb3a22168, v29
	v_fmac_f32_e32 v19, 0xa7c234c4, v29
.LBB132_273:                            ;   in Loop: Header=BB132_181 Depth=1
	s_or_b64 exec, exec, s[6:7]
	v_mul_f32_e32 v29, v18, v18
	v_mov_b32_e32 v30, 0x3c0881c4
	v_fmac_f32_e32 v30, 0xb94c1982, v29
	v_fma_f32 v30, v29, v30, v21
	v_mul_f32_e32 v30, v29, v30
	v_fmac_f32_e32 v18, v18, v30
	v_mov_b32_e32 v30, 0xbab64f3b
	v_fmac_f32_e32 v30, 0x37d75334, v29
	v_fma_f32 v30, v29, v30, v22
	v_fma_f32 v30, v29, v30, v23
	v_fma_f32 v29, v29, v30, 1.0
	v_and_b32_e32 v30, 1, v17
	v_cmp_eq_u32_e64 s[6:7], 0, v30
	v_lshlrev_b32_e32 v17, 30, v17
	v_cndmask_b32_e64 v18, -v18, v29, s[6:7]
	v_and_b32_e32 v17, 0x80000000, v17
	v_xor_b32_e32 v17, v17, v18
	v_mul_f32_e32 v18, v19, v19
	v_mov_b32_e32 v29, 0x3c0881c4
	v_fmac_f32_e32 v29, 0xb94c1982, v18
	v_fma_f32 v29, v18, v29, v21
	v_mul_f32_e32 v29, v18, v29
	v_fmac_f32_e32 v19, v19, v29
	v_mov_b32_e32 v29, 0xbab64f3b
	v_fmac_f32_e32 v29, 0x37d75334, v18
	v_fma_f32 v29, v18, v29, v22
	v_fma_f32 v29, v18, v29, v23
	v_fma_f32 v18, v18, v29, 1.0
	v_and_b32_e32 v29, 1, v1
	v_cmp_eq_u32_e64 s[8:9], 0, v29
	v_lshlrev_b32_e32 v1, 30, v1
	v_cndmask_b32_e64 v18, v18, v19, s[8:9]
	v_and_or_b32 v1, v1, s57, v28
	v_xor_b32_e32 v1, v1, v18
	v_cmp_class_f32_e64 s[6:7], v20, s58
	v_xor_b32_e32 v1, v1, v20
	v_cndmask_b32_e64 v17, v27, v17, s[6:7]
	v_cndmask_b32_e64 v18, v27, v1, s[6:7]
.LBB132_274:                            ;   in Loop: Header=BB132_181 Depth=1
	s_or_b64 exec, exec, s[26:27]
                                        ; implicit-def: $vgpr19
.LBB132_275:                            ;   in Loop: Header=BB132_181 Depth=1
	s_andn2_saveexec_b64 s[8:9], s[24:25]
	s_cbranch_execz .LBB132_277
; %bb.276:                              ;   in Loop: Header=BB132_181 Depth=1
	v_mul_f32_e32 v1, 0x3fb8aa3b, v19
	v_rndne_f32_e32 v17, v1
	v_sub_f32_e32 v18, v1, v17
	v_fma_f32 v1, v19, s54, -v1
	v_fmac_f32_e32 v1, 0x32a5705f, v19
	v_add_f32_e32 v1, v18, v1
	v_cvt_i32_f32_e32 v17, v17
	v_exp_f32_e32 v1, v1
	v_cmp_ngt_f32_e64 s[6:7], s55, v19
	v_mov_b32_e32 v18, v20
	v_ldexp_f32 v1, v1, v17
	v_cndmask_b32_e64 v1, 0, v1, s[6:7]
	v_cmp_nlt_f32_e64 s[6:7], s56, v19
	v_cndmask_b32_e64 v17, v26, v1, s[6:7]
.LBB132_277:                            ;   in Loop: Header=BB132_181 Depth=1
	s_or_b64 exec, exec, s[8:9]
	v_and_b32_e32 v28, 0x7fffffff, v16
	v_cmp_ne_u32_e64 s[6:7], 0, v28
                                        ; implicit-def: $vgpr20
	s_and_saveexec_b64 s[8:9], s[6:7]
	s_xor_b64 s[24:25], exec, s[8:9]
	s_cbranch_execz .LBB132_319
; %bb.278:                              ;   in Loop: Header=BB132_181 Depth=1
	v_and_b32_e32 v1, 0x7fffffff, v15
	v_cmp_ne_u32_e64 s[6:7], 0, v1
                                        ; implicit-def: $vgpr20
	s_and_saveexec_b64 s[8:9], s[6:7]
	s_xor_b64 s[26:27], exec, s[8:9]
	s_cbranch_execz .LBB132_308
; %bb.279:                              ;   in Loop: Header=BB132_181 Depth=1
	v_cmp_gt_u32_e64 s[6:7], s41, v28
                                        ; implicit-def: $vgpr20
	s_and_saveexec_b64 s[8:9], s[6:7]
	s_xor_b64 s[28:29], exec, s[8:9]
	s_cbranch_execz .LBB132_301
; %bb.280:                              ;   in Loop: Header=BB132_181 Depth=1
	v_add_u32_e32 v1, 0xbd4e8de8, v15
	v_cmp_lt_u32_e64 s[6:7], s42, v1
                                        ; implicit-def: $vgpr20
	s_and_saveexec_b64 s[8:9], s[6:7]
	s_xor_b64 s[30:31], exec, s[8:9]
	s_cbranch_execz .LBB132_290
; %bb.281:                              ;   in Loop: Header=BB132_181 Depth=1
	v_cmp_nlt_f32_e64 s[34:35], |v16|, s43
                                        ; implicit-def: $vgpr19
                                        ; implicit-def: $vgpr20
	s_and_saveexec_b64 s[6:7], s[34:35]
	s_xor_b64 s[36:37], exec, s[6:7]
	s_cbranch_execz .LBB132_283
; %bb.282:                              ;   in Loop: Header=BB132_181 Depth=1
	v_and_b32_e32 v1, 0x7fffff, v28
	v_or_b32_e32 v35, 0x800000, v1
	v_mad_u64_u32 v[19:20], s[6:7], v35, s44, 0
	v_mov_b32_e32 v1, v20
	v_mad_u64_u32 v[29:30], s[6:7], v35, s45, v[1:2]
	v_mov_b32_e32 v1, v30
	;; [unrolled: 2-line block ×3, first 2 shown]
	v_mad_u64_u32 v[31:32], s[6:7], v35, s47, v[1:2]
	v_lshrrev_b32_e32 v1, 23, v28
	v_add_u32_e32 v20, 0xffffff88, v1
	v_mov_b32_e32 v1, v32
	v_mad_u64_u32 v[32:33], s[6:7], v35, s48, v[1:2]
	v_cmp_lt_u32_e64 s[6:7], 63, v20
	v_cndmask_b32_e64 v1, 0, v24, s[6:7]
	v_add_u32_e32 v20, v1, v20
	v_mov_b32_e32 v1, v33
	v_mad_u64_u32 v[33:34], s[8:9], v35, s49, v[1:2]
	v_cmp_lt_u32_e64 s[8:9], 31, v20
	v_cndmask_b32_e64 v1, 0, v25, s[8:9]
	v_add_u32_e32 v20, v1, v20
	v_mov_b32_e32 v1, v34
	v_mad_u64_u32 v[34:35], s[10:11], v35, s50, v[1:2]
	v_cmp_lt_u32_e64 s[10:11], 31, v20
	v_cndmask_b32_e64 v1, 0, v25, s[10:11]
	v_add_u32_e32 v1, v1, v20
	v_cndmask_b32_e64 v20, v33, v31, s[6:7]
	v_cndmask_b32_e64 v34, v34, v32, s[6:7]
	v_cndmask_b32_e64 v33, v35, v33, s[6:7]
	v_cndmask_b32_e64 v32, v32, v30, s[6:7]
	v_cndmask_b32_e64 v35, v34, v20, s[8:9]
	v_cndmask_b32_e64 v33, v33, v34, s[8:9]
	v_cndmask_b32_e64 v20, v20, v32, s[8:9]
	v_cndmask_b32_e64 v29, v31, v29, s[6:7]
	v_cndmask_b32_e64 v33, v33, v35, s[10:11]
	v_cndmask_b32_e64 v34, v35, v20, s[10:11]
	v_sub_u32_e32 v35, 32, v1
	v_cndmask_b32_e64 v31, v32, v29, s[8:9]
	v_alignbit_b32 v36, v33, v34, v35
	v_cmp_eq_u32_e64 s[12:13], 0, v1
	v_cndmask_b32_e64 v20, v20, v31, s[10:11]
	v_cndmask_b32_e64 v1, v36, v33, s[12:13]
	v_alignbit_b32 v32, v34, v20, v35
	v_cndmask_b32_e64 v19, v30, v19, s[6:7]
	v_cndmask_b32_e64 v32, v32, v34, s[12:13]
	v_bfe_u32 v36, v1, 29, 1
	v_cndmask_b32_e64 v19, v29, v19, s[8:9]
	v_alignbit_b32 v33, v1, v32, 30
	v_sub_u32_e32 v37, 0, v36
	v_cndmask_b32_e64 v19, v31, v19, s[10:11]
	v_xor_b32_e32 v33, v33, v37
	v_alignbit_b32 v29, v20, v19, v35
	v_cndmask_b32_e64 v20, v29, v20, s[12:13]
	v_ffbh_u32_e32 v30, v33
	v_alignbit_b32 v29, v32, v20, 30
	v_min_u32_e32 v30, 32, v30
	v_alignbit_b32 v19, v20, v19, 30
	v_xor_b32_e32 v29, v29, v37
	v_sub_u32_e32 v31, 31, v30
	v_xor_b32_e32 v19, v19, v37
	v_alignbit_b32 v32, v33, v29, v31
	v_alignbit_b32 v19, v29, v19, v31
	;; [unrolled: 1-line block ×3, first 2 shown]
	v_ffbh_u32_e32 v29, v20
	v_min_u32_e32 v29, 32, v29
	v_lshrrev_b32_e32 v34, 29, v1
	v_not_b32_e32 v31, v29
	v_alignbit_b32 v19, v20, v19, v31
	v_lshlrev_b32_e32 v20, 31, v34
	v_or_b32_e32 v31, 0x33000000, v20
	v_add_lshl_u32 v29, v29, v30, 23
	v_lshrrev_b32_e32 v19, 9, v19
	v_sub_u32_e32 v29, v31, v29
	v_or_b32_e32 v20, 0.5, v20
	v_lshlrev_b32_e32 v30, 23, v30
	v_or_b32_e32 v19, v29, v19
	v_lshrrev_b32_e32 v29, 9, v32
	v_sub_u32_e32 v20, v20, v30
	v_or_b32_e32 v20, v29, v20
	v_mul_f32_e32 v29, 0x3fc90fda, v20
	v_fma_f32 v30, v20, s51, -v29
	v_fmac_f32_e32 v30, 0x33a22168, v20
	v_fmac_f32_e32 v30, 0x3fc90fda, v19
	v_lshrrev_b32_e32 v1, 30, v1
	v_add_f32_e32 v20, v29, v30
	v_add_u32_e32 v19, v36, v1
	s_andn2_saveexec_b64 s[6:7], s[36:37]
	s_branch .LBB132_284
.LBB132_283:                            ;   in Loop: Header=BB132_181 Depth=1
	s_andn2_saveexec_b64 s[6:7], s[36:37]
.LBB132_284:                            ;   in Loop: Header=BB132_181 Depth=1
	v_mul_f32_e64 v1, |v16|, s52
	v_rndne_f32_e32 v1, v1
	v_cvt_i32_f32_e32 v19, v1
	v_fma_f32 v20, v1, s53, |v16|
	v_fmac_f32_e32 v20, 0xb3a22168, v1
	v_fmac_f32_e32 v20, 0xa7c234c4, v1
; %bb.285:                              ;   in Loop: Header=BB132_181 Depth=1
	s_or_b64 exec, exec, s[6:7]
                                        ; implicit-def: $vgpr1
                                        ; implicit-def: $vgpr29
	s_and_saveexec_b64 s[6:7], s[34:35]
	s_xor_b64 s[34:35], exec, s[6:7]
	s_cbranch_execz .LBB132_287
; %bb.286:                              ;   in Loop: Header=BB132_181 Depth=1
	v_and_b32_e32 v1, 0x7fffff, v28
	v_or_b32_e32 v36, 0x800000, v1
	v_mad_u64_u32 v[29:30], s[6:7], v36, s44, 0
	v_mov_b32_e32 v1, v30
	v_mad_u64_u32 v[30:31], s[6:7], v36, s45, v[1:2]
	v_mov_b32_e32 v1, v31
	;; [unrolled: 2-line block ×3, first 2 shown]
	v_mad_u64_u32 v[32:33], s[6:7], v36, s47, v[1:2]
	v_lshrrev_b32_e32 v1, 23, v28
	v_add_u32_e32 v35, 0xffffff88, v1
	v_mov_b32_e32 v1, v33
	v_mad_u64_u32 v[33:34], s[6:7], v36, s48, v[1:2]
	v_cmp_lt_u32_e64 s[6:7], 63, v35
	v_cndmask_b32_e64 v1, 0, v24, s[6:7]
	v_add_u32_e32 v37, v1, v35
	v_mov_b32_e32 v1, v34
	v_mad_u64_u32 v[34:35], s[8:9], v36, s49, v[1:2]
	v_cmp_lt_u32_e64 s[8:9], 31, v37
	v_cndmask_b32_e64 v1, 0, v25, s[8:9]
	v_add_u32_e32 v37, v1, v37
	v_mov_b32_e32 v1, v35
	v_mad_u64_u32 v[35:36], s[10:11], v36, s50, v[1:2]
	v_cmp_lt_u32_e64 s[10:11], 31, v37
	v_cndmask_b32_e64 v1, 0, v25, s[10:11]
	v_add_u32_e32 v1, v1, v37
	v_cndmask_b32_e64 v37, v34, v32, s[6:7]
	v_cndmask_b32_e64 v35, v35, v33, s[6:7]
	v_cndmask_b32_e64 v34, v36, v34, s[6:7]
	v_cndmask_b32_e64 v33, v33, v31, s[6:7]
	v_cndmask_b32_e64 v36, v35, v37, s[8:9]
	v_cndmask_b32_e64 v34, v34, v35, s[8:9]
	v_cndmask_b32_e64 v35, v37, v33, s[8:9]
	v_cndmask_b32_e64 v30, v32, v30, s[6:7]
	v_cndmask_b32_e64 v34, v34, v36, s[10:11]
	v_cndmask_b32_e64 v36, v36, v35, s[10:11]
	v_sub_u32_e32 v37, 32, v1
	v_cndmask_b32_e64 v32, v33, v30, s[8:9]
	v_alignbit_b32 v38, v34, v36, v37
	v_cmp_eq_u32_e64 s[12:13], 0, v1
	v_cndmask_b32_e64 v33, v35, v32, s[10:11]
	v_cndmask_b32_e64 v1, v38, v34, s[12:13]
	v_alignbit_b32 v34, v36, v33, v37
	v_cndmask_b32_e64 v29, v31, v29, s[6:7]
	v_cndmask_b32_e64 v34, v34, v36, s[12:13]
	v_bfe_u32 v38, v1, 29, 1
	v_cndmask_b32_e64 v29, v30, v29, s[8:9]
	v_alignbit_b32 v35, v1, v34, 30
	v_sub_u32_e32 v39, 0, v38
	v_cndmask_b32_e64 v29, v32, v29, s[10:11]
	v_xor_b32_e32 v35, v35, v39
	v_alignbit_b32 v30, v33, v29, v37
	v_cndmask_b32_e64 v30, v30, v33, s[12:13]
	v_ffbh_u32_e32 v32, v35
	v_alignbit_b32 v31, v34, v30, 30
	v_min_u32_e32 v32, 32, v32
	v_alignbit_b32 v29, v30, v29, 30
	v_xor_b32_e32 v31, v31, v39
	v_sub_u32_e32 v33, 31, v32
	v_xor_b32_e32 v29, v29, v39
	v_alignbit_b32 v34, v35, v31, v33
	v_alignbit_b32 v29, v31, v29, v33
	;; [unrolled: 1-line block ×3, first 2 shown]
	v_ffbh_u32_e32 v31, v30
	v_min_u32_e32 v31, 32, v31
	v_lshrrev_b32_e32 v36, 29, v1
	v_not_b32_e32 v33, v31
	v_alignbit_b32 v29, v30, v29, v33
	v_lshlrev_b32_e32 v30, 31, v36
	v_or_b32_e32 v33, 0x33000000, v30
	v_add_lshl_u32 v31, v31, v32, 23
	v_lshrrev_b32_e32 v29, 9, v29
	v_sub_u32_e32 v31, v33, v31
	v_or_b32_e32 v30, 0.5, v30
	v_lshlrev_b32_e32 v32, 23, v32
	v_or_b32_e32 v29, v31, v29
	v_lshrrev_b32_e32 v31, 9, v34
	v_sub_u32_e32 v30, v30, v32
	v_or_b32_e32 v30, v31, v30
	v_mul_f32_e32 v31, 0x3fc90fda, v30
	v_fma_f32 v32, v30, s51, -v31
	v_fmac_f32_e32 v32, 0x33a22168, v30
	v_fmac_f32_e32 v32, 0x3fc90fda, v29
	v_lshrrev_b32_e32 v1, 30, v1
	v_add_f32_e32 v29, v31, v32
	v_add_u32_e32 v1, v38, v1
	s_andn2_saveexec_b64 s[6:7], s[34:35]
	s_cbranch_execnz .LBB132_288
	s_branch .LBB132_289
.LBB132_287:                            ;   in Loop: Header=BB132_181 Depth=1
	s_andn2_saveexec_b64 s[6:7], s[34:35]
.LBB132_288:                            ;   in Loop: Header=BB132_181 Depth=1
	v_mul_f32_e64 v1, |v16|, s52
	v_rndne_f32_e32 v30, v1
	v_cvt_i32_f32_e32 v1, v30
	v_fma_f32 v29, v30, s53, |v16|
	v_fmac_f32_e32 v29, 0xb3a22168, v30
	v_fmac_f32_e32 v29, 0xa7c234c4, v30
.LBB132_289:                            ;   in Loop: Header=BB132_181 Depth=1
	s_or_b64 exec, exec, s[6:7]
	v_mul_f32_e32 v30, 0x3fb8aa3b, v15
	v_rndne_f32_e32 v31, v30
	v_sub_f32_e32 v32, v30, v31
	v_fma_f32 v30, v15, s54, -v30
	v_fmac_f32_e32 v30, 0x32a5705f, v15
	v_add_f32_e32 v30, v32, v30
	v_cvt_i32_f32_e32 v31, v31
	v_exp_f32_e32 v30, v30
	v_cmp_ngt_f32_e64 s[6:7], s55, v15
	v_ldexp_f32 v30, v30, v31
	v_cndmask_b32_e64 v30, 0, v30, s[6:7]
	v_cmp_nlt_f32_e64 s[6:7], s56, v15
	v_cndmask_b32_e64 v15, v26, v30, s[6:7]
	v_mul_f32_e32 v30, v20, v20
	v_mov_b32_e32 v31, 0x3c0881c4
	v_fmac_f32_e32 v31, 0xb94c1982, v30
	v_fma_f32 v31, v30, v31, v21
	v_mul_f32_e32 v31, v30, v31
	v_fmac_f32_e32 v20, v20, v31
	v_mov_b32_e32 v31, 0xbab64f3b
	v_fmac_f32_e32 v31, 0x37d75334, v30
	v_fma_f32 v31, v30, v31, v22
	v_fma_f32 v31, v30, v31, v23
	v_fma_f32 v30, v30, v31, 1.0
	v_and_b32_e32 v31, 1, v19
	v_cmp_eq_u32_e64 s[6:7], 0, v31
	v_lshlrev_b32_e32 v19, 30, v19
	v_cndmask_b32_e64 v20, -v20, v30, s[6:7]
	v_and_b32_e32 v19, 0x80000000, v19
	v_xor_b32_e32 v19, v19, v20
	v_mul_f32_e32 v20, v29, v29
	v_mov_b32_e32 v30, 0x3c0881c4
	v_fmac_f32_e32 v30, 0xb94c1982, v20
	v_fma_f32 v30, v20, v30, v21
	v_mul_f32_e32 v30, v20, v30
	v_fmac_f32_e32 v29, v29, v30
	v_mov_b32_e32 v30, 0xbab64f3b
	v_fmac_f32_e32 v30, 0x37d75334, v20
	v_fma_f32 v30, v20, v30, v22
	v_fma_f32 v30, v20, v30, v23
	v_fma_f32 v20, v20, v30, 1.0
	v_and_b32_e32 v30, 1, v1
	v_cmp_eq_u32_e64 s[8:9], 0, v30
	v_lshlrev_b32_e32 v1, 30, v1
	v_cndmask_b32_e64 v20, v20, v29, s[8:9]
	v_and_or_b32 v1, v1, s57, v28
	v_xor_b32_e32 v1, v1, v20
	v_cmp_class_f32_e64 s[6:7], v16, s58
	v_xor_b32_e32 v1, v1, v16
	v_cndmask_b32_e64 v19, v27, v19, s[6:7]
	v_cndmask_b32_e64 v1, v27, v1, s[6:7]
	v_mul_f32_e32 v19, v15, v19
	v_mul_f32_e32 v20, v15, v1
                                        ; implicit-def: $vgpr16
                                        ; implicit-def: $vgpr28
.LBB132_290:                            ;   in Loop: Header=BB132_181 Depth=1
	s_andn2_saveexec_b64 s[30:31], s[30:31]
	s_cbranch_execz .LBB132_300
; %bb.291:                              ;   in Loop: Header=BB132_181 Depth=1
	v_cmp_nlt_f32_e64 s[34:35], |v16|, s43
                                        ; implicit-def: $vgpr20
                                        ; implicit-def: $vgpr19
	s_and_saveexec_b64 s[6:7], s[34:35]
	s_xor_b64 s[36:37], exec, s[6:7]
	s_cbranch_execz .LBB132_293
; %bb.292:                              ;   in Loop: Header=BB132_181 Depth=1
	v_and_b32_e32 v1, 0x7fffff, v28
	v_or_b32_e32 v35, 0x800000, v1
	v_mad_u64_u32 v[19:20], s[6:7], v35, s44, 0
	v_mov_b32_e32 v1, v20
	v_mad_u64_u32 v[29:30], s[6:7], v35, s45, v[1:2]
	v_mov_b32_e32 v1, v30
	;; [unrolled: 2-line block ×3, first 2 shown]
	v_mad_u64_u32 v[31:32], s[6:7], v35, s47, v[1:2]
	v_lshrrev_b32_e32 v1, 23, v28
	v_add_u32_e32 v20, 0xffffff88, v1
	v_mov_b32_e32 v1, v32
	v_mad_u64_u32 v[32:33], s[6:7], v35, s48, v[1:2]
	v_cmp_lt_u32_e64 s[6:7], 63, v20
	v_cndmask_b32_e64 v1, 0, v24, s[6:7]
	v_add_u32_e32 v20, v1, v20
	v_mov_b32_e32 v1, v33
	v_mad_u64_u32 v[33:34], s[8:9], v35, s49, v[1:2]
	v_cmp_lt_u32_e64 s[8:9], 31, v20
	v_cndmask_b32_e64 v1, 0, v25, s[8:9]
	;; [unrolled: 5-line block ×3, first 2 shown]
	v_add_u32_e32 v1, v1, v20
	v_cndmask_b32_e64 v20, v33, v31, s[6:7]
	v_cndmask_b32_e64 v34, v34, v32, s[6:7]
	;; [unrolled: 1-line block ×10, first 2 shown]
	v_sub_u32_e32 v35, 32, v1
	v_cndmask_b32_e64 v31, v32, v29, s[8:9]
	v_alignbit_b32 v36, v33, v34, v35
	v_cmp_eq_u32_e64 s[12:13], 0, v1
	v_cndmask_b32_e64 v20, v20, v31, s[10:11]
	v_cndmask_b32_e64 v1, v36, v33, s[12:13]
	v_alignbit_b32 v32, v34, v20, v35
	v_cndmask_b32_e64 v19, v30, v19, s[6:7]
	v_cndmask_b32_e64 v32, v32, v34, s[12:13]
	v_bfe_u32 v36, v1, 29, 1
	v_cndmask_b32_e64 v19, v29, v19, s[8:9]
	v_alignbit_b32 v33, v1, v32, 30
	v_sub_u32_e32 v37, 0, v36
	v_cndmask_b32_e64 v19, v31, v19, s[10:11]
	v_xor_b32_e32 v33, v33, v37
	v_alignbit_b32 v29, v20, v19, v35
	v_cndmask_b32_e64 v20, v29, v20, s[12:13]
	v_ffbh_u32_e32 v30, v33
	v_alignbit_b32 v29, v32, v20, 30
	v_min_u32_e32 v30, 32, v30
	v_alignbit_b32 v19, v20, v19, 30
	v_xor_b32_e32 v29, v29, v37
	v_sub_u32_e32 v31, 31, v30
	v_xor_b32_e32 v19, v19, v37
	v_alignbit_b32 v32, v33, v29, v31
	v_alignbit_b32 v19, v29, v19, v31
	;; [unrolled: 1-line block ×3, first 2 shown]
	v_ffbh_u32_e32 v29, v20
	v_min_u32_e32 v29, 32, v29
	v_lshrrev_b32_e32 v34, 29, v1
	v_not_b32_e32 v31, v29
	v_alignbit_b32 v19, v20, v19, v31
	v_lshlrev_b32_e32 v20, 31, v34
	v_or_b32_e32 v31, 0x33000000, v20
	v_add_lshl_u32 v29, v29, v30, 23
	v_lshrrev_b32_e32 v19, 9, v19
	v_sub_u32_e32 v29, v31, v29
	v_or_b32_e32 v20, 0.5, v20
	v_lshlrev_b32_e32 v30, 23, v30
	v_or_b32_e32 v19, v29, v19
	v_lshrrev_b32_e32 v29, 9, v32
	v_sub_u32_e32 v20, v20, v30
	v_or_b32_e32 v20, v29, v20
	v_mul_f32_e32 v29, 0x3fc90fda, v20
	v_fma_f32 v30, v20, s51, -v29
	v_fmac_f32_e32 v30, 0x33a22168, v20
	v_fmac_f32_e32 v30, 0x3fc90fda, v19
	v_lshrrev_b32_e32 v1, 30, v1
	v_add_f32_e32 v19, v29, v30
	v_add_u32_e32 v20, v36, v1
	s_andn2_saveexec_b64 s[6:7], s[36:37]
	s_branch .LBB132_294
.LBB132_293:                            ;   in Loop: Header=BB132_181 Depth=1
	s_andn2_saveexec_b64 s[6:7], s[36:37]
.LBB132_294:                            ;   in Loop: Header=BB132_181 Depth=1
	v_mul_f32_e64 v1, |v16|, s52
	v_rndne_f32_e32 v1, v1
	v_cvt_i32_f32_e32 v20, v1
	v_fma_f32 v19, v1, s53, |v16|
	v_fmac_f32_e32 v19, 0xb3a22168, v1
	v_fmac_f32_e32 v19, 0xa7c234c4, v1
; %bb.295:                              ;   in Loop: Header=BB132_181 Depth=1
	s_or_b64 exec, exec, s[6:7]
                                        ; implicit-def: $vgpr1
                                        ; implicit-def: $vgpr29
	s_and_saveexec_b64 s[6:7], s[34:35]
	s_xor_b64 s[34:35], exec, s[6:7]
	s_cbranch_execz .LBB132_297
; %bb.296:                              ;   in Loop: Header=BB132_181 Depth=1
	v_and_b32_e32 v1, 0x7fffff, v28
	v_or_b32_e32 v36, 0x800000, v1
	v_mad_u64_u32 v[29:30], s[6:7], v36, s44, 0
	v_mov_b32_e32 v1, v30
	v_mad_u64_u32 v[30:31], s[6:7], v36, s45, v[1:2]
	v_mov_b32_e32 v1, v31
	;; [unrolled: 2-line block ×3, first 2 shown]
	v_mad_u64_u32 v[32:33], s[6:7], v36, s47, v[1:2]
	v_lshrrev_b32_e32 v1, 23, v28
	v_add_u32_e32 v35, 0xffffff88, v1
	v_mov_b32_e32 v1, v33
	v_mad_u64_u32 v[33:34], s[6:7], v36, s48, v[1:2]
	v_cmp_lt_u32_e64 s[6:7], 63, v35
	v_cndmask_b32_e64 v1, 0, v24, s[6:7]
	v_add_u32_e32 v37, v1, v35
	v_mov_b32_e32 v1, v34
	v_mad_u64_u32 v[34:35], s[8:9], v36, s49, v[1:2]
	v_cmp_lt_u32_e64 s[8:9], 31, v37
	v_cndmask_b32_e64 v1, 0, v25, s[8:9]
	;; [unrolled: 5-line block ×3, first 2 shown]
	v_add_u32_e32 v1, v1, v37
	v_cndmask_b32_e64 v37, v34, v32, s[6:7]
	v_cndmask_b32_e64 v35, v35, v33, s[6:7]
	;; [unrolled: 1-line block ×10, first 2 shown]
	v_sub_u32_e32 v37, 32, v1
	v_cndmask_b32_e64 v32, v33, v30, s[8:9]
	v_alignbit_b32 v38, v34, v36, v37
	v_cmp_eq_u32_e64 s[12:13], 0, v1
	v_cndmask_b32_e64 v33, v35, v32, s[10:11]
	v_cndmask_b32_e64 v1, v38, v34, s[12:13]
	v_alignbit_b32 v34, v36, v33, v37
	v_cndmask_b32_e64 v29, v31, v29, s[6:7]
	v_cndmask_b32_e64 v34, v34, v36, s[12:13]
	v_bfe_u32 v38, v1, 29, 1
	v_cndmask_b32_e64 v29, v30, v29, s[8:9]
	v_alignbit_b32 v35, v1, v34, 30
	v_sub_u32_e32 v39, 0, v38
	v_cndmask_b32_e64 v29, v32, v29, s[10:11]
	v_xor_b32_e32 v35, v35, v39
	v_alignbit_b32 v30, v33, v29, v37
	v_cndmask_b32_e64 v30, v30, v33, s[12:13]
	v_ffbh_u32_e32 v32, v35
	v_alignbit_b32 v31, v34, v30, 30
	v_min_u32_e32 v32, 32, v32
	v_alignbit_b32 v29, v30, v29, 30
	v_xor_b32_e32 v31, v31, v39
	v_sub_u32_e32 v33, 31, v32
	v_xor_b32_e32 v29, v29, v39
	v_alignbit_b32 v34, v35, v31, v33
	v_alignbit_b32 v29, v31, v29, v33
	;; [unrolled: 1-line block ×3, first 2 shown]
	v_ffbh_u32_e32 v31, v30
	v_min_u32_e32 v31, 32, v31
	v_lshrrev_b32_e32 v36, 29, v1
	v_not_b32_e32 v33, v31
	v_alignbit_b32 v29, v30, v29, v33
	v_lshlrev_b32_e32 v30, 31, v36
	v_or_b32_e32 v33, 0x33000000, v30
	v_add_lshl_u32 v31, v31, v32, 23
	v_lshrrev_b32_e32 v29, 9, v29
	v_sub_u32_e32 v31, v33, v31
	v_or_b32_e32 v30, 0.5, v30
	v_lshlrev_b32_e32 v32, 23, v32
	v_or_b32_e32 v29, v31, v29
	v_lshrrev_b32_e32 v31, 9, v34
	v_sub_u32_e32 v30, v30, v32
	v_or_b32_e32 v30, v31, v30
	v_mul_f32_e32 v31, 0x3fc90fda, v30
	v_fma_f32 v32, v30, s51, -v31
	v_fmac_f32_e32 v32, 0x33a22168, v30
	v_fmac_f32_e32 v32, 0x3fc90fda, v29
	v_lshrrev_b32_e32 v1, 30, v1
	v_add_f32_e32 v29, v31, v32
	v_add_u32_e32 v1, v38, v1
	s_andn2_saveexec_b64 s[6:7], s[34:35]
	s_cbranch_execnz .LBB132_298
	s_branch .LBB132_299
.LBB132_297:                            ;   in Loop: Header=BB132_181 Depth=1
	s_andn2_saveexec_b64 s[6:7], s[34:35]
.LBB132_298:                            ;   in Loop: Header=BB132_181 Depth=1
	v_mul_f32_e64 v1, |v16|, s52
	v_rndne_f32_e32 v30, v1
	v_cvt_i32_f32_e32 v1, v30
	v_fma_f32 v29, v30, s53, |v16|
	v_fmac_f32_e32 v29, 0xb3a22168, v30
	v_fmac_f32_e32 v29, 0xa7c234c4, v30
.LBB132_299:                            ;   in Loop: Header=BB132_181 Depth=1
	s_or_b64 exec, exec, s[6:7]
	v_mul_f32_e32 v31, v19, v19
	v_mov_b32_e32 v32, 0xbab64f3b
	v_fmac_f32_e32 v32, 0x37d75334, v31
	v_mov_b32_e32 v33, 0x3c0881c4
	v_fma_f32 v32, v31, v32, v22
	v_fmac_f32_e32 v33, 0xb94c1982, v31
	v_fma_f32 v32, v31, v32, v23
	v_fma_f32 v33, v31, v33, v21
	v_lshlrev_b32_e32 v30, 30, v20
	v_and_b32_e32 v20, 1, v20
	v_fma_f32 v32, v31, v32, 1.0
	v_mul_f32_e32 v31, v31, v33
	v_add_f32_e32 v15, 0xc322e3bc, v15
	v_fmac_f32_e32 v19, v19, v31
	v_cmp_eq_u32_e64 s[6:7], 0, v20
	v_mul_f32_e32 v20, 0x3fb8aa3b, v15
	v_cndmask_b32_e64 v19, -v19, v32, s[6:7]
	v_fma_f32 v31, v15, s54, -v20
	v_rndne_f32_e32 v32, v20
	v_fmac_f32_e32 v31, 0x32a5705f, v15
	v_sub_f32_e32 v20, v20, v32
	v_add_f32_e32 v20, v20, v31
	v_exp_f32_e32 v20, v20
	v_cvt_i32_f32_e32 v31, v32
	v_cmp_ngt_f32_e64 s[8:9], s55, v15
	v_and_b32_e32 v30, 0x80000000, v30
	v_xor_b32_e32 v19, v30, v19
	v_ldexp_f32 v20, v20, v31
	v_cndmask_b32_e64 v20, 0, v20, s[8:9]
	v_cmp_nlt_f32_e64 s[8:9], s56, v15
	v_cndmask_b32_e64 v15, v26, v20, s[8:9]
	v_and_b32_e32 v20, 0x7fffff, v15
	v_lshrrev_b32_e32 v15, 23, v15
	v_subrev_u32_e32 v15, 19, v15
	v_lshrrev_b16_e32 v30, 15, v15
	v_add_u16_e32 v30, v15, v30
	v_ashrrev_i16_e32 v30, 1, v30
	v_bfe_i32 v30, v30, 0, 16
	v_lshl_add_u32 v31, v30, 23, 1.0
	v_sub_u32_e32 v15, v15, v30
	v_mul_f32_e32 v30, v29, v29
	v_mov_b32_e32 v32, 0x3c0881c4
	v_fmac_f32_e32 v32, 0xb94c1982, v30
	v_fma_f32 v32, v30, v32, v21
	v_mul_f32_e32 v32, v30, v32
	v_fmac_f32_e32 v29, v29, v32
	v_mov_b32_e32 v32, 0xbab64f3b
	v_fmac_f32_e32 v32, 0x37d75334, v30
	v_fma_f32 v32, v30, v32, v22
	v_fma_f32 v32, v30, v32, v23
	v_fma_f32 v30, v30, v32, 1.0
	v_and_b32_e32 v32, 1, v1
	v_cmp_eq_u32_e64 s[8:9], 0, v32
	v_lshlrev_b32_e32 v1, 30, v1
	v_cndmask_b32_e64 v29, v30, v29, s[8:9]
	v_and_or_b32 v1, v1, s57, v28
	v_xor_b32_e32 v1, v1, v29
	v_cmp_class_f32_e64 s[6:7], v16, s58
	v_xor_b32_e32 v1, v1, v16
	v_cndmask_b32_e64 v19, v27, v19, s[6:7]
	v_or_b32_e32 v20, 0x7f000000, v20
	v_cndmask_b32_e64 v1, v27, v1, s[6:7]
	v_mul_f32_e32 v19, v19, v20
	v_mul_f32_e32 v1, v1, v20
	;; [unrolled: 1-line block ×3, first 2 shown]
	v_lshl_add_u32 v15, v15, 23, 1.0
	v_mul_f32_e32 v1, v1, v31
	v_mul_f32_e32 v19, v19, v15
	;; [unrolled: 1-line block ×3, first 2 shown]
.LBB132_300:                            ;   in Loop: Header=BB132_181 Depth=1
	s_or_b64 exec, exec, s[30:31]
                                        ; implicit-def: $vgpr15
                                        ; implicit-def: $vgpr1
.LBB132_301:                            ;   in Loop: Header=BB132_181 Depth=1
	s_andn2_saveexec_b64 s[8:9], s[28:29]
	s_cbranch_execz .LBB132_307
; %bb.302:                              ;   in Loop: Header=BB132_181 Depth=1
	v_cmp_ne_u32_e64 s[6:7], s41, v1
                                        ; implicit-def: $vgpr20
	s_and_saveexec_b64 s[10:11], s[6:7]
	s_xor_b64 s[6:7], exec, s[10:11]
; %bb.303:                              ;   in Loop: Header=BB132_181 Depth=1
	v_sub_f32_e32 v20, v16, v16
                                        ; implicit-def: $vgpr15
; %bb.304:                              ;   in Loop: Header=BB132_181 Depth=1
	s_or_saveexec_b64 s[10:11], s[6:7]
	v_mov_b32_e32 v19, v20
	s_xor_b64 exec, exec, s[10:11]
; %bb.305:                              ;   in Loop: Header=BB132_181 Depth=1
	v_sub_f32_e32 v1, v16, v16
	v_cmp_lt_i32_e64 s[6:7], -1, v15
	v_cndmask_b32_e64 v19, 0, v15, s[6:7]
	v_cndmask_b32_e64 v20, 0, v1, s[6:7]
; %bb.306:                              ;   in Loop: Header=BB132_181 Depth=1
	s_or_b64 exec, exec, s[10:11]
.LBB132_307:                            ;   in Loop: Header=BB132_181 Depth=1
	s_or_b64 exec, exec, s[8:9]
                                        ; implicit-def: $vgpr16
                                        ; implicit-def: $vgpr28
.LBB132_308:                            ;   in Loop: Header=BB132_181 Depth=1
	s_andn2_saveexec_b64 s[26:27], s[26:27]
	s_cbranch_execz .LBB132_318
; %bb.309:                              ;   in Loop: Header=BB132_181 Depth=1
	v_cmp_nlt_f32_e64 s[28:29], |v16|, s43
                                        ; implicit-def: $vgpr15
                                        ; implicit-def: $vgpr19
	s_and_saveexec_b64 s[6:7], s[28:29]
	s_xor_b64 s[30:31], exec, s[6:7]
	s_cbranch_execz .LBB132_311
; %bb.310:                              ;   in Loop: Header=BB132_181 Depth=1
	v_and_b32_e32 v1, 0x7fffff, v28
	v_or_b32_e32 v15, 0x800000, v1
	v_mad_u64_u32 v[19:20], s[6:7], v15, s44, 0
	v_mov_b32_e32 v1, v20
	v_mad_u64_u32 v[29:30], s[6:7], v15, s45, v[1:2]
	v_mov_b32_e32 v1, v30
	;; [unrolled: 2-line block ×3, first 2 shown]
	v_mad_u64_u32 v[31:32], s[6:7], v15, s47, v[1:2]
	v_lshrrev_b32_e32 v1, 23, v28
	v_add_u32_e32 v20, 0xffffff88, v1
	v_mov_b32_e32 v1, v32
	v_mad_u64_u32 v[32:33], s[6:7], v15, s48, v[1:2]
	v_cmp_lt_u32_e64 s[6:7], 63, v20
	v_cndmask_b32_e64 v1, 0, v24, s[6:7]
	v_add_u32_e32 v20, v1, v20
	v_mov_b32_e32 v1, v33
	v_mad_u64_u32 v[33:34], s[8:9], v15, s49, v[1:2]
	v_cmp_lt_u32_e64 s[8:9], 31, v20
	v_cndmask_b32_e64 v1, 0, v25, s[8:9]
	;; [unrolled: 5-line block ×3, first 2 shown]
	v_add_u32_e32 v1, v1, v20
	v_cndmask_b32_e64 v15, v33, v31, s[6:7]
	v_cndmask_b32_e64 v20, v34, v32, s[6:7]
	;; [unrolled: 1-line block ×9, first 2 shown]
	v_sub_u32_e32 v34, 32, v1
	v_alignbit_b32 v35, v20, v33, v34
	v_cmp_eq_u32_e64 s[12:13], 0, v1
	v_cndmask_b32_e64 v1, v35, v20, s[12:13]
	v_cndmask_b32_e64 v20, v31, v29, s[6:7]
	;; [unrolled: 1-line block ×4, first 2 shown]
	v_alignbit_b32 v31, v33, v15, v34
	v_cndmask_b32_e64 v19, v30, v19, s[6:7]
	v_cndmask_b32_e64 v31, v31, v33, s[12:13]
	v_bfe_u32 v35, v1, 29, 1
	v_cndmask_b32_e64 v19, v20, v19, s[8:9]
	v_alignbit_b32 v32, v1, v31, 30
	v_sub_u32_e32 v36, 0, v35
	v_cndmask_b32_e64 v19, v29, v19, s[10:11]
	v_xor_b32_e32 v32, v32, v36
	v_alignbit_b32 v20, v15, v19, v34
	v_cndmask_b32_e64 v15, v20, v15, s[12:13]
	v_ffbh_u32_e32 v29, v32
	v_alignbit_b32 v20, v31, v15, 30
	v_min_u32_e32 v29, 32, v29
	v_alignbit_b32 v15, v15, v19, 30
	v_xor_b32_e32 v20, v20, v36
	v_sub_u32_e32 v30, 31, v29
	v_xor_b32_e32 v15, v15, v36
	v_alignbit_b32 v31, v32, v20, v30
	v_alignbit_b32 v15, v20, v15, v30
	;; [unrolled: 1-line block ×3, first 2 shown]
	v_ffbh_u32_e32 v20, v19
	v_min_u32_e32 v20, 32, v20
	v_lshrrev_b32_e32 v33, 29, v1
	v_not_b32_e32 v30, v20
	v_alignbit_b32 v15, v19, v15, v30
	v_lshlrev_b32_e32 v19, 31, v33
	v_or_b32_e32 v30, 0x33000000, v19
	v_add_lshl_u32 v20, v20, v29, 23
	v_lshrrev_b32_e32 v15, 9, v15
	v_sub_u32_e32 v20, v30, v20
	v_or_b32_e32 v19, 0.5, v19
	v_lshlrev_b32_e32 v29, 23, v29
	v_or_b32_e32 v15, v20, v15
	v_lshrrev_b32_e32 v20, 9, v31
	v_sub_u32_e32 v19, v19, v29
	v_or_b32_e32 v19, v20, v19
	v_mul_f32_e32 v20, 0x3fc90fda, v19
	v_fma_f32 v29, v19, s51, -v20
	v_fmac_f32_e32 v29, 0x33a22168, v19
	v_fmac_f32_e32 v29, 0x3fc90fda, v15
	v_lshrrev_b32_e32 v1, 30, v1
	v_add_f32_e32 v19, v20, v29
	v_add_u32_e32 v15, v35, v1
	s_andn2_saveexec_b64 s[6:7], s[30:31]
	s_branch .LBB132_312
.LBB132_311:                            ;   in Loop: Header=BB132_181 Depth=1
	s_andn2_saveexec_b64 s[6:7], s[30:31]
.LBB132_312:                            ;   in Loop: Header=BB132_181 Depth=1
	v_mul_f32_e64 v1, |v16|, s52
	v_rndne_f32_e32 v1, v1
	v_cvt_i32_f32_e32 v15, v1
	v_fma_f32 v19, v1, s53, |v16|
	v_fmac_f32_e32 v19, 0xb3a22168, v1
	v_fmac_f32_e32 v19, 0xa7c234c4, v1
; %bb.313:                              ;   in Loop: Header=BB132_181 Depth=1
	s_or_b64 exec, exec, s[6:7]
                                        ; implicit-def: $vgpr1
                                        ; implicit-def: $vgpr20
	s_and_saveexec_b64 s[6:7], s[28:29]
	s_xor_b64 s[28:29], exec, s[6:7]
	s_cbranch_execz .LBB132_315
; %bb.314:                              ;   in Loop: Header=BB132_181 Depth=1
	v_and_b32_e32 v1, 0x7fffff, v28
	v_or_b32_e32 v20, 0x800000, v1
	v_mad_u64_u32 v[29:30], s[6:7], v20, s44, 0
	v_mov_b32_e32 v1, v30
	v_mad_u64_u32 v[30:31], s[6:7], v20, s45, v[1:2]
	v_mov_b32_e32 v1, v31
	;; [unrolled: 2-line block ×3, first 2 shown]
	v_mad_u64_u32 v[32:33], s[6:7], v20, s47, v[1:2]
	v_lshrrev_b32_e32 v1, 23, v28
	v_add_u32_e32 v35, 0xffffff88, v1
	v_mov_b32_e32 v1, v33
	v_mad_u64_u32 v[33:34], s[6:7], v20, s48, v[1:2]
	v_cmp_lt_u32_e64 s[6:7], 63, v35
	v_cndmask_b32_e64 v1, 0, v24, s[6:7]
	v_add_u32_e32 v36, v1, v35
	v_mov_b32_e32 v1, v34
	v_mad_u64_u32 v[34:35], s[8:9], v20, s49, v[1:2]
	v_cmp_lt_u32_e64 s[8:9], 31, v36
	v_cndmask_b32_e64 v1, 0, v25, s[8:9]
	;; [unrolled: 5-line block ×3, first 2 shown]
	v_cndmask_b32_e64 v20, v34, v32, s[6:7]
	v_cndmask_b32_e64 v35, v35, v33, s[6:7]
	;; [unrolled: 1-line block ×4, first 2 shown]
	v_add_u32_e32 v1, v1, v37
	v_cndmask_b32_e64 v36, v35, v20, s[8:9]
	v_cndmask_b32_e64 v34, v34, v35, s[8:9]
	;; [unrolled: 1-line block ×6, first 2 shown]
	v_sub_u32_e32 v36, 32, v1
	v_cndmask_b32_e64 v32, v33, v30, s[8:9]
	v_alignbit_b32 v37, v34, v35, v36
	v_cmp_eq_u32_e64 s[12:13], 0, v1
	v_cndmask_b32_e64 v20, v20, v32, s[10:11]
	v_cndmask_b32_e64 v1, v37, v34, s[12:13]
	v_alignbit_b32 v33, v35, v20, v36
	v_cndmask_b32_e64 v29, v31, v29, s[6:7]
	v_cndmask_b32_e64 v33, v33, v35, s[12:13]
	v_bfe_u32 v37, v1, 29, 1
	v_cndmask_b32_e64 v29, v30, v29, s[8:9]
	v_alignbit_b32 v34, v1, v33, 30
	v_sub_u32_e32 v38, 0, v37
	v_cndmask_b32_e64 v29, v32, v29, s[10:11]
	v_xor_b32_e32 v34, v34, v38
	v_alignbit_b32 v30, v20, v29, v36
	v_cndmask_b32_e64 v20, v30, v20, s[12:13]
	v_ffbh_u32_e32 v31, v34
	v_alignbit_b32 v30, v33, v20, 30
	v_min_u32_e32 v31, 32, v31
	v_alignbit_b32 v20, v20, v29, 30
	v_xor_b32_e32 v30, v30, v38
	v_sub_u32_e32 v32, 31, v31
	v_xor_b32_e32 v20, v20, v38
	v_alignbit_b32 v33, v34, v30, v32
	v_alignbit_b32 v20, v30, v20, v32
	;; [unrolled: 1-line block ×3, first 2 shown]
	v_ffbh_u32_e32 v30, v29
	v_min_u32_e32 v30, 32, v30
	v_lshrrev_b32_e32 v35, 29, v1
	v_not_b32_e32 v32, v30
	v_alignbit_b32 v20, v29, v20, v32
	v_lshlrev_b32_e32 v29, 31, v35
	v_or_b32_e32 v32, 0x33000000, v29
	v_add_lshl_u32 v30, v30, v31, 23
	v_lshrrev_b32_e32 v20, 9, v20
	v_sub_u32_e32 v30, v32, v30
	v_or_b32_e32 v29, 0.5, v29
	v_lshlrev_b32_e32 v31, 23, v31
	v_or_b32_e32 v20, v30, v20
	v_lshrrev_b32_e32 v30, 9, v33
	v_sub_u32_e32 v29, v29, v31
	v_or_b32_e32 v29, v30, v29
	v_mul_f32_e32 v30, 0x3fc90fda, v29
	v_fma_f32 v31, v29, s51, -v30
	v_fmac_f32_e32 v31, 0x33a22168, v29
	v_fmac_f32_e32 v31, 0x3fc90fda, v20
	v_lshrrev_b32_e32 v1, 30, v1
	v_add_f32_e32 v20, v30, v31
	v_add_u32_e32 v1, v37, v1
	s_andn2_saveexec_b64 s[6:7], s[28:29]
	s_cbranch_execnz .LBB132_316
	s_branch .LBB132_317
.LBB132_315:                            ;   in Loop: Header=BB132_181 Depth=1
	s_andn2_saveexec_b64 s[6:7], s[28:29]
.LBB132_316:                            ;   in Loop: Header=BB132_181 Depth=1
	v_mul_f32_e64 v1, |v16|, s52
	v_rndne_f32_e32 v29, v1
	v_cvt_i32_f32_e32 v1, v29
	v_fma_f32 v20, v29, s53, |v16|
	v_fmac_f32_e32 v20, 0xb3a22168, v29
	v_fmac_f32_e32 v20, 0xa7c234c4, v29
.LBB132_317:                            ;   in Loop: Header=BB132_181 Depth=1
	s_or_b64 exec, exec, s[6:7]
	v_mul_f32_e32 v29, v19, v19
	v_mov_b32_e32 v30, 0x3c0881c4
	v_fmac_f32_e32 v30, 0xb94c1982, v29
	v_fma_f32 v30, v29, v30, v21
	v_mul_f32_e32 v30, v29, v30
	v_fmac_f32_e32 v19, v19, v30
	v_mov_b32_e32 v30, 0xbab64f3b
	v_fmac_f32_e32 v30, 0x37d75334, v29
	v_fma_f32 v30, v29, v30, v22
	v_fma_f32 v30, v29, v30, v23
	v_fma_f32 v29, v29, v30, 1.0
	v_and_b32_e32 v30, 1, v15
	v_cmp_eq_u32_e64 s[6:7], 0, v30
	v_lshlrev_b32_e32 v15, 30, v15
	v_cndmask_b32_e64 v19, -v19, v29, s[6:7]
	v_and_b32_e32 v15, 0x80000000, v15
	v_xor_b32_e32 v15, v15, v19
	v_cmp_class_f32_e64 s[6:7], v16, s58
	v_cndmask_b32_e64 v19, v27, v15, s[6:7]
	v_mul_f32_e32 v15, v20, v20
	v_mov_b32_e32 v29, 0x3c0881c4
	v_fmac_f32_e32 v29, 0xb94c1982, v15
	v_fma_f32 v29, v15, v29, v21
	v_mul_f32_e32 v29, v15, v29
	v_fmac_f32_e32 v20, v20, v29
	v_mov_b32_e32 v29, 0xbab64f3b
	v_fmac_f32_e32 v29, 0x37d75334, v15
	v_fma_f32 v29, v15, v29, v22
	v_fma_f32 v29, v15, v29, v23
	v_fma_f32 v15, v15, v29, 1.0
	v_and_b32_e32 v29, 1, v1
	v_cmp_eq_u32_e64 s[8:9], 0, v29
	v_lshlrev_b32_e32 v1, 30, v1
	v_cndmask_b32_e64 v15, v15, v20, s[8:9]
	v_and_or_b32 v1, v1, s57, v28
	v_xor_b32_e32 v1, v1, v15
	v_xor_b32_e32 v1, v1, v16
	v_cndmask_b32_e64 v20, v27, v1, s[6:7]
.LBB132_318:                            ;   in Loop: Header=BB132_181 Depth=1
	s_or_b64 exec, exec, s[26:27]
                                        ; implicit-def: $vgpr15
.LBB132_319:                            ;   in Loop: Header=BB132_181 Depth=1
	s_andn2_saveexec_b64 s[8:9], s[24:25]
	s_cbranch_execz .LBB132_321
; %bb.320:                              ;   in Loop: Header=BB132_181 Depth=1
	v_mul_f32_e32 v1, 0x3fb8aa3b, v15
	v_rndne_f32_e32 v19, v1
	v_sub_f32_e32 v20, v1, v19
	v_fma_f32 v1, v15, s54, -v1
	v_fmac_f32_e32 v1, 0x32a5705f, v15
	v_add_f32_e32 v1, v20, v1
	v_cvt_i32_f32_e32 v19, v19
	v_exp_f32_e32 v1, v1
	v_cmp_ngt_f32_e64 s[6:7], s55, v15
	v_mov_b32_e32 v20, v16
	v_ldexp_f32 v1, v1, v19
	v_cndmask_b32_e64 v1, 0, v1, s[6:7]
	v_cmp_nlt_f32_e64 s[6:7], s56, v15
	v_cndmask_b32_e64 v19, v26, v1, s[6:7]
.LBB132_321:                            ;   in Loop: Header=BB132_181 Depth=1
	s_or_b64 exec, exec, s[8:9]
	v_and_b32_e32 v28, 0x7fffffff, v12
	v_cmp_ne_u32_e64 s[6:7], 0, v28
                                        ; implicit-def: $vgpr16
	s_and_saveexec_b64 s[8:9], s[6:7]
	s_xor_b64 s[24:25], exec, s[8:9]
	s_cbranch_execz .LBB132_327
; %bb.322:                              ;   in Loop: Header=BB132_181 Depth=1
	v_and_b32_e32 v1, 0x7fffffff, v11
	v_cmp_ne_u32_e64 s[6:7], 0, v1
                                        ; implicit-def: $vgpr16
	s_and_saveexec_b64 s[8:9], s[6:7]
	s_xor_b64 s[26:27], exec, s[8:9]
	s_cbranch_execz .LBB132_357
; %bb.323:                              ;   in Loop: Header=BB132_181 Depth=1
	v_cmp_gt_u32_e64 s[6:7], s41, v28
                                        ; implicit-def: $vgpr16
	s_and_saveexec_b64 s[8:9], s[6:7]
	s_xor_b64 s[28:29], exec, s[8:9]
	s_cbranch_execz .LBB132_350
; %bb.324:                              ;   in Loop: Header=BB132_181 Depth=1
	v_add_u32_e32 v1, 0xbd4e8de8, v11
	v_cmp_lt_u32_e64 s[6:7], s42, v1
                                        ; implicit-def: $vgpr16
	s_and_saveexec_b64 s[8:9], s[6:7]
	s_xor_b64 s[30:31], exec, s[8:9]
	s_cbranch_execz .LBB132_339
; %bb.325:                              ;   in Loop: Header=BB132_181 Depth=1
	v_cmp_nlt_f32_e64 s[34:35], |v12|, s43
                                        ; implicit-def: $vgpr15
                                        ; implicit-def: $vgpr16
	s_and_saveexec_b64 s[6:7], s[34:35]
	s_xor_b64 s[36:37], exec, s[6:7]
	s_cbranch_execz .LBB132_332
; %bb.326:                              ;   in Loop: Header=BB132_181 Depth=1
	v_and_b32_e32 v1, 0x7fffff, v28
	v_or_b32_e32 v35, 0x800000, v1
	v_mad_u64_u32 v[15:16], s[6:7], v35, s44, 0
	v_mov_b32_e32 v1, v16
	v_mad_u64_u32 v[29:30], s[6:7], v35, s45, v[1:2]
	v_mov_b32_e32 v1, v30
	;; [unrolled: 2-line block ×3, first 2 shown]
	v_mad_u64_u32 v[31:32], s[6:7], v35, s47, v[1:2]
	v_lshrrev_b32_e32 v1, 23, v28
	v_add_u32_e32 v16, 0xffffff88, v1
	v_mov_b32_e32 v1, v32
	v_mad_u64_u32 v[32:33], s[6:7], v35, s48, v[1:2]
	v_cmp_lt_u32_e64 s[6:7], 63, v16
	v_cndmask_b32_e64 v1, 0, v24, s[6:7]
	v_add_u32_e32 v16, v1, v16
	v_mov_b32_e32 v1, v33
	v_mad_u64_u32 v[33:34], s[8:9], v35, s49, v[1:2]
	v_cmp_lt_u32_e64 s[8:9], 31, v16
	v_cndmask_b32_e64 v1, 0, v25, s[8:9]
	;; [unrolled: 5-line block ×3, first 2 shown]
	v_add_u32_e32 v1, v1, v16
	v_cndmask_b32_e64 v16, v33, v31, s[6:7]
	v_cndmask_b32_e64 v34, v34, v32, s[6:7]
	;; [unrolled: 1-line block ×10, first 2 shown]
	v_sub_u32_e32 v35, 32, v1
	v_cndmask_b32_e64 v31, v32, v29, s[8:9]
	v_alignbit_b32 v36, v33, v34, v35
	v_cmp_eq_u32_e64 s[12:13], 0, v1
	v_cndmask_b32_e64 v16, v16, v31, s[10:11]
	v_cndmask_b32_e64 v1, v36, v33, s[12:13]
	v_alignbit_b32 v32, v34, v16, v35
	v_cndmask_b32_e64 v15, v30, v15, s[6:7]
	v_cndmask_b32_e64 v32, v32, v34, s[12:13]
	v_bfe_u32 v36, v1, 29, 1
	v_cndmask_b32_e64 v15, v29, v15, s[8:9]
	v_alignbit_b32 v33, v1, v32, 30
	v_sub_u32_e32 v37, 0, v36
	v_cndmask_b32_e64 v15, v31, v15, s[10:11]
	v_xor_b32_e32 v33, v33, v37
	v_alignbit_b32 v29, v16, v15, v35
	v_cndmask_b32_e64 v16, v29, v16, s[12:13]
	v_ffbh_u32_e32 v30, v33
	v_alignbit_b32 v29, v32, v16, 30
	v_min_u32_e32 v30, 32, v30
	v_alignbit_b32 v15, v16, v15, 30
	v_xor_b32_e32 v29, v29, v37
	v_sub_u32_e32 v31, 31, v30
	v_xor_b32_e32 v15, v15, v37
	v_alignbit_b32 v32, v33, v29, v31
	v_alignbit_b32 v15, v29, v15, v31
	;; [unrolled: 1-line block ×3, first 2 shown]
	v_ffbh_u32_e32 v29, v16
	v_min_u32_e32 v29, 32, v29
	v_lshrrev_b32_e32 v34, 29, v1
	v_not_b32_e32 v31, v29
	v_alignbit_b32 v15, v16, v15, v31
	v_lshlrev_b32_e32 v16, 31, v34
	v_or_b32_e32 v31, 0x33000000, v16
	v_add_lshl_u32 v29, v29, v30, 23
	v_lshrrev_b32_e32 v15, 9, v15
	v_sub_u32_e32 v29, v31, v29
	v_or_b32_e32 v16, 0.5, v16
	v_lshlrev_b32_e32 v30, 23, v30
	v_or_b32_e32 v15, v29, v15
	v_lshrrev_b32_e32 v29, 9, v32
	v_sub_u32_e32 v16, v16, v30
	v_or_b32_e32 v16, v29, v16
	v_mul_f32_e32 v29, 0x3fc90fda, v16
	v_fma_f32 v30, v16, s51, -v29
	v_fmac_f32_e32 v30, 0x33a22168, v16
	v_fmac_f32_e32 v30, 0x3fc90fda, v15
	v_lshrrev_b32_e32 v1, 30, v1
	v_add_f32_e32 v16, v29, v30
	v_add_u32_e32 v15, v36, v1
	s_andn2_saveexec_b64 s[6:7], s[36:37]
	s_branch .LBB132_333
.LBB132_327:                            ;   in Loop: Header=BB132_181 Depth=1
	s_andn2_saveexec_b64 s[8:9], s[24:25]
	s_cbranch_execz .LBB132_368
.LBB132_328:                            ;   in Loop: Header=BB132_181 Depth=1
	v_mul_f32_e32 v1, 0x3fb8aa3b, v11
	v_rndne_f32_e32 v15, v1
	v_sub_f32_e32 v16, v1, v15
	v_fma_f32 v1, v11, s54, -v1
	v_fmac_f32_e32 v1, 0x32a5705f, v11
	v_add_f32_e32 v1, v16, v1
	v_cvt_i32_f32_e32 v15, v15
	v_exp_f32_e32 v1, v1
	v_cmp_ngt_f32_e64 s[6:7], s55, v11
	v_mov_b32_e32 v16, v12
	v_ldexp_f32 v1, v1, v15
	v_cndmask_b32_e64 v1, 0, v1, s[6:7]
	v_cmp_nlt_f32_e64 s[6:7], s56, v11
	v_cndmask_b32_e64 v15, v26, v1, s[6:7]
	s_or_b64 exec, exec, s[8:9]
	s_and_saveexec_b64 s[6:7], vcc
	s_xor_b64 s[6:7], exec, s[6:7]
	s_cbranch_execnz .LBB132_369
.LBB132_329:                            ;   in Loop: Header=BB132_181 Depth=1
	s_or_b64 exec, exec, s[6:7]
	s_and_saveexec_b64 s[6:7], s[0:1]
	s_cbranch_execz .LBB132_370
.LBB132_330:                            ;   in Loop: Header=BB132_181 Depth=1
	v_lshlrev_b64 v[3:4], 3, v[5:6]
	v_mov_b32_e32 v1, s17
	v_add_co_u32_e32 v3, vcc, s16, v3
	v_addc_co_u32_e32 v4, vcc, v1, v4, vcc
	global_store_dwordx2 v[3:4], v[17:18], off
	s_or_b64 exec, exec, s[6:7]
	s_and_saveexec_b64 s[0:1], s[2:3]
	s_cbranch_execnz .LBB132_371
.LBB132_331:                            ;   in Loop: Header=BB132_181 Depth=1
	s_or_b64 exec, exec, s[0:1]
	s_and_saveexec_b64 s[0:1], s[4:5]
	s_cbranch_execz .LBB132_180
	s_branch .LBB132_372
.LBB132_332:                            ;   in Loop: Header=BB132_181 Depth=1
	s_andn2_saveexec_b64 s[6:7], s[36:37]
.LBB132_333:                            ;   in Loop: Header=BB132_181 Depth=1
	v_mul_f32_e64 v1, |v12|, s52
	v_rndne_f32_e32 v1, v1
	v_cvt_i32_f32_e32 v15, v1
	v_fma_f32 v16, v1, s53, |v12|
	v_fmac_f32_e32 v16, 0xb3a22168, v1
	v_fmac_f32_e32 v16, 0xa7c234c4, v1
; %bb.334:                              ;   in Loop: Header=BB132_181 Depth=1
	s_or_b64 exec, exec, s[6:7]
                                        ; implicit-def: $vgpr1
                                        ; implicit-def: $vgpr29
	s_and_saveexec_b64 s[6:7], s[34:35]
	s_xor_b64 s[34:35], exec, s[6:7]
	s_cbranch_execz .LBB132_336
; %bb.335:                              ;   in Loop: Header=BB132_181 Depth=1
	v_and_b32_e32 v1, 0x7fffff, v28
	v_or_b32_e32 v36, 0x800000, v1
	v_mad_u64_u32 v[29:30], s[6:7], v36, s44, 0
	v_mov_b32_e32 v1, v30
	v_mad_u64_u32 v[30:31], s[6:7], v36, s45, v[1:2]
	v_mov_b32_e32 v1, v31
	;; [unrolled: 2-line block ×3, first 2 shown]
	v_mad_u64_u32 v[32:33], s[6:7], v36, s47, v[1:2]
	v_lshrrev_b32_e32 v1, 23, v28
	v_add_u32_e32 v35, 0xffffff88, v1
	v_mov_b32_e32 v1, v33
	v_mad_u64_u32 v[33:34], s[6:7], v36, s48, v[1:2]
	v_cmp_lt_u32_e64 s[6:7], 63, v35
	v_cndmask_b32_e64 v1, 0, v24, s[6:7]
	v_add_u32_e32 v37, v1, v35
	v_mov_b32_e32 v1, v34
	v_mad_u64_u32 v[34:35], s[8:9], v36, s49, v[1:2]
	v_cmp_lt_u32_e64 s[8:9], 31, v37
	v_cndmask_b32_e64 v1, 0, v25, s[8:9]
	;; [unrolled: 5-line block ×3, first 2 shown]
	v_add_u32_e32 v1, v1, v37
	v_cndmask_b32_e64 v37, v34, v32, s[6:7]
	v_cndmask_b32_e64 v35, v35, v33, s[6:7]
	;; [unrolled: 1-line block ×10, first 2 shown]
	v_sub_u32_e32 v37, 32, v1
	v_cndmask_b32_e64 v32, v33, v30, s[8:9]
	v_alignbit_b32 v38, v34, v36, v37
	v_cmp_eq_u32_e64 s[12:13], 0, v1
	v_cndmask_b32_e64 v33, v35, v32, s[10:11]
	v_cndmask_b32_e64 v1, v38, v34, s[12:13]
	v_alignbit_b32 v34, v36, v33, v37
	v_cndmask_b32_e64 v29, v31, v29, s[6:7]
	v_cndmask_b32_e64 v34, v34, v36, s[12:13]
	v_bfe_u32 v38, v1, 29, 1
	v_cndmask_b32_e64 v29, v30, v29, s[8:9]
	v_alignbit_b32 v35, v1, v34, 30
	v_sub_u32_e32 v39, 0, v38
	v_cndmask_b32_e64 v29, v32, v29, s[10:11]
	v_xor_b32_e32 v35, v35, v39
	v_alignbit_b32 v30, v33, v29, v37
	v_cndmask_b32_e64 v30, v30, v33, s[12:13]
	v_ffbh_u32_e32 v32, v35
	v_alignbit_b32 v31, v34, v30, 30
	v_min_u32_e32 v32, 32, v32
	v_alignbit_b32 v29, v30, v29, 30
	v_xor_b32_e32 v31, v31, v39
	v_sub_u32_e32 v33, 31, v32
	v_xor_b32_e32 v29, v29, v39
	v_alignbit_b32 v34, v35, v31, v33
	v_alignbit_b32 v29, v31, v29, v33
	;; [unrolled: 1-line block ×3, first 2 shown]
	v_ffbh_u32_e32 v31, v30
	v_min_u32_e32 v31, 32, v31
	v_lshrrev_b32_e32 v36, 29, v1
	v_not_b32_e32 v33, v31
	v_alignbit_b32 v29, v30, v29, v33
	v_lshlrev_b32_e32 v30, 31, v36
	v_or_b32_e32 v33, 0x33000000, v30
	v_add_lshl_u32 v31, v31, v32, 23
	v_lshrrev_b32_e32 v29, 9, v29
	v_sub_u32_e32 v31, v33, v31
	v_or_b32_e32 v30, 0.5, v30
	v_lshlrev_b32_e32 v32, 23, v32
	v_or_b32_e32 v29, v31, v29
	v_lshrrev_b32_e32 v31, 9, v34
	v_sub_u32_e32 v30, v30, v32
	v_or_b32_e32 v30, v31, v30
	v_mul_f32_e32 v31, 0x3fc90fda, v30
	v_fma_f32 v32, v30, s51, -v31
	v_fmac_f32_e32 v32, 0x33a22168, v30
	v_fmac_f32_e32 v32, 0x3fc90fda, v29
	v_lshrrev_b32_e32 v1, 30, v1
	v_add_f32_e32 v29, v31, v32
	v_add_u32_e32 v1, v38, v1
	s_andn2_saveexec_b64 s[6:7], s[34:35]
	s_cbranch_execnz .LBB132_337
	s_branch .LBB132_338
.LBB132_336:                            ;   in Loop: Header=BB132_181 Depth=1
	s_andn2_saveexec_b64 s[6:7], s[34:35]
.LBB132_337:                            ;   in Loop: Header=BB132_181 Depth=1
	v_mul_f32_e64 v1, |v12|, s52
	v_rndne_f32_e32 v30, v1
	v_cvt_i32_f32_e32 v1, v30
	v_fma_f32 v29, v30, s53, |v12|
	v_fmac_f32_e32 v29, 0xb3a22168, v30
	v_fmac_f32_e32 v29, 0xa7c234c4, v30
.LBB132_338:                            ;   in Loop: Header=BB132_181 Depth=1
	s_or_b64 exec, exec, s[6:7]
	v_mul_f32_e32 v30, 0x3fb8aa3b, v11
	v_rndne_f32_e32 v31, v30
	v_sub_f32_e32 v32, v30, v31
	v_fma_f32 v30, v11, s54, -v30
	v_fmac_f32_e32 v30, 0x32a5705f, v11
	v_add_f32_e32 v30, v32, v30
	v_cvt_i32_f32_e32 v31, v31
	v_exp_f32_e32 v30, v30
	v_cmp_ngt_f32_e64 s[6:7], s55, v11
	v_ldexp_f32 v30, v30, v31
	v_cndmask_b32_e64 v30, 0, v30, s[6:7]
	v_cmp_nlt_f32_e64 s[6:7], s56, v11
	v_cndmask_b32_e64 v11, v26, v30, s[6:7]
	v_mul_f32_e32 v30, v16, v16
	v_mov_b32_e32 v31, 0x3c0881c4
	v_fmac_f32_e32 v31, 0xb94c1982, v30
	v_fma_f32 v31, v30, v31, v21
	v_mul_f32_e32 v31, v30, v31
	v_fmac_f32_e32 v16, v16, v31
	v_mov_b32_e32 v31, 0xbab64f3b
	v_fmac_f32_e32 v31, 0x37d75334, v30
	v_fma_f32 v31, v30, v31, v22
	v_fma_f32 v31, v30, v31, v23
	v_fma_f32 v30, v30, v31, 1.0
	v_and_b32_e32 v31, 1, v15
	v_cmp_eq_u32_e64 s[6:7], 0, v31
	v_lshlrev_b32_e32 v15, 30, v15
	v_cndmask_b32_e64 v16, -v16, v30, s[6:7]
	v_and_b32_e32 v15, 0x80000000, v15
	v_xor_b32_e32 v15, v15, v16
	v_mul_f32_e32 v16, v29, v29
	v_mov_b32_e32 v30, 0x3c0881c4
	v_fmac_f32_e32 v30, 0xb94c1982, v16
	v_fma_f32 v30, v16, v30, v21
	v_mul_f32_e32 v30, v16, v30
	v_fmac_f32_e32 v29, v29, v30
	v_mov_b32_e32 v30, 0xbab64f3b
	v_fmac_f32_e32 v30, 0x37d75334, v16
	v_fma_f32 v30, v16, v30, v22
	v_fma_f32 v30, v16, v30, v23
	v_fma_f32 v16, v16, v30, 1.0
	v_and_b32_e32 v30, 1, v1
	v_cmp_eq_u32_e64 s[8:9], 0, v30
	v_lshlrev_b32_e32 v1, 30, v1
	v_cndmask_b32_e64 v16, v16, v29, s[8:9]
	v_and_or_b32 v1, v1, s57, v28
	v_xor_b32_e32 v1, v1, v16
	v_cmp_class_f32_e64 s[6:7], v12, s58
	v_xor_b32_e32 v1, v1, v12
	v_cndmask_b32_e64 v15, v27, v15, s[6:7]
	v_cndmask_b32_e64 v1, v27, v1, s[6:7]
	v_mul_f32_e32 v15, v11, v15
	v_mul_f32_e32 v16, v11, v1
                                        ; implicit-def: $vgpr12
                                        ; implicit-def: $vgpr28
.LBB132_339:                            ;   in Loop: Header=BB132_181 Depth=1
	s_andn2_saveexec_b64 s[30:31], s[30:31]
	s_cbranch_execz .LBB132_349
; %bb.340:                              ;   in Loop: Header=BB132_181 Depth=1
	v_cmp_nlt_f32_e64 s[34:35], |v12|, s43
                                        ; implicit-def: $vgpr16
                                        ; implicit-def: $vgpr15
	s_and_saveexec_b64 s[6:7], s[34:35]
	s_xor_b64 s[36:37], exec, s[6:7]
	s_cbranch_execz .LBB132_342
; %bb.341:                              ;   in Loop: Header=BB132_181 Depth=1
	v_and_b32_e32 v1, 0x7fffff, v28
	v_or_b32_e32 v35, 0x800000, v1
	v_mad_u64_u32 v[15:16], s[6:7], v35, s44, 0
	v_mov_b32_e32 v1, v16
	v_mad_u64_u32 v[29:30], s[6:7], v35, s45, v[1:2]
	v_mov_b32_e32 v1, v30
	;; [unrolled: 2-line block ×3, first 2 shown]
	v_mad_u64_u32 v[31:32], s[6:7], v35, s47, v[1:2]
	v_lshrrev_b32_e32 v1, 23, v28
	v_add_u32_e32 v16, 0xffffff88, v1
	v_mov_b32_e32 v1, v32
	v_mad_u64_u32 v[32:33], s[6:7], v35, s48, v[1:2]
	v_cmp_lt_u32_e64 s[6:7], 63, v16
	v_cndmask_b32_e64 v1, 0, v24, s[6:7]
	v_add_u32_e32 v16, v1, v16
	v_mov_b32_e32 v1, v33
	v_mad_u64_u32 v[33:34], s[8:9], v35, s49, v[1:2]
	v_cmp_lt_u32_e64 s[8:9], 31, v16
	v_cndmask_b32_e64 v1, 0, v25, s[8:9]
	;; [unrolled: 5-line block ×3, first 2 shown]
	v_add_u32_e32 v1, v1, v16
	v_cndmask_b32_e64 v16, v33, v31, s[6:7]
	v_cndmask_b32_e64 v34, v34, v32, s[6:7]
	;; [unrolled: 1-line block ×10, first 2 shown]
	v_sub_u32_e32 v35, 32, v1
	v_cndmask_b32_e64 v31, v32, v29, s[8:9]
	v_alignbit_b32 v36, v33, v34, v35
	v_cmp_eq_u32_e64 s[12:13], 0, v1
	v_cndmask_b32_e64 v16, v16, v31, s[10:11]
	v_cndmask_b32_e64 v1, v36, v33, s[12:13]
	v_alignbit_b32 v32, v34, v16, v35
	v_cndmask_b32_e64 v15, v30, v15, s[6:7]
	v_cndmask_b32_e64 v32, v32, v34, s[12:13]
	v_bfe_u32 v36, v1, 29, 1
	v_cndmask_b32_e64 v15, v29, v15, s[8:9]
	v_alignbit_b32 v33, v1, v32, 30
	v_sub_u32_e32 v37, 0, v36
	v_cndmask_b32_e64 v15, v31, v15, s[10:11]
	v_xor_b32_e32 v33, v33, v37
	v_alignbit_b32 v29, v16, v15, v35
	v_cndmask_b32_e64 v16, v29, v16, s[12:13]
	v_ffbh_u32_e32 v30, v33
	v_alignbit_b32 v29, v32, v16, 30
	v_min_u32_e32 v30, 32, v30
	v_alignbit_b32 v15, v16, v15, 30
	v_xor_b32_e32 v29, v29, v37
	v_sub_u32_e32 v31, 31, v30
	v_xor_b32_e32 v15, v15, v37
	v_alignbit_b32 v32, v33, v29, v31
	v_alignbit_b32 v15, v29, v15, v31
	;; [unrolled: 1-line block ×3, first 2 shown]
	v_ffbh_u32_e32 v29, v16
	v_min_u32_e32 v29, 32, v29
	v_lshrrev_b32_e32 v34, 29, v1
	v_not_b32_e32 v31, v29
	v_alignbit_b32 v15, v16, v15, v31
	v_lshlrev_b32_e32 v16, 31, v34
	v_or_b32_e32 v31, 0x33000000, v16
	v_add_lshl_u32 v29, v29, v30, 23
	v_lshrrev_b32_e32 v15, 9, v15
	v_sub_u32_e32 v29, v31, v29
	v_or_b32_e32 v16, 0.5, v16
	v_lshlrev_b32_e32 v30, 23, v30
	v_or_b32_e32 v15, v29, v15
	v_lshrrev_b32_e32 v29, 9, v32
	v_sub_u32_e32 v16, v16, v30
	v_or_b32_e32 v16, v29, v16
	v_mul_f32_e32 v29, 0x3fc90fda, v16
	v_fma_f32 v30, v16, s51, -v29
	v_fmac_f32_e32 v30, 0x33a22168, v16
	v_fmac_f32_e32 v30, 0x3fc90fda, v15
	v_lshrrev_b32_e32 v1, 30, v1
	v_add_f32_e32 v15, v29, v30
	v_add_u32_e32 v16, v36, v1
	s_andn2_saveexec_b64 s[6:7], s[36:37]
	s_branch .LBB132_343
.LBB132_342:                            ;   in Loop: Header=BB132_181 Depth=1
	s_andn2_saveexec_b64 s[6:7], s[36:37]
.LBB132_343:                            ;   in Loop: Header=BB132_181 Depth=1
	v_mul_f32_e64 v1, |v12|, s52
	v_rndne_f32_e32 v1, v1
	v_cvt_i32_f32_e32 v16, v1
	v_fma_f32 v15, v1, s53, |v12|
	v_fmac_f32_e32 v15, 0xb3a22168, v1
	v_fmac_f32_e32 v15, 0xa7c234c4, v1
; %bb.344:                              ;   in Loop: Header=BB132_181 Depth=1
	s_or_b64 exec, exec, s[6:7]
                                        ; implicit-def: $vgpr1
                                        ; implicit-def: $vgpr29
	s_and_saveexec_b64 s[6:7], s[34:35]
	s_xor_b64 s[34:35], exec, s[6:7]
	s_cbranch_execz .LBB132_346
; %bb.345:                              ;   in Loop: Header=BB132_181 Depth=1
	v_and_b32_e32 v1, 0x7fffff, v28
	v_or_b32_e32 v36, 0x800000, v1
	v_mad_u64_u32 v[29:30], s[6:7], v36, s44, 0
	v_mov_b32_e32 v1, v30
	v_mad_u64_u32 v[30:31], s[6:7], v36, s45, v[1:2]
	v_mov_b32_e32 v1, v31
	;; [unrolled: 2-line block ×3, first 2 shown]
	v_mad_u64_u32 v[32:33], s[6:7], v36, s47, v[1:2]
	v_lshrrev_b32_e32 v1, 23, v28
	v_add_u32_e32 v35, 0xffffff88, v1
	v_mov_b32_e32 v1, v33
	v_mad_u64_u32 v[33:34], s[6:7], v36, s48, v[1:2]
	v_cmp_lt_u32_e64 s[6:7], 63, v35
	v_cndmask_b32_e64 v1, 0, v24, s[6:7]
	v_add_u32_e32 v37, v1, v35
	v_mov_b32_e32 v1, v34
	v_mad_u64_u32 v[34:35], s[8:9], v36, s49, v[1:2]
	v_cmp_lt_u32_e64 s[8:9], 31, v37
	v_cndmask_b32_e64 v1, 0, v25, s[8:9]
	v_add_u32_e32 v37, v1, v37
	v_mov_b32_e32 v1, v35
	v_mad_u64_u32 v[35:36], s[10:11], v36, s50, v[1:2]
	v_cmp_lt_u32_e64 s[10:11], 31, v37
	v_cndmask_b32_e64 v1, 0, v25, s[10:11]
	v_add_u32_e32 v1, v1, v37
	v_cndmask_b32_e64 v37, v34, v32, s[6:7]
	v_cndmask_b32_e64 v35, v35, v33, s[6:7]
	v_cndmask_b32_e64 v34, v36, v34, s[6:7]
	v_cndmask_b32_e64 v33, v33, v31, s[6:7]
	v_cndmask_b32_e64 v36, v35, v37, s[8:9]
	v_cndmask_b32_e64 v34, v34, v35, s[8:9]
	v_cndmask_b32_e64 v35, v37, v33, s[8:9]
	v_cndmask_b32_e64 v30, v32, v30, s[6:7]
	v_cndmask_b32_e64 v34, v34, v36, s[10:11]
	v_cndmask_b32_e64 v36, v36, v35, s[10:11]
	v_sub_u32_e32 v37, 32, v1
	v_cndmask_b32_e64 v32, v33, v30, s[8:9]
	v_alignbit_b32 v38, v34, v36, v37
	v_cmp_eq_u32_e64 s[12:13], 0, v1
	v_cndmask_b32_e64 v33, v35, v32, s[10:11]
	v_cndmask_b32_e64 v1, v38, v34, s[12:13]
	v_alignbit_b32 v34, v36, v33, v37
	v_cndmask_b32_e64 v29, v31, v29, s[6:7]
	v_cndmask_b32_e64 v34, v34, v36, s[12:13]
	v_bfe_u32 v38, v1, 29, 1
	v_cndmask_b32_e64 v29, v30, v29, s[8:9]
	v_alignbit_b32 v35, v1, v34, 30
	v_sub_u32_e32 v39, 0, v38
	v_cndmask_b32_e64 v29, v32, v29, s[10:11]
	v_xor_b32_e32 v35, v35, v39
	v_alignbit_b32 v30, v33, v29, v37
	v_cndmask_b32_e64 v30, v30, v33, s[12:13]
	v_ffbh_u32_e32 v32, v35
	v_alignbit_b32 v31, v34, v30, 30
	v_min_u32_e32 v32, 32, v32
	v_alignbit_b32 v29, v30, v29, 30
	v_xor_b32_e32 v31, v31, v39
	v_sub_u32_e32 v33, 31, v32
	v_xor_b32_e32 v29, v29, v39
	v_alignbit_b32 v34, v35, v31, v33
	v_alignbit_b32 v29, v31, v29, v33
	v_alignbit_b32 v30, v34, v29, 9
	v_ffbh_u32_e32 v31, v30
	v_min_u32_e32 v31, 32, v31
	v_lshrrev_b32_e32 v36, 29, v1
	v_not_b32_e32 v33, v31
	v_alignbit_b32 v29, v30, v29, v33
	v_lshlrev_b32_e32 v30, 31, v36
	v_or_b32_e32 v33, 0x33000000, v30
	v_add_lshl_u32 v31, v31, v32, 23
	v_lshrrev_b32_e32 v29, 9, v29
	v_sub_u32_e32 v31, v33, v31
	v_or_b32_e32 v30, 0.5, v30
	v_lshlrev_b32_e32 v32, 23, v32
	v_or_b32_e32 v29, v31, v29
	v_lshrrev_b32_e32 v31, 9, v34
	v_sub_u32_e32 v30, v30, v32
	v_or_b32_e32 v30, v31, v30
	v_mul_f32_e32 v31, 0x3fc90fda, v30
	v_fma_f32 v32, v30, s51, -v31
	v_fmac_f32_e32 v32, 0x33a22168, v30
	v_fmac_f32_e32 v32, 0x3fc90fda, v29
	v_lshrrev_b32_e32 v1, 30, v1
	v_add_f32_e32 v29, v31, v32
	v_add_u32_e32 v1, v38, v1
	s_andn2_saveexec_b64 s[6:7], s[34:35]
	s_cbranch_execnz .LBB132_347
	s_branch .LBB132_348
.LBB132_346:                            ;   in Loop: Header=BB132_181 Depth=1
	s_andn2_saveexec_b64 s[6:7], s[34:35]
.LBB132_347:                            ;   in Loop: Header=BB132_181 Depth=1
	v_mul_f32_e64 v1, |v12|, s52
	v_rndne_f32_e32 v30, v1
	v_cvt_i32_f32_e32 v1, v30
	v_fma_f32 v29, v30, s53, |v12|
	v_fmac_f32_e32 v29, 0xb3a22168, v30
	v_fmac_f32_e32 v29, 0xa7c234c4, v30
.LBB132_348:                            ;   in Loop: Header=BB132_181 Depth=1
	s_or_b64 exec, exec, s[6:7]
	v_mul_f32_e32 v31, v15, v15
	v_mov_b32_e32 v32, 0xbab64f3b
	v_fmac_f32_e32 v32, 0x37d75334, v31
	v_mov_b32_e32 v33, 0x3c0881c4
	v_fma_f32 v32, v31, v32, v22
	v_fmac_f32_e32 v33, 0xb94c1982, v31
	v_fma_f32 v32, v31, v32, v23
	v_fma_f32 v33, v31, v33, v21
	v_lshlrev_b32_e32 v30, 30, v16
	v_and_b32_e32 v16, 1, v16
	v_fma_f32 v32, v31, v32, 1.0
	v_mul_f32_e32 v31, v31, v33
	v_add_f32_e32 v11, 0xc322e3bc, v11
	v_fmac_f32_e32 v15, v15, v31
	v_cmp_eq_u32_e64 s[6:7], 0, v16
	v_mul_f32_e32 v16, 0x3fb8aa3b, v11
	v_cndmask_b32_e64 v15, -v15, v32, s[6:7]
	v_fma_f32 v31, v11, s54, -v16
	v_rndne_f32_e32 v32, v16
	v_fmac_f32_e32 v31, 0x32a5705f, v11
	v_sub_f32_e32 v16, v16, v32
	v_add_f32_e32 v16, v16, v31
	v_exp_f32_e32 v16, v16
	v_cvt_i32_f32_e32 v31, v32
	v_cmp_ngt_f32_e64 s[8:9], s55, v11
	v_and_b32_e32 v30, 0x80000000, v30
	v_xor_b32_e32 v15, v30, v15
	v_ldexp_f32 v16, v16, v31
	v_cndmask_b32_e64 v16, 0, v16, s[8:9]
	v_cmp_nlt_f32_e64 s[8:9], s56, v11
	v_cndmask_b32_e64 v11, v26, v16, s[8:9]
	v_and_b32_e32 v16, 0x7fffff, v11
	v_lshrrev_b32_e32 v11, 23, v11
	v_subrev_u32_e32 v11, 19, v11
	v_lshrrev_b16_e32 v30, 15, v11
	v_add_u16_e32 v30, v11, v30
	v_ashrrev_i16_e32 v30, 1, v30
	v_bfe_i32 v30, v30, 0, 16
	v_lshl_add_u32 v31, v30, 23, 1.0
	v_sub_u32_e32 v11, v11, v30
	v_mul_f32_e32 v30, v29, v29
	v_mov_b32_e32 v32, 0x3c0881c4
	v_fmac_f32_e32 v32, 0xb94c1982, v30
	v_fma_f32 v32, v30, v32, v21
	v_mul_f32_e32 v32, v30, v32
	v_fmac_f32_e32 v29, v29, v32
	v_mov_b32_e32 v32, 0xbab64f3b
	v_fmac_f32_e32 v32, 0x37d75334, v30
	v_fma_f32 v32, v30, v32, v22
	v_fma_f32 v32, v30, v32, v23
	v_fma_f32 v30, v30, v32, 1.0
	v_and_b32_e32 v32, 1, v1
	v_cmp_eq_u32_e64 s[8:9], 0, v32
	v_lshlrev_b32_e32 v1, 30, v1
	v_cndmask_b32_e64 v29, v30, v29, s[8:9]
	v_and_or_b32 v1, v1, s57, v28
	v_xor_b32_e32 v1, v1, v29
	v_cmp_class_f32_e64 s[6:7], v12, s58
	v_xor_b32_e32 v1, v1, v12
	v_cndmask_b32_e64 v15, v27, v15, s[6:7]
	v_or_b32_e32 v16, 0x7f000000, v16
	v_cndmask_b32_e64 v1, v27, v1, s[6:7]
	v_mul_f32_e32 v15, v15, v16
	v_mul_f32_e32 v1, v1, v16
	v_mul_f32_e32 v15, v15, v31
	v_lshl_add_u32 v11, v11, 23, 1.0
	v_mul_f32_e32 v1, v1, v31
	v_mul_f32_e32 v15, v15, v11
	;; [unrolled: 1-line block ×3, first 2 shown]
.LBB132_349:                            ;   in Loop: Header=BB132_181 Depth=1
	s_or_b64 exec, exec, s[30:31]
                                        ; implicit-def: $vgpr11
                                        ; implicit-def: $vgpr1
.LBB132_350:                            ;   in Loop: Header=BB132_181 Depth=1
	s_andn2_saveexec_b64 s[8:9], s[28:29]
	s_cbranch_execz .LBB132_356
; %bb.351:                              ;   in Loop: Header=BB132_181 Depth=1
	v_cmp_ne_u32_e64 s[6:7], s41, v1
                                        ; implicit-def: $vgpr16
	s_and_saveexec_b64 s[10:11], s[6:7]
	s_xor_b64 s[6:7], exec, s[10:11]
; %bb.352:                              ;   in Loop: Header=BB132_181 Depth=1
	v_sub_f32_e32 v16, v12, v12
                                        ; implicit-def: $vgpr11
; %bb.353:                              ;   in Loop: Header=BB132_181 Depth=1
	s_or_saveexec_b64 s[10:11], s[6:7]
	v_mov_b32_e32 v15, v16
	s_xor_b64 exec, exec, s[10:11]
; %bb.354:                              ;   in Loop: Header=BB132_181 Depth=1
	v_sub_f32_e32 v1, v12, v12
	v_cmp_lt_i32_e64 s[6:7], -1, v11
	v_cndmask_b32_e64 v15, 0, v11, s[6:7]
	v_cndmask_b32_e64 v16, 0, v1, s[6:7]
; %bb.355:                              ;   in Loop: Header=BB132_181 Depth=1
	s_or_b64 exec, exec, s[10:11]
.LBB132_356:                            ;   in Loop: Header=BB132_181 Depth=1
	s_or_b64 exec, exec, s[8:9]
                                        ; implicit-def: $vgpr12
                                        ; implicit-def: $vgpr28
.LBB132_357:                            ;   in Loop: Header=BB132_181 Depth=1
	s_andn2_saveexec_b64 s[26:27], s[26:27]
	s_cbranch_execz .LBB132_367
; %bb.358:                              ;   in Loop: Header=BB132_181 Depth=1
	v_cmp_nlt_f32_e64 s[28:29], |v12|, s43
                                        ; implicit-def: $vgpr11
                                        ; implicit-def: $vgpr15
	s_and_saveexec_b64 s[6:7], s[28:29]
	s_xor_b64 s[30:31], exec, s[6:7]
	s_cbranch_execz .LBB132_360
; %bb.359:                              ;   in Loop: Header=BB132_181 Depth=1
	v_and_b32_e32 v1, 0x7fffff, v28
	v_or_b32_e32 v11, 0x800000, v1
	v_mad_u64_u32 v[15:16], s[6:7], v11, s44, 0
	v_mov_b32_e32 v1, v16
	v_mad_u64_u32 v[29:30], s[6:7], v11, s45, v[1:2]
	v_mov_b32_e32 v1, v30
	;; [unrolled: 2-line block ×3, first 2 shown]
	v_mad_u64_u32 v[31:32], s[6:7], v11, s47, v[1:2]
	v_lshrrev_b32_e32 v1, 23, v28
	v_add_u32_e32 v16, 0xffffff88, v1
	v_mov_b32_e32 v1, v32
	v_mad_u64_u32 v[32:33], s[6:7], v11, s48, v[1:2]
	v_cmp_lt_u32_e64 s[6:7], 63, v16
	v_cndmask_b32_e64 v1, 0, v24, s[6:7]
	v_add_u32_e32 v16, v1, v16
	v_mov_b32_e32 v1, v33
	v_mad_u64_u32 v[33:34], s[8:9], v11, s49, v[1:2]
	v_cmp_lt_u32_e64 s[8:9], 31, v16
	v_cndmask_b32_e64 v1, 0, v25, s[8:9]
	;; [unrolled: 5-line block ×3, first 2 shown]
	v_add_u32_e32 v1, v1, v16
	v_cndmask_b32_e64 v11, v33, v31, s[6:7]
	v_cndmask_b32_e64 v16, v34, v32, s[6:7]
	;; [unrolled: 1-line block ×9, first 2 shown]
	v_sub_u32_e32 v34, 32, v1
	v_alignbit_b32 v35, v16, v33, v34
	v_cmp_eq_u32_e64 s[12:13], 0, v1
	v_cndmask_b32_e64 v1, v35, v16, s[12:13]
	v_cndmask_b32_e64 v16, v31, v29, s[6:7]
	;; [unrolled: 1-line block ×4, first 2 shown]
	v_alignbit_b32 v31, v33, v11, v34
	v_cndmask_b32_e64 v15, v30, v15, s[6:7]
	v_cndmask_b32_e64 v31, v31, v33, s[12:13]
	v_bfe_u32 v35, v1, 29, 1
	v_cndmask_b32_e64 v15, v16, v15, s[8:9]
	v_alignbit_b32 v32, v1, v31, 30
	v_sub_u32_e32 v36, 0, v35
	v_cndmask_b32_e64 v15, v29, v15, s[10:11]
	v_xor_b32_e32 v32, v32, v36
	v_alignbit_b32 v16, v11, v15, v34
	v_cndmask_b32_e64 v11, v16, v11, s[12:13]
	v_ffbh_u32_e32 v29, v32
	v_alignbit_b32 v16, v31, v11, 30
	v_min_u32_e32 v29, 32, v29
	v_alignbit_b32 v11, v11, v15, 30
	v_xor_b32_e32 v16, v16, v36
	v_sub_u32_e32 v30, 31, v29
	v_xor_b32_e32 v11, v11, v36
	v_alignbit_b32 v31, v32, v16, v30
	v_alignbit_b32 v11, v16, v11, v30
	;; [unrolled: 1-line block ×3, first 2 shown]
	v_ffbh_u32_e32 v16, v15
	v_min_u32_e32 v16, 32, v16
	v_lshrrev_b32_e32 v33, 29, v1
	v_not_b32_e32 v30, v16
	v_alignbit_b32 v11, v15, v11, v30
	v_lshlrev_b32_e32 v15, 31, v33
	v_or_b32_e32 v30, 0x33000000, v15
	v_add_lshl_u32 v16, v16, v29, 23
	v_lshrrev_b32_e32 v11, 9, v11
	v_sub_u32_e32 v16, v30, v16
	v_or_b32_e32 v15, 0.5, v15
	v_lshlrev_b32_e32 v29, 23, v29
	v_or_b32_e32 v11, v16, v11
	v_lshrrev_b32_e32 v16, 9, v31
	v_sub_u32_e32 v15, v15, v29
	v_or_b32_e32 v15, v16, v15
	v_mul_f32_e32 v16, 0x3fc90fda, v15
	v_fma_f32 v29, v15, s51, -v16
	v_fmac_f32_e32 v29, 0x33a22168, v15
	v_fmac_f32_e32 v29, 0x3fc90fda, v11
	v_lshrrev_b32_e32 v1, 30, v1
	v_add_f32_e32 v15, v16, v29
	v_add_u32_e32 v11, v35, v1
	s_andn2_saveexec_b64 s[6:7], s[30:31]
	s_branch .LBB132_361
.LBB132_360:                            ;   in Loop: Header=BB132_181 Depth=1
	s_andn2_saveexec_b64 s[6:7], s[30:31]
.LBB132_361:                            ;   in Loop: Header=BB132_181 Depth=1
	v_mul_f32_e64 v1, |v12|, s52
	v_rndne_f32_e32 v1, v1
	v_cvt_i32_f32_e32 v11, v1
	v_fma_f32 v15, v1, s53, |v12|
	v_fmac_f32_e32 v15, 0xb3a22168, v1
	v_fmac_f32_e32 v15, 0xa7c234c4, v1
; %bb.362:                              ;   in Loop: Header=BB132_181 Depth=1
	s_or_b64 exec, exec, s[6:7]
                                        ; implicit-def: $vgpr1
                                        ; implicit-def: $vgpr16
	s_and_saveexec_b64 s[6:7], s[28:29]
	s_xor_b64 s[28:29], exec, s[6:7]
	s_cbranch_execz .LBB132_364
; %bb.363:                              ;   in Loop: Header=BB132_181 Depth=1
	v_and_b32_e32 v1, 0x7fffff, v28
	v_or_b32_e32 v16, 0x800000, v1
	v_mad_u64_u32 v[29:30], s[6:7], v16, s44, 0
	v_mov_b32_e32 v1, v30
	v_mad_u64_u32 v[30:31], s[6:7], v16, s45, v[1:2]
	v_mov_b32_e32 v1, v31
	;; [unrolled: 2-line block ×3, first 2 shown]
	v_mad_u64_u32 v[32:33], s[6:7], v16, s47, v[1:2]
	v_lshrrev_b32_e32 v1, 23, v28
	v_add_u32_e32 v35, 0xffffff88, v1
	v_mov_b32_e32 v1, v33
	v_mad_u64_u32 v[33:34], s[6:7], v16, s48, v[1:2]
	v_cmp_lt_u32_e64 s[6:7], 63, v35
	v_cndmask_b32_e64 v1, 0, v24, s[6:7]
	v_add_u32_e32 v36, v1, v35
	v_mov_b32_e32 v1, v34
	v_mad_u64_u32 v[34:35], s[8:9], v16, s49, v[1:2]
	v_cmp_lt_u32_e64 s[8:9], 31, v36
	v_cndmask_b32_e64 v1, 0, v25, s[8:9]
	;; [unrolled: 5-line block ×3, first 2 shown]
	v_cndmask_b32_e64 v16, v34, v32, s[6:7]
	v_cndmask_b32_e64 v35, v35, v33, s[6:7]
	;; [unrolled: 1-line block ×4, first 2 shown]
	v_add_u32_e32 v1, v1, v37
	v_cndmask_b32_e64 v36, v35, v16, s[8:9]
	v_cndmask_b32_e64 v34, v34, v35, s[8:9]
	v_cndmask_b32_e64 v16, v16, v33, s[8:9]
	v_cndmask_b32_e64 v30, v32, v30, s[6:7]
	v_cndmask_b32_e64 v34, v34, v36, s[10:11]
	v_cndmask_b32_e64 v35, v36, v16, s[10:11]
	v_sub_u32_e32 v36, 32, v1
	v_cndmask_b32_e64 v32, v33, v30, s[8:9]
	v_alignbit_b32 v37, v34, v35, v36
	v_cmp_eq_u32_e64 s[12:13], 0, v1
	v_cndmask_b32_e64 v16, v16, v32, s[10:11]
	v_cndmask_b32_e64 v1, v37, v34, s[12:13]
	v_alignbit_b32 v33, v35, v16, v36
	v_cndmask_b32_e64 v29, v31, v29, s[6:7]
	v_cndmask_b32_e64 v33, v33, v35, s[12:13]
	v_bfe_u32 v37, v1, 29, 1
	v_cndmask_b32_e64 v29, v30, v29, s[8:9]
	v_alignbit_b32 v34, v1, v33, 30
	v_sub_u32_e32 v38, 0, v37
	v_cndmask_b32_e64 v29, v32, v29, s[10:11]
	v_xor_b32_e32 v34, v34, v38
	v_alignbit_b32 v30, v16, v29, v36
	v_cndmask_b32_e64 v16, v30, v16, s[12:13]
	v_ffbh_u32_e32 v31, v34
	v_alignbit_b32 v30, v33, v16, 30
	v_min_u32_e32 v31, 32, v31
	v_alignbit_b32 v16, v16, v29, 30
	v_xor_b32_e32 v30, v30, v38
	v_sub_u32_e32 v32, 31, v31
	v_xor_b32_e32 v16, v16, v38
	v_alignbit_b32 v33, v34, v30, v32
	v_alignbit_b32 v16, v30, v16, v32
	v_alignbit_b32 v29, v33, v16, 9
	v_ffbh_u32_e32 v30, v29
	v_min_u32_e32 v30, 32, v30
	v_lshrrev_b32_e32 v35, 29, v1
	v_not_b32_e32 v32, v30
	v_alignbit_b32 v16, v29, v16, v32
	v_lshlrev_b32_e32 v29, 31, v35
	v_or_b32_e32 v32, 0x33000000, v29
	v_add_lshl_u32 v30, v30, v31, 23
	v_lshrrev_b32_e32 v16, 9, v16
	v_sub_u32_e32 v30, v32, v30
	v_or_b32_e32 v29, 0.5, v29
	v_lshlrev_b32_e32 v31, 23, v31
	v_or_b32_e32 v16, v30, v16
	v_lshrrev_b32_e32 v30, 9, v33
	v_sub_u32_e32 v29, v29, v31
	v_or_b32_e32 v29, v30, v29
	v_mul_f32_e32 v30, 0x3fc90fda, v29
	v_fma_f32 v31, v29, s51, -v30
	v_fmac_f32_e32 v31, 0x33a22168, v29
	v_fmac_f32_e32 v31, 0x3fc90fda, v16
	v_lshrrev_b32_e32 v1, 30, v1
	v_add_f32_e32 v16, v30, v31
	v_add_u32_e32 v1, v37, v1
	s_andn2_saveexec_b64 s[6:7], s[28:29]
	s_cbranch_execnz .LBB132_365
	s_branch .LBB132_366
.LBB132_364:                            ;   in Loop: Header=BB132_181 Depth=1
	s_andn2_saveexec_b64 s[6:7], s[28:29]
.LBB132_365:                            ;   in Loop: Header=BB132_181 Depth=1
	v_mul_f32_e64 v1, |v12|, s52
	v_rndne_f32_e32 v29, v1
	v_cvt_i32_f32_e32 v1, v29
	v_fma_f32 v16, v29, s53, |v12|
	v_fmac_f32_e32 v16, 0xb3a22168, v29
	v_fmac_f32_e32 v16, 0xa7c234c4, v29
.LBB132_366:                            ;   in Loop: Header=BB132_181 Depth=1
	s_or_b64 exec, exec, s[6:7]
	v_mul_f32_e32 v29, v15, v15
	v_mov_b32_e32 v30, 0x3c0881c4
	v_fmac_f32_e32 v30, 0xb94c1982, v29
	v_fma_f32 v30, v29, v30, v21
	v_mul_f32_e32 v30, v29, v30
	v_fmac_f32_e32 v15, v15, v30
	v_mov_b32_e32 v30, 0xbab64f3b
	v_fmac_f32_e32 v30, 0x37d75334, v29
	v_fma_f32 v30, v29, v30, v22
	v_fma_f32 v30, v29, v30, v23
	v_fma_f32 v29, v29, v30, 1.0
	v_and_b32_e32 v30, 1, v11
	v_cmp_eq_u32_e64 s[6:7], 0, v30
	v_lshlrev_b32_e32 v11, 30, v11
	v_cndmask_b32_e64 v15, -v15, v29, s[6:7]
	v_and_b32_e32 v11, 0x80000000, v11
	v_xor_b32_e32 v11, v11, v15
	v_cmp_class_f32_e64 s[6:7], v12, s58
	v_cndmask_b32_e64 v15, v27, v11, s[6:7]
	v_mul_f32_e32 v11, v16, v16
	v_mov_b32_e32 v29, 0x3c0881c4
	v_fmac_f32_e32 v29, 0xb94c1982, v11
	v_fma_f32 v29, v11, v29, v21
	v_mul_f32_e32 v29, v11, v29
	v_fmac_f32_e32 v16, v16, v29
	v_mov_b32_e32 v29, 0xbab64f3b
	v_fmac_f32_e32 v29, 0x37d75334, v11
	v_fma_f32 v29, v11, v29, v22
	v_fma_f32 v29, v11, v29, v23
	v_fma_f32 v11, v11, v29, 1.0
	v_and_b32_e32 v29, 1, v1
	v_cmp_eq_u32_e64 s[8:9], 0, v29
	v_lshlrev_b32_e32 v1, 30, v1
	v_cndmask_b32_e64 v11, v11, v16, s[8:9]
	v_and_or_b32 v1, v1, s57, v28
	v_xor_b32_e32 v1, v1, v11
	v_xor_b32_e32 v1, v1, v12
	v_cndmask_b32_e64 v16, v27, v1, s[6:7]
.LBB132_367:                            ;   in Loop: Header=BB132_181 Depth=1
	s_or_b64 exec, exec, s[26:27]
                                        ; implicit-def: $vgpr11
	s_andn2_saveexec_b64 s[8:9], s[24:25]
	s_cbranch_execnz .LBB132_328
.LBB132_368:                            ;   in Loop: Header=BB132_181 Depth=1
	s_or_b64 exec, exec, s[8:9]
	s_and_saveexec_b64 s[6:7], vcc
	s_xor_b64 s[6:7], exec, s[6:7]
	s_cbranch_execz .LBB132_329
.LBB132_369:                            ;   in Loop: Header=BB132_181 Depth=1
	v_lshlrev_b64 v[3:4], 3, v[3:4]
	v_mov_b32_e32 v1, s17
	v_add_co_u32_e32 v3, vcc, s16, v3
	v_addc_co_u32_e32 v4, vcc, v1, v4, vcc
	global_store_dwordx2 v[3:4], v[13:14], off
	s_or_b64 exec, exec, s[6:7]
	s_and_saveexec_b64 s[6:7], s[0:1]
	s_cbranch_execnz .LBB132_330
.LBB132_370:                            ;   in Loop: Header=BB132_181 Depth=1
	s_or_b64 exec, exec, s[6:7]
	s_and_saveexec_b64 s[0:1], s[2:3]
	s_cbranch_execz .LBB132_331
.LBB132_371:                            ;   in Loop: Header=BB132_181 Depth=1
	v_lshlrev_b64 v[3:4], 3, v[7:8]
	v_mov_b32_e32 v1, s17
	v_add_co_u32_e32 v3, vcc, s16, v3
	v_addc_co_u32_e32 v4, vcc, v1, v4, vcc
	global_store_dwordx2 v[3:4], v[19:20], off
	s_or_b64 exec, exec, s[0:1]
	s_and_saveexec_b64 s[0:1], s[4:5]
	s_cbranch_execz .LBB132_180
.LBB132_372:                            ;   in Loop: Header=BB132_181 Depth=1
	v_lshlrev_b64 v[3:4], 3, v[9:10]
	v_mov_b32_e32 v1, s17
	v_add_co_u32_e32 v3, vcc, s16, v3
	v_addc_co_u32_e32 v4, vcc, v1, v4, vcc
	global_store_dwordx2 v[3:4], v[15:16], off
	s_branch .LBB132_180
.LBB132_373:
	s_endpgm
	.section	.rodata,"a",@progbits
	.p2align	6, 0x0
	.amdhsa_kernel _ZN2at6native12_GLOBAL__N_125multi_tensor_apply_kernelINS1_18TensorListMetadataILi2EEENS1_14UnaryOpFunctorIN3c107complexIfEELi2ELi1ELi1EEEJNS0_3ExpIS8_EEEEEvT_T0_DpT1_
		.amdhsa_group_segment_fixed_size 0
		.amdhsa_private_segment_fixed_size 0
		.amdhsa_kernarg_size 3408
		.amdhsa_user_sgpr_count 6
		.amdhsa_user_sgpr_private_segment_buffer 1
		.amdhsa_user_sgpr_dispatch_ptr 0
		.amdhsa_user_sgpr_queue_ptr 0
		.amdhsa_user_sgpr_kernarg_segment_ptr 1
		.amdhsa_user_sgpr_dispatch_id 0
		.amdhsa_user_sgpr_flat_scratch_init 0
		.amdhsa_user_sgpr_private_segment_size 0
		.amdhsa_uses_dynamic_stack 0
		.amdhsa_system_sgpr_private_segment_wavefront_offset 0
		.amdhsa_system_sgpr_workgroup_id_x 1
		.amdhsa_system_sgpr_workgroup_id_y 0
		.amdhsa_system_sgpr_workgroup_id_z 0
		.amdhsa_system_sgpr_workgroup_info 0
		.amdhsa_system_vgpr_workitem_id 0
		.amdhsa_next_free_vgpr 40
		.amdhsa_next_free_sgpr 59
		.amdhsa_reserve_vcc 1
		.amdhsa_reserve_flat_scratch 0
		.amdhsa_float_round_mode_32 0
		.amdhsa_float_round_mode_16_64 0
		.amdhsa_float_denorm_mode_32 3
		.amdhsa_float_denorm_mode_16_64 3
		.amdhsa_dx10_clamp 1
		.amdhsa_ieee_mode 1
		.amdhsa_fp16_overflow 0
		.amdhsa_exception_fp_ieee_invalid_op 0
		.amdhsa_exception_fp_denorm_src 0
		.amdhsa_exception_fp_ieee_div_zero 0
		.amdhsa_exception_fp_ieee_overflow 0
		.amdhsa_exception_fp_ieee_underflow 0
		.amdhsa_exception_fp_ieee_inexact 0
		.amdhsa_exception_int_div_zero 0
	.end_amdhsa_kernel
	.section	.text._ZN2at6native12_GLOBAL__N_125multi_tensor_apply_kernelINS1_18TensorListMetadataILi2EEENS1_14UnaryOpFunctorIN3c107complexIfEELi2ELi1ELi1EEEJNS0_3ExpIS8_EEEEEvT_T0_DpT1_,"axG",@progbits,_ZN2at6native12_GLOBAL__N_125multi_tensor_apply_kernelINS1_18TensorListMetadataILi2EEENS1_14UnaryOpFunctorIN3c107complexIfEELi2ELi1ELi1EEEJNS0_3ExpIS8_EEEEEvT_T0_DpT1_,comdat
.Lfunc_end132:
	.size	_ZN2at6native12_GLOBAL__N_125multi_tensor_apply_kernelINS1_18TensorListMetadataILi2EEENS1_14UnaryOpFunctorIN3c107complexIfEELi2ELi1ELi1EEEJNS0_3ExpIS8_EEEEEvT_T0_DpT1_, .Lfunc_end132-_ZN2at6native12_GLOBAL__N_125multi_tensor_apply_kernelINS1_18TensorListMetadataILi2EEENS1_14UnaryOpFunctorIN3c107complexIfEELi2ELi1ELi1EEEJNS0_3ExpIS8_EEEEEvT_T0_DpT1_
                                        ; -- End function
	.set _ZN2at6native12_GLOBAL__N_125multi_tensor_apply_kernelINS1_18TensorListMetadataILi2EEENS1_14UnaryOpFunctorIN3c107complexIfEELi2ELi1ELi1EEEJNS0_3ExpIS8_EEEEEvT_T0_DpT1_.num_vgpr, 40
	.set _ZN2at6native12_GLOBAL__N_125multi_tensor_apply_kernelINS1_18TensorListMetadataILi2EEENS1_14UnaryOpFunctorIN3c107complexIfEELi2ELi1ELi1EEEJNS0_3ExpIS8_EEEEEvT_T0_DpT1_.num_agpr, 0
	.set _ZN2at6native12_GLOBAL__N_125multi_tensor_apply_kernelINS1_18TensorListMetadataILi2EEENS1_14UnaryOpFunctorIN3c107complexIfEELi2ELi1ELi1EEEJNS0_3ExpIS8_EEEEEvT_T0_DpT1_.numbered_sgpr, 59
	.set _ZN2at6native12_GLOBAL__N_125multi_tensor_apply_kernelINS1_18TensorListMetadataILi2EEENS1_14UnaryOpFunctorIN3c107complexIfEELi2ELi1ELi1EEEJNS0_3ExpIS8_EEEEEvT_T0_DpT1_.num_named_barrier, 0
	.set _ZN2at6native12_GLOBAL__N_125multi_tensor_apply_kernelINS1_18TensorListMetadataILi2EEENS1_14UnaryOpFunctorIN3c107complexIfEELi2ELi1ELi1EEEJNS0_3ExpIS8_EEEEEvT_T0_DpT1_.private_seg_size, 0
	.set _ZN2at6native12_GLOBAL__N_125multi_tensor_apply_kernelINS1_18TensorListMetadataILi2EEENS1_14UnaryOpFunctorIN3c107complexIfEELi2ELi1ELi1EEEJNS0_3ExpIS8_EEEEEvT_T0_DpT1_.uses_vcc, 1
	.set _ZN2at6native12_GLOBAL__N_125multi_tensor_apply_kernelINS1_18TensorListMetadataILi2EEENS1_14UnaryOpFunctorIN3c107complexIfEELi2ELi1ELi1EEEJNS0_3ExpIS8_EEEEEvT_T0_DpT1_.uses_flat_scratch, 0
	.set _ZN2at6native12_GLOBAL__N_125multi_tensor_apply_kernelINS1_18TensorListMetadataILi2EEENS1_14UnaryOpFunctorIN3c107complexIfEELi2ELi1ELi1EEEJNS0_3ExpIS8_EEEEEvT_T0_DpT1_.has_dyn_sized_stack, 0
	.set _ZN2at6native12_GLOBAL__N_125multi_tensor_apply_kernelINS1_18TensorListMetadataILi2EEENS1_14UnaryOpFunctorIN3c107complexIfEELi2ELi1ELi1EEEJNS0_3ExpIS8_EEEEEvT_T0_DpT1_.has_recursion, 0
	.set _ZN2at6native12_GLOBAL__N_125multi_tensor_apply_kernelINS1_18TensorListMetadataILi2EEENS1_14UnaryOpFunctorIN3c107complexIfEELi2ELi1ELi1EEEJNS0_3ExpIS8_EEEEEvT_T0_DpT1_.has_indirect_call, 0
	.section	.AMDGPU.csdata,"",@progbits
; Kernel info:
; codeLenInByte = 40792
; TotalNumSgprs: 63
; NumVgprs: 40
; ScratchSize: 0
; MemoryBound: 1
; FloatMode: 240
; IeeeMode: 1
; LDSByteSize: 0 bytes/workgroup (compile time only)
; SGPRBlocks: 7
; VGPRBlocks: 9
; NumSGPRsForWavesPerEU: 63
; NumVGPRsForWavesPerEU: 40
; Occupancy: 6
; WaveLimiterHint : 0
; COMPUTE_PGM_RSRC2:SCRATCH_EN: 0
; COMPUTE_PGM_RSRC2:USER_SGPR: 6
; COMPUTE_PGM_RSRC2:TRAP_HANDLER: 0
; COMPUTE_PGM_RSRC2:TGID_X_EN: 1
; COMPUTE_PGM_RSRC2:TGID_Y_EN: 0
; COMPUTE_PGM_RSRC2:TGID_Z_EN: 0
; COMPUTE_PGM_RSRC2:TIDIG_COMP_CNT: 0
	.section	.text._ZN2at6native12_GLOBAL__N_125multi_tensor_apply_kernelINS1_18TensorListMetadataILi2EEENS1_14UnaryOpFunctorIN3c104HalfELi2ELi1ELi1EEEJNS0_3ExpIfEEEEEvT_T0_DpT1_,"axG",@progbits,_ZN2at6native12_GLOBAL__N_125multi_tensor_apply_kernelINS1_18TensorListMetadataILi2EEENS1_14UnaryOpFunctorIN3c104HalfELi2ELi1ELi1EEEJNS0_3ExpIfEEEEEvT_T0_DpT1_,comdat
	.globl	_ZN2at6native12_GLOBAL__N_125multi_tensor_apply_kernelINS1_18TensorListMetadataILi2EEENS1_14UnaryOpFunctorIN3c104HalfELi2ELi1ELi1EEEJNS0_3ExpIfEEEEEvT_T0_DpT1_ ; -- Begin function _ZN2at6native12_GLOBAL__N_125multi_tensor_apply_kernelINS1_18TensorListMetadataILi2EEENS1_14UnaryOpFunctorIN3c104HalfELi2ELi1ELi1EEEJNS0_3ExpIfEEEEEvT_T0_DpT1_
	.p2align	8
	.type	_ZN2at6native12_GLOBAL__N_125multi_tensor_apply_kernelINS1_18TensorListMetadataILi2EEENS1_14UnaryOpFunctorIN3c104HalfELi2ELi1ELi1EEEJNS0_3ExpIfEEEEEvT_T0_DpT1_,@function
_ZN2at6native12_GLOBAL__N_125multi_tensor_apply_kernelINS1_18TensorListMetadataILi2EEENS1_14UnaryOpFunctorIN3c104HalfELi2ELi1ELi1EEEJNS0_3ExpIfEEEEEvT_T0_DpT1_: ; @_ZN2at6native12_GLOBAL__N_125multi_tensor_apply_kernelINS1_18TensorListMetadataILi2EEENS1_14UnaryOpFunctorIN3c104HalfELi2ELi1ELi1EEEJNS0_3ExpIfEEEEEvT_T0_DpT1_
; %bb.0:
	v_mov_b32_e32 v1, s6
	global_load_ubyte v1, v1, s[4:5] offset:1536
	s_add_u32 s0, s4, s6
	s_mul_hi_u32 s2, s6, 3
	s_mul_i32 s6, s6, 3
	s_addc_u32 s7, s5, 0
	s_add_u32 s6, s0, s6
	s_addc_u32 s7, s7, s2
	s_load_dword s6, s[6:7], 0x740
	s_mov_b32 s1, 0
	s_mov_b32 s3, s1
	s_waitcnt lgkmcnt(0)
	s_ashr_i32 s7, s6, 31
	s_lshl_b64 s[8:9], s[6:7], 17
	s_lshl_b64 s[6:7], s[6:7], 16
	s_waitcnt vmcnt(0)
	v_readfirstlane_b32 s0, v1
	s_lshl_b32 s0, s0, 3
	s_load_dwordx2 s[10:11], s[4:5], s0 offset:0x400
	s_load_dwordx2 s[16:17], s[4:5], s0 offset:0x0
	;; [unrolled: 1-line block ×3, first 2 shown]
	s_waitcnt lgkmcnt(0)
	s_add_u32 s0, s16, s8
	s_and_b32 s2, s14, 7
	s_and_b32 s0, s0, 7
	s_sub_u32 s12, s10, s6
	s_subb_u32 s13, s11, s7
	s_and_b32 s6, s10, 3
	s_mov_b32 s7, s1
	s_or_b64 s[2:3], s[2:3], s[6:7]
	s_or_b64 s[0:1], s[2:3], s[0:1]
	s_cmp_eq_u64 s[0:1], 0
	s_mov_b64 s[0:1], -1
	s_cbranch_scc0 .LBB133_5
; %bb.1:
	v_mov_b32_e32 v1, 0x10000
	v_mov_b32_e32 v2, 0
	v_cmp_lt_i64_e32 vcc, s[12:13], v[1:2]
	v_mov_b32_e32 v2, 0
	s_and_b64 s[0:1], vcc, exec
	s_cselect_b32 s11, s13, 0
	s_cselect_b32 s10, s12, 0x10000
	v_lshlrev_b32_e32 v1, 2, v0
	v_cmp_gt_i64_e32 vcc, s[10:11], v[1:2]
	s_and_saveexec_b64 s[18:19], vcc
	s_cbranch_execz .LBB133_4
; %bb.2:
	s_load_dword s0, s[4:5], 0xc5c
	v_mov_b32_e32 v1, v2
	v_lshlrev_b32_e32 v2, 3, v0
	v_mov_b32_e32 v4, s9
	v_add_co_u32_e32 v3, vcc, s8, v2
	s_waitcnt lgkmcnt(0)
	s_and_b32 s22, s0, 0xffff
	v_mov_b32_e32 v2, v1
	v_addc_co_u32_e32 v4, vcc, 0, v4, vcc
	s_lshl_b32 s23, s22, 3
	s_mov_b64 s[20:21], 0
	v_mov_b32_e32 v5, s17
	s_mov_b32 s24, 0x3fb8aa3b
	s_mov_b32 s25, 0x32a5705f
	;; [unrolled: 1-line block ×4, first 2 shown]
	v_mov_b32_e32 v6, 0x7f800000
	v_mov_b32_e32 v7, s15
	;; [unrolled: 1-line block ×3, first 2 shown]
.LBB133_3:                              ; =>This Inner Loop Header: Depth=1
	v_add_co_u32_e32 v8, vcc, s16, v3
	v_addc_co_u32_e32 v9, vcc, v5, v4, vcc
	global_load_dwordx2 v[8:9], v[8:9], off
	v_add_co_u32_e32 v10, vcc, s14, v3
	v_addc_co_u32_e32 v11, vcc, v7, v4, vcc
	v_add_co_u32_e32 v1, vcc, s22, v1
	v_addc_co_u32_e32 v2, vcc, 0, v2, vcc
	;; [unrolled: 2-line block ×3, first 2 shown]
	v_lshlrev_b64 v[12:13], 2, v[1:2]
	s_waitcnt vmcnt(0)
	v_cvt_f32_f16_e32 v14, v8
	v_cvt_f32_f16_sdwa v15, v8 dst_sel:DWORD dst_unused:UNUSED_PAD src0_sel:WORD_1
	v_cvt_f32_f16_e32 v16, v9
	v_cvt_f32_f16_sdwa v17, v9 dst_sel:DWORD dst_unused:UNUSED_PAD src0_sel:WORD_1
	v_mul_f32_e32 v18, 0x3fb8aa3b, v14
	v_mul_f32_e32 v19, 0x3fb8aa3b, v15
	;; [unrolled: 1-line block ×4, first 2 shown]
	v_fma_mix_f32 v22, v8, s24, -v18 op_sel_hi:[1,0,0]
	v_fma_mix_f32 v23, v8, s24, -v19 op_sel:[1,0,0] op_sel_hi:[1,0,0]
	v_fma_mix_f32 v24, v9, s24, -v20 op_sel_hi:[1,0,0]
	v_fma_mix_f32 v25, v9, s24, -v21 op_sel:[1,0,0] op_sel_hi:[1,0,0]
	v_rndne_f32_e32 v26, v18
	v_rndne_f32_e32 v27, v19
	;; [unrolled: 1-line block ×3, first 2 shown]
	v_fma_mix_f32 v22, v8, s25, v22 op_sel_hi:[1,0,0]
	v_fma_mix_f32 v8, v8, s25, v23 op_sel:[1,0,0] op_sel_hi:[1,0,0]
	v_fma_mix_f32 v23, v9, s25, v24 op_sel_hi:[1,0,0]
	v_rndne_f32_e32 v24, v21
	v_fma_mix_f32 v9, v9, s25, v25 op_sel:[1,0,0] op_sel_hi:[1,0,0]
	v_sub_f32_e32 v18, v18, v26
	v_sub_f32_e32 v19, v19, v27
	;; [unrolled: 1-line block ×4, first 2 shown]
	v_add_f32_e32 v18, v18, v22
	v_add_f32_e32 v8, v19, v8
	;; [unrolled: 1-line block ×4, first 2 shown]
	v_cvt_i32_f32_e32 v25, v26
	v_cvt_i32_f32_e32 v26, v27
	v_cvt_i32_f32_e32 v27, v28
	v_cvt_i32_f32_e32 v24, v24
	v_exp_f32_e32 v18, v18
	v_exp_f32_e32 v8, v8
	;; [unrolled: 1-line block ×4, first 2 shown]
	v_ldexp_f32 v18, v18, v25
	v_ldexp_f32 v8, v8, v26
	;; [unrolled: 1-line block ×3, first 2 shown]
	v_cmp_ngt_f32_e32 vcc, s26, v15
	v_cmp_ngt_f32_e64 s[0:1], s26, v16
	v_ldexp_f32 v9, v9, v24
	v_cmp_ngt_f32_e64 s[2:3], s26, v17
	v_cmp_ngt_f32_e64 s[6:7], s26, v14
	v_cndmask_b32_e64 v18, 0, v18, s[6:7]
	v_cndmask_b32_e32 v8, 0, v8, vcc
	v_cmp_nlt_f32_e32 vcc, s27, v15
	v_cndmask_b32_e64 v15, 0, v19, s[0:1]
	v_cmp_nlt_f32_e64 s[0:1], s27, v16
	v_cndmask_b32_e64 v9, 0, v9, s[2:3]
	v_cmp_nlt_f32_e64 s[2:3], s27, v17
	v_cmp_nlt_f32_e64 s[6:7], s27, v14
	v_cndmask_b32_e64 v14, v6, v18, s[6:7]
	v_cndmask_b32_e32 v8, v6, v8, vcc
	v_cndmask_b32_e64 v15, v6, v15, s[0:1]
	v_cndmask_b32_e64 v9, v6, v9, s[2:3]
	v_cvt_f16_f32_e32 v14, v14
	v_cvt_f16_f32_e32 v8, v8
	;; [unrolled: 1-line block ×4, first 2 shown]
	v_cmp_le_i64_e32 vcc, s[10:11], v[12:13]
	v_pack_b32_f16 v8, v14, v8
	s_or_b64 s[20:21], vcc, s[20:21]
	v_pack_b32_f16 v9, v15, v9
	global_store_dwordx2 v[10:11], v[8:9], off
	s_andn2_b64 exec, exec, s[20:21]
	s_cbranch_execnz .LBB133_3
.LBB133_4:
	s_or_b64 exec, exec, s[18:19]
	s_mov_b64 s[0:1], 0
.LBB133_5:
	s_andn2_b64 vcc, exec, s[0:1]
	s_cbranch_vccnz .LBB133_25
; %bb.6:
	v_cmp_lt_i64_e64 s[0:1], s[12:13], 1
	s_and_b64 vcc, exec, s[0:1]
	s_cbranch_vccnz .LBB133_25
; %bb.7:
	v_mov_b32_e32 v1, 0x10000
	s_load_dword s2, s[4:5], 0xc5c
	v_mov_b32_e32 v2, 0
	v_cmp_lt_i64_e32 vcc, s[12:13], v[1:2]
	v_mov_b32_e32 v10, 0
	s_and_b64 s[0:1], vcc, exec
	v_cmp_lt_u64_e32 vcc, s[12:13], v[1:2]
	s_cselect_b32 s11, s13, 0
	s_cselect_b32 s10, s12, 0x10000
	s_waitcnt lgkmcnt(0)
	s_and_b32 s2, s2, 0xffff
	v_lshlrev_b32_e32 v9, 1, v0
	s_and_b64 s[0:1], vcc, exec
	v_mov_b32_e32 v2, s17
	v_add_co_u32_e32 v1, vcc, s16, v9
	v_mad_u64_u32 v[7:8], s[0:1], s2, 6, v[9:10]
	v_addc_co_u32_e32 v2, vcc, 0, v2, vcc
	v_mov_b32_e32 v4, s15
	v_add_co_u32_e32 v3, vcc, s14, v9
	v_addc_co_u32_e32 v4, vcc, 0, v4, vcc
	v_mov_b32_e32 v6, s17
	v_add_co_u32_e32 v5, vcc, s16, v7
	;; [unrolled: 3-line block ×3, first 2 shown]
	s_cselect_b32 s13, s13, 0
	s_cselect_b32 s12, s12, 0x10000
	s_lshl_b32 s18, s2, 2
	v_addc_co_u32_e32 v8, vcc, v10, v8, vcc
	v_add_co_u32_e32 v11, vcc, s18, v9
	v_addc_co_u32_e64 v12, s[0:1], 0, 0, vcc
	v_mov_b32_e32 v10, s17
	v_add_co_u32_e32 v9, vcc, s16, v11
	v_addc_co_u32_e32 v10, vcc, v10, v12, vcc
	v_mov_b32_e32 v13, s15
	v_add_co_u32_e32 v11, vcc, s14, v11
	v_addc_co_u32_e32 v12, vcc, v13, v12, vcc
	v_add_co_u32_e32 v13, vcc, s2, v0
	v_lshlrev_b32_e32 v17, 1, v13
	v_addc_co_u32_e64 v14, s[0:1], 0, 0, vcc
	v_mov_b32_e32 v16, s17
	v_add_co_u32_e32 v15, vcc, s16, v17
	v_addc_co_u32_e32 v16, vcc, 0, v16, vcc
	v_mov_b32_e32 v18, s15
	v_add_co_u32_e32 v17, vcc, s14, v17
	s_mul_i32 s4, s2, 3
	v_addc_co_u32_e32 v18, vcc, 0, v18, vcc
	s_lshl_b32 s3, s2, 1
	v_add_co_u32_e32 v19, vcc, s4, v0
	v_addc_co_u32_e64 v20, s[0:1], 0, 0, vcc
	v_add_co_u32_e32 v21, vcc, s3, v0
	s_lshl_b32 s19, s2, 3
	s_mov_b64 s[14:15], 0
	s_mov_b32 s20, 0x3fb8aa3b
	s_mov_b32 s21, 0x32a5705f
	;; [unrolled: 1-line block ×4, first 2 shown]
	v_addc_co_u32_e64 v22, s[0:1], 0, 0, vcc
	v_mov_b32_e32 v23, 0x7f800000
	s_branch .LBB133_9
.LBB133_8:                              ;   in Loop: Header=BB133_9 Depth=1
	s_or_b64 exec, exec, s[0:1]
	v_add_co_u32_e32 v1, vcc, s19, v1
	v_addc_co_u32_e32 v2, vcc, 0, v2, vcc
	v_add_co_u32_e32 v3, vcc, s19, v3
	v_addc_co_u32_e32 v4, vcc, 0, v4, vcc
	;; [unrolled: 2-line block ×6, first 2 shown]
	s_add_u32 s14, s14, s18
	v_add_co_u32_e32 v15, vcc, s19, v15
	v_mov_b32_e32 v25, s11
	s_addc_u32 s15, s15, 0
	v_addc_co_u32_e32 v16, vcc, 0, v16, vcc
	v_mov_b32_e32 v24, s10
	v_cmp_ge_i64_e32 vcc, s[14:15], v[24:25]
	v_add_co_u32_e64 v17, s[0:1], s19, v17
	v_addc_co_u32_e64 v18, s[0:1], 0, v18, s[0:1]
	s_cbranch_vccnz .LBB133_25
.LBB133_9:                              ; =>This Inner Loop Header: Depth=1
	v_mov_b32_e32 v25, s15
	v_add_co_u32_e32 v24, vcc, s14, v0
	v_addc_co_u32_e32 v25, vcc, 0, v25, vcc
	v_cmp_gt_u64_e32 vcc, s[12:13], v[24:25]
	v_mov_b32_e32 v24, 0x3c00
	v_mov_b32_e32 v25, 0x3c00
	s_and_saveexec_b64 s[2:3], vcc
	s_cbranch_execz .LBB133_11
; %bb.10:                               ;   in Loop: Header=BB133_9 Depth=1
	v_mov_b32_e32 v26, s9
	v_add_co_u32_e64 v25, s[0:1], s8, v1
	v_addc_co_u32_e64 v26, s[0:1], v2, v26, s[0:1]
	global_load_ushort v25, v[25:26], off
	s_waitcnt vmcnt(0)
	v_cvt_f32_f16_e32 v26, v25
	v_mul_f32_e32 v27, 0x3fb8aa3b, v26
	v_fma_mix_f32 v28, v25, s20, -v27 op_sel_hi:[1,0,0]
	v_rndne_f32_e32 v29, v27
	v_fma_mix_f32 v25, v25, s21, v28 op_sel_hi:[1,0,0]
	v_sub_f32_e32 v27, v27, v29
	v_add_f32_e32 v25, v27, v25
	v_cvt_i32_f32_e32 v28, v29
	v_exp_f32_e32 v25, v25
	v_cmp_ngt_f32_e64 s[0:1], s22, v26
	v_ldexp_f32 v25, v25, v28
	v_cndmask_b32_e64 v25, 0, v25, s[0:1]
	v_cmp_nlt_f32_e64 s[0:1], s23, v26
	v_cndmask_b32_e64 v25, v23, v25, s[0:1]
	v_cvt_f16_f32_e32 v25, v25
.LBB133_11:                             ;   in Loop: Header=BB133_9 Depth=1
	s_or_b64 exec, exec, s[2:3]
	v_mov_b32_e32 v27, s15
	v_add_co_u32_e64 v26, s[0:1], s14, v13
	v_addc_co_u32_e64 v27, s[0:1], v14, v27, s[0:1]
	v_cmp_gt_u64_e64 s[0:1], s[12:13], v[26:27]
	s_and_saveexec_b64 s[4:5], s[0:1]
	s_cbranch_execz .LBB133_13
; %bb.12:                               ;   in Loop: Header=BB133_9 Depth=1
	v_mov_b32_e32 v24, s9
	v_add_co_u32_e64 v26, s[2:3], s8, v15
	v_addc_co_u32_e64 v27, s[2:3], v16, v24, s[2:3]
	global_load_ushort v24, v[26:27], off
	s_waitcnt vmcnt(0)
	v_cvt_f32_f16_e32 v26, v24
	v_mul_f32_e32 v27, 0x3fb8aa3b, v26
	v_fma_mix_f32 v28, v24, s20, -v27 op_sel_hi:[1,0,0]
	v_rndne_f32_e32 v29, v27
	v_fma_mix_f32 v24, v24, s21, v28 op_sel_hi:[1,0,0]
	v_sub_f32_e32 v27, v27, v29
	v_add_f32_e32 v24, v27, v24
	v_cvt_i32_f32_e32 v28, v29
	v_exp_f32_e32 v24, v24
	v_cmp_ngt_f32_e64 s[2:3], s22, v26
	v_ldexp_f32 v24, v24, v28
	v_cndmask_b32_e64 v24, 0, v24, s[2:3]
	v_cmp_nlt_f32_e64 s[2:3], s23, v26
	v_cndmask_b32_e64 v24, v23, v24, s[2:3]
	v_cvt_f16_f32_e32 v24, v24
.LBB133_13:                             ;   in Loop: Header=BB133_9 Depth=1
	s_or_b64 exec, exec, s[4:5]
	v_mov_b32_e32 v27, s15
	v_add_co_u32_e64 v26, s[2:3], s14, v21
	v_addc_co_u32_e64 v27, s[2:3], v22, v27, s[2:3]
	v_cmp_gt_u64_e64 s[2:3], s[12:13], v[26:27]
	v_mov_b32_e32 v26, 0x3c00
	v_mov_b32_e32 v27, 0x3c00
	s_and_saveexec_b64 s[6:7], s[2:3]
	s_cbranch_execz .LBB133_15
; %bb.14:                               ;   in Loop: Header=BB133_9 Depth=1
	v_add_co_u32_e64 v27, s[4:5], s8, v9
	v_mov_b32_e32 v28, s9
	v_addc_co_u32_e64 v28, s[4:5], v10, v28, s[4:5]
	global_load_ushort v27, v[27:28], off
	s_waitcnt vmcnt(0)
	v_cvt_f32_f16_e32 v28, v27
	v_mul_f32_e32 v29, 0x3fb8aa3b, v28
	v_fma_mix_f32 v30, v27, s20, -v29 op_sel_hi:[1,0,0]
	v_fma_mix_f32 v27, v27, s21, v30 op_sel_hi:[1,0,0]
	v_rndne_f32_e32 v30, v29
	v_sub_f32_e32 v29, v29, v30
	v_add_f32_e32 v27, v29, v27
	v_exp_f32_e32 v27, v27
	v_cvt_i32_f32_e32 v29, v30
	v_cmp_ngt_f32_e64 s[4:5], s22, v28
	v_ldexp_f32 v27, v27, v29
	v_cndmask_b32_e64 v27, 0, v27, s[4:5]
	v_cmp_nlt_f32_e64 s[4:5], s23, v28
	v_cndmask_b32_e64 v27, v23, v27, s[4:5]
	v_cvt_f16_f32_e32 v27, v27
.LBB133_15:                             ;   in Loop: Header=BB133_9 Depth=1
	s_or_b64 exec, exec, s[6:7]
	v_mov_b32_e32 v29, s15
	v_add_co_u32_e64 v28, s[4:5], s14, v19
	v_addc_co_u32_e64 v29, s[4:5], v20, v29, s[4:5]
	v_cmp_gt_u64_e64 s[4:5], s[12:13], v[28:29]
	s_and_saveexec_b64 s[16:17], s[4:5]
	s_cbranch_execnz .LBB133_20
; %bb.16:                               ;   in Loop: Header=BB133_9 Depth=1
	s_or_b64 exec, exec, s[16:17]
	s_and_saveexec_b64 s[6:7], vcc
	s_cbranch_execnz .LBB133_21
.LBB133_17:                             ;   in Loop: Header=BB133_9 Depth=1
	s_or_b64 exec, exec, s[6:7]
	s_and_saveexec_b64 s[6:7], s[0:1]
	s_cbranch_execnz .LBB133_22
.LBB133_18:                             ;   in Loop: Header=BB133_9 Depth=1
	s_or_b64 exec, exec, s[6:7]
	s_and_saveexec_b64 s[0:1], s[2:3]
	s_cbranch_execnz .LBB133_23
.LBB133_19:                             ;   in Loop: Header=BB133_9 Depth=1
	s_or_b64 exec, exec, s[0:1]
	s_and_saveexec_b64 s[0:1], s[4:5]
	s_cbranch_execz .LBB133_8
	s_branch .LBB133_24
.LBB133_20:                             ;   in Loop: Header=BB133_9 Depth=1
	v_add_co_u32_e64 v28, s[6:7], s8, v5
	v_mov_b32_e32 v26, s9
	v_addc_co_u32_e64 v29, s[6:7], v6, v26, s[6:7]
	global_load_ushort v26, v[28:29], off
	s_waitcnt vmcnt(0)
	v_cvt_f32_f16_e32 v28, v26
	v_mul_f32_e32 v29, 0x3fb8aa3b, v28
	v_fma_mix_f32 v30, v26, s20, -v29 op_sel_hi:[1,0,0]
	v_fma_mix_f32 v26, v26, s21, v30 op_sel_hi:[1,0,0]
	v_rndne_f32_e32 v30, v29
	v_sub_f32_e32 v29, v29, v30
	v_add_f32_e32 v26, v29, v26
	v_exp_f32_e32 v26, v26
	v_cvt_i32_f32_e32 v29, v30
	v_cmp_ngt_f32_e64 s[6:7], s22, v28
	v_ldexp_f32 v26, v26, v29
	v_cndmask_b32_e64 v26, 0, v26, s[6:7]
	v_cmp_nlt_f32_e64 s[6:7], s23, v28
	v_cndmask_b32_e64 v26, v23, v26, s[6:7]
	v_cvt_f16_f32_e32 v26, v26
	s_or_b64 exec, exec, s[16:17]
	s_and_saveexec_b64 s[6:7], vcc
	s_cbranch_execz .LBB133_17
.LBB133_21:                             ;   in Loop: Header=BB133_9 Depth=1
	v_mov_b32_e32 v29, s9
	v_add_co_u32_e32 v28, vcc, s8, v3
	v_addc_co_u32_e32 v29, vcc, v4, v29, vcc
	global_store_short v[28:29], v25, off
	s_or_b64 exec, exec, s[6:7]
	s_and_saveexec_b64 s[6:7], s[0:1]
	s_cbranch_execz .LBB133_18
.LBB133_22:                             ;   in Loop: Header=BB133_9 Depth=1
	v_mov_b32_e32 v25, s9
	v_add_co_u32_e32 v28, vcc, s8, v17
	v_addc_co_u32_e32 v29, vcc, v18, v25, vcc
	global_store_short v[28:29], v24, off
	s_or_b64 exec, exec, s[6:7]
	s_and_saveexec_b64 s[0:1], s[2:3]
	s_cbranch_execz .LBB133_19
.LBB133_23:                             ;   in Loop: Header=BB133_9 Depth=1
	v_mov_b32_e32 v25, s9
	v_add_co_u32_e32 v24, vcc, s8, v11
	v_addc_co_u32_e32 v25, vcc, v12, v25, vcc
	global_store_short v[24:25], v27, off
	s_or_b64 exec, exec, s[0:1]
	s_and_saveexec_b64 s[0:1], s[4:5]
	s_cbranch_execz .LBB133_8
.LBB133_24:                             ;   in Loop: Header=BB133_9 Depth=1
	v_mov_b32_e32 v25, s9
	v_add_co_u32_e32 v24, vcc, s8, v7
	v_addc_co_u32_e32 v25, vcc, v8, v25, vcc
	global_store_short v[24:25], v26, off
	s_branch .LBB133_8
.LBB133_25:
	s_endpgm
	.section	.rodata,"a",@progbits
	.p2align	6, 0x0
	.amdhsa_kernel _ZN2at6native12_GLOBAL__N_125multi_tensor_apply_kernelINS1_18TensorListMetadataILi2EEENS1_14UnaryOpFunctorIN3c104HalfELi2ELi1ELi1EEEJNS0_3ExpIfEEEEEvT_T0_DpT1_
		.amdhsa_group_segment_fixed_size 0
		.amdhsa_private_segment_fixed_size 0
		.amdhsa_kernarg_size 3408
		.amdhsa_user_sgpr_count 6
		.amdhsa_user_sgpr_private_segment_buffer 1
		.amdhsa_user_sgpr_dispatch_ptr 0
		.amdhsa_user_sgpr_queue_ptr 0
		.amdhsa_user_sgpr_kernarg_segment_ptr 1
		.amdhsa_user_sgpr_dispatch_id 0
		.amdhsa_user_sgpr_flat_scratch_init 0
		.amdhsa_user_sgpr_private_segment_size 0
		.amdhsa_uses_dynamic_stack 0
		.amdhsa_system_sgpr_private_segment_wavefront_offset 0
		.amdhsa_system_sgpr_workgroup_id_x 1
		.amdhsa_system_sgpr_workgroup_id_y 0
		.amdhsa_system_sgpr_workgroup_id_z 0
		.amdhsa_system_sgpr_workgroup_info 0
		.amdhsa_system_vgpr_workitem_id 0
		.amdhsa_next_free_vgpr 31
		.amdhsa_next_free_sgpr 28
		.amdhsa_reserve_vcc 1
		.amdhsa_reserve_flat_scratch 0
		.amdhsa_float_round_mode_32 0
		.amdhsa_float_round_mode_16_64 0
		.amdhsa_float_denorm_mode_32 3
		.amdhsa_float_denorm_mode_16_64 3
		.amdhsa_dx10_clamp 1
		.amdhsa_ieee_mode 1
		.amdhsa_fp16_overflow 0
		.amdhsa_exception_fp_ieee_invalid_op 0
		.amdhsa_exception_fp_denorm_src 0
		.amdhsa_exception_fp_ieee_div_zero 0
		.amdhsa_exception_fp_ieee_overflow 0
		.amdhsa_exception_fp_ieee_underflow 0
		.amdhsa_exception_fp_ieee_inexact 0
		.amdhsa_exception_int_div_zero 0
	.end_amdhsa_kernel
	.section	.text._ZN2at6native12_GLOBAL__N_125multi_tensor_apply_kernelINS1_18TensorListMetadataILi2EEENS1_14UnaryOpFunctorIN3c104HalfELi2ELi1ELi1EEEJNS0_3ExpIfEEEEEvT_T0_DpT1_,"axG",@progbits,_ZN2at6native12_GLOBAL__N_125multi_tensor_apply_kernelINS1_18TensorListMetadataILi2EEENS1_14UnaryOpFunctorIN3c104HalfELi2ELi1ELi1EEEJNS0_3ExpIfEEEEEvT_T0_DpT1_,comdat
.Lfunc_end133:
	.size	_ZN2at6native12_GLOBAL__N_125multi_tensor_apply_kernelINS1_18TensorListMetadataILi2EEENS1_14UnaryOpFunctorIN3c104HalfELi2ELi1ELi1EEEJNS0_3ExpIfEEEEEvT_T0_DpT1_, .Lfunc_end133-_ZN2at6native12_GLOBAL__N_125multi_tensor_apply_kernelINS1_18TensorListMetadataILi2EEENS1_14UnaryOpFunctorIN3c104HalfELi2ELi1ELi1EEEJNS0_3ExpIfEEEEEvT_T0_DpT1_
                                        ; -- End function
	.set _ZN2at6native12_GLOBAL__N_125multi_tensor_apply_kernelINS1_18TensorListMetadataILi2EEENS1_14UnaryOpFunctorIN3c104HalfELi2ELi1ELi1EEEJNS0_3ExpIfEEEEEvT_T0_DpT1_.num_vgpr, 31
	.set _ZN2at6native12_GLOBAL__N_125multi_tensor_apply_kernelINS1_18TensorListMetadataILi2EEENS1_14UnaryOpFunctorIN3c104HalfELi2ELi1ELi1EEEJNS0_3ExpIfEEEEEvT_T0_DpT1_.num_agpr, 0
	.set _ZN2at6native12_GLOBAL__N_125multi_tensor_apply_kernelINS1_18TensorListMetadataILi2EEENS1_14UnaryOpFunctorIN3c104HalfELi2ELi1ELi1EEEJNS0_3ExpIfEEEEEvT_T0_DpT1_.numbered_sgpr, 28
	.set _ZN2at6native12_GLOBAL__N_125multi_tensor_apply_kernelINS1_18TensorListMetadataILi2EEENS1_14UnaryOpFunctorIN3c104HalfELi2ELi1ELi1EEEJNS0_3ExpIfEEEEEvT_T0_DpT1_.num_named_barrier, 0
	.set _ZN2at6native12_GLOBAL__N_125multi_tensor_apply_kernelINS1_18TensorListMetadataILi2EEENS1_14UnaryOpFunctorIN3c104HalfELi2ELi1ELi1EEEJNS0_3ExpIfEEEEEvT_T0_DpT1_.private_seg_size, 0
	.set _ZN2at6native12_GLOBAL__N_125multi_tensor_apply_kernelINS1_18TensorListMetadataILi2EEENS1_14UnaryOpFunctorIN3c104HalfELi2ELi1ELi1EEEJNS0_3ExpIfEEEEEvT_T0_DpT1_.uses_vcc, 1
	.set _ZN2at6native12_GLOBAL__N_125multi_tensor_apply_kernelINS1_18TensorListMetadataILi2EEENS1_14UnaryOpFunctorIN3c104HalfELi2ELi1ELi1EEEJNS0_3ExpIfEEEEEvT_T0_DpT1_.uses_flat_scratch, 0
	.set _ZN2at6native12_GLOBAL__N_125multi_tensor_apply_kernelINS1_18TensorListMetadataILi2EEENS1_14UnaryOpFunctorIN3c104HalfELi2ELi1ELi1EEEJNS0_3ExpIfEEEEEvT_T0_DpT1_.has_dyn_sized_stack, 0
	.set _ZN2at6native12_GLOBAL__N_125multi_tensor_apply_kernelINS1_18TensorListMetadataILi2EEENS1_14UnaryOpFunctorIN3c104HalfELi2ELi1ELi1EEEJNS0_3ExpIfEEEEEvT_T0_DpT1_.has_recursion, 0
	.set _ZN2at6native12_GLOBAL__N_125multi_tensor_apply_kernelINS1_18TensorListMetadataILi2EEENS1_14UnaryOpFunctorIN3c104HalfELi2ELi1ELi1EEEJNS0_3ExpIfEEEEEvT_T0_DpT1_.has_indirect_call, 0
	.section	.AMDGPU.csdata,"",@progbits
; Kernel info:
; codeLenInByte = 2056
; TotalNumSgprs: 32
; NumVgprs: 31
; ScratchSize: 0
; MemoryBound: 0
; FloatMode: 240
; IeeeMode: 1
; LDSByteSize: 0 bytes/workgroup (compile time only)
; SGPRBlocks: 3
; VGPRBlocks: 7
; NumSGPRsForWavesPerEU: 32
; NumVGPRsForWavesPerEU: 31
; Occupancy: 8
; WaveLimiterHint : 0
; COMPUTE_PGM_RSRC2:SCRATCH_EN: 0
; COMPUTE_PGM_RSRC2:USER_SGPR: 6
; COMPUTE_PGM_RSRC2:TRAP_HANDLER: 0
; COMPUTE_PGM_RSRC2:TGID_X_EN: 1
; COMPUTE_PGM_RSRC2:TGID_Y_EN: 0
; COMPUTE_PGM_RSRC2:TGID_Z_EN: 0
; COMPUTE_PGM_RSRC2:TIDIG_COMP_CNT: 0
	.section	.text._ZN2at6native12_GLOBAL__N_125multi_tensor_apply_kernelINS1_18TensorListMetadataILi2EEENS1_14UnaryOpFunctorIN3c108BFloat16ELi2ELi1ELi1EEEJNS0_3ExpIfEEEEEvT_T0_DpT1_,"axG",@progbits,_ZN2at6native12_GLOBAL__N_125multi_tensor_apply_kernelINS1_18TensorListMetadataILi2EEENS1_14UnaryOpFunctorIN3c108BFloat16ELi2ELi1ELi1EEEJNS0_3ExpIfEEEEEvT_T0_DpT1_,comdat
	.globl	_ZN2at6native12_GLOBAL__N_125multi_tensor_apply_kernelINS1_18TensorListMetadataILi2EEENS1_14UnaryOpFunctorIN3c108BFloat16ELi2ELi1ELi1EEEJNS0_3ExpIfEEEEEvT_T0_DpT1_ ; -- Begin function _ZN2at6native12_GLOBAL__N_125multi_tensor_apply_kernelINS1_18TensorListMetadataILi2EEENS1_14UnaryOpFunctorIN3c108BFloat16ELi2ELi1ELi1EEEJNS0_3ExpIfEEEEEvT_T0_DpT1_
	.p2align	8
	.type	_ZN2at6native12_GLOBAL__N_125multi_tensor_apply_kernelINS1_18TensorListMetadataILi2EEENS1_14UnaryOpFunctorIN3c108BFloat16ELi2ELi1ELi1EEEJNS0_3ExpIfEEEEEvT_T0_DpT1_,@function
_ZN2at6native12_GLOBAL__N_125multi_tensor_apply_kernelINS1_18TensorListMetadataILi2EEENS1_14UnaryOpFunctorIN3c108BFloat16ELi2ELi1ELi1EEEJNS0_3ExpIfEEEEEvT_T0_DpT1_: ; @_ZN2at6native12_GLOBAL__N_125multi_tensor_apply_kernelINS1_18TensorListMetadataILi2EEENS1_14UnaryOpFunctorIN3c108BFloat16ELi2ELi1ELi1EEEJNS0_3ExpIfEEEEEvT_T0_DpT1_
; %bb.0:
	v_mov_b32_e32 v1, s6
	global_load_ubyte v1, v1, s[4:5] offset:1536
	s_add_u32 s0, s4, s6
	s_mul_hi_u32 s2, s6, 3
	s_mul_i32 s6, s6, 3
	s_addc_u32 s7, s5, 0
	s_add_u32 s6, s0, s6
	s_addc_u32 s7, s7, s2
	s_load_dword s6, s[6:7], 0x740
	s_mov_b32 s1, 0
	s_mov_b32 s3, s1
	s_waitcnt lgkmcnt(0)
	s_ashr_i32 s7, s6, 31
	s_lshl_b64 s[8:9], s[6:7], 17
	s_lshl_b64 s[6:7], s[6:7], 16
	s_waitcnt vmcnt(0)
	v_readfirstlane_b32 s0, v1
	s_lshl_b32 s0, s0, 3
	s_load_dwordx2 s[10:11], s[4:5], s0 offset:0x400
	s_load_dwordx2 s[16:17], s[4:5], s0 offset:0x0
	;; [unrolled: 1-line block ×3, first 2 shown]
	s_waitcnt lgkmcnt(0)
	s_add_u32 s0, s16, s8
	s_and_b32 s2, s14, 7
	s_and_b32 s0, s0, 7
	s_sub_u32 s12, s10, s6
	s_subb_u32 s13, s11, s7
	s_and_b32 s6, s10, 3
	s_mov_b32 s7, s1
	s_or_b64 s[2:3], s[2:3], s[6:7]
	s_or_b64 s[0:1], s[2:3], s[0:1]
	s_cmp_eq_u64 s[0:1], 0
	s_mov_b64 s[0:1], -1
	s_cbranch_scc0 .LBB134_5
; %bb.1:
	v_mov_b32_e32 v1, 0x10000
	v_mov_b32_e32 v2, 0
	v_cmp_lt_i64_e32 vcc, s[12:13], v[1:2]
	v_mov_b32_e32 v2, 0
	s_and_b64 s[0:1], vcc, exec
	s_cselect_b32 s11, s13, 0
	s_cselect_b32 s10, s12, 0x10000
	v_lshlrev_b32_e32 v1, 2, v0
	v_cmp_gt_i64_e32 vcc, s[10:11], v[1:2]
	s_and_saveexec_b64 s[18:19], vcc
	s_cbranch_execz .LBB134_4
; %bb.2:
	s_load_dword s0, s[4:5], 0xc5c
	v_mov_b32_e32 v1, v2
	v_lshlrev_b32_e32 v2, 3, v0
	v_mov_b32_e32 v4, s9
	v_add_co_u32_e32 v3, vcc, s8, v2
	s_waitcnt lgkmcnt(0)
	s_and_b32 s22, s0, 0xffff
	v_mov_b32_e32 v2, v1
	v_addc_co_u32_e32 v4, vcc, 0, v4, vcc
	s_lshl_b32 s23, s22, 3
	s_mov_b64 s[20:21], 0
	v_mov_b32_e32 v5, s17
	s_mov_b32 s24, 0x3fb8aa3b
	s_mov_b32 s25, 0xc2ce8ed0
	;; [unrolled: 1-line block ×3, first 2 shown]
	v_mov_b32_e32 v6, 0x7f800000
	s_movk_i32 s27, 0x7fff
	v_mov_b32_e32 v7, s15
	v_mov_b32_e32 v8, 0x7fc00000
	;; [unrolled: 1-line block ×4, first 2 shown]
.LBB134_3:                              ; =>This Inner Loop Header: Depth=1
	v_add_co_u32_e32 v10, vcc, s16, v3
	v_addc_co_u32_e32 v11, vcc, v5, v4, vcc
	global_load_dwordx2 v[10:11], v[10:11], off
	v_add_co_u32_e32 v12, vcc, s14, v3
	v_addc_co_u32_e32 v13, vcc, v7, v4, vcc
	v_add_co_u32_e32 v1, vcc, s22, v1
	v_addc_co_u32_e32 v2, vcc, 0, v2, vcc
	v_add_co_u32_e32 v3, vcc, s23, v3
	v_lshlrev_b64 v[14:15], 2, v[1:2]
	v_addc_co_u32_e32 v4, vcc, 0, v4, vcc
	v_cmp_le_i64_e32 vcc, s[10:11], v[14:15]
	s_or_b64 s[20:21], vcc, s[20:21]
	s_waitcnt vmcnt(0)
	v_and_b32_e32 v14, 0xffff0000, v10
	v_lshlrev_b32_e32 v15, 16, v10
	v_alignbit_b32 v10, v11, v10, 16
	v_and_b32_e32 v11, 0xffff0000, v11
	v_mul_f32_e32 v16, 0x3fb8aa3b, v15
	v_mul_f32_e32 v17, 0x3fb8aa3b, v14
	v_and_b32_e32 v10, 0xffff0000, v10
	v_mul_f32_e32 v18, 0x3fb8aa3b, v11
	v_fma_f32 v19, v15, s24, -v16
	v_rndne_f32_e32 v20, v16
	v_fma_f32 v21, v14, s24, -v17
	v_rndne_f32_e32 v22, v17
	v_mul_f32_e32 v23, 0x3fb8aa3b, v10
	v_fma_f32 v24, v11, s24, -v18
	v_rndne_f32_e32 v25, v18
	v_fmac_f32_e32 v19, 0x32a5705f, v15
	v_sub_f32_e32 v16, v16, v20
	v_fmac_f32_e32 v21, 0x32a5705f, v14
	v_sub_f32_e32 v17, v17, v22
	v_fma_f32 v26, v10, s24, -v23
	v_fmac_f32_e32 v24, 0x32a5705f, v11
	v_sub_f32_e32 v18, v18, v25
	v_rndne_f32_e32 v27, v23
	v_add_f32_e32 v16, v16, v19
	v_add_f32_e32 v17, v17, v21
	;; [unrolled: 1-line block ×3, first 2 shown]
	v_fmac_f32_e32 v26, 0x32a5705f, v10
	v_sub_f32_e32 v19, v23, v27
	v_cvt_i32_f32_e32 v20, v20
	v_cvt_i32_f32_e32 v22, v22
	;; [unrolled: 1-line block ×3, first 2 shown]
	v_exp_f32_e32 v16, v16
	v_exp_f32_e32 v17, v17
	v_add_f32_e32 v19, v19, v26
	v_exp_f32_e32 v18, v18
	v_cvt_i32_f32_e32 v21, v27
	v_exp_f32_e32 v19, v19
	v_ldexp_f32 v16, v16, v20
	v_ldexp_f32 v17, v17, v22
	v_cmp_ngt_f32_e32 vcc, s25, v14
	v_ldexp_f32 v18, v18, v25
	v_cmp_ngt_f32_e64 s[0:1], s25, v11
	v_cmp_ngt_f32_e64 s[2:3], s25, v15
	v_cndmask_b32_e64 v16, 0, v16, s[2:3]
	v_cndmask_b32_e32 v17, 0, v17, vcc
	v_cmp_nlt_f32_e32 vcc, s26, v14
	v_ldexp_f32 v14, v19, v21
	v_cmp_ngt_f32_e64 s[2:3], s25, v10
	v_cndmask_b32_e64 v18, 0, v18, s[0:1]
	v_cmp_nlt_f32_e64 s[0:1], s26, v11
	v_cmp_nlt_f32_e64 s[6:7], s26, v15
	v_cndmask_b32_e64 v11, v6, v16, s[6:7]
	v_cndmask_b32_e32 v15, v6, v17, vcc
	v_cndmask_b32_e64 v14, 0, v14, s[2:3]
	v_cmp_nlt_f32_e32 vcc, s26, v10
	v_cndmask_b32_e64 v10, v6, v18, s[0:1]
	v_bfe_u32 v16, v11, 16, 1
	v_bfe_u32 v17, v15, 16, 1
	v_cndmask_b32_e32 v14, v6, v14, vcc
	v_bfe_u32 v18, v10, 16, 1
	v_add3_u32 v16, v11, v16, s27
	v_add3_u32 v17, v15, v17, s27
	v_bfe_u32 v19, v14, 16, 1
	v_add3_u32 v18, v10, v18, s27
	v_lshrrev_b32_e32 v16, 16, v16
	v_and_b32_e32 v17, 0xffff0000, v17
	v_add3_u32 v19, v14, v19, s27
	v_and_b32_e32 v18, 0xffff0000, v18
	v_cmp_o_f32_e32 vcc, v10, v10
	v_cmp_o_f32_e64 s[0:1], v15, v15
	v_cmp_o_f32_e64 s[2:3], v11, v11
	v_lshrrev_b32_e32 v10, 16, v19
	v_cndmask_b32_e32 v11, v8, v18, vcc
	v_cndmask_b32_e64 v15, v8, v17, s[0:1]
	v_cndmask_b32_e64 v16, v9, v16, s[2:3]
	v_cmp_o_f32_e32 vcc, v14, v14
	v_cndmask_b32_e32 v10, v9, v10, vcc
	v_or_b32_e32 v14, v16, v15
	v_or3_b32 v11, 0, v10, v11
	v_or3_b32 v10, v14, 0, 0
	global_store_dwordx2 v[12:13], v[10:11], off
	s_andn2_b64 exec, exec, s[20:21]
	s_cbranch_execnz .LBB134_3
.LBB134_4:
	s_or_b64 exec, exec, s[18:19]
	s_mov_b64 s[0:1], 0
.LBB134_5:
	s_andn2_b64 vcc, exec, s[0:1]
	s_cbranch_vccnz .LBB134_25
; %bb.6:
	v_cmp_lt_i64_e64 s[0:1], s[12:13], 1
	s_and_b64 vcc, exec, s[0:1]
	s_cbranch_vccnz .LBB134_25
; %bb.7:
	v_mov_b32_e32 v1, 0x10000
	s_load_dword s2, s[4:5], 0xc5c
	v_mov_b32_e32 v2, 0
	v_cmp_lt_i64_e32 vcc, s[12:13], v[1:2]
	v_mov_b32_e32 v10, 0
	s_and_b64 s[0:1], vcc, exec
	v_cmp_lt_u64_e32 vcc, s[12:13], v[1:2]
	s_cselect_b32 s11, s13, 0
	s_cselect_b32 s10, s12, 0x10000
	s_waitcnt lgkmcnt(0)
	s_and_b32 s2, s2, 0xffff
	v_lshlrev_b32_e32 v9, 1, v0
	s_and_b64 s[0:1], vcc, exec
	v_mov_b32_e32 v2, s17
	v_add_co_u32_e32 v1, vcc, s16, v9
	v_mad_u64_u32 v[7:8], s[0:1], s2, 6, v[9:10]
	v_addc_co_u32_e32 v2, vcc, 0, v2, vcc
	v_mov_b32_e32 v4, s15
	v_add_co_u32_e32 v3, vcc, s14, v9
	v_addc_co_u32_e32 v4, vcc, 0, v4, vcc
	v_mov_b32_e32 v6, s17
	v_add_co_u32_e32 v5, vcc, s16, v7
	;; [unrolled: 3-line block ×3, first 2 shown]
	s_cselect_b32 s13, s13, 0
	s_cselect_b32 s12, s12, 0x10000
	s_lshl_b32 s18, s2, 2
	v_addc_co_u32_e32 v8, vcc, v10, v8, vcc
	v_add_co_u32_e32 v11, vcc, s18, v9
	v_addc_co_u32_e64 v12, s[0:1], 0, 0, vcc
	v_mov_b32_e32 v10, s17
	v_add_co_u32_e32 v9, vcc, s16, v11
	v_addc_co_u32_e32 v10, vcc, v10, v12, vcc
	v_mov_b32_e32 v13, s15
	v_add_co_u32_e32 v11, vcc, s14, v11
	v_addc_co_u32_e32 v12, vcc, v13, v12, vcc
	v_add_co_u32_e32 v13, vcc, s2, v0
	v_lshlrev_b32_e32 v17, 1, v13
	v_addc_co_u32_e64 v14, s[0:1], 0, 0, vcc
	v_mov_b32_e32 v16, s17
	v_add_co_u32_e32 v15, vcc, s16, v17
	v_addc_co_u32_e32 v16, vcc, 0, v16, vcc
	v_mov_b32_e32 v18, s15
	v_add_co_u32_e32 v17, vcc, s14, v17
	s_mul_i32 s4, s2, 3
	v_addc_co_u32_e32 v18, vcc, 0, v18, vcc
	s_lshl_b32 s3, s2, 1
	v_add_co_u32_e32 v19, vcc, s4, v0
	v_addc_co_u32_e64 v20, s[0:1], 0, 0, vcc
	v_add_co_u32_e32 v21, vcc, s3, v0
	s_lshl_b32 s19, s2, 3
	s_mov_b64 s[14:15], 0
	s_mov_b32 s20, 0x3fb8aa3b
	s_mov_b32 s21, 0xc2ce8ed0
	;; [unrolled: 1-line block ×3, first 2 shown]
	s_movk_i32 s23, 0x7fff
	v_addc_co_u32_e64 v22, s[0:1], 0, 0, vcc
	v_mov_b32_e32 v23, 0x7f800000
	v_mov_b32_e32 v24, 0x7fc0
	s_branch .LBB134_9
.LBB134_8:                              ;   in Loop: Header=BB134_9 Depth=1
	s_or_b64 exec, exec, s[0:1]
	v_add_co_u32_e32 v1, vcc, s19, v1
	v_addc_co_u32_e32 v2, vcc, 0, v2, vcc
	v_add_co_u32_e32 v3, vcc, s19, v3
	v_addc_co_u32_e32 v4, vcc, 0, v4, vcc
	;; [unrolled: 2-line block ×6, first 2 shown]
	s_add_u32 s14, s14, s18
	v_add_co_u32_e32 v15, vcc, s19, v15
	v_mov_b32_e32 v26, s11
	s_addc_u32 s15, s15, 0
	v_addc_co_u32_e32 v16, vcc, 0, v16, vcc
	v_mov_b32_e32 v25, s10
	v_cmp_ge_i64_e32 vcc, s[14:15], v[25:26]
	v_add_co_u32_e64 v17, s[0:1], s19, v17
	v_addc_co_u32_e64 v18, s[0:1], 0, v18, s[0:1]
	s_cbranch_vccnz .LBB134_25
.LBB134_9:                              ; =>This Inner Loop Header: Depth=1
	v_mov_b32_e32 v26, s15
	v_add_co_u32_e32 v25, vcc, s14, v0
	v_addc_co_u32_e32 v26, vcc, 0, v26, vcc
	v_cmp_gt_u64_e32 vcc, s[12:13], v[25:26]
	v_mov_b32_e32 v25, 1.0
	v_mov_b32_e32 v26, 1.0
	s_and_saveexec_b64 s[2:3], vcc
	s_cbranch_execz .LBB134_11
; %bb.10:                               ;   in Loop: Header=BB134_9 Depth=1
	v_mov_b32_e32 v27, s9
	v_add_co_u32_e64 v26, s[0:1], s8, v1
	v_addc_co_u32_e64 v27, s[0:1], v2, v27, s[0:1]
	global_load_ushort v26, v[26:27], off
	s_waitcnt vmcnt(0)
	v_lshlrev_b32_e32 v26, 16, v26
	v_mul_f32_e32 v27, 0x3fb8aa3b, v26
	v_fma_f32 v28, v26, s20, -v27
	v_rndne_f32_e32 v29, v27
	v_fmac_f32_e32 v28, 0x32a5705f, v26
	v_sub_f32_e32 v27, v27, v29
	v_add_f32_e32 v27, v27, v28
	v_cvt_i32_f32_e32 v29, v29
	v_exp_f32_e32 v27, v27
	v_cmp_ngt_f32_e64 s[0:1], s21, v26
	v_ldexp_f32 v27, v27, v29
	v_cndmask_b32_e64 v27, 0, v27, s[0:1]
	v_cmp_nlt_f32_e64 s[0:1], s22, v26
	v_cndmask_b32_e64 v26, v23, v27, s[0:1]
.LBB134_11:                             ;   in Loop: Header=BB134_9 Depth=1
	s_or_b64 exec, exec, s[2:3]
	v_mov_b32_e32 v28, s15
	v_add_co_u32_e64 v27, s[0:1], s14, v13
	v_addc_co_u32_e64 v28, s[0:1], v14, v28, s[0:1]
	v_cmp_gt_u64_e64 s[0:1], s[12:13], v[27:28]
	s_and_saveexec_b64 s[4:5], s[0:1]
	s_cbranch_execz .LBB134_13
; %bb.12:                               ;   in Loop: Header=BB134_9 Depth=1
	v_mov_b32_e32 v25, s9
	v_add_co_u32_e64 v27, s[2:3], s8, v15
	v_addc_co_u32_e64 v28, s[2:3], v16, v25, s[2:3]
	global_load_ushort v25, v[27:28], off
	s_waitcnt vmcnt(0)
	v_lshlrev_b32_e32 v25, 16, v25
	v_mul_f32_e32 v27, 0x3fb8aa3b, v25
	v_fma_f32 v28, v25, s20, -v27
	v_rndne_f32_e32 v29, v27
	v_fmac_f32_e32 v28, 0x32a5705f, v25
	v_sub_f32_e32 v27, v27, v29
	v_add_f32_e32 v27, v27, v28
	v_cvt_i32_f32_e32 v29, v29
	v_exp_f32_e32 v27, v27
	v_cmp_ngt_f32_e64 s[2:3], s21, v25
	v_ldexp_f32 v27, v27, v29
	v_cndmask_b32_e64 v27, 0, v27, s[2:3]
	v_cmp_nlt_f32_e64 s[2:3], s22, v25
	v_cndmask_b32_e64 v25, v23, v27, s[2:3]
.LBB134_13:                             ;   in Loop: Header=BB134_9 Depth=1
	s_or_b64 exec, exec, s[4:5]
	v_mov_b32_e32 v28, s15
	v_add_co_u32_e64 v27, s[2:3], s14, v21
	v_addc_co_u32_e64 v28, s[2:3], v22, v28, s[2:3]
	v_cmp_gt_u64_e64 s[2:3], s[12:13], v[27:28]
	v_mov_b32_e32 v27, 1.0
	v_mov_b32_e32 v28, 1.0
	s_and_saveexec_b64 s[6:7], s[2:3]
	s_cbranch_execz .LBB134_15
; %bb.14:                               ;   in Loop: Header=BB134_9 Depth=1
	v_mov_b32_e32 v29, s9
	v_add_co_u32_e64 v28, s[4:5], s8, v9
	v_addc_co_u32_e64 v29, s[4:5], v10, v29, s[4:5]
	global_load_ushort v28, v[28:29], off
	s_waitcnt vmcnt(0)
	v_lshlrev_b32_e32 v28, 16, v28
	v_mul_f32_e32 v29, 0x3fb8aa3b, v28
	v_fma_f32 v30, v28, s20, -v29
	v_rndne_f32_e32 v31, v29
	v_fmac_f32_e32 v30, 0x32a5705f, v28
	v_sub_f32_e32 v29, v29, v31
	v_add_f32_e32 v29, v29, v30
	v_cvt_i32_f32_e32 v31, v31
	v_exp_f32_e32 v29, v29
	v_cmp_ngt_f32_e64 s[4:5], s21, v28
	v_ldexp_f32 v29, v29, v31
	v_cndmask_b32_e64 v29, 0, v29, s[4:5]
	v_cmp_nlt_f32_e64 s[4:5], s22, v28
	v_cndmask_b32_e64 v28, v23, v29, s[4:5]
.LBB134_15:                             ;   in Loop: Header=BB134_9 Depth=1
	s_or_b64 exec, exec, s[6:7]
	v_mov_b32_e32 v30, s15
	v_add_co_u32_e64 v29, s[4:5], s14, v19
	v_addc_co_u32_e64 v30, s[4:5], v20, v30, s[4:5]
	v_cmp_gt_u64_e64 s[4:5], s[12:13], v[29:30]
	s_and_saveexec_b64 s[16:17], s[4:5]
	s_cbranch_execnz .LBB134_20
; %bb.16:                               ;   in Loop: Header=BB134_9 Depth=1
	s_or_b64 exec, exec, s[16:17]
	s_and_saveexec_b64 s[6:7], vcc
	s_cbranch_execnz .LBB134_21
.LBB134_17:                             ;   in Loop: Header=BB134_9 Depth=1
	s_or_b64 exec, exec, s[6:7]
	s_and_saveexec_b64 s[6:7], s[0:1]
	s_cbranch_execnz .LBB134_22
.LBB134_18:                             ;   in Loop: Header=BB134_9 Depth=1
	s_or_b64 exec, exec, s[6:7]
	s_and_saveexec_b64 s[0:1], s[2:3]
	s_cbranch_execnz .LBB134_23
.LBB134_19:                             ;   in Loop: Header=BB134_9 Depth=1
	s_or_b64 exec, exec, s[0:1]
	s_and_saveexec_b64 s[0:1], s[4:5]
	s_cbranch_execz .LBB134_8
	s_branch .LBB134_24
.LBB134_20:                             ;   in Loop: Header=BB134_9 Depth=1
	v_mov_b32_e32 v27, s9
	v_add_co_u32_e64 v29, s[6:7], s8, v5
	v_addc_co_u32_e64 v30, s[6:7], v6, v27, s[6:7]
	global_load_ushort v27, v[29:30], off
	s_waitcnt vmcnt(0)
	v_lshlrev_b32_e32 v27, 16, v27
	v_mul_f32_e32 v29, 0x3fb8aa3b, v27
	v_fma_f32 v30, v27, s20, -v29
	v_rndne_f32_e32 v31, v29
	v_fmac_f32_e32 v30, 0x32a5705f, v27
	v_sub_f32_e32 v29, v29, v31
	v_add_f32_e32 v29, v29, v30
	v_cvt_i32_f32_e32 v31, v31
	v_exp_f32_e32 v29, v29
	v_cmp_ngt_f32_e64 s[6:7], s21, v27
	v_ldexp_f32 v29, v29, v31
	v_cndmask_b32_e64 v29, 0, v29, s[6:7]
	v_cmp_nlt_f32_e64 s[6:7], s22, v27
	v_cndmask_b32_e64 v27, v23, v29, s[6:7]
	s_or_b64 exec, exec, s[16:17]
	s_and_saveexec_b64 s[6:7], vcc
	s_cbranch_execz .LBB134_17
.LBB134_21:                             ;   in Loop: Header=BB134_9 Depth=1
	v_bfe_u32 v29, v26, 16, 1
	v_add3_u32 v29, v26, v29, s23
	v_cmp_o_f32_e32 vcc, v26, v26
	v_cndmask_b32_sdwa v26, v24, v29, vcc dst_sel:DWORD dst_unused:UNUSED_PAD src0_sel:DWORD src1_sel:WORD_1
	v_mov_b32_e32 v30, s9
	v_add_co_u32_e32 v29, vcc, s8, v3
	v_addc_co_u32_e32 v30, vcc, v4, v30, vcc
	global_store_short v[29:30], v26, off
	s_or_b64 exec, exec, s[6:7]
	s_and_saveexec_b64 s[6:7], s[0:1]
	s_cbranch_execz .LBB134_18
.LBB134_22:                             ;   in Loop: Header=BB134_9 Depth=1
	v_bfe_u32 v26, v25, 16, 1
	v_add3_u32 v26, v25, v26, s23
	v_cmp_o_f32_e32 vcc, v25, v25
	v_cndmask_b32_sdwa v29, v24, v26, vcc dst_sel:DWORD dst_unused:UNUSED_PAD src0_sel:DWORD src1_sel:WORD_1
	v_mov_b32_e32 v26, s9
	v_add_co_u32_e32 v25, vcc, s8, v17
	v_addc_co_u32_e32 v26, vcc, v18, v26, vcc
	global_store_short v[25:26], v29, off
	s_or_b64 exec, exec, s[6:7]
	s_and_saveexec_b64 s[0:1], s[2:3]
	s_cbranch_execz .LBB134_19
.LBB134_23:                             ;   in Loop: Header=BB134_9 Depth=1
	v_bfe_u32 v25, v28, 16, 1
	v_add3_u32 v25, v28, v25, s23
	v_cmp_o_f32_e32 vcc, v28, v28
	v_cndmask_b32_sdwa v28, v24, v25, vcc dst_sel:DWORD dst_unused:UNUSED_PAD src0_sel:DWORD src1_sel:WORD_1
	v_mov_b32_e32 v26, s9
	v_add_co_u32_e32 v25, vcc, s8, v11
	v_addc_co_u32_e32 v26, vcc, v12, v26, vcc
	global_store_short v[25:26], v28, off
	s_or_b64 exec, exec, s[0:1]
	s_and_saveexec_b64 s[0:1], s[4:5]
	s_cbranch_execz .LBB134_8
.LBB134_24:                             ;   in Loop: Header=BB134_9 Depth=1
	v_bfe_u32 v25, v27, 16, 1
	v_add3_u32 v25, v27, v25, s23
	v_cmp_o_f32_e32 vcc, v27, v27
	v_cndmask_b32_sdwa v27, v24, v25, vcc dst_sel:DWORD dst_unused:UNUSED_PAD src0_sel:DWORD src1_sel:WORD_1
	v_mov_b32_e32 v26, s9
	v_add_co_u32_e32 v25, vcc, s8, v7
	v_addc_co_u32_e32 v26, vcc, v8, v26, vcc
	global_store_short v[25:26], v27, off
	s_branch .LBB134_8
.LBB134_25:
	s_endpgm
	.section	.rodata,"a",@progbits
	.p2align	6, 0x0
	.amdhsa_kernel _ZN2at6native12_GLOBAL__N_125multi_tensor_apply_kernelINS1_18TensorListMetadataILi2EEENS1_14UnaryOpFunctorIN3c108BFloat16ELi2ELi1ELi1EEEJNS0_3ExpIfEEEEEvT_T0_DpT1_
		.amdhsa_group_segment_fixed_size 0
		.amdhsa_private_segment_fixed_size 0
		.amdhsa_kernarg_size 3408
		.amdhsa_user_sgpr_count 6
		.amdhsa_user_sgpr_private_segment_buffer 1
		.amdhsa_user_sgpr_dispatch_ptr 0
		.amdhsa_user_sgpr_queue_ptr 0
		.amdhsa_user_sgpr_kernarg_segment_ptr 1
		.amdhsa_user_sgpr_dispatch_id 0
		.amdhsa_user_sgpr_flat_scratch_init 0
		.amdhsa_user_sgpr_private_segment_size 0
		.amdhsa_uses_dynamic_stack 0
		.amdhsa_system_sgpr_private_segment_wavefront_offset 0
		.amdhsa_system_sgpr_workgroup_id_x 1
		.amdhsa_system_sgpr_workgroup_id_y 0
		.amdhsa_system_sgpr_workgroup_id_z 0
		.amdhsa_system_sgpr_workgroup_info 0
		.amdhsa_system_vgpr_workitem_id 0
		.amdhsa_next_free_vgpr 32
		.amdhsa_next_free_sgpr 28
		.amdhsa_reserve_vcc 1
		.amdhsa_reserve_flat_scratch 0
		.amdhsa_float_round_mode_32 0
		.amdhsa_float_round_mode_16_64 0
		.amdhsa_float_denorm_mode_32 3
		.amdhsa_float_denorm_mode_16_64 3
		.amdhsa_dx10_clamp 1
		.amdhsa_ieee_mode 1
		.amdhsa_fp16_overflow 0
		.amdhsa_exception_fp_ieee_invalid_op 0
		.amdhsa_exception_fp_denorm_src 0
		.amdhsa_exception_fp_ieee_div_zero 0
		.amdhsa_exception_fp_ieee_overflow 0
		.amdhsa_exception_fp_ieee_underflow 0
		.amdhsa_exception_fp_ieee_inexact 0
		.amdhsa_exception_int_div_zero 0
	.end_amdhsa_kernel
	.section	.text._ZN2at6native12_GLOBAL__N_125multi_tensor_apply_kernelINS1_18TensorListMetadataILi2EEENS1_14UnaryOpFunctorIN3c108BFloat16ELi2ELi1ELi1EEEJNS0_3ExpIfEEEEEvT_T0_DpT1_,"axG",@progbits,_ZN2at6native12_GLOBAL__N_125multi_tensor_apply_kernelINS1_18TensorListMetadataILi2EEENS1_14UnaryOpFunctorIN3c108BFloat16ELi2ELi1ELi1EEEJNS0_3ExpIfEEEEEvT_T0_DpT1_,comdat
.Lfunc_end134:
	.size	_ZN2at6native12_GLOBAL__N_125multi_tensor_apply_kernelINS1_18TensorListMetadataILi2EEENS1_14UnaryOpFunctorIN3c108BFloat16ELi2ELi1ELi1EEEJNS0_3ExpIfEEEEEvT_T0_DpT1_, .Lfunc_end134-_ZN2at6native12_GLOBAL__N_125multi_tensor_apply_kernelINS1_18TensorListMetadataILi2EEENS1_14UnaryOpFunctorIN3c108BFloat16ELi2ELi1ELi1EEEJNS0_3ExpIfEEEEEvT_T0_DpT1_
                                        ; -- End function
	.set _ZN2at6native12_GLOBAL__N_125multi_tensor_apply_kernelINS1_18TensorListMetadataILi2EEENS1_14UnaryOpFunctorIN3c108BFloat16ELi2ELi1ELi1EEEJNS0_3ExpIfEEEEEvT_T0_DpT1_.num_vgpr, 32
	.set _ZN2at6native12_GLOBAL__N_125multi_tensor_apply_kernelINS1_18TensorListMetadataILi2EEENS1_14UnaryOpFunctorIN3c108BFloat16ELi2ELi1ELi1EEEJNS0_3ExpIfEEEEEvT_T0_DpT1_.num_agpr, 0
	.set _ZN2at6native12_GLOBAL__N_125multi_tensor_apply_kernelINS1_18TensorListMetadataILi2EEENS1_14UnaryOpFunctorIN3c108BFloat16ELi2ELi1ELi1EEEJNS0_3ExpIfEEEEEvT_T0_DpT1_.numbered_sgpr, 28
	.set _ZN2at6native12_GLOBAL__N_125multi_tensor_apply_kernelINS1_18TensorListMetadataILi2EEENS1_14UnaryOpFunctorIN3c108BFloat16ELi2ELi1ELi1EEEJNS0_3ExpIfEEEEEvT_T0_DpT1_.num_named_barrier, 0
	.set _ZN2at6native12_GLOBAL__N_125multi_tensor_apply_kernelINS1_18TensorListMetadataILi2EEENS1_14UnaryOpFunctorIN3c108BFloat16ELi2ELi1ELi1EEEJNS0_3ExpIfEEEEEvT_T0_DpT1_.private_seg_size, 0
	.set _ZN2at6native12_GLOBAL__N_125multi_tensor_apply_kernelINS1_18TensorListMetadataILi2EEENS1_14UnaryOpFunctorIN3c108BFloat16ELi2ELi1ELi1EEEJNS0_3ExpIfEEEEEvT_T0_DpT1_.uses_vcc, 1
	.set _ZN2at6native12_GLOBAL__N_125multi_tensor_apply_kernelINS1_18TensorListMetadataILi2EEENS1_14UnaryOpFunctorIN3c108BFloat16ELi2ELi1ELi1EEEJNS0_3ExpIfEEEEEvT_T0_DpT1_.uses_flat_scratch, 0
	.set _ZN2at6native12_GLOBAL__N_125multi_tensor_apply_kernelINS1_18TensorListMetadataILi2EEENS1_14UnaryOpFunctorIN3c108BFloat16ELi2ELi1ELi1EEEJNS0_3ExpIfEEEEEvT_T0_DpT1_.has_dyn_sized_stack, 0
	.set _ZN2at6native12_GLOBAL__N_125multi_tensor_apply_kernelINS1_18TensorListMetadataILi2EEENS1_14UnaryOpFunctorIN3c108BFloat16ELi2ELi1ELi1EEEJNS0_3ExpIfEEEEEvT_T0_DpT1_.has_recursion, 0
	.set _ZN2at6native12_GLOBAL__N_125multi_tensor_apply_kernelINS1_18TensorListMetadataILi2EEENS1_14UnaryOpFunctorIN3c108BFloat16ELi2ELi1ELi1EEEJNS0_3ExpIfEEEEEvT_T0_DpT1_.has_indirect_call, 0
	.section	.AMDGPU.csdata,"",@progbits
; Kernel info:
; codeLenInByte = 2280
; TotalNumSgprs: 32
; NumVgprs: 32
; ScratchSize: 0
; MemoryBound: 0
; FloatMode: 240
; IeeeMode: 1
; LDSByteSize: 0 bytes/workgroup (compile time only)
; SGPRBlocks: 3
; VGPRBlocks: 7
; NumSGPRsForWavesPerEU: 32
; NumVGPRsForWavesPerEU: 32
; Occupancy: 8
; WaveLimiterHint : 0
; COMPUTE_PGM_RSRC2:SCRATCH_EN: 0
; COMPUTE_PGM_RSRC2:USER_SGPR: 6
; COMPUTE_PGM_RSRC2:TRAP_HANDLER: 0
; COMPUTE_PGM_RSRC2:TGID_X_EN: 1
; COMPUTE_PGM_RSRC2:TGID_Y_EN: 0
; COMPUTE_PGM_RSRC2:TGID_Z_EN: 0
; COMPUTE_PGM_RSRC2:TIDIG_COMP_CNT: 0
	.section	.text._ZN2at6native12_GLOBAL__N_125multi_tensor_apply_kernelINS1_18TensorListMetadataILi1EEENS1_14UnaryOpFunctorIdLi1ELi1ELi0EEEJNS0_3ExpIdEEEEEvT_T0_DpT1_,"axG",@progbits,_ZN2at6native12_GLOBAL__N_125multi_tensor_apply_kernelINS1_18TensorListMetadataILi1EEENS1_14UnaryOpFunctorIdLi1ELi1ELi0EEEJNS0_3ExpIdEEEEEvT_T0_DpT1_,comdat
	.globl	_ZN2at6native12_GLOBAL__N_125multi_tensor_apply_kernelINS1_18TensorListMetadataILi1EEENS1_14UnaryOpFunctorIdLi1ELi1ELi0EEEJNS0_3ExpIdEEEEEvT_T0_DpT1_ ; -- Begin function _ZN2at6native12_GLOBAL__N_125multi_tensor_apply_kernelINS1_18TensorListMetadataILi1EEENS1_14UnaryOpFunctorIdLi1ELi1ELi0EEEJNS0_3ExpIdEEEEEvT_T0_DpT1_
	.p2align	8
	.type	_ZN2at6native12_GLOBAL__N_125multi_tensor_apply_kernelINS1_18TensorListMetadataILi1EEENS1_14UnaryOpFunctorIdLi1ELi1ELi0EEEJNS0_3ExpIdEEEEEvT_T0_DpT1_,@function
_ZN2at6native12_GLOBAL__N_125multi_tensor_apply_kernelINS1_18TensorListMetadataILi1EEENS1_14UnaryOpFunctorIdLi1ELi1ELi0EEEJNS0_3ExpIdEEEEEvT_T0_DpT1_: ; @_ZN2at6native12_GLOBAL__N_125multi_tensor_apply_kernelINS1_18TensorListMetadataILi1EEENS1_14UnaryOpFunctorIdLi1ELi1ELi0EEEJNS0_3ExpIdEEEEEvT_T0_DpT1_
; %bb.0:
	v_mov_b32_e32 v1, s6
	global_load_ubyte v1, v1, s[4:5] offset:1760
	s_add_u32 s0, s4, s6
	s_mul_hi_u32 s1, s6, 3
	s_mul_i32 s6, s6, 3
	s_addc_u32 s2, s5, 0
	s_add_u32 s0, s0, s6
	s_addc_u32 s1, s2, s1
	s_load_dword s0, s[0:1], 0x820
	s_mov_b32 s7, 0
	s_waitcnt vmcnt(0)
	v_readfirstlane_b32 s1, v1
	s_lshl_b32 s1, s1, 3
	s_load_dwordx2 s[2:3], s[4:5], s1 offset:0x370
	s_load_dwordx2 s[12:13], s[4:5], s1 offset:0x0
	s_waitcnt lgkmcnt(0)
	s_ashr_i32 s1, s0, 31
	s_lshl_b64 s[14:15], s[0:1], 19
	s_lshl_b64 s[0:1], s[0:1], 16
	s_and_b32 s6, s12, 31
	s_sub_u32 s16, s2, s0
	s_subb_u32 s17, s3, s1
	s_and_b32 s0, s2, 3
	s_mov_b32 s1, s7
	s_or_b64 s[0:1], s[6:7], s[0:1]
	s_cmp_eq_u64 s[0:1], 0
	s_cbranch_scc1 .LBB135_21
; %bb.1:
	v_cmp_lt_i64_e64 s[0:1], s[16:17], 1
	s_and_b64 vcc, exec, s[0:1]
	s_cbranch_vccnz .LBB135_20
; %bb.2:
	v_mov_b32_e32 v1, 0x10000
	s_load_dword s2, s[4:5], 0xd3c
	v_mov_b32_e32 v2, 0
	v_cmp_lt_i64_e32 vcc, s[16:17], v[1:2]
	s_mov_b32 s24, 0x652b82fe
	s_and_b64 s[0:1], vcc, exec
	v_cmp_lt_u64_e32 vcc, s[16:17], v[1:2]
	s_cselect_b32 s19, s17, 0
	s_cselect_b32 s18, s16, 0x10000
	s_waitcnt lgkmcnt(0)
	s_and_b32 s2, s2, 0xffff
	s_and_b64 s[0:1], vcc, exec
	s_cselect_b32 s21, s17, 0
	s_cselect_b32 s20, s16, 0x10000
	s_lshl_b32 s3, s2, 1
	s_lshl_b32 s33, s2, 2
	s_add_u32 s6, s12, s14
	v_lshlrev_b32_e32 v1, 3, v0
	s_addc_u32 s7, s13, s15
	v_mov_b32_e32 v2, s7
	v_add_co_u32_e32 v1, vcc, s6, v1
	s_mul_i32 s0, s2, 3
	v_addc_co_u32_e32 v2, vcc, 0, v2, vcc
	v_add_co_u32_e32 v15, vcc, s0, v0
	v_addc_co_u32_e64 v16, s[0:1], 0, 0, vcc
	v_add_co_u32_e32 v17, vcc, s3, v0
	v_addc_co_u32_e64 v18, s[0:1], 0, 0, vcc
	v_add_co_u32_e32 v19, vcc, s2, v0
	v_lshlrev_b32_e32 v3, 3, v19
	v_addc_co_u32_e64 v20, s[0:1], 0, 0, vcc
	v_mov_b32_e32 v4, s7
	v_add_co_u32_e32 v3, vcc, s6, v3
	s_mov_b32 s26, 0xfefa39ef
	s_mov_b32 s28, 0x3b39803f
	;; [unrolled: 1-line block ×13, first 2 shown]
	s_lshl_b32 s56, s2, 5
	s_mul_i32 s57, s2, 24
	s_lshl_b32 s58, s2, 4
	v_addc_co_u32_e32 v4, vcc, 0, v4, vcc
	s_mov_b64 s[22:23], 0
	s_mov_b32 s25, 0x3ff71547
	s_mov_b32 s27, 0xbfe62e42
	s_mov_b32 s29, 0xbc7abc9e
	s_mov_b32 s31, 0x3e5ade15
	s_mov_b32 s35, 0x3ec71dee
	s_mov_b32 s37, 0x3efa0199
	s_mov_b32 s39, 0x3f2a01a0
	s_mov_b32 s41, 0x3f56c16c
	s_mov_b32 s43, 0x3f811111
	s_mov_b32 s45, 0x3fa55555
	s_mov_b32 s47, 0x3fc55555
	s_mov_b32 s49, 0x3fe00000
	s_mov_b32 s51, 0x40900000
	s_mov_b32 s53, 0xc090cc00
	v_mov_b32_e32 v5, 0xfca7ab0c
	v_mov_b32_e32 v6, 0x3e928af3
	;; [unrolled: 1-line block ×3, first 2 shown]
	s_branch .LBB135_4
.LBB135_3:                              ;   in Loop: Header=BB135_4 Depth=1
	s_or_b64 exec, exec, s[2:3]
	s_add_u32 s22, s22, s33
	v_add_co_u32_e32 v1, vcc, s56, v1
	s_waitcnt vmcnt(0)
	v_mov_b32_e32 v7, s18
	s_addc_u32 s23, s23, 0
	v_addc_co_u32_e32 v2, vcc, 0, v2, vcc
	v_mov_b32_e32 v8, s19
	v_cmp_lt_i64_e32 vcc, s[22:23], v[7:8]
	v_add_co_u32_e64 v3, s[0:1], s56, v3
	v_addc_co_u32_e64 v4, s[0:1], 0, v4, s[0:1]
	s_cbranch_vccz .LBB135_20
.LBB135_4:                              ; =>This Inner Loop Header: Depth=1
	v_mov_b32_e32 v8, s23
	v_add_co_u32_e32 v7, vcc, s22, v0
	v_addc_co_u32_e32 v8, vcc, 0, v8, vcc
	v_cmp_gt_u64_e64 s[6:7], s[20:21], v[7:8]
	v_mov_b32_e32 v11, 0
	v_mov_b32_e32 v13, 0
	;; [unrolled: 1-line block ×4, first 2 shown]
	s_and_saveexec_b64 s[0:1], s[6:7]
	s_cbranch_execz .LBB135_6
; %bb.5:                                ;   in Loop: Header=BB135_4 Depth=1
	global_load_dwordx2 v[13:14], v[1:2], off
.LBB135_6:                              ;   in Loop: Header=BB135_4 Depth=1
	s_or_b64 exec, exec, s[0:1]
	v_mov_b32_e32 v8, s23
	v_add_co_u32_e32 v7, vcc, s22, v19
	v_addc_co_u32_e32 v8, vcc, v20, v8, vcc
	v_cmp_gt_u64_e64 s[2:3], s[20:21], v[7:8]
	s_and_saveexec_b64 s[0:1], s[2:3]
	s_cbranch_execz .LBB135_8
; %bb.7:                                ;   in Loop: Header=BB135_4 Depth=1
	global_load_dwordx2 v[11:12], v[3:4], off
.LBB135_8:                              ;   in Loop: Header=BB135_4 Depth=1
	s_or_b64 exec, exec, s[0:1]
	v_mov_b32_e32 v8, s23
	v_add_co_u32_e32 v7, vcc, s22, v17
	v_addc_co_u32_e32 v8, vcc, v18, v8, vcc
	v_cmp_gt_u64_e64 s[0:1], s[20:21], v[7:8]
	v_mov_b32_e32 v7, 0
	v_mov_b32_e32 v9, 0
	;; [unrolled: 1-line block ×4, first 2 shown]
	s_and_saveexec_b64 s[8:9], s[0:1]
	s_cbranch_execz .LBB135_10
; %bb.9:                                ;   in Loop: Header=BB135_4 Depth=1
	v_add_co_u32_e32 v9, vcc, s58, v1
	v_addc_co_u32_e32 v10, vcc, 0, v2, vcc
	global_load_dwordx2 v[9:10], v[9:10], off
.LBB135_10:                             ;   in Loop: Header=BB135_4 Depth=1
	s_or_b64 exec, exec, s[8:9]
	v_mov_b32_e32 v23, s23
	v_add_co_u32_e32 v22, vcc, s22, v15
	v_addc_co_u32_e32 v23, vcc, v16, v23, vcc
	v_cmp_gt_u64_e32 vcc, s[20:21], v[22:23]
	s_and_saveexec_b64 s[10:11], vcc
	s_cbranch_execnz .LBB135_15
; %bb.11:                               ;   in Loop: Header=BB135_4 Depth=1
	s_or_b64 exec, exec, s[10:11]
	s_and_saveexec_b64 s[54:55], s[6:7]
	s_cbranch_execnz .LBB135_16
.LBB135_12:                             ;   in Loop: Header=BB135_4 Depth=1
	s_or_b64 exec, exec, s[54:55]
	s_and_saveexec_b64 s[8:9], s[2:3]
	s_cbranch_execnz .LBB135_17
.LBB135_13:                             ;   in Loop: Header=BB135_4 Depth=1
	s_or_b64 exec, exec, s[8:9]
	s_and_saveexec_b64 s[6:7], s[0:1]
	s_cbranch_execnz .LBB135_18
.LBB135_14:                             ;   in Loop: Header=BB135_4 Depth=1
	s_or_b64 exec, exec, s[6:7]
	s_and_saveexec_b64 s[2:3], vcc
	s_cbranch_execz .LBB135_3
	s_branch .LBB135_19
.LBB135_15:                             ;   in Loop: Header=BB135_4 Depth=1
	v_add_co_u32_e64 v7, s[8:9], s57, v1
	v_addc_co_u32_e64 v8, s[8:9], 0, v2, s[8:9]
	global_load_dwordx2 v[7:8], v[7:8], off
	s_or_b64 exec, exec, s[10:11]
	s_and_saveexec_b64 s[54:55], s[6:7]
	s_cbranch_execz .LBB135_12
.LBB135_16:                             ;   in Loop: Header=BB135_4 Depth=1
	s_waitcnt vmcnt(0)
	v_mul_f64 v[22:23], v[13:14], s[24:25]
	v_cmp_nlt_f64_e64 s[6:7], s[50:51], v[13:14]
	v_cmp_ngt_f64_e64 s[8:9], s[52:53], v[13:14]
	v_rndne_f64_e32 v[22:23], v[22:23]
	s_and_b64 s[10:11], s[8:9], s[6:7]
	v_fma_f64 v[24:25], v[22:23], s[26:27], v[13:14]
	v_fma_f64 v[24:25], v[22:23], s[28:29], v[24:25]
	v_cvt_i32_f64_e32 v22, v[22:23]
	v_fma_f64 v[26:27], v[24:25], s[30:31], v[5:6]
	v_fma_f64 v[26:27], v[24:25], v[26:27], s[34:35]
	v_fma_f64 v[26:27], v[24:25], v[26:27], s[36:37]
	v_fma_f64 v[26:27], v[24:25], v[26:27], s[38:39]
	v_fma_f64 v[26:27], v[24:25], v[26:27], s[40:41]
	v_fma_f64 v[26:27], v[24:25], v[26:27], s[42:43]
	v_fma_f64 v[26:27], v[24:25], v[26:27], s[44:45]
	v_fma_f64 v[26:27], v[24:25], v[26:27], s[46:47]
	v_fma_f64 v[26:27], v[24:25], v[26:27], s[48:49]
	v_fma_f64 v[26:27], v[24:25], v[26:27], 1.0
	v_fma_f64 v[24:25], v[24:25], v[26:27], 1.0
	v_ldexp_f64 v[13:14], v[24:25], v22
	v_cndmask_b32_e64 v14, v21, v14, s[6:7]
	v_cndmask_b32_e64 v14, 0, v14, s[8:9]
	;; [unrolled: 1-line block ×3, first 2 shown]
	global_store_dwordx2 v[1:2], v[13:14], off
	s_or_b64 exec, exec, s[54:55]
	s_and_saveexec_b64 s[8:9], s[2:3]
	s_cbranch_execz .LBB135_13
.LBB135_17:                             ;   in Loop: Header=BB135_4 Depth=1
	s_waitcnt vmcnt(0)
	v_mul_f64 v[13:14], v[11:12], s[24:25]
	v_cmp_nlt_f64_e64 s[2:3], s[50:51], v[11:12]
	v_cmp_ngt_f64_e64 s[6:7], s[52:53], v[11:12]
	v_rndne_f64_e32 v[13:14], v[13:14]
	v_fma_f64 v[22:23], v[13:14], s[26:27], v[11:12]
	v_fma_f64 v[22:23], v[13:14], s[28:29], v[22:23]
	v_cvt_i32_f64_e32 v13, v[13:14]
	v_fma_f64 v[24:25], v[22:23], s[30:31], v[5:6]
	v_fma_f64 v[24:25], v[22:23], v[24:25], s[34:35]
	;; [unrolled: 1-line block ×9, first 2 shown]
	v_fma_f64 v[24:25], v[22:23], v[24:25], 1.0
	v_fma_f64 v[22:23], v[22:23], v[24:25], 1.0
	v_ldexp_f64 v[13:14], v[22:23], v13
	v_cndmask_b32_e64 v14, v21, v14, s[2:3]
	s_and_b64 s[2:3], s[6:7], s[2:3]
	v_cndmask_b32_e64 v12, 0, v14, s[6:7]
	v_cndmask_b32_e64 v11, 0, v13, s[2:3]
	global_store_dwordx2 v[3:4], v[11:12], off
	s_or_b64 exec, exec, s[8:9]
	s_and_saveexec_b64 s[6:7], s[0:1]
	s_cbranch_execz .LBB135_14
.LBB135_18:                             ;   in Loop: Header=BB135_4 Depth=1
	s_waitcnt vmcnt(0)
	v_mul_f64 v[11:12], v[9:10], s[24:25]
	v_cmp_nlt_f64_e64 s[0:1], s[50:51], v[9:10]
	v_cmp_ngt_f64_e64 s[2:3], s[52:53], v[9:10]
	v_rndne_f64_e32 v[11:12], v[11:12]
	v_fma_f64 v[13:14], v[11:12], s[26:27], v[9:10]
	v_fma_f64 v[13:14], v[11:12], s[28:29], v[13:14]
	v_cvt_i32_f64_e32 v11, v[11:12]
	v_fma_f64 v[22:23], v[13:14], s[30:31], v[5:6]
	v_fma_f64 v[22:23], v[13:14], v[22:23], s[34:35]
	;; [unrolled: 1-line block ×9, first 2 shown]
	v_fma_f64 v[22:23], v[13:14], v[22:23], 1.0
	v_fma_f64 v[13:14], v[13:14], v[22:23], 1.0
	v_ldexp_f64 v[11:12], v[13:14], v11
	v_cndmask_b32_e64 v12, v21, v12, s[0:1]
	s_and_b64 s[0:1], s[2:3], s[0:1]
	v_cndmask_b32_e64 v9, 0, v11, s[0:1]
	v_add_co_u32_e64 v11, s[0:1], s58, v1
	v_cndmask_b32_e64 v10, 0, v12, s[2:3]
	v_addc_co_u32_e64 v12, s[0:1], 0, v2, s[0:1]
	global_store_dwordx2 v[11:12], v[9:10], off
	s_or_b64 exec, exec, s[6:7]
	s_and_saveexec_b64 s[2:3], vcc
	s_cbranch_execz .LBB135_3
.LBB135_19:                             ;   in Loop: Header=BB135_4 Depth=1
	s_waitcnt vmcnt(0)
	v_mul_f64 v[9:10], v[7:8], s[24:25]
	v_cmp_nlt_f64_e32 vcc, s[50:51], v[7:8]
	v_cmp_ngt_f64_e64 s[0:1], s[52:53], v[7:8]
	v_rndne_f64_e32 v[9:10], v[9:10]
	v_fma_f64 v[11:12], v[9:10], s[26:27], v[7:8]
	v_fma_f64 v[11:12], v[9:10], s[28:29], v[11:12]
	v_cvt_i32_f64_e32 v9, v[9:10]
	v_fma_f64 v[13:14], v[11:12], s[30:31], v[5:6]
	v_fma_f64 v[13:14], v[11:12], v[13:14], s[34:35]
	;; [unrolled: 1-line block ×9, first 2 shown]
	v_fma_f64 v[13:14], v[11:12], v[13:14], 1.0
	v_fma_f64 v[11:12], v[11:12], v[13:14], 1.0
	v_ldexp_f64 v[9:10], v[11:12], v9
	v_cndmask_b32_e32 v10, v21, v10, vcc
	s_and_b64 vcc, s[0:1], vcc
	v_cndmask_b32_e32 v7, 0, v9, vcc
	v_add_co_u32_e32 v9, vcc, s57, v1
	v_cndmask_b32_e64 v8, 0, v10, s[0:1]
	v_addc_co_u32_e32 v10, vcc, 0, v2, vcc
	global_store_dwordx2 v[9:10], v[7:8], off
	s_branch .LBB135_3
.LBB135_20:
	s_cbranch_execz .LBB135_22
	s_branch .LBB135_25
.LBB135_21:
.LBB135_22:
	v_mov_b32_e32 v1, 0x10000
	v_mov_b32_e32 v2, 0
	v_cmp_lt_i64_e32 vcc, s[16:17], v[1:2]
	v_mov_b32_e32 v2, 0
	s_and_b64 s[0:1], vcc, exec
	s_cselect_b32 s3, s17, 0
	s_cselect_b32 s2, s16, 0x10000
	v_lshlrev_b32_e32 v1, 2, v0
	v_cmp_gt_i64_e32 vcc, s[2:3], v[1:2]
	s_and_saveexec_b64 s[0:1], vcc
	s_cbranch_execz .LBB135_25
; %bb.23:
	s_load_dword s0, s[4:5], 0xd3c
	v_mov_b32_e32 v1, v2
	v_lshlrev_b32_e32 v2, 5, v0
	s_mov_b32 s6, 0x652b82fe
	s_mov_b32 s8, 0xfefa39ef
	s_waitcnt lgkmcnt(0)
	s_and_b32 s33, s0, 0xffff
	s_add_u32 s0, s12, s14
	s_addc_u32 s1, s13, s15
	v_mov_b32_e32 v3, s1
	v_add_co_u32_e32 v2, vcc, s0, v2
	s_mov_b32 s0, 0xfca7ab0c
	v_addc_co_u32_e32 v3, vcc, 0, v3, vcc
	s_mov_b32 s1, 0x3e928af3
	v_add_co_u32_e32 v2, vcc, 16, v2
	s_mov_b32 s10, 0x3b39803f
	s_mov_b32 s12, 0x6a5dcb37
	v_mov_b32_e32 v5, s1
	s_mov_b32 s14, 0x623fde64
	s_mov_b32 s16, 0x7c89e6b0
	;; [unrolled: 1-line block ×10, first 2 shown]
	v_addc_co_u32_e32 v3, vcc, 0, v3, vcc
	s_lshl_b32 s36, s33, 5
	s_mov_b64 s[4:5], 0
	s_mov_b32 s7, 0x3ff71547
	s_mov_b32 s9, 0xbfe62e42
	;; [unrolled: 1-line block ×4, first 2 shown]
	v_mov_b32_e32 v4, s0
	s_mov_b32 s15, 0x3ec71dee
	s_mov_b32 s17, 0x3efa0199
	;; [unrolled: 1-line block ×10, first 2 shown]
	v_mov_b32_e32 v6, 0x7ff00000
.LBB135_24:                             ; =>This Inner Loop Header: Depth=1
	global_load_dwordx4 v[7:10], v[2:3], off
	global_load_dwordx4 v[11:14], v[2:3], off offset:-16
	s_waitcnt vmcnt(0)
	v_mul_f64 v[15:16], v[11:12], s[6:7]
	v_cmp_nlt_f64_e32 vcc, s[30:31], v[11:12]
	v_cmp_ngt_f64_e64 s[0:1], s[34:35], v[11:12]
	v_rndne_f64_e32 v[15:16], v[15:16]
	v_fma_f64 v[17:18], v[15:16], s[8:9], v[11:12]
	v_fma_f64 v[17:18], v[15:16], s[10:11], v[17:18]
	v_cvt_i32_f64_e32 v15, v[15:16]
	v_fma_f64 v[19:20], v[17:18], s[12:13], v[4:5]
	v_fma_f64 v[19:20], v[17:18], v[19:20], s[14:15]
	v_fma_f64 v[19:20], v[17:18], v[19:20], s[16:17]
	v_fma_f64 v[19:20], v[17:18], v[19:20], s[18:19]
	v_fma_f64 v[19:20], v[17:18], v[19:20], s[20:21]
	v_fma_f64 v[19:20], v[17:18], v[19:20], s[22:23]
	v_fma_f64 v[19:20], v[17:18], v[19:20], s[24:25]
	v_fma_f64 v[19:20], v[17:18], v[19:20], s[26:27]
	v_fma_f64 v[19:20], v[17:18], v[19:20], s[28:29]
	v_fma_f64 v[19:20], v[17:18], v[19:20], 1.0
	v_fma_f64 v[17:18], v[17:18], v[19:20], 1.0
	v_ldexp_f64 v[15:16], v[17:18], v15
	v_cndmask_b32_e32 v16, v6, v16, vcc
	s_and_b64 vcc, s[0:1], vcc
	v_cndmask_b32_e32 v11, 0, v15, vcc
	v_cndmask_b32_e64 v12, 0, v16, s[0:1]
	v_mul_f64 v[15:16], v[13:14], s[6:7]
	v_cmp_nlt_f64_e32 vcc, s[30:31], v[13:14]
	v_cmp_ngt_f64_e64 s[0:1], s[34:35], v[13:14]
	v_rndne_f64_e32 v[15:16], v[15:16]
	v_fma_f64 v[17:18], v[15:16], s[8:9], v[13:14]
	v_fma_f64 v[17:18], v[15:16], s[10:11], v[17:18]
	v_cvt_i32_f64_e32 v15, v[15:16]
	v_fma_f64 v[19:20], v[17:18], s[12:13], v[4:5]
	v_fma_f64 v[19:20], v[17:18], v[19:20], s[14:15]
	v_fma_f64 v[19:20], v[17:18], v[19:20], s[16:17]
	v_fma_f64 v[19:20], v[17:18], v[19:20], s[18:19]
	v_fma_f64 v[19:20], v[17:18], v[19:20], s[20:21]
	v_fma_f64 v[19:20], v[17:18], v[19:20], s[22:23]
	v_fma_f64 v[19:20], v[17:18], v[19:20], s[24:25]
	v_fma_f64 v[19:20], v[17:18], v[19:20], s[26:27]
	v_fma_f64 v[19:20], v[17:18], v[19:20], s[28:29]
	v_fma_f64 v[19:20], v[17:18], v[19:20], 1.0
	v_fma_f64 v[17:18], v[17:18], v[19:20], 1.0
	v_ldexp_f64 v[15:16], v[17:18], v15
	v_cndmask_b32_e32 v16, v6, v16, vcc
	s_and_b64 vcc, s[0:1], vcc
	v_cndmask_b32_e32 v13, 0, v15, vcc
	v_cndmask_b32_e64 v14, 0, v16, s[0:1]
	;; [unrolled: 23-line block ×3, first 2 shown]
	v_mul_f64 v[15:16], v[9:10], s[6:7]
	v_cmp_nlt_f64_e32 vcc, s[30:31], v[9:10]
	v_cmp_ngt_f64_e64 s[0:1], s[34:35], v[9:10]
	v_rndne_f64_e32 v[15:16], v[15:16]
	v_fma_f64 v[17:18], v[15:16], s[8:9], v[9:10]
	v_fma_f64 v[17:18], v[15:16], s[10:11], v[17:18]
	v_cvt_i32_f64_e32 v15, v[15:16]
	v_fma_f64 v[19:20], v[17:18], s[12:13], v[4:5]
	v_fma_f64 v[19:20], v[17:18], v[19:20], s[14:15]
	;; [unrolled: 1-line block ×9, first 2 shown]
	v_fma_f64 v[19:20], v[17:18], v[19:20], 1.0
	v_fma_f64 v[17:18], v[17:18], v[19:20], 1.0
	v_ldexp_f64 v[15:16], v[17:18], v15
	v_cndmask_b32_e32 v16, v6, v16, vcc
	s_and_b64 vcc, s[0:1], vcc
	v_cndmask_b32_e32 v9, 0, v15, vcc
	v_add_co_u32_e32 v0, vcc, s33, v0
	v_addc_co_u32_e32 v1, vcc, 0, v1, vcc
	v_cndmask_b32_e64 v10, 0, v16, s[0:1]
	global_store_dwordx4 v[2:3], v[11:14], off offset:-16
	global_store_dwordx4 v[2:3], v[7:10], off
	v_add_co_u32_e32 v2, vcc, s36, v2
	v_lshlrev_b64 v[7:8], 2, v[0:1]
	v_addc_co_u32_e32 v3, vcc, 0, v3, vcc
	v_cmp_le_i64_e32 vcc, s[2:3], v[7:8]
	s_or_b64 s[4:5], vcc, s[4:5]
	s_andn2_b64 exec, exec, s[4:5]
	s_cbranch_execnz .LBB135_24
.LBB135_25:
	s_endpgm
	.section	.rodata,"a",@progbits
	.p2align	6, 0x0
	.amdhsa_kernel _ZN2at6native12_GLOBAL__N_125multi_tensor_apply_kernelINS1_18TensorListMetadataILi1EEENS1_14UnaryOpFunctorIdLi1ELi1ELi0EEEJNS0_3ExpIdEEEEEvT_T0_DpT1_
		.amdhsa_group_segment_fixed_size 0
		.amdhsa_private_segment_fixed_size 0
		.amdhsa_kernarg_size 3632
		.amdhsa_user_sgpr_count 6
		.amdhsa_user_sgpr_private_segment_buffer 1
		.amdhsa_user_sgpr_dispatch_ptr 0
		.amdhsa_user_sgpr_queue_ptr 0
		.amdhsa_user_sgpr_kernarg_segment_ptr 1
		.amdhsa_user_sgpr_dispatch_id 0
		.amdhsa_user_sgpr_flat_scratch_init 0
		.amdhsa_user_sgpr_private_segment_size 0
		.amdhsa_uses_dynamic_stack 0
		.amdhsa_system_sgpr_private_segment_wavefront_offset 0
		.amdhsa_system_sgpr_workgroup_id_x 1
		.amdhsa_system_sgpr_workgroup_id_y 0
		.amdhsa_system_sgpr_workgroup_id_z 0
		.amdhsa_system_sgpr_workgroup_info 0
		.amdhsa_system_vgpr_workitem_id 0
		.amdhsa_next_free_vgpr 28
		.amdhsa_next_free_sgpr 59
		.amdhsa_reserve_vcc 1
		.amdhsa_reserve_flat_scratch 0
		.amdhsa_float_round_mode_32 0
		.amdhsa_float_round_mode_16_64 0
		.amdhsa_float_denorm_mode_32 3
		.amdhsa_float_denorm_mode_16_64 3
		.amdhsa_dx10_clamp 1
		.amdhsa_ieee_mode 1
		.amdhsa_fp16_overflow 0
		.amdhsa_exception_fp_ieee_invalid_op 0
		.amdhsa_exception_fp_denorm_src 0
		.amdhsa_exception_fp_ieee_div_zero 0
		.amdhsa_exception_fp_ieee_overflow 0
		.amdhsa_exception_fp_ieee_underflow 0
		.amdhsa_exception_fp_ieee_inexact 0
		.amdhsa_exception_int_div_zero 0
	.end_amdhsa_kernel
	.section	.text._ZN2at6native12_GLOBAL__N_125multi_tensor_apply_kernelINS1_18TensorListMetadataILi1EEENS1_14UnaryOpFunctorIdLi1ELi1ELi0EEEJNS0_3ExpIdEEEEEvT_T0_DpT1_,"axG",@progbits,_ZN2at6native12_GLOBAL__N_125multi_tensor_apply_kernelINS1_18TensorListMetadataILi1EEENS1_14UnaryOpFunctorIdLi1ELi1ELi0EEEJNS0_3ExpIdEEEEEvT_T0_DpT1_,comdat
.Lfunc_end135:
	.size	_ZN2at6native12_GLOBAL__N_125multi_tensor_apply_kernelINS1_18TensorListMetadataILi1EEENS1_14UnaryOpFunctorIdLi1ELi1ELi0EEEJNS0_3ExpIdEEEEEvT_T0_DpT1_, .Lfunc_end135-_ZN2at6native12_GLOBAL__N_125multi_tensor_apply_kernelINS1_18TensorListMetadataILi1EEENS1_14UnaryOpFunctorIdLi1ELi1ELi0EEEJNS0_3ExpIdEEEEEvT_T0_DpT1_
                                        ; -- End function
	.set _ZN2at6native12_GLOBAL__N_125multi_tensor_apply_kernelINS1_18TensorListMetadataILi1EEENS1_14UnaryOpFunctorIdLi1ELi1ELi0EEEJNS0_3ExpIdEEEEEvT_T0_DpT1_.num_vgpr, 28
	.set _ZN2at6native12_GLOBAL__N_125multi_tensor_apply_kernelINS1_18TensorListMetadataILi1EEENS1_14UnaryOpFunctorIdLi1ELi1ELi0EEEJNS0_3ExpIdEEEEEvT_T0_DpT1_.num_agpr, 0
	.set _ZN2at6native12_GLOBAL__N_125multi_tensor_apply_kernelINS1_18TensorListMetadataILi1EEENS1_14UnaryOpFunctorIdLi1ELi1ELi0EEEJNS0_3ExpIdEEEEEvT_T0_DpT1_.numbered_sgpr, 59
	.set _ZN2at6native12_GLOBAL__N_125multi_tensor_apply_kernelINS1_18TensorListMetadataILi1EEENS1_14UnaryOpFunctorIdLi1ELi1ELi0EEEJNS0_3ExpIdEEEEEvT_T0_DpT1_.num_named_barrier, 0
	.set _ZN2at6native12_GLOBAL__N_125multi_tensor_apply_kernelINS1_18TensorListMetadataILi1EEENS1_14UnaryOpFunctorIdLi1ELi1ELi0EEEJNS0_3ExpIdEEEEEvT_T0_DpT1_.private_seg_size, 0
	.set _ZN2at6native12_GLOBAL__N_125multi_tensor_apply_kernelINS1_18TensorListMetadataILi1EEENS1_14UnaryOpFunctorIdLi1ELi1ELi0EEEJNS0_3ExpIdEEEEEvT_T0_DpT1_.uses_vcc, 1
	.set _ZN2at6native12_GLOBAL__N_125multi_tensor_apply_kernelINS1_18TensorListMetadataILi1EEENS1_14UnaryOpFunctorIdLi1ELi1ELi0EEEJNS0_3ExpIdEEEEEvT_T0_DpT1_.uses_flat_scratch, 0
	.set _ZN2at6native12_GLOBAL__N_125multi_tensor_apply_kernelINS1_18TensorListMetadataILi1EEENS1_14UnaryOpFunctorIdLi1ELi1ELi0EEEJNS0_3ExpIdEEEEEvT_T0_DpT1_.has_dyn_sized_stack, 0
	.set _ZN2at6native12_GLOBAL__N_125multi_tensor_apply_kernelINS1_18TensorListMetadataILi1EEENS1_14UnaryOpFunctorIdLi1ELi1ELi0EEEJNS0_3ExpIdEEEEEvT_T0_DpT1_.has_recursion, 0
	.set _ZN2at6native12_GLOBAL__N_125multi_tensor_apply_kernelINS1_18TensorListMetadataILi1EEENS1_14UnaryOpFunctorIdLi1ELi1ELi0EEEJNS0_3ExpIdEEEEEvT_T0_DpT1_.has_indirect_call, 0
	.section	.AMDGPU.csdata,"",@progbits
; Kernel info:
; codeLenInByte = 2760
; TotalNumSgprs: 63
; NumVgprs: 28
; ScratchSize: 0
; MemoryBound: 0
; FloatMode: 240
; IeeeMode: 1
; LDSByteSize: 0 bytes/workgroup (compile time only)
; SGPRBlocks: 7
; VGPRBlocks: 6
; NumSGPRsForWavesPerEU: 63
; NumVGPRsForWavesPerEU: 28
; Occupancy: 9
; WaveLimiterHint : 0
; COMPUTE_PGM_RSRC2:SCRATCH_EN: 0
; COMPUTE_PGM_RSRC2:USER_SGPR: 6
; COMPUTE_PGM_RSRC2:TRAP_HANDLER: 0
; COMPUTE_PGM_RSRC2:TGID_X_EN: 1
; COMPUTE_PGM_RSRC2:TGID_Y_EN: 0
; COMPUTE_PGM_RSRC2:TGID_Z_EN: 0
; COMPUTE_PGM_RSRC2:TIDIG_COMP_CNT: 0
	.section	.text._ZN2at6native12_GLOBAL__N_125multi_tensor_apply_kernelINS1_18TensorListMetadataILi1EEENS1_14UnaryOpFunctorIfLi1ELi1ELi0EEEJNS0_3ExpIfEEEEEvT_T0_DpT1_,"axG",@progbits,_ZN2at6native12_GLOBAL__N_125multi_tensor_apply_kernelINS1_18TensorListMetadataILi1EEENS1_14UnaryOpFunctorIfLi1ELi1ELi0EEEJNS0_3ExpIfEEEEEvT_T0_DpT1_,comdat
	.globl	_ZN2at6native12_GLOBAL__N_125multi_tensor_apply_kernelINS1_18TensorListMetadataILi1EEENS1_14UnaryOpFunctorIfLi1ELi1ELi0EEEJNS0_3ExpIfEEEEEvT_T0_DpT1_ ; -- Begin function _ZN2at6native12_GLOBAL__N_125multi_tensor_apply_kernelINS1_18TensorListMetadataILi1EEENS1_14UnaryOpFunctorIfLi1ELi1ELi0EEEJNS0_3ExpIfEEEEEvT_T0_DpT1_
	.p2align	8
	.type	_ZN2at6native12_GLOBAL__N_125multi_tensor_apply_kernelINS1_18TensorListMetadataILi1EEENS1_14UnaryOpFunctorIfLi1ELi1ELi0EEEJNS0_3ExpIfEEEEEvT_T0_DpT1_,@function
_ZN2at6native12_GLOBAL__N_125multi_tensor_apply_kernelINS1_18TensorListMetadataILi1EEENS1_14UnaryOpFunctorIfLi1ELi1ELi0EEEJNS0_3ExpIfEEEEEvT_T0_DpT1_: ; @_ZN2at6native12_GLOBAL__N_125multi_tensor_apply_kernelINS1_18TensorListMetadataILi1EEENS1_14UnaryOpFunctorIfLi1ELi1ELi0EEEJNS0_3ExpIfEEEEEvT_T0_DpT1_
; %bb.0:
	v_mov_b32_e32 v1, s6
	global_load_ubyte v1, v1, s[4:5] offset:1760
	s_add_u32 s0, s4, s6
	s_mul_hi_u32 s1, s6, 3
	s_mul_i32 s6, s6, 3
	s_addc_u32 s2, s5, 0
	s_add_u32 s0, s0, s6
	s_addc_u32 s1, s2, s1
	s_load_dword s0, s[0:1], 0x820
	s_mov_b32 s7, 0
	s_waitcnt vmcnt(0)
	v_readfirstlane_b32 s1, v1
	s_lshl_b32 s1, s1, 3
	s_load_dwordx2 s[2:3], s[4:5], s1 offset:0x370
	s_load_dwordx2 s[10:11], s[4:5], s1 offset:0x0
	s_waitcnt lgkmcnt(0)
	s_ashr_i32 s1, s0, 31
	s_lshl_b64 s[12:13], s[0:1], 18
	s_lshl_b64 s[0:1], s[0:1], 16
	s_and_b32 s6, s10, 15
	s_sub_u32 s14, s2, s0
	s_subb_u32 s15, s3, s1
	s_and_b32 s0, s2, 3
	s_mov_b32 s1, s7
	s_or_b64 s[0:1], s[6:7], s[0:1]
	s_cmp_eq_u64 s[0:1], 0
	s_cbranch_scc1 .LBB136_21
; %bb.1:
	v_cmp_lt_i64_e64 s[0:1], s[14:15], 1
	s_and_b64 vcc, exec, s[0:1]
	s_cbranch_vccnz .LBB136_20
; %bb.2:
	v_mov_b32_e32 v1, 0x10000
	s_load_dword s2, s[4:5], 0xd3c
	v_mov_b32_e32 v2, 0
	v_cmp_lt_i64_e32 vcc, s[14:15], v[1:2]
	s_mov_b64 s[20:21], 0
	s_and_b64 s[0:1], vcc, exec
	v_cmp_lt_u64_e32 vcc, s[14:15], v[1:2]
	s_cselect_b32 s17, s15, 0
	s_cselect_b32 s16, s14, 0x10000
	s_waitcnt lgkmcnt(0)
	s_and_b32 s2, s2, 0xffff
	s_and_b64 s[0:1], vcc, exec
	s_cselect_b32 s19, s15, 0
	s_cselect_b32 s18, s14, 0x10000
	s_lshl_b32 s3, s2, 1
	s_lshl_b32 s24, s2, 2
	s_add_u32 s6, s10, s12
	v_lshlrev_b32_e32 v1, 2, v0
	s_addc_u32 s7, s11, s13
	v_mov_b32_e32 v2, s7
	v_add_co_u32_e32 v1, vcc, s6, v1
	s_mul_i32 s0, s2, 3
	v_addc_co_u32_e32 v2, vcc, 0, v2, vcc
	v_add_co_u32_e32 v5, vcc, s0, v0
	v_addc_co_u32_e64 v6, s[0:1], 0, 0, vcc
	v_add_co_u32_e32 v7, vcc, s3, v0
	v_addc_co_u32_e64 v8, s[0:1], 0, 0, vcc
	v_add_co_u32_e32 v9, vcc, s2, v0
	v_lshlrev_b32_e32 v3, 2, v9
	v_addc_co_u32_e64 v10, s[0:1], 0, 0, vcc
	v_mov_b32_e32 v4, s7
	v_add_co_u32_e32 v3, vcc, s6, v3
	s_lshl_b32 s25, s2, 4
	s_mul_i32 s26, s2, 12
	s_lshl_b32 s27, s2, 3
	v_addc_co_u32_e32 v4, vcc, 0, v4, vcc
	s_mov_b32 s28, 0x3fb8aa3b
	s_mov_b32 s29, 0xc2ce8ed0
	;; [unrolled: 1-line block ×3, first 2 shown]
	v_mov_b32_e32 v11, 0x7f800000
	s_branch .LBB136_4
.LBB136_3:                              ;   in Loop: Header=BB136_4 Depth=1
	s_or_b64 exec, exec, s[0:1]
	s_add_u32 s20, s20, s24
	v_add_co_u32_e32 v1, vcc, s25, v1
	v_mov_b32_e32 v12, s16
	s_addc_u32 s21, s21, 0
	v_addc_co_u32_e32 v2, vcc, 0, v2, vcc
	v_mov_b32_e32 v13, s17
	v_cmp_lt_i64_e32 vcc, s[20:21], v[12:13]
	v_add_co_u32_e64 v3, s[0:1], s25, v3
	v_addc_co_u32_e64 v4, s[0:1], 0, v4, s[0:1]
	s_cbranch_vccz .LBB136_20
.LBB136_4:                              ; =>This Inner Loop Header: Depth=1
	v_mov_b32_e32 v13, s21
	v_add_co_u32_e32 v12, vcc, s20, v0
	v_addc_co_u32_e32 v13, vcc, 0, v13, vcc
	v_cmp_gt_u64_e32 vcc, s[18:19], v[12:13]
	v_mov_b32_e32 v12, 1.0
	v_mov_b32_e32 v13, 1.0
	s_and_saveexec_b64 s[2:3], vcc
	s_cbranch_execz .LBB136_6
; %bb.5:                                ;   in Loop: Header=BB136_4 Depth=1
	global_load_dword v13, v[1:2], off
	s_waitcnt vmcnt(0)
	v_mul_f32_e32 v14, 0x3fb8aa3b, v13
	v_rndne_f32_e32 v15, v14
	v_fma_f32 v16, v13, s28, -v14
	v_sub_f32_e32 v14, v14, v15
	v_fmac_f32_e32 v16, 0x32a5705f, v13
	v_add_f32_e32 v14, v14, v16
	v_cvt_i32_f32_e32 v15, v15
	v_exp_f32_e32 v14, v14
	v_cmp_ngt_f32_e64 s[0:1], s29, v13
	v_ldexp_f32 v14, v14, v15
	v_cndmask_b32_e64 v14, 0, v14, s[0:1]
	v_cmp_nlt_f32_e64 s[0:1], s30, v13
	v_cndmask_b32_e64 v13, v11, v14, s[0:1]
.LBB136_6:                              ;   in Loop: Header=BB136_4 Depth=1
	s_or_b64 exec, exec, s[2:3]
	v_mov_b32_e32 v15, s21
	v_add_co_u32_e64 v14, s[0:1], s20, v9
	v_addc_co_u32_e64 v15, s[0:1], v10, v15, s[0:1]
	v_cmp_gt_u64_e64 s[0:1], s[18:19], v[14:15]
	s_and_saveexec_b64 s[6:7], s[0:1]
	s_cbranch_execz .LBB136_8
; %bb.7:                                ;   in Loop: Header=BB136_4 Depth=1
	global_load_dword v12, v[3:4], off
	s_waitcnt vmcnt(0)
	v_mul_f32_e32 v14, 0x3fb8aa3b, v12
	v_rndne_f32_e32 v15, v14
	v_fma_f32 v16, v12, s28, -v14
	v_sub_f32_e32 v14, v14, v15
	v_fmac_f32_e32 v16, 0x32a5705f, v12
	v_add_f32_e32 v14, v14, v16
	v_cvt_i32_f32_e32 v15, v15
	v_exp_f32_e32 v14, v14
	v_cmp_ngt_f32_e64 s[2:3], s29, v12
	v_ldexp_f32 v14, v14, v15
	v_cndmask_b32_e64 v14, 0, v14, s[2:3]
	v_cmp_nlt_f32_e64 s[2:3], s30, v12
	v_cndmask_b32_e64 v12, v11, v14, s[2:3]
.LBB136_8:                              ;   in Loop: Header=BB136_4 Depth=1
	s_or_b64 exec, exec, s[6:7]
	v_mov_b32_e32 v15, s21
	v_add_co_u32_e64 v14, s[2:3], s20, v7
	v_addc_co_u32_e64 v15, s[2:3], v8, v15, s[2:3]
	v_cmp_gt_u64_e64 s[2:3], s[18:19], v[14:15]
	v_mov_b32_e32 v14, 1.0
	v_mov_b32_e32 v15, 1.0
	s_and_saveexec_b64 s[8:9], s[2:3]
	s_cbranch_execz .LBB136_10
; %bb.9:                                ;   in Loop: Header=BB136_4 Depth=1
	v_add_co_u32_e64 v15, s[6:7], s27, v1
	v_addc_co_u32_e64 v16, s[6:7], 0, v2, s[6:7]
	global_load_dword v15, v[15:16], off
	s_waitcnt vmcnt(0)
	v_mul_f32_e32 v16, 0x3fb8aa3b, v15
	v_fma_f32 v17, v15, s28, -v16
	v_rndne_f32_e32 v18, v16
	v_fmac_f32_e32 v17, 0x32a5705f, v15
	v_sub_f32_e32 v16, v16, v18
	v_add_f32_e32 v16, v16, v17
	v_cvt_i32_f32_e32 v18, v18
	v_exp_f32_e32 v16, v16
	v_cmp_ngt_f32_e64 s[6:7], s29, v15
	v_ldexp_f32 v16, v16, v18
	v_cndmask_b32_e64 v16, 0, v16, s[6:7]
	v_cmp_nlt_f32_e64 s[6:7], s30, v15
	v_cndmask_b32_e64 v15, v11, v16, s[6:7]
.LBB136_10:                             ;   in Loop: Header=BB136_4 Depth=1
	s_or_b64 exec, exec, s[8:9]
	v_mov_b32_e32 v17, s21
	v_add_co_u32_e64 v16, s[6:7], s20, v5
	v_addc_co_u32_e64 v17, s[6:7], v6, v17, s[6:7]
	v_cmp_gt_u64_e64 s[6:7], s[18:19], v[16:17]
	s_and_saveexec_b64 s[22:23], s[6:7]
	s_cbranch_execnz .LBB136_15
; %bb.11:                               ;   in Loop: Header=BB136_4 Depth=1
	s_or_b64 exec, exec, s[22:23]
	s_and_saveexec_b64 s[8:9], vcc
	s_cbranch_execnz .LBB136_16
.LBB136_12:                             ;   in Loop: Header=BB136_4 Depth=1
	s_or_b64 exec, exec, s[8:9]
	s_and_saveexec_b64 s[8:9], s[0:1]
	s_cbranch_execnz .LBB136_17
.LBB136_13:                             ;   in Loop: Header=BB136_4 Depth=1
	s_or_b64 exec, exec, s[8:9]
	s_and_saveexec_b64 s[0:1], s[2:3]
	s_cbranch_execnz .LBB136_18
.LBB136_14:                             ;   in Loop: Header=BB136_4 Depth=1
	s_or_b64 exec, exec, s[0:1]
	s_and_saveexec_b64 s[0:1], s[6:7]
	s_cbranch_execz .LBB136_3
	s_branch .LBB136_19
.LBB136_15:                             ;   in Loop: Header=BB136_4 Depth=1
	v_add_co_u32_e64 v16, s[8:9], s26, v1
	v_addc_co_u32_e64 v17, s[8:9], 0, v2, s[8:9]
	global_load_dword v14, v[16:17], off
	s_waitcnt vmcnt(0)
	v_mul_f32_e32 v16, 0x3fb8aa3b, v14
	v_fma_f32 v17, v14, s28, -v16
	v_rndne_f32_e32 v18, v16
	v_fmac_f32_e32 v17, 0x32a5705f, v14
	v_sub_f32_e32 v16, v16, v18
	v_add_f32_e32 v16, v16, v17
	v_cvt_i32_f32_e32 v18, v18
	v_exp_f32_e32 v16, v16
	v_cmp_ngt_f32_e64 s[8:9], s29, v14
	v_ldexp_f32 v16, v16, v18
	v_cndmask_b32_e64 v16, 0, v16, s[8:9]
	v_cmp_nlt_f32_e64 s[8:9], s30, v14
	v_cndmask_b32_e64 v14, v11, v16, s[8:9]
	s_or_b64 exec, exec, s[22:23]
	s_and_saveexec_b64 s[8:9], vcc
	s_cbranch_execz .LBB136_12
.LBB136_16:                             ;   in Loop: Header=BB136_4 Depth=1
	global_store_dword v[1:2], v13, off
	s_or_b64 exec, exec, s[8:9]
	s_and_saveexec_b64 s[8:9], s[0:1]
	s_cbranch_execz .LBB136_13
.LBB136_17:                             ;   in Loop: Header=BB136_4 Depth=1
	global_store_dword v[3:4], v12, off
	s_or_b64 exec, exec, s[8:9]
	s_and_saveexec_b64 s[0:1], s[2:3]
	s_cbranch_execz .LBB136_14
.LBB136_18:                             ;   in Loop: Header=BB136_4 Depth=1
	v_add_co_u32_e32 v12, vcc, s27, v1
	v_addc_co_u32_e32 v13, vcc, 0, v2, vcc
	global_store_dword v[12:13], v15, off
	s_or_b64 exec, exec, s[0:1]
	s_and_saveexec_b64 s[0:1], s[6:7]
	s_cbranch_execz .LBB136_3
.LBB136_19:                             ;   in Loop: Header=BB136_4 Depth=1
	v_add_co_u32_e32 v12, vcc, s26, v1
	v_addc_co_u32_e32 v13, vcc, 0, v2, vcc
	global_store_dword v[12:13], v14, off
	s_branch .LBB136_3
.LBB136_20:
	s_cbranch_execz .LBB136_22
	s_branch .LBB136_25
.LBB136_21:
.LBB136_22:
	v_mov_b32_e32 v1, 0x10000
	v_mov_b32_e32 v2, 0
	v_cmp_lt_i64_e32 vcc, s[14:15], v[1:2]
	v_mov_b32_e32 v2, 0
	s_and_b64 s[0:1], vcc, exec
	s_cselect_b32 s1, s15, 0
	s_cselect_b32 s0, s14, 0x10000
	v_lshlrev_b32_e32 v1, 2, v0
	v_cmp_gt_i64_e32 vcc, s[0:1], v[1:2]
	s_and_saveexec_b64 s[2:3], vcc
	s_cbranch_execz .LBB136_25
; %bb.23:
	s_load_dword s2, s[4:5], 0xd3c
	v_mov_b32_e32 v1, v2
	v_lshlrev_b32_e32 v2, 4, v0
	s_mov_b32 s6, 0x3fb8aa3b
	s_mov_b32 s7, 0xc2ce8ed0
	s_waitcnt lgkmcnt(0)
	s_and_b32 s4, s2, 0xffff
	s_add_u32 s2, s10, s12
	s_addc_u32 s3, s11, s13
	v_mov_b32_e32 v3, s3
	v_add_co_u32_e32 v2, vcc, s2, v2
	v_addc_co_u32_e32 v3, vcc, 0, v3, vcc
	v_add_co_u32_e32 v2, vcc, 8, v2
	v_addc_co_u32_e32 v3, vcc, 0, v3, vcc
	s_lshl_b32 s5, s4, 4
	s_mov_b64 s[2:3], 0
	s_mov_b32 s8, 0x42b17218
	v_mov_b32_e32 v4, 0x7f800000
.LBB136_24:                             ; =>This Inner Loop Header: Depth=1
	global_load_dwordx4 v[5:8], v[2:3], off offset:-8
	v_add_co_u32_e32 v0, vcc, s4, v0
	v_addc_co_u32_e32 v1, vcc, 0, v1, vcc
	v_lshlrev_b64 v[9:10], 2, v[0:1]
	v_cmp_le_i64_e32 vcc, s[0:1], v[9:10]
	s_or_b64 s[2:3], vcc, s[2:3]
	s_waitcnt vmcnt(0)
	v_mul_f32_e32 v9, 0x3fb8aa3b, v5
	v_mul_f32_e32 v10, 0x3fb8aa3b, v6
	v_rndne_f32_e32 v13, v9
	v_fma_f32 v14, v5, s6, -v9
	v_mul_f32_e32 v11, 0x3fb8aa3b, v7
	v_rndne_f32_e32 v15, v10
	v_fma_f32 v16, v6, s6, -v10
	v_sub_f32_e32 v9, v9, v13
	v_fmac_f32_e32 v14, 0x32a5705f, v5
	v_mul_f32_e32 v12, 0x3fb8aa3b, v8
	v_rndne_f32_e32 v17, v11
	v_fma_f32 v18, v7, s6, -v11
	v_add_f32_e32 v9, v9, v14
	v_sub_f32_e32 v10, v10, v15
	v_fmac_f32_e32 v16, 0x32a5705f, v6
	v_rndne_f32_e32 v19, v12
	v_fma_f32 v14, v8, s6, -v12
	v_cvt_i32_f32_e32 v13, v13
	v_sub_f32_e32 v11, v11, v17
	v_fmac_f32_e32 v18, 0x32a5705f, v7
	v_add_f32_e32 v10, v10, v16
	v_exp_f32_e32 v9, v9
	v_cvt_i32_f32_e32 v15, v15
	v_sub_f32_e32 v12, v12, v19
	v_fmac_f32_e32 v14, 0x32a5705f, v8
	v_add_f32_e32 v11, v11, v18
	v_exp_f32_e32 v10, v10
	v_cvt_i32_f32_e32 v17, v17
	v_add_f32_e32 v12, v12, v14
	v_exp_f32_e32 v11, v11
	v_cvt_i32_f32_e32 v19, v19
	v_exp_f32_e32 v12, v12
	v_ldexp_f32 v9, v9, v13
	v_cmp_ngt_f32_e32 vcc, s7, v5
	v_ldexp_f32 v10, v10, v15
	v_cndmask_b32_e32 v9, 0, v9, vcc
	v_cmp_ngt_f32_e32 vcc, s7, v6
	v_ldexp_f32 v11, v11, v17
	v_cndmask_b32_e32 v10, 0, v10, vcc
	;; [unrolled: 3-line block ×3, first 2 shown]
	v_cmp_ngt_f32_e32 vcc, s7, v8
	v_cndmask_b32_e32 v12, 0, v12, vcc
	v_cmp_nlt_f32_e32 vcc, s8, v5
	v_cndmask_b32_e32 v5, v4, v9, vcc
	v_cmp_nlt_f32_e32 vcc, s8, v6
	;; [unrolled: 2-line block ×4, first 2 shown]
	v_cndmask_b32_e32 v8, v4, v12, vcc
	global_store_dwordx4 v[2:3], v[5:8], off offset:-8
	v_add_co_u32_e32 v2, vcc, s5, v2
	v_addc_co_u32_e32 v3, vcc, 0, v3, vcc
	s_andn2_b64 exec, exec, s[2:3]
	s_cbranch_execnz .LBB136_24
.LBB136_25:
	s_endpgm
	.section	.rodata,"a",@progbits
	.p2align	6, 0x0
	.amdhsa_kernel _ZN2at6native12_GLOBAL__N_125multi_tensor_apply_kernelINS1_18TensorListMetadataILi1EEENS1_14UnaryOpFunctorIfLi1ELi1ELi0EEEJNS0_3ExpIfEEEEEvT_T0_DpT1_
		.amdhsa_group_segment_fixed_size 0
		.amdhsa_private_segment_fixed_size 0
		.amdhsa_kernarg_size 3632
		.amdhsa_user_sgpr_count 6
		.amdhsa_user_sgpr_private_segment_buffer 1
		.amdhsa_user_sgpr_dispatch_ptr 0
		.amdhsa_user_sgpr_queue_ptr 0
		.amdhsa_user_sgpr_kernarg_segment_ptr 1
		.amdhsa_user_sgpr_dispatch_id 0
		.amdhsa_user_sgpr_flat_scratch_init 0
		.amdhsa_user_sgpr_private_segment_size 0
		.amdhsa_uses_dynamic_stack 0
		.amdhsa_system_sgpr_private_segment_wavefront_offset 0
		.amdhsa_system_sgpr_workgroup_id_x 1
		.amdhsa_system_sgpr_workgroup_id_y 0
		.amdhsa_system_sgpr_workgroup_id_z 0
		.amdhsa_system_sgpr_workgroup_info 0
		.amdhsa_system_vgpr_workitem_id 0
		.amdhsa_next_free_vgpr 20
		.amdhsa_next_free_sgpr 31
		.amdhsa_reserve_vcc 1
		.amdhsa_reserve_flat_scratch 0
		.amdhsa_float_round_mode_32 0
		.amdhsa_float_round_mode_16_64 0
		.amdhsa_float_denorm_mode_32 3
		.amdhsa_float_denorm_mode_16_64 3
		.amdhsa_dx10_clamp 1
		.amdhsa_ieee_mode 1
		.amdhsa_fp16_overflow 0
		.amdhsa_exception_fp_ieee_invalid_op 0
		.amdhsa_exception_fp_denorm_src 0
		.amdhsa_exception_fp_ieee_div_zero 0
		.amdhsa_exception_fp_ieee_overflow 0
		.amdhsa_exception_fp_ieee_underflow 0
		.amdhsa_exception_fp_ieee_inexact 0
		.amdhsa_exception_int_div_zero 0
	.end_amdhsa_kernel
	.section	.text._ZN2at6native12_GLOBAL__N_125multi_tensor_apply_kernelINS1_18TensorListMetadataILi1EEENS1_14UnaryOpFunctorIfLi1ELi1ELi0EEEJNS0_3ExpIfEEEEEvT_T0_DpT1_,"axG",@progbits,_ZN2at6native12_GLOBAL__N_125multi_tensor_apply_kernelINS1_18TensorListMetadataILi1EEENS1_14UnaryOpFunctorIfLi1ELi1ELi0EEEJNS0_3ExpIfEEEEEvT_T0_DpT1_,comdat
.Lfunc_end136:
	.size	_ZN2at6native12_GLOBAL__N_125multi_tensor_apply_kernelINS1_18TensorListMetadataILi1EEENS1_14UnaryOpFunctorIfLi1ELi1ELi0EEEJNS0_3ExpIfEEEEEvT_T0_DpT1_, .Lfunc_end136-_ZN2at6native12_GLOBAL__N_125multi_tensor_apply_kernelINS1_18TensorListMetadataILi1EEENS1_14UnaryOpFunctorIfLi1ELi1ELi0EEEJNS0_3ExpIfEEEEEvT_T0_DpT1_
                                        ; -- End function
	.set _ZN2at6native12_GLOBAL__N_125multi_tensor_apply_kernelINS1_18TensorListMetadataILi1EEENS1_14UnaryOpFunctorIfLi1ELi1ELi0EEEJNS0_3ExpIfEEEEEvT_T0_DpT1_.num_vgpr, 20
	.set _ZN2at6native12_GLOBAL__N_125multi_tensor_apply_kernelINS1_18TensorListMetadataILi1EEENS1_14UnaryOpFunctorIfLi1ELi1ELi0EEEJNS0_3ExpIfEEEEEvT_T0_DpT1_.num_agpr, 0
	.set _ZN2at6native12_GLOBAL__N_125multi_tensor_apply_kernelINS1_18TensorListMetadataILi1EEENS1_14UnaryOpFunctorIfLi1ELi1ELi0EEEJNS0_3ExpIfEEEEEvT_T0_DpT1_.numbered_sgpr, 31
	.set _ZN2at6native12_GLOBAL__N_125multi_tensor_apply_kernelINS1_18TensorListMetadataILi1EEENS1_14UnaryOpFunctorIfLi1ELi1ELi0EEEJNS0_3ExpIfEEEEEvT_T0_DpT1_.num_named_barrier, 0
	.set _ZN2at6native12_GLOBAL__N_125multi_tensor_apply_kernelINS1_18TensorListMetadataILi1EEENS1_14UnaryOpFunctorIfLi1ELi1ELi0EEEJNS0_3ExpIfEEEEEvT_T0_DpT1_.private_seg_size, 0
	.set _ZN2at6native12_GLOBAL__N_125multi_tensor_apply_kernelINS1_18TensorListMetadataILi1EEENS1_14UnaryOpFunctorIfLi1ELi1ELi0EEEJNS0_3ExpIfEEEEEvT_T0_DpT1_.uses_vcc, 1
	.set _ZN2at6native12_GLOBAL__N_125multi_tensor_apply_kernelINS1_18TensorListMetadataILi1EEENS1_14UnaryOpFunctorIfLi1ELi1ELi0EEEJNS0_3ExpIfEEEEEvT_T0_DpT1_.uses_flat_scratch, 0
	.set _ZN2at6native12_GLOBAL__N_125multi_tensor_apply_kernelINS1_18TensorListMetadataILi1EEENS1_14UnaryOpFunctorIfLi1ELi1ELi0EEEJNS0_3ExpIfEEEEEvT_T0_DpT1_.has_dyn_sized_stack, 0
	.set _ZN2at6native12_GLOBAL__N_125multi_tensor_apply_kernelINS1_18TensorListMetadataILi1EEENS1_14UnaryOpFunctorIfLi1ELi1ELi0EEEJNS0_3ExpIfEEEEEvT_T0_DpT1_.has_recursion, 0
	.set _ZN2at6native12_GLOBAL__N_125multi_tensor_apply_kernelINS1_18TensorListMetadataILi1EEENS1_14UnaryOpFunctorIfLi1ELi1ELi0EEEJNS0_3ExpIfEEEEEvT_T0_DpT1_.has_indirect_call, 0
	.section	.AMDGPU.csdata,"",@progbits
; Kernel info:
; codeLenInByte = 1624
; TotalNumSgprs: 35
; NumVgprs: 20
; ScratchSize: 0
; MemoryBound: 0
; FloatMode: 240
; IeeeMode: 1
; LDSByteSize: 0 bytes/workgroup (compile time only)
; SGPRBlocks: 4
; VGPRBlocks: 4
; NumSGPRsForWavesPerEU: 35
; NumVGPRsForWavesPerEU: 20
; Occupancy: 10
; WaveLimiterHint : 0
; COMPUTE_PGM_RSRC2:SCRATCH_EN: 0
; COMPUTE_PGM_RSRC2:USER_SGPR: 6
; COMPUTE_PGM_RSRC2:TRAP_HANDLER: 0
; COMPUTE_PGM_RSRC2:TGID_X_EN: 1
; COMPUTE_PGM_RSRC2:TGID_Y_EN: 0
; COMPUTE_PGM_RSRC2:TGID_Z_EN: 0
; COMPUTE_PGM_RSRC2:TIDIG_COMP_CNT: 0
	.section	.text._ZN2at6native12_GLOBAL__N_125multi_tensor_apply_kernelINS1_18TensorListMetadataILi1EEENS1_14UnaryOpFunctorIN3c107complexIdEELi1ELi1ELi0EEEJNS0_3ExpIS8_EEEEEvT_T0_DpT1_,"axG",@progbits,_ZN2at6native12_GLOBAL__N_125multi_tensor_apply_kernelINS1_18TensorListMetadataILi1EEENS1_14UnaryOpFunctorIN3c107complexIdEELi1ELi1ELi0EEEJNS0_3ExpIS8_EEEEEvT_T0_DpT1_,comdat
	.globl	_ZN2at6native12_GLOBAL__N_125multi_tensor_apply_kernelINS1_18TensorListMetadataILi1EEENS1_14UnaryOpFunctorIN3c107complexIdEELi1ELi1ELi0EEEJNS0_3ExpIS8_EEEEEvT_T0_DpT1_ ; -- Begin function _ZN2at6native12_GLOBAL__N_125multi_tensor_apply_kernelINS1_18TensorListMetadataILi1EEENS1_14UnaryOpFunctorIN3c107complexIdEELi1ELi1ELi0EEEJNS0_3ExpIS8_EEEEEvT_T0_DpT1_
	.p2align	8
	.type	_ZN2at6native12_GLOBAL__N_125multi_tensor_apply_kernelINS1_18TensorListMetadataILi1EEENS1_14UnaryOpFunctorIN3c107complexIdEELi1ELi1ELi0EEEJNS0_3ExpIS8_EEEEEvT_T0_DpT1_,@function
_ZN2at6native12_GLOBAL__N_125multi_tensor_apply_kernelINS1_18TensorListMetadataILi1EEENS1_14UnaryOpFunctorIN3c107complexIdEELi1ELi1ELi0EEEJNS0_3ExpIS8_EEEEEvT_T0_DpT1_: ; @_ZN2at6native12_GLOBAL__N_125multi_tensor_apply_kernelINS1_18TensorListMetadataILi1EEENS1_14UnaryOpFunctorIN3c107complexIdEELi1ELi1ELi0EEEJNS0_3ExpIS8_EEEEEvT_T0_DpT1_
; %bb.0:
	v_mov_b32_e32 v1, s6
	global_load_ubyte v1, v1, s[4:5] offset:1760
	s_add_u32 s0, s4, s6
	s_mul_hi_u32 s1, s6, 3
	s_mul_i32 s6, s6, 3
	s_addc_u32 s2, s5, 0
	s_add_u32 s0, s0, s6
	s_addc_u32 s1, s2, s1
	s_load_dword s0, s[0:1], 0x820
                                        ; implicit-def: $vgpr77 : SGPR spill to VGPR lane
	s_waitcnt vmcnt(0)
	v_readfirstlane_b32 s1, v1
	s_lshl_b32 s1, s1, 3
	s_load_dwordx2 s[6:7], s[4:5], s1 offset:0x0
	v_writelane_b32 v77, s4, 0
	s_load_dwordx2 s[2:3], s[4:5], s1 offset:0x370
                                        ; kill: killed $sgpr1
	s_waitcnt lgkmcnt(0)
	s_ashr_i32 s1, s0, 31
	v_writelane_b32 v77, s5, 1
	s_lshl_b64 s[8:9], s[0:1], 20
	s_add_u32 s33, s6, s8
	v_writelane_b32 v77, s6, 2
	v_writelane_b32 v77, s7, 3
	;; [unrolled: 1-line block ×3, first 2 shown]
	s_addc_u32 s80, s7, s9
	s_lshl_b64 s[0:1], s[0:1], 16
	s_and_b32 s4, s33, 63
	s_mov_b32 s5, 0
	s_sub_u32 s6, s2, s0
	s_subb_u32 s7, s3, s1
	s_and_b32 s0, s2, 3
	s_mov_b32 s1, s5
	s_or_b64 s[0:1], s[4:5], s[0:1]
	s_cmp_eq_u64 s[0:1], 0
	v_writelane_b32 v77, s9, 5
	s_cbranch_scc1 .LBB137_197
; %bb.1:
	v_writelane_b32 v77, s6, 6
	v_cmp_lt_i64_e64 s[0:1], s[6:7], 1
	v_writelane_b32 v77, s7, 7
	s_and_b64 vcc, exec, s[0:1]
	s_cbranch_vccnz .LBB137_196
; %bb.2:
	v_readlane_b32 s0, v77, 0
	v_readlane_b32 s1, v77, 1
	v_mov_b32_e32 v1, 0x10000
	v_readlane_b32 s4, v77, 6
	s_load_dword s2, s[0:1], 0xd3c
	v_mov_b32_e32 v2, 0
	v_readlane_b32 s5, v77, 7
	v_cmp_lt_i64_e32 vcc, s[4:5], v[1:2]
	v_mov_b32_e32 v21, 0
	s_and_b64 s[0:1], vcc, exec
	v_cmp_lt_u64_e32 vcc, s[4:5], v[1:2]
	s_cselect_b32 s21, s5, 0
	s_cselect_b32 s20, s4, 0x10000
	s_waitcnt lgkmcnt(0)
	s_and_b32 s2, s2, 0xffff
	s_and_b64 s[0:1], vcc, exec
	s_cselect_b32 s22, s4, 0x10000
	s_mul_i32 s4, s2, 3
	v_add_co_u32_e32 v38, vcc, s2, v0
	v_lshlrev_b32_e32 v23, 4, v0
	v_mov_b32_e32 v24, v21
	v_addc_co_u32_e64 v39, s[0:1], 0, 0, vcc
	v_add_co_u32_e32 v40, vcc, s4, v0
	v_mad_u64_u32 v[24:25], s[0:1], s2, 48, v[23:24]
	v_addc_co_u32_e64 v41, s[0:1], 0, 0, vcc
	s_cselect_b32 s23, s5, 0
	s_lshl_b32 s0, s2, 5
	s_lshl_b32 s3, s2, 1
	v_add_co_u32_e32 v1, vcc, s0, v23
	v_addc_co_u32_e64 v43, s[0:1], 0, 0, vcc
	v_add_co_u32_e32 v45, vcc, s3, v0
	s_mov_b32 s24, 0x54442d18
	s_mov_b32 s28, 0x33145c00
	;; [unrolled: 1-line block ×25, first 2 shown]
	s_lshl_b32 s81, s2, 2
	s_lshl_b32 s82, s2, 6
	v_or_b32_e32 v24, 8, v24
	v_lshlrev_b32_e32 v42, 4, v38
	v_or_b32_e32 v44, 8, v1
	v_addc_co_u32_e64 v46, s[0:1], 0, 0, vcc
	s_mov_b32 s84, 0x7ff00000
	s_mov_b32 s25, 0xbff921fb
	;; [unrolled: 1-line block ×23, first 2 shown]
	v_mov_b32_e32 v47, 0x40100000
	v_mov_b32_e32 v48, 0x3ff00000
	v_mov_b32_e32 v49, 0x7ff00000
	v_mov_b32_e32 v50, 0x7ff80000
	s_mov_b32 s75, 0xbf2a01a0
	v_mov_b32_e32 v26, 0xfca7ab0c
	v_mov_b32_e32 v27, 0x3e928af3
	s_movk_i32 s85, 0xff80
	s_movk_i32 s83, 0x1f8
	s_mov_b64 s[78:79], 0
	s_mov_b32 s87, 0x3ff921fb
	s_mov_b32 s89, 0x3c91a626
	s_mov_b32 s90, 0x33145c07
	s_mov_b32 s92, 0x11122322
	s_mov_b32 s94, 0x555502a1
	s_mov_b32 s77, 0x40900000
	s_mov_b32 s15, 0xc090cc00
	s_mov_b32 s53, 0xbfc55555
	s_branch .LBB137_4
.LBB137_3:                              ;   in Loop: Header=BB137_4 Depth=1
	s_or_b64 exec, exec, s[0:1]
	s_add_u32 s78, s78, s81
	v_mov_b32_e32 v1, s20
	s_addc_u32 s79, s79, 0
	v_mov_b32_e32 v2, s21
	v_cmp_ge_i64_e32 vcc, s[78:79], v[1:2]
	s_add_u32 s33, s33, s82
	s_addc_u32 s80, s80, 0
	s_cbranch_vccnz .LBB137_196
.LBB137_4:                              ; =>This Inner Loop Header: Depth=1
	v_mov_b32_e32 v2, s79
	v_add_co_u32_e32 v1, vcc, s78, v0
	v_addc_co_u32_e32 v2, vcc, 0, v2, vcc
	v_cmp_gt_u64_e32 vcc, s[22:23], v[1:2]
	v_mov_b32_e32 v19, 0
	v_mov_b32_e32 v15, 0
	v_mov_b32_e32 v13, 0
	v_mov_b32_e32 v20, 0
	v_mov_b32_e32 v16, 0
	v_mov_b32_e32 v14, 0
	s_and_saveexec_b64 s[2:3], vcc
	s_cbranch_execz .LBB137_6
; %bb.5:                                ;   in Loop: Header=BB137_4 Depth=1
	v_mov_b32_e32 v2, s80
	v_add_co_u32_e64 v1, s[0:1], s33, v23
	v_addc_co_u32_e64 v2, s[0:1], 0, v2, s[0:1]
	global_load_dwordx4 v[13:16], v[1:2], off
.LBB137_6:                              ;   in Loop: Header=BB137_4 Depth=1
	s_or_b64 exec, exec, s[2:3]
	v_mov_b32_e32 v2, s79
	v_add_co_u32_e64 v1, s[0:1], s78, v38
	v_addc_co_u32_e64 v2, s[0:1], v39, v2, s[0:1]
	v_cmp_gt_u64_e64 s[0:1], s[22:23], v[1:2]
	v_mov_b32_e32 v17, 0
	v_mov_b32_e32 v18, 0
	s_and_saveexec_b64 s[4:5], s[0:1]
	s_cbranch_execz .LBB137_8
; %bb.7:                                ;   in Loop: Header=BB137_4 Depth=1
	v_mov_b32_e32 v2, s80
	v_add_co_u32_e64 v1, s[2:3], s33, v42
	v_addc_co_u32_e64 v2, s[2:3], 0, v2, s[2:3]
	global_load_dwordx4 v[17:20], v[1:2], off
.LBB137_8:                              ;   in Loop: Header=BB137_4 Depth=1
	s_or_b64 exec, exec, s[4:5]
	v_mov_b32_e32 v2, s79
	v_add_co_u32_e64 v1, s[2:3], s78, v45
	v_addc_co_u32_e64 v2, s[2:3], v46, v2, s[2:3]
	v_cmp_gt_u64_e64 s[2:3], s[22:23], v[1:2]
	v_mov_b32_e32 v3, 0
	v_mov_b32_e32 v11, 0
	;; [unrolled: 1-line block ×6, first 2 shown]
	s_and_saveexec_b64 s[4:5], s[2:3]
	s_cbranch_execz .LBB137_10
; %bb.9:                                ;   in Loop: Header=BB137_4 Depth=1
	v_mov_b32_e32 v2, s80
	v_add_co_u32_e64 v1, s[6:7], s33, v44
	v_addc_co_u32_e64 v2, s[6:7], v2, v43, s[6:7]
	global_load_dwordx4 v[9:12], v[1:2], off offset:-8
.LBB137_10:                             ;   in Loop: Header=BB137_4 Depth=1
	s_or_b64 exec, exec, s[4:5]
	v_mov_b32_e32 v2, s79
	v_add_co_u32_e64 v1, s[6:7], s78, v40
	v_addc_co_u32_e64 v2, s[6:7], v41, v2, s[6:7]
	v_cmp_gt_u64_e64 s[6:7], s[22:23], v[1:2]
	v_mov_b32_e32 v1, 0
	v_mov_b32_e32 v2, 0
	s_and_saveexec_b64 s[4:5], s[6:7]
	s_cbranch_execz .LBB137_12
; %bb.11:                               ;   in Loop: Header=BB137_4 Depth=1
	v_mov_b32_e32 v2, s80
	v_add_co_u32_e64 v1, s[8:9], s33, v24
	v_addc_co_u32_e64 v2, s[8:9], v2, v25, s[8:9]
	global_load_dwordx4 v[1:4], v[1:2], off offset:-8
.LBB137_12:                             ;   in Loop: Header=BB137_4 Depth=1
	s_or_b64 exec, exec, s[4:5]
	s_waitcnt vmcnt(0)
	v_and_b32_e32 v51, 0x7fffffff, v16
	v_or_b32_e32 v5, v51, v15
	v_cmp_ne_u32_e64 s[8:9], 0, v5
                                        ; implicit-def: $vgpr7_vgpr8
	s_and_saveexec_b64 s[4:5], s[8:9]
	s_xor_b64 s[18:19], exec, s[4:5]
	s_cbranch_execz .LBB137_53
; %bb.13:                               ;   in Loop: Header=BB137_4 Depth=1
	v_and_b32_e32 v22, 0x7fffffff, v14
	v_or_b32_e32 v5, v22, v13
	v_cmp_ne_u32_e64 s[8:9], 0, v5
                                        ; implicit-def: $vgpr7_vgpr8
	s_and_saveexec_b64 s[4:5], s[8:9]
	s_xor_b64 s[4:5], exec, s[4:5]
	s_cbranch_execz .LBB137_42
; %bb.14:                               ;   in Loop: Header=BB137_4 Depth=1
	v_cmp_gt_u32_e64 s[8:9], s84, v51
                                        ; implicit-def: $vgpr7_vgpr8
	s_and_saveexec_b64 s[10:11], s[8:9]
	s_xor_b64 s[26:27], exec, s[10:11]
	s_cbranch_execz .LBB137_35
; %bb.15:                               ;   in Loop: Header=BB137_4 Depth=1
	v_add_u32_e32 v5, 0xbf79d1be, v14
	s_mov_b32 s8, 0x108aa2
	v_cmp_lt_u32_e64 s[8:9], s8, v5
                                        ; implicit-def: $vgpr7_vgpr8
	s_and_saveexec_b64 s[10:11], s[8:9]
	s_xor_b64 s[12:13], exec, s[10:11]
	s_cbranch_execz .LBB137_25
; %bb.16:                               ;   in Loop: Header=BB137_4 Depth=1
	s_mov_b32 s8, 0
	s_mov_b32 s9, 0x41d00000
	v_cmp_nlt_f64_e64 s[10:11], |v[15:16]|, s[8:9]
	s_movk_i32 s52, 0xff80
                                        ; implicit-def: $vgpr34
                                        ; implicit-def: $vgpr5_vgpr6
                                        ; implicit-def: $vgpr32_vgpr33
	s_and_saveexec_b64 s[8:9], s[10:11]
	s_xor_b64 s[30:31], exec, s[8:9]
	s_cbranch_execz .LBB137_18
; %bb.17:                               ;   in Loop: Header=BB137_4 Depth=1
	v_trig_preop_f64 v[5:6], |v[15:16]|, 0
	s_mov_b32 s8, 0
	s_mov_b32 s9, 0x7b000000
	v_ldexp_f64 v[7:8], |v[15:16]|, s52
	v_cmp_ge_f64_e64 s[8:9], |v[15:16]|, s[8:9]
	v_trig_preop_f64 v[28:29], |v[15:16]|, 1
	v_trig_preop_f64 v[36:37], |v[15:16]|, 2
	s_mov_b32 s86, s24
	s_mov_b32 s91, s89
	v_cndmask_b32_e64 v8, v51, v8, s[8:9]
	v_cndmask_b32_e64 v7, v15, v7, s[8:9]
	s_mov_b32 s8, 0
	s_mov_b32 s9, 0x7ff00000
	v_mul_f64 v[30:31], v[5:6], v[7:8]
	v_mul_f64 v[32:33], v[28:29], v[7:8]
	;; [unrolled: 1-line block ×3, first 2 shown]
	v_fma_f64 v[5:6], v[5:6], v[7:8], -v[30:31]
	v_fma_f64 v[28:29], v[28:29], v[7:8], -v[32:33]
	;; [unrolled: 1-line block ×3, first 2 shown]
	v_add_f64 v[34:35], v[32:33], v[5:6]
	v_add_f64 v[52:53], v[34:35], -v[32:33]
	v_add_f64 v[58:59], v[30:31], v[34:35]
	v_add_f64 v[54:55], v[34:35], -v[52:53]
	v_add_f64 v[5:6], v[5:6], -v[52:53]
	v_add_f64 v[52:53], v[56:57], v[28:29]
	v_add_f64 v[30:31], v[58:59], -v[30:31]
	v_add_f64 v[32:33], v[32:33], -v[54:55]
	v_ldexp_f64 v[54:55], v[58:59], -2
	v_add_f64 v[60:61], v[52:53], -v[56:57]
	v_add_f64 v[30:31], v[34:35], -v[30:31]
	v_add_f64 v[5:6], v[5:6], v[32:33]
	v_fract_f64_e32 v[32:33], v[54:55]
	v_cmp_neq_f64_e64 s[8:9], |v[54:55]|, s[8:9]
	v_add_f64 v[28:29], v[28:29], -v[60:61]
	v_add_f64 v[34:35], v[52:53], v[5:6]
	v_ldexp_f64 v[32:33], v[32:33], 2
	v_add_f64 v[54:55], v[30:31], v[34:35]
	v_cndmask_b32_e64 v33, 0, v33, s[8:9]
	v_cndmask_b32_e64 v32, 0, v32, s[8:9]
	v_add_f64 v[62:63], v[34:35], -v[52:53]
	v_add_f64 v[58:59], v[54:55], v[32:33]
	v_add_f64 v[30:31], v[54:55], -v[30:31]
	v_add_f64 v[64:65], v[34:35], -v[62:63]
	;; [unrolled: 1-line block ×3, first 2 shown]
	v_cmp_gt_f64_e64 s[8:9], 0, v[58:59]
	v_add_f64 v[58:59], v[52:53], -v[60:61]
	v_add_f64 v[30:31], v[34:35], -v[30:31]
	v_add_f64 v[52:53], v[52:53], -v[64:65]
	v_cndmask_b32_e64 v22, 0, v47, s[8:9]
	v_add_f64 v[32:33], v[32:33], v[21:22]
	v_add_f64 v[58:59], v[56:57], -v[58:59]
	v_add_f64 v[5:6], v[5:6], v[52:53]
	v_add_f64 v[66:67], v[54:55], v[32:33]
	;; [unrolled: 1-line block ×3, first 2 shown]
	v_cvt_i32_f64_e32 v62, v[66:67]
	v_add_f64 v[5:6], v[28:29], v[5:6]
	v_cvt_f64_i32_e32 v[60:61], v62
	v_add_f64 v[32:33], v[32:33], -v[60:61]
	v_add_f64 v[5:6], v[7:8], v[5:6]
	v_add_f64 v[28:29], v[54:55], v[32:33]
	;; [unrolled: 1-line block ×3, first 2 shown]
	v_add_f64 v[7:8], v[28:29], -v[32:33]
	v_cmp_le_f64_e64 s[8:9], 0.5, v[28:29]
	v_add_f64 v[7:8], v[54:55], -v[7:8]
	v_cndmask_b32_e64 v22, 0, v48, s[8:9]
	v_addc_co_u32_e64 v34, s[8:9], 0, v62, s[8:9]
	v_add_f64 v[5:6], v[5:6], v[7:8]
	v_add_f64 v[7:8], v[28:29], -v[21:22]
	v_add_f64 v[28:29], v[7:8], v[5:6]
	v_mul_f64 v[30:31], v[28:29], s[86:87]
	v_add_f64 v[7:8], v[28:29], -v[7:8]
	v_fma_f64 v[32:33], v[28:29], s[86:87], -v[30:31]
	v_add_f64 v[5:6], v[5:6], -v[7:8]
	v_fma_f64 v[7:8], v[28:29], s[90:91], v[32:33]
	v_fma_f64 v[7:8], v[5:6], s[86:87], v[7:8]
	v_add_f64 v[5:6], v[30:31], v[7:8]
	v_add_f64 v[28:29], v[5:6], -v[30:31]
	v_add_f64 v[32:33], v[7:8], -v[28:29]
.LBB137_18:                             ;   in Loop: Header=BB137_4 Depth=1
	s_andn2_saveexec_b64 s[8:9], s[30:31]
	s_cbranch_execz .LBB137_20
; %bb.19:                               ;   in Loop: Header=BB137_4 Depth=1
	s_mov_b32 s30, 0x6dc9c883
	s_mov_b32 s31, 0x3fe45f30
	v_mul_f64 v[5:6], |v[15:16]|, s[30:31]
	s_mov_b32 s88, s28
	s_mov_b32 s30, 0x252049c0
	;; [unrolled: 1-line block ×3, first 2 shown]
	v_rndne_f64_e32 v[7:8], v[5:6]
	v_fma_f64 v[5:6], v[7:8], s[24:25], |v[15:16]|
	v_mul_f64 v[28:29], v[7:8], s[28:29]
	v_fma_f64 v[34:35], v[7:8], s[28:29], v[5:6]
	v_add_f64 v[30:31], v[5:6], v[28:29]
	v_add_f64 v[32:33], v[5:6], -v[30:31]
	v_add_f64 v[30:31], v[30:31], -v[34:35]
	v_add_f64 v[5:6], v[32:33], v[28:29]
	v_fma_f64 v[28:29], v[7:8], s[88:89], v[28:29]
	v_add_f64 v[5:6], v[30:31], v[5:6]
	v_add_f64 v[5:6], v[5:6], -v[28:29]
	v_fma_f64 v[28:29], v[7:8], s[30:31], v[5:6]
	v_add_f64 v[5:6], v[34:35], v[28:29]
	v_add_f64 v[30:31], v[5:6], -v[34:35]
	v_cvt_i32_f64_e32 v34, v[7:8]
	v_add_f64 v[32:33], v[28:29], -v[30:31]
.LBB137_20:                             ;   in Loop: Header=BB137_4 Depth=1
	s_or_b64 exec, exec, s[8:9]
                                        ; implicit-def: $vgpr22
                                        ; implicit-def: $vgpr28_vgpr29
                                        ; implicit-def: $vgpr30_vgpr31
	s_and_saveexec_b64 s[8:9], s[10:11]
	s_xor_b64 s[10:11], exec, s[8:9]
	s_mov_b32 s84, 0x7ff00000
	s_movk_i32 s85, 0xff80
	s_cbranch_execz .LBB137_22
; %bb.21:                               ;   in Loop: Header=BB137_4 Depth=1
	v_trig_preop_f64 v[7:8], |v[15:16]|, 0
	s_mov_b32 s8, 0
	s_mov_b32 s9, 0x7b000000
	v_ldexp_f64 v[28:29], |v[15:16]|, s85
	v_cmp_ge_f64_e64 s[8:9], |v[15:16]|, s[8:9]
	v_trig_preop_f64 v[30:31], |v[15:16]|, 1
	v_trig_preop_f64 v[55:56], |v[15:16]|, 2
	s_mov_b32 s86, s24
	s_mov_b32 s91, s89
	v_cndmask_b32_e64 v29, v51, v29, s[8:9]
	v_cndmask_b32_e64 v28, v15, v28, s[8:9]
	s_mov_b32 s8, 0
	s_mov_b32 s9, 0x7ff00000
	v_mul_f64 v[35:36], v[7:8], v[28:29]
	v_mul_f64 v[51:52], v[30:31], v[28:29]
	;; [unrolled: 1-line block ×3, first 2 shown]
	v_fma_f64 v[7:8], v[7:8], v[28:29], -v[35:36]
	v_fma_f64 v[30:31], v[30:31], v[28:29], -v[51:52]
	;; [unrolled: 1-line block ×3, first 2 shown]
	v_add_f64 v[53:54], v[51:52], v[7:8]
	v_add_f64 v[57:58], v[53:54], -v[51:52]
	v_add_f64 v[63:64], v[35:36], v[53:54]
	v_add_f64 v[59:60], v[53:54], -v[57:58]
	v_add_f64 v[7:8], v[7:8], -v[57:58]
	v_add_f64 v[57:58], v[61:62], v[30:31]
	v_add_f64 v[35:36], v[63:64], -v[35:36]
	v_add_f64 v[51:52], v[51:52], -v[59:60]
	v_ldexp_f64 v[59:60], v[63:64], -2
	v_add_f64 v[65:66], v[57:58], -v[61:62]
	v_add_f64 v[35:36], v[53:54], -v[35:36]
	v_add_f64 v[7:8], v[7:8], v[51:52]
	v_fract_f64_e32 v[51:52], v[59:60]
	v_cmp_neq_f64_e64 s[8:9], |v[59:60]|, s[8:9]
	v_add_f64 v[30:31], v[30:31], -v[65:66]
	v_add_f64 v[53:54], v[57:58], v[7:8]
	v_ldexp_f64 v[51:52], v[51:52], 2
	v_add_f64 v[59:60], v[35:36], v[53:54]
	v_cndmask_b32_e64 v52, 0, v52, s[8:9]
	v_cndmask_b32_e64 v51, 0, v51, s[8:9]
	v_add_f64 v[67:68], v[53:54], -v[57:58]
	v_add_f64 v[63:64], v[59:60], v[51:52]
	v_add_f64 v[35:36], v[59:60], -v[35:36]
	v_add_f64 v[69:70], v[53:54], -v[67:68]
	;; [unrolled: 1-line block ×3, first 2 shown]
	v_cmp_gt_f64_e64 s[8:9], 0, v[63:64]
	v_add_f64 v[63:64], v[57:58], -v[65:66]
	v_add_f64 v[35:36], v[53:54], -v[35:36]
	;; [unrolled: 1-line block ×3, first 2 shown]
	v_cndmask_b32_e64 v22, 0, v47, s[8:9]
	v_add_f64 v[51:52], v[51:52], v[21:22]
	v_add_f64 v[63:64], v[61:62], -v[63:64]
	v_add_f64 v[7:8], v[7:8], v[57:58]
	v_add_f64 v[71:72], v[59:60], v[51:52]
	;; [unrolled: 1-line block ×3, first 2 shown]
	v_cvt_i32_f64_e32 v37, v[71:72]
	v_add_f64 v[7:8], v[30:31], v[7:8]
	v_cvt_f64_i32_e32 v[65:66], v37
	v_add_f64 v[51:52], v[51:52], -v[65:66]
	v_add_f64 v[7:8], v[28:29], v[7:8]
	v_add_f64 v[30:31], v[59:60], v[51:52]
	;; [unrolled: 1-line block ×3, first 2 shown]
	v_add_f64 v[28:29], v[30:31], -v[51:52]
	v_cmp_le_f64_e64 s[8:9], 0.5, v[30:31]
	v_add_f64 v[28:29], v[59:60], -v[28:29]
	v_cndmask_b32_e64 v22, 0, v48, s[8:9]
	v_add_f64 v[7:8], v[7:8], v[28:29]
	v_add_f64 v[28:29], v[30:31], -v[21:22]
	v_addc_co_u32_e64 v22, s[8:9], 0, v37, s[8:9]
	v_add_f64 v[30:31], v[28:29], v[7:8]
	v_mul_f64 v[35:36], v[30:31], s[86:87]
	v_add_f64 v[28:29], v[30:31], -v[28:29]
	v_fma_f64 v[51:52], v[30:31], s[86:87], -v[35:36]
	v_add_f64 v[7:8], v[7:8], -v[28:29]
	v_fma_f64 v[28:29], v[30:31], s[90:91], v[51:52]
	v_fma_f64 v[7:8], v[7:8], s[86:87], v[28:29]
	v_add_f64 v[28:29], v[35:36], v[7:8]
	v_add_f64 v[30:31], v[28:29], -v[35:36]
	v_add_f64 v[30:31], v[7:8], -v[30:31]
.LBB137_22:                             ;   in Loop: Header=BB137_4 Depth=1
	s_andn2_saveexec_b64 s[8:9], s[10:11]
	s_cbranch_execz .LBB137_24
; %bb.23:                               ;   in Loop: Header=BB137_4 Depth=1
	s_mov_b32 s10, 0x6dc9c883
	s_mov_b32 s11, 0x3fe45f30
	v_mul_f64 v[7:8], |v[15:16]|, s[10:11]
	s_mov_b32 s88, s28
	s_mov_b32 s10, 0x252049c0
	;; [unrolled: 1-line block ×3, first 2 shown]
	v_rndne_f64_e32 v[7:8], v[7:8]
	v_fma_f64 v[28:29], v[7:8], s[24:25], |v[15:16]|
	v_mul_f64 v[30:31], v[7:8], s[28:29]
	v_cvt_i32_f64_e32 v22, v[7:8]
	v_fma_f64 v[53:54], v[7:8], s[28:29], v[28:29]
	v_add_f64 v[35:36], v[28:29], v[30:31]
	v_add_f64 v[51:52], v[28:29], -v[35:36]
	v_add_f64 v[35:36], v[35:36], -v[53:54]
	v_add_f64 v[28:29], v[51:52], v[30:31]
	v_fma_f64 v[30:31], v[7:8], s[88:89], v[30:31]
	v_add_f64 v[28:29], v[35:36], v[28:29]
	v_add_f64 v[28:29], v[28:29], -v[30:31]
	v_fma_f64 v[30:31], v[7:8], s[10:11], v[28:29]
	v_add_f64 v[28:29], v[53:54], v[30:31]
	v_add_f64 v[35:36], v[28:29], -v[53:54]
	v_add_f64 v[30:31], v[30:31], -v[35:36]
.LBB137_24:                             ;   in Loop: Header=BB137_4 Depth=1
	s_or_b64 exec, exec, s[8:9]
	v_mul_f64 v[7:8], v[13:14], s[34:35]
	s_mov_b32 s93, s51
	s_mov_b32 s95, s17
	v_cmp_nlt_f64_e64 s[8:9], s[76:77], v[13:14]
	v_cmp_ngt_f64_e64 s[10:11], s[14:15], v[13:14]
	v_mov_b32_e32 v55, s58
	v_mov_b32_e32 v56, s59
	v_mul_f64 v[59:60], v[32:33], 0.5
	v_rndne_f64_e32 v[7:8], v[7:8]
	s_mov_b32 s52, s16
	v_fma_f64 v[35:36], v[7:8], s[36:37], v[13:14]
	v_mul_f64 v[13:14], v[5:6], v[5:6]
	v_fma_f64 v[35:36], v[7:8], s[38:39], v[35:36]
	v_cvt_i32_f64_e32 v7, v[7:8]
	v_fma_f64 v[57:58], v[13:14], s[60:61], v[55:56]
	v_fma_f64 v[51:52], v[35:36], s[40:41], v[26:27]
	;; [unrolled: 1-line block ×14, first 2 shown]
	v_fma_f64 v[51:52], v[35:36], v[51:52], 1.0
	v_fma_f64 v[35:36], v[35:36], v[51:52], 1.0
	v_ldexp_f64 v[7:8], v[35:36], v7
	v_mul_f64 v[35:36], v[13:14], 0.5
	v_cndmask_b32_e64 v8, v49, v8, s[8:9]
	v_add_f64 v[51:52], -v[35:36], 1.0
	s_and_b64 s[8:9], s[10:11], s[8:9]
	v_cndmask_b32_e64 v7, 0, v7, s[8:9]
	v_cndmask_b32_e64 v8, 0, v8, s[10:11]
	v_add_f64 v[53:54], -v[51:52], 1.0
	v_add_f64 v[35:36], v[53:54], -v[35:36]
	v_mul_f64 v[53:54], v[13:14], v[13:14]
	v_fma_f64 v[35:36], v[5:6], -v[32:33], v[35:36]
	v_fma_f64 v[35:36], v[53:54], v[57:58], v[35:36]
	v_mul_f64 v[57:58], v[5:6], -v[13:14]
	v_add_f64 v[35:36], v[51:52], v[35:36]
	v_mov_b32_e32 v51, s68
	v_mov_b32_e32 v52, s69
	v_fma_f64 v[53:54], v[13:14], s[70:71], v[51:52]
	v_fma_f64 v[53:54], v[13:14], v[53:54], s[72:73]
	v_fma_f64 v[53:54], v[13:14], v[53:54], s[74:75]
	v_fma_f64 v[53:54], v[13:14], v[53:54], s[50:51]
	v_fma_f64 v[53:54], v[57:58], v[53:54], v[59:60]
	v_fma_f64 v[13:14], v[13:14], v[53:54], -v[32:33]
	v_fma_f64 v[13:14], v[57:58], s[52:53], v[13:14]
	v_add_f64 v[5:6], v[5:6], -v[13:14]
	v_and_b32_e32 v13, 1, v34
	v_cmp_eq_u32_e64 s[8:9], 0, v13
	v_lshlrev_b32_e32 v13, 30, v34
	v_and_b32_e32 v13, 0x80000000, v13
	v_xor_b32_e32 v6, 0x80000000, v6
	v_cndmask_b32_e64 v6, v6, v36, s[8:9]
	v_xor_b32_e32 v6, v6, v13
	v_mul_f64 v[13:14], v[28:29], v[28:29]
	v_cndmask_b32_e64 v5, v5, v35, s[8:9]
	v_cmp_class_f64_e64 s[8:9], v[15:16], s83
	v_and_b32_e32 v15, 1, v22
	v_cmp_eq_u32_e64 s[10:11], 0, v15
	v_lshlrev_b32_e32 v15, 30, v22
	v_xor_b32_e32 v15, v15, v16
	v_and_b32_e32 v15, 0x80000000, v15
	v_mul_f64 v[32:33], v[13:14], 0.5
	v_fma_f64 v[53:54], v[13:14], s[60:61], v[55:56]
	v_cndmask_b32_e64 v5, 0, v5, s[8:9]
	v_cndmask_b32_e64 v6, v50, v6, s[8:9]
	v_mul_f64 v[5:6], v[7:8], v[5:6]
	v_add_f64 v[34:35], -v[32:33], 1.0
	v_fma_f64 v[53:54], v[13:14], v[53:54], s[62:63]
	v_add_f64 v[36:37], -v[34:35], 1.0
	v_fma_f64 v[53:54], v[13:14], v[53:54], s[64:65]
	v_add_f64 v[32:33], v[36:37], -v[32:33]
	v_fma_f64 v[53:54], v[13:14], v[53:54], s[66:67]
	v_mul_f64 v[36:37], v[13:14], v[13:14]
	v_fma_f64 v[32:33], v[28:29], -v[30:31], v[32:33]
	v_fma_f64 v[53:54], v[13:14], v[53:54], s[16:17]
	v_fma_f64 v[32:33], v[36:37], v[53:54], v[32:33]
	v_mul_f64 v[36:37], v[28:29], -v[13:14]
	v_add_f64 v[32:33], v[34:35], v[32:33]
	v_fma_f64 v[34:35], v[13:14], s[70:71], v[51:52]
	v_mul_f64 v[51:52], v[30:31], 0.5
	v_fma_f64 v[34:35], v[13:14], v[34:35], s[72:73]
	v_fma_f64 v[34:35], v[13:14], v[34:35], s[74:75]
	;; [unrolled: 1-line block ×4, first 2 shown]
                                        ; implicit-def: $vgpr51
	v_fma_f64 v[13:14], v[13:14], v[34:35], -v[30:31]
	v_fma_f64 v[13:14], v[36:37], s[52:53], v[13:14]
	v_add_f64 v[13:14], v[28:29], -v[13:14]
	v_cndmask_b32_e64 v14, v33, v14, s[10:11]
	v_cndmask_b32_e64 v13, v32, v13, s[10:11]
	v_xor_b32_e32 v14, v14, v15
	v_cndmask_b32_e64 v13, 0, v13, s[8:9]
	v_cndmask_b32_e64 v14, v50, v14, s[8:9]
	v_mul_f64 v[7:8], v[7:8], v[13:14]
                                        ; implicit-def: $vgpr15_vgpr16
.LBB137_25:                             ;   in Loop: Header=BB137_4 Depth=1
	s_andn2_saveexec_b64 s[30:31], s[12:13]
	s_cbranch_execz .LBB137_195
; %bb.26:                               ;   in Loop: Header=BB137_4 Depth=1
	s_mov_b32 s8, 0
	s_mov_b32 s9, 0x41d00000
	v_cmp_nlt_f64_e64 s[10:11], |v[15:16]|, s[8:9]
	s_movk_i32 s52, 0xff80
                                        ; implicit-def: $vgpr37
                                        ; implicit-def: $vgpr5_vgpr6
                                        ; implicit-def: $vgpr30_vgpr31
	s_and_saveexec_b64 s[8:9], s[10:11]
	s_xor_b64 s[12:13], exec, s[8:9]
	s_cbranch_execz .LBB137_28
; %bb.27:                               ;   in Loop: Header=BB137_4 Depth=1
	v_trig_preop_f64 v[5:6], |v[15:16]|, 0
	s_mov_b32 s8, 0
	s_mov_b32 s9, 0x7b000000
	v_ldexp_f64 v[7:8], |v[15:16]|, s52
	v_cmp_ge_f64_e64 s[8:9], |v[15:16]|, s[8:9]
	v_trig_preop_f64 v[28:29], |v[15:16]|, 1
	v_trig_preop_f64 v[36:37], |v[15:16]|, 2
	s_mov_b32 s86, s24
	s_mov_b32 s91, s89
	v_cndmask_b32_e64 v8, v51, v8, s[8:9]
	v_cndmask_b32_e64 v7, v15, v7, s[8:9]
	s_mov_b32 s8, 0
	s_mov_b32 s9, 0x7ff00000
	v_mul_f64 v[30:31], v[5:6], v[7:8]
	v_mul_f64 v[32:33], v[28:29], v[7:8]
	;; [unrolled: 1-line block ×3, first 2 shown]
	v_fma_f64 v[5:6], v[5:6], v[7:8], -v[30:31]
	v_fma_f64 v[28:29], v[28:29], v[7:8], -v[32:33]
	;; [unrolled: 1-line block ×3, first 2 shown]
	v_add_f64 v[34:35], v[32:33], v[5:6]
	v_add_f64 v[52:53], v[34:35], -v[32:33]
	v_add_f64 v[58:59], v[30:31], v[34:35]
	v_add_f64 v[54:55], v[34:35], -v[52:53]
	v_add_f64 v[5:6], v[5:6], -v[52:53]
	v_add_f64 v[52:53], v[56:57], v[28:29]
	v_add_f64 v[30:31], v[58:59], -v[30:31]
	v_add_f64 v[32:33], v[32:33], -v[54:55]
	v_ldexp_f64 v[54:55], v[58:59], -2
	v_add_f64 v[60:61], v[52:53], -v[56:57]
	v_add_f64 v[30:31], v[34:35], -v[30:31]
	v_add_f64 v[5:6], v[5:6], v[32:33]
	v_fract_f64_e32 v[32:33], v[54:55]
	v_cmp_neq_f64_e64 s[8:9], |v[54:55]|, s[8:9]
	v_add_f64 v[28:29], v[28:29], -v[60:61]
	v_add_f64 v[34:35], v[52:53], v[5:6]
	v_ldexp_f64 v[32:33], v[32:33], 2
	v_add_f64 v[54:55], v[30:31], v[34:35]
	v_cndmask_b32_e64 v33, 0, v33, s[8:9]
	v_cndmask_b32_e64 v32, 0, v32, s[8:9]
	v_add_f64 v[62:63], v[34:35], -v[52:53]
	v_add_f64 v[58:59], v[54:55], v[32:33]
	v_add_f64 v[30:31], v[54:55], -v[30:31]
	v_add_f64 v[64:65], v[34:35], -v[62:63]
	;; [unrolled: 1-line block ×3, first 2 shown]
	v_cmp_gt_f64_e64 s[8:9], 0, v[58:59]
	v_add_f64 v[58:59], v[52:53], -v[60:61]
	v_add_f64 v[30:31], v[34:35], -v[30:31]
	;; [unrolled: 1-line block ×3, first 2 shown]
	v_cndmask_b32_e64 v22, 0, v47, s[8:9]
	v_add_f64 v[32:33], v[32:33], v[21:22]
	v_add_f64 v[58:59], v[56:57], -v[58:59]
	v_add_f64 v[5:6], v[5:6], v[52:53]
	v_add_f64 v[66:67], v[54:55], v[32:33]
	;; [unrolled: 1-line block ×3, first 2 shown]
	v_cvt_i32_f64_e32 v62, v[66:67]
	v_add_f64 v[5:6], v[28:29], v[5:6]
	v_cvt_f64_i32_e32 v[60:61], v62
	v_add_f64 v[32:33], v[32:33], -v[60:61]
	v_add_f64 v[5:6], v[7:8], v[5:6]
	v_add_f64 v[28:29], v[54:55], v[32:33]
	;; [unrolled: 1-line block ×3, first 2 shown]
	v_add_f64 v[7:8], v[28:29], -v[32:33]
	v_cmp_le_f64_e64 s[8:9], 0.5, v[28:29]
	v_add_f64 v[7:8], v[54:55], -v[7:8]
	v_cndmask_b32_e64 v22, 0, v48, s[8:9]
	v_addc_co_u32_e64 v37, s[8:9], 0, v62, s[8:9]
	v_add_f64 v[5:6], v[5:6], v[7:8]
	v_add_f64 v[7:8], v[28:29], -v[21:22]
	v_add_f64 v[28:29], v[7:8], v[5:6]
	v_mul_f64 v[30:31], v[28:29], s[86:87]
	v_add_f64 v[7:8], v[28:29], -v[7:8]
	v_fma_f64 v[32:33], v[28:29], s[86:87], -v[30:31]
	v_add_f64 v[5:6], v[5:6], -v[7:8]
	v_fma_f64 v[7:8], v[28:29], s[90:91], v[32:33]
	v_fma_f64 v[7:8], v[5:6], s[86:87], v[7:8]
	v_add_f64 v[5:6], v[30:31], v[7:8]
	v_add_f64 v[28:29], v[5:6], -v[30:31]
	v_add_f64 v[30:31], v[7:8], -v[28:29]
.LBB137_28:                             ;   in Loop: Header=BB137_4 Depth=1
	s_andn2_saveexec_b64 s[8:9], s[12:13]
	s_cbranch_execz .LBB137_30
; %bb.29:                               ;   in Loop: Header=BB137_4 Depth=1
	s_mov_b32 s12, 0x6dc9c883
	s_mov_b32 s13, 0x3fe45f30
	v_mul_f64 v[5:6], |v[15:16]|, s[12:13]
	s_mov_b32 s88, s28
	s_mov_b32 s12, 0x252049c0
	;; [unrolled: 1-line block ×3, first 2 shown]
	v_rndne_f64_e32 v[7:8], v[5:6]
	v_fma_f64 v[5:6], v[7:8], s[24:25], |v[15:16]|
	v_mul_f64 v[28:29], v[7:8], s[28:29]
	v_cvt_i32_f64_e32 v37, v[7:8]
	v_fma_f64 v[34:35], v[7:8], s[28:29], v[5:6]
	v_add_f64 v[30:31], v[5:6], v[28:29]
	v_add_f64 v[32:33], v[5:6], -v[30:31]
	v_add_f64 v[30:31], v[30:31], -v[34:35]
	v_add_f64 v[5:6], v[32:33], v[28:29]
	v_fma_f64 v[28:29], v[7:8], s[88:89], v[28:29]
	v_add_f64 v[5:6], v[30:31], v[5:6]
	v_add_f64 v[5:6], v[5:6], -v[28:29]
	v_fma_f64 v[28:29], v[7:8], s[12:13], v[5:6]
	v_add_f64 v[5:6], v[34:35], v[28:29]
	v_add_f64 v[30:31], v[5:6], -v[34:35]
	v_add_f64 v[30:31], v[28:29], -v[30:31]
.LBB137_30:                             ;   in Loop: Header=BB137_4 Depth=1
	s_or_b64 exec, exec, s[8:9]
                                        ; implicit-def: $vgpr36
                                        ; implicit-def: $vgpr7_vgpr8
                                        ; implicit-def: $vgpr28_vgpr29
	s_and_saveexec_b64 s[8:9], s[10:11]
	s_xor_b64 s[10:11], exec, s[8:9]
	s_mov_b32 s84, 0x7ff00000
	s_movk_i32 s85, 0xff80
	s_cbranch_execz .LBB137_32
; %bb.31:                               ;   in Loop: Header=BB137_4 Depth=1
	v_trig_preop_f64 v[7:8], |v[15:16]|, 0
	s_mov_b32 s8, 0
	s_mov_b32 s9, 0x7b000000
	v_ldexp_f64 v[28:29], |v[15:16]|, s85
	v_cmp_ge_f64_e64 s[8:9], |v[15:16]|, s[8:9]
	v_trig_preop_f64 v[32:33], |v[15:16]|, 1
	v_trig_preop_f64 v[55:56], |v[15:16]|, 2
	s_mov_b32 s86, s24
	s_mov_b32 s91, s89
	v_cndmask_b32_e64 v29, v51, v29, s[8:9]
	v_cndmask_b32_e64 v28, v15, v28, s[8:9]
	s_mov_b32 s8, 0
	s_mov_b32 s9, 0x7ff00000
	v_mul_f64 v[34:35], v[7:8], v[28:29]
	v_mul_f64 v[51:52], v[32:33], v[28:29]
	;; [unrolled: 1-line block ×3, first 2 shown]
	v_fma_f64 v[7:8], v[7:8], v[28:29], -v[34:35]
	v_fma_f64 v[32:33], v[32:33], v[28:29], -v[51:52]
	;; [unrolled: 1-line block ×3, first 2 shown]
	v_add_f64 v[53:54], v[51:52], v[7:8]
	v_add_f64 v[57:58], v[53:54], -v[51:52]
	v_add_f64 v[63:64], v[34:35], v[53:54]
	v_add_f64 v[59:60], v[53:54], -v[57:58]
	v_add_f64 v[7:8], v[7:8], -v[57:58]
	v_add_f64 v[57:58], v[61:62], v[32:33]
	v_add_f64 v[34:35], v[63:64], -v[34:35]
	v_add_f64 v[51:52], v[51:52], -v[59:60]
	v_ldexp_f64 v[59:60], v[63:64], -2
	v_add_f64 v[65:66], v[57:58], -v[61:62]
	v_add_f64 v[34:35], v[53:54], -v[34:35]
	v_add_f64 v[7:8], v[7:8], v[51:52]
	v_fract_f64_e32 v[51:52], v[59:60]
	v_cmp_neq_f64_e64 s[8:9], |v[59:60]|, s[8:9]
	v_add_f64 v[32:33], v[32:33], -v[65:66]
	v_add_f64 v[53:54], v[57:58], v[7:8]
	v_ldexp_f64 v[51:52], v[51:52], 2
	v_add_f64 v[59:60], v[34:35], v[53:54]
	v_cndmask_b32_e64 v52, 0, v52, s[8:9]
	v_cndmask_b32_e64 v51, 0, v51, s[8:9]
	v_add_f64 v[67:68], v[53:54], -v[57:58]
	v_add_f64 v[63:64], v[59:60], v[51:52]
	v_add_f64 v[34:35], v[59:60], -v[34:35]
	v_add_f64 v[69:70], v[53:54], -v[67:68]
	;; [unrolled: 1-line block ×3, first 2 shown]
	v_cmp_gt_f64_e64 s[8:9], 0, v[63:64]
	v_add_f64 v[63:64], v[57:58], -v[65:66]
	v_add_f64 v[34:35], v[53:54], -v[34:35]
	;; [unrolled: 1-line block ×3, first 2 shown]
	v_cndmask_b32_e64 v22, 0, v47, s[8:9]
	v_add_f64 v[51:52], v[51:52], v[21:22]
	v_add_f64 v[63:64], v[61:62], -v[63:64]
	v_add_f64 v[7:8], v[7:8], v[57:58]
	v_add_f64 v[71:72], v[59:60], v[51:52]
	;; [unrolled: 1-line block ×3, first 2 shown]
	v_cvt_i32_f64_e32 v36, v[71:72]
	v_add_f64 v[7:8], v[32:33], v[7:8]
	v_cvt_f64_i32_e32 v[65:66], v36
	v_add_f64 v[51:52], v[51:52], -v[65:66]
	v_add_f64 v[7:8], v[28:29], v[7:8]
	v_add_f64 v[32:33], v[59:60], v[51:52]
	;; [unrolled: 1-line block ×3, first 2 shown]
	v_add_f64 v[28:29], v[32:33], -v[51:52]
	v_cmp_le_f64_e64 s[8:9], 0.5, v[32:33]
	v_add_f64 v[28:29], v[59:60], -v[28:29]
	v_cndmask_b32_e64 v22, 0, v48, s[8:9]
	v_addc_co_u32_e64 v36, s[8:9], 0, v36, s[8:9]
	v_add_f64 v[7:8], v[7:8], v[28:29]
	v_add_f64 v[28:29], v[32:33], -v[21:22]
	v_add_f64 v[32:33], v[28:29], v[7:8]
	v_mul_f64 v[34:35], v[32:33], s[86:87]
	v_add_f64 v[28:29], v[32:33], -v[28:29]
	v_fma_f64 v[51:52], v[32:33], s[86:87], -v[34:35]
	v_add_f64 v[7:8], v[7:8], -v[28:29]
	v_fma_f64 v[28:29], v[32:33], s[90:91], v[51:52]
	v_fma_f64 v[28:29], v[7:8], s[86:87], v[28:29]
	v_add_f64 v[7:8], v[34:35], v[28:29]
	v_add_f64 v[32:33], v[7:8], -v[34:35]
	v_add_f64 v[28:29], v[28:29], -v[32:33]
.LBB137_32:                             ;   in Loop: Header=BB137_4 Depth=1
	s_andn2_saveexec_b64 s[8:9], s[10:11]
	s_cbranch_execz .LBB137_34
; %bb.33:                               ;   in Loop: Header=BB137_4 Depth=1
	s_mov_b32 s10, 0x6dc9c883
	s_mov_b32 s11, 0x3fe45f30
	v_mul_f64 v[7:8], |v[15:16]|, s[10:11]
	s_mov_b32 s88, s28
	s_mov_b32 s10, 0x252049c0
	;; [unrolled: 1-line block ×3, first 2 shown]
	v_rndne_f64_e32 v[32:33], v[7:8]
	v_fma_f64 v[7:8], v[32:33], s[24:25], |v[15:16]|
	v_mul_f64 v[28:29], v[32:33], s[28:29]
	v_cvt_i32_f64_e32 v36, v[32:33]
	v_fma_f64 v[53:54], v[32:33], s[28:29], v[7:8]
	v_add_f64 v[34:35], v[7:8], v[28:29]
	v_add_f64 v[51:52], v[7:8], -v[34:35]
	v_add_f64 v[34:35], v[34:35], -v[53:54]
	v_add_f64 v[7:8], v[51:52], v[28:29]
	v_fma_f64 v[28:29], v[32:33], s[88:89], v[28:29]
	v_add_f64 v[7:8], v[34:35], v[7:8]
	v_add_f64 v[7:8], v[7:8], -v[28:29]
	v_fma_f64 v[28:29], v[32:33], s[10:11], v[7:8]
	v_add_f64 v[7:8], v[53:54], v[28:29]
	v_add_f64 v[34:35], v[7:8], -v[53:54]
	v_add_f64 v[28:29], v[28:29], -v[34:35]
.LBB137_34:                             ;   in Loop: Header=BB137_4 Depth=1
	s_or_b64 exec, exec, s[8:9]
	v_mul_f64 v[51:52], v[5:6], v[5:6]
	v_mov_b32_e32 v34, s58
	v_mov_b32_e32 v35, s59
	s_mov_b32 s52, s16
	v_cmp_class_f64_e64 s[8:9], v[15:16], s83
	v_and_b32_e32 v15, 1, v37
	v_cmp_eq_u32_e64 s[10:11], 0, v15
	s_mov_b32 s93, s51
	v_mul_f64 v[32:33], v[51:52], 0.5
	v_fma_f64 v[57:58], v[51:52], s[60:61], v[34:35]
	v_mul_f64 v[55:56], v[51:52], v[51:52]
	s_mov_b32 s95, s17
	v_lshlrev_b32_e32 v15, 30, v37
	v_and_b32_e32 v15, 0x80000000, v15
	v_add_f64 v[53:54], -v[32:33], 1.0
	v_fma_f64 v[57:58], v[51:52], v[57:58], s[62:63]
	v_add_f64 v[59:60], -v[53:54], 1.0
	v_fma_f64 v[57:58], v[51:52], v[57:58], s[64:65]
	v_add_f64 v[32:33], v[59:60], -v[32:33]
	v_fma_f64 v[57:58], v[51:52], v[57:58], s[66:67]
	v_mul_f64 v[59:60], v[30:31], 0.5
	v_fma_f64 v[32:33], v[5:6], -v[30:31], v[32:33]
	v_fma_f64 v[57:58], v[51:52], v[57:58], s[16:17]
	v_fma_f64 v[32:33], v[55:56], v[57:58], v[32:33]
	v_mul_f64 v[55:56], v[5:6], -v[51:52]
	v_add_f64 v[53:54], v[53:54], v[32:33]
	v_mov_b32_e32 v32, s68
	v_mov_b32_e32 v33, s69
	v_fma_f64 v[57:58], v[51:52], s[70:71], v[32:33]
	v_fma_f64 v[57:58], v[51:52], v[57:58], s[72:73]
	;; [unrolled: 1-line block ×5, first 2 shown]
	v_fma_f64 v[30:31], v[51:52], v[57:58], -v[30:31]
	v_fma_f64 v[30:31], v[55:56], s[52:53], v[30:31]
	v_add_f64 v[5:6], v[5:6], -v[30:31]
	v_xor_b32_e32 v6, 0x80000000, v6
	v_cndmask_b32_e64 v5, v5, v53, s[10:11]
	v_cndmask_b32_e64 v6, v6, v54, s[10:11]
	s_mov_b32 s10, 0x19ba0da4
	s_mov_b32 s11, 0xc0937be3
	v_add_f64 v[13:14], v[13:14], s[10:11]
	v_xor_b32_e32 v6, v6, v15
	v_cndmask_b32_e64 v5, 0, v5, s[8:9]
	v_cndmask_b32_e64 v6, v50, v6, s[8:9]
	v_mul_f64 v[30:31], v[13:14], s[34:35]
	v_cmp_nlt_f64_e64 s[10:11], s[76:77], v[13:14]
	v_cmp_ngt_f64_e64 s[12:13], s[14:15], v[13:14]
	v_rndne_f64_e32 v[30:31], v[30:31]
	v_fma_f64 v[51:52], v[30:31], s[36:37], v[13:14]
	v_cvt_i32_f64_e32 v15, v[30:31]
	v_fma_f64 v[51:52], v[30:31], s[38:39], v[51:52]
	v_fma_f64 v[53:54], v[51:52], s[40:41], v[26:27]
	;; [unrolled: 1-line block ×10, first 2 shown]
	v_fma_f64 v[53:54], v[51:52], v[53:54], 1.0
	v_fma_f64 v[51:52], v[51:52], v[53:54], 1.0
	v_ldexp_f64 v[30:31], v[51:52], v15
	v_mul_f64 v[51:52], v[7:8], v[7:8]
	v_cndmask_b32_e64 v15, v49, v31, s[10:11]
	v_mul_f64 v[53:54], v[51:52], 0.5
	v_fma_f64 v[34:35], v[51:52], s[60:61], v[34:35]
	v_fma_f64 v[32:33], v[51:52], s[70:71], v[32:33]
	s_and_b64 s[10:11], s[12:13], s[10:11]
	v_cndmask_b32_e64 v13, 0, v15, s[12:13]
	v_and_b32_e32 v15, 1, v36
	v_cndmask_b32_e64 v30, 0, v30, s[10:11]
	v_cmp_eq_u32_e64 s[10:11], 0, v15
	v_add_f64 v[55:56], -v[53:54], 1.0
	v_fma_f64 v[34:35], v[51:52], v[34:35], s[62:63]
	v_fma_f64 v[32:33], v[51:52], v[32:33], s[72:73]
	v_lshlrev_b32_e32 v15, 30, v36
	v_xor_b32_e32 v15, v15, v16
	v_and_b32_e32 v15, 0x80000000, v15
	v_and_b32_e32 v14, 0xfffff, v13
	v_or_b32_e32 v31, 0x7fe00000, v14
	v_add_f64 v[57:58], -v[55:56], 1.0
	v_fma_f64 v[34:35], v[51:52], v[34:35], s[64:65]
	v_fma_f64 v[32:33], v[51:52], v[32:33], s[74:75]
	v_mul_f64 v[5:6], v[30:31], v[5:6]
	v_lshrrev_b32_e32 v13, 20, v13
	v_add_u32_e32 v13, 0xffffff09, v13
	v_lshrrev_b16_e32 v14, 15, v13
	v_add_u16_e32 v14, v13, v14
	v_add_f64 v[53:54], v[57:58], -v[53:54]
	v_fma_f64 v[34:35], v[51:52], v[34:35], s[66:67]
	v_mul_f64 v[57:58], v[51:52], v[51:52]
	v_fma_f64 v[32:33], v[51:52], v[32:33], s[50:51]
	v_ashrrev_i16_e32 v14, 1, v14
	v_bfe_i32 v14, v14, 0, 16
	v_lshl_add_u32 v22, v14, 20, v48
	v_mul_f64 v[5:6], v[5:6], v[21:22]
	v_fma_f64 v[53:54], v[7:8], -v[28:29], v[53:54]
	v_fma_f64 v[34:35], v[51:52], v[34:35], s[16:17]
	v_sub_u32_e32 v13, v13, v14
	v_lshl_add_u32 v14, v13, 20, v48
	v_mov_b32_e32 v13, v21
	v_mul_f64 v[5:6], v[5:6], v[13:14]
	v_fma_f64 v[34:35], v[57:58], v[34:35], v[53:54]
	v_mul_f64 v[53:54], v[7:8], -v[51:52]
	v_add_f64 v[34:35], v[55:56], v[34:35]
	v_mul_f64 v[55:56], v[28:29], 0.5
	v_fma_f64 v[32:33], v[53:54], v[32:33], v[55:56]
	v_fma_f64 v[28:29], v[51:52], v[32:33], -v[28:29]
	v_fma_f64 v[28:29], v[53:54], s[52:53], v[28:29]
	v_add_f64 v[7:8], v[7:8], -v[28:29]
	v_cndmask_b32_e64 v8, v35, v8, s[10:11]
	v_cndmask_b32_e64 v7, v34, v7, s[10:11]
	v_xor_b32_e32 v8, v8, v15
	v_cndmask_b32_e64 v7, 0, v7, s[8:9]
	v_cndmask_b32_e64 v8, v50, v8, s[8:9]
	v_mul_f64 v[7:8], v[30:31], v[7:8]
	v_mul_f64 v[7:8], v[7:8], v[21:22]
	;; [unrolled: 1-line block ×3, first 2 shown]
	s_or_b64 exec, exec, s[30:31]
                                        ; implicit-def: $vgpr13_vgpr14
                                        ; implicit-def: $vgpr22
.LBB137_35:                             ;   in Loop: Header=BB137_4 Depth=1
	s_andn2_saveexec_b64 s[12:13], s[26:27]
	s_cbranch_execz .LBB137_41
.LBB137_36:                             ;   in Loop: Header=BB137_4 Depth=1
	v_add_f64 v[7:8], v[15:16], -v[15:16]
	v_cmp_ne_u32_e64 s[8:9], 0, v13
	v_cmp_ne_u32_e64 s[10:11], s84, v22
	s_or_b64 s[8:9], s[8:9], s[10:11]
	s_and_saveexec_b64 s[10:11], s[8:9]
	s_xor_b64 s[8:9], exec, s[10:11]
; %bb.37:                               ;   in Loop: Header=BB137_4 Depth=1
                                        ; implicit-def: $vgpr13_vgpr14
; %bb.38:                               ;   in Loop: Header=BB137_4 Depth=1
	s_or_saveexec_b64 s[10:11], s[8:9]
	v_mov_b32_e32 v5, v7
	v_mov_b32_e32 v6, v8
	s_xor_b64 exec, exec, s[10:11]
; %bb.39:                               ;   in Loop: Header=BB137_4 Depth=1
	v_cmp_lt_i64_e64 s[8:9], -1, v[13:14]
	v_cndmask_b32_e64 v6, 0, v14, s[8:9]
	v_cndmask_b32_e64 v5, 0, v13, s[8:9]
	;; [unrolled: 1-line block ×4, first 2 shown]
; %bb.40:                               ;   in Loop: Header=BB137_4 Depth=1
	s_or_b64 exec, exec, s[10:11]
.LBB137_41:                             ;   in Loop: Header=BB137_4 Depth=1
	s_or_b64 exec, exec, s[12:13]
                                        ; implicit-def: $vgpr15_vgpr16
                                        ; implicit-def: $vgpr51
.LBB137_42:                             ;   in Loop: Header=BB137_4 Depth=1
	s_andn2_saveexec_b64 s[4:5], s[4:5]
	s_cbranch_execz .LBB137_52
; %bb.43:                               ;   in Loop: Header=BB137_4 Depth=1
	v_trig_preop_f64 v[30:31], |v[15:16]|, 0
	v_trig_preop_f64 v[28:29], |v[15:16]|, 1
	;; [unrolled: 1-line block ×3, first 2 shown]
	s_mov_b32 s8, 0
	s_mov_b32 s9, 0x41d00000
	v_cmp_nlt_f64_e64 s[10:11], |v[15:16]|, s[8:9]
	v_ldexp_f64 v[34:35], |v[15:16]|, s85
                                        ; implicit-def: $vgpr52
                                        ; implicit-def: $vgpr5_vgpr6
                                        ; implicit-def: $vgpr7_vgpr8
	s_and_saveexec_b64 s[8:9], s[10:11]
	s_xor_b64 s[12:13], exec, s[8:9]
	s_cbranch_execz .LBB137_45
; %bb.44:                               ;   in Loop: Header=BB137_4 Depth=1
	s_mov_b32 s8, 0
	s_mov_b32 s9, 0x7b000000
	v_cmp_ge_f64_e64 s[8:9], |v[15:16]|, s[8:9]
	s_mov_b32 s86, s24
	s_mov_b32 s91, s89
	v_cndmask_b32_e64 v6, v51, v35, s[8:9]
	v_cndmask_b32_e64 v5, v15, v34, s[8:9]
	v_mul_f64 v[7:8], v[30:31], v[5:6]
	v_mul_f64 v[32:33], v[28:29], v[5:6]
	;; [unrolled: 1-line block ×3, first 2 shown]
	s_mov_b32 s8, 0
	s_mov_b32 s9, 0x7ff00000
	v_fma_f64 v[36:37], v[30:31], v[5:6], -v[7:8]
	v_fma_f64 v[60:61], v[28:29], v[5:6], -v[32:33]
	;; [unrolled: 1-line block ×3, first 2 shown]
	v_add_f64 v[52:53], v[32:33], v[36:37]
	v_add_f64 v[54:55], v[52:53], -v[32:33]
	v_add_f64 v[62:63], v[7:8], v[52:53]
	v_add_f64 v[56:57], v[52:53], -v[54:55]
	v_add_f64 v[36:37], v[36:37], -v[54:55]
	v_add_f64 v[54:55], v[58:59], v[60:61]
	v_add_f64 v[7:8], v[62:63], -v[7:8]
	v_add_f64 v[32:33], v[32:33], -v[56:57]
	v_ldexp_f64 v[56:57], v[62:63], -2
	v_add_f64 v[64:65], v[54:55], -v[58:59]
	v_add_f64 v[7:8], v[52:53], -v[7:8]
	v_add_f64 v[32:33], v[36:37], v[32:33]
	v_fract_f64_e32 v[36:37], v[56:57]
	v_cmp_neq_f64_e64 s[8:9], |v[56:57]|, s[8:9]
	v_add_f64 v[60:61], v[60:61], -v[64:65]
	v_add_f64 v[52:53], v[54:55], v[32:33]
	v_ldexp_f64 v[36:37], v[36:37], 2
	v_add_f64 v[56:57], v[7:8], v[52:53]
	v_cndmask_b32_e64 v37, 0, v37, s[8:9]
	v_cndmask_b32_e64 v36, 0, v36, s[8:9]
	v_add_f64 v[66:67], v[52:53], -v[54:55]
	v_add_f64 v[62:63], v[56:57], v[36:37]
	v_add_f64 v[7:8], v[56:57], -v[7:8]
	v_add_f64 v[68:69], v[52:53], -v[66:67]
	;; [unrolled: 1-line block ×3, first 2 shown]
	v_cmp_gt_f64_e64 s[8:9], 0, v[62:63]
	v_add_f64 v[62:63], v[54:55], -v[64:65]
	v_add_f64 v[7:8], v[52:53], -v[7:8]
	;; [unrolled: 1-line block ×3, first 2 shown]
	v_cndmask_b32_e64 v22, 0, v47, s[8:9]
	v_add_f64 v[36:37], v[36:37], v[21:22]
	v_add_f64 v[62:63], v[58:59], -v[62:63]
	v_add_f64 v[32:33], v[32:33], v[54:55]
	v_add_f64 v[70:71], v[56:57], v[36:37]
	;; [unrolled: 1-line block ×3, first 2 shown]
	v_cvt_i32_f64_e32 v66, v[70:71]
	v_add_f64 v[32:33], v[60:61], v[32:33]
	v_cvt_f64_i32_e32 v[64:65], v66
	v_add_f64 v[36:37], v[36:37], -v[64:65]
	v_add_f64 v[5:6], v[5:6], v[32:33]
	v_add_f64 v[54:55], v[56:57], v[36:37]
	;; [unrolled: 1-line block ×3, first 2 shown]
	v_add_f64 v[32:33], v[54:55], -v[36:37]
	v_cmp_le_f64_e64 s[8:9], 0.5, v[54:55]
	v_add_f64 v[7:8], v[56:57], -v[32:33]
	v_cndmask_b32_e64 v22, 0, v48, s[8:9]
	v_add_f64 v[5:6], v[5:6], v[7:8]
	v_add_f64 v[7:8], v[54:55], -v[21:22]
	v_add_f64 v[32:33], v[7:8], v[5:6]
	v_mul_f64 v[36:37], v[32:33], s[86:87]
	v_add_f64 v[7:8], v[32:33], -v[7:8]
	v_fma_f64 v[52:53], v[32:33], s[86:87], -v[36:37]
	v_add_f64 v[5:6], v[5:6], -v[7:8]
	v_fma_f64 v[7:8], v[32:33], s[90:91], v[52:53]
	v_addc_co_u32_e64 v52, s[8:9], 0, v66, s[8:9]
	v_fma_f64 v[7:8], v[5:6], s[86:87], v[7:8]
	v_add_f64 v[5:6], v[36:37], v[7:8]
	v_add_f64 v[32:33], v[5:6], -v[36:37]
	v_add_f64 v[7:8], v[7:8], -v[32:33]
	s_andn2_saveexec_b64 s[8:9], s[12:13]
	s_cbranch_execz .LBB137_47
	s_branch .LBB137_46
.LBB137_45:                             ;   in Loop: Header=BB137_4 Depth=1
	s_andn2_saveexec_b64 s[8:9], s[12:13]
	s_cbranch_execz .LBB137_47
.LBB137_46:                             ;   in Loop: Header=BB137_4 Depth=1
	s_mov_b32 s12, 0x6dc9c883
	s_mov_b32 s13, 0x3fe45f30
	v_mul_f64 v[5:6], |v[15:16]|, s[12:13]
	s_mov_b32 s88, s28
	s_mov_b32 s12, 0x252049c0
	;; [unrolled: 1-line block ×3, first 2 shown]
	v_rndne_f64_e32 v[32:33], v[5:6]
	v_fma_f64 v[5:6], v[32:33], s[24:25], |v[15:16]|
	v_mul_f64 v[7:8], v[32:33], s[28:29]
	v_fma_f64 v[54:55], v[32:33], s[28:29], v[5:6]
	v_add_f64 v[36:37], v[5:6], v[7:8]
	v_add_f64 v[52:53], v[5:6], -v[36:37]
	v_add_f64 v[36:37], v[36:37], -v[54:55]
	v_add_f64 v[5:6], v[52:53], v[7:8]
	v_fma_f64 v[7:8], v[32:33], s[88:89], v[7:8]
	v_cvt_i32_f64_e32 v52, v[32:33]
	v_add_f64 v[5:6], v[36:37], v[5:6]
	v_add_f64 v[5:6], v[5:6], -v[7:8]
	v_fma_f64 v[7:8], v[32:33], s[12:13], v[5:6]
	v_add_f64 v[5:6], v[54:55], v[7:8]
	v_add_f64 v[36:37], v[5:6], -v[54:55]
	v_add_f64 v[7:8], v[7:8], -v[36:37]
.LBB137_47:                             ;   in Loop: Header=BB137_4 Depth=1
	s_or_b64 exec, exec, s[8:9]
                                        ; implicit-def: $vgpr22
                                        ; implicit-def: $vgpr32_vgpr33
                                        ; implicit-def: $vgpr36_vgpr37
	s_and_saveexec_b64 s[8:9], s[10:11]
	s_xor_b64 s[10:11], exec, s[8:9]
	s_cbranch_execz .LBB137_49
; %bb.48:                               ;   in Loop: Header=BB137_4 Depth=1
	s_mov_b32 s8, 0
	s_mov_b32 s9, 0x7b000000
	v_cmp_ge_f64_e64 s[8:9], |v[15:16]|, s[8:9]
	s_mov_b32 s86, s24
	s_mov_b32 s91, s89
	v_cndmask_b32_e64 v33, v51, v35, s[8:9]
	v_cndmask_b32_e64 v32, v15, v34, s[8:9]
	v_mul_f64 v[34:35], v[30:31], v[32:33]
	v_mul_f64 v[36:37], v[28:29], v[32:33]
	v_mul_f64 v[59:60], v[13:14], v[32:33]
	s_mov_b32 s8, 0
	s_mov_b32 s9, 0x7ff00000
	v_fma_f64 v[30:31], v[30:31], v[32:33], -v[34:35]
	v_fma_f64 v[28:29], v[28:29], v[32:33], -v[36:37]
	;; [unrolled: 1-line block ×3, first 2 shown]
	v_add_f64 v[53:54], v[36:37], v[30:31]
	v_add_f64 v[55:56], v[53:54], -v[36:37]
	v_add_f64 v[61:62], v[34:35], v[53:54]
	v_add_f64 v[57:58], v[53:54], -v[55:56]
	v_add_f64 v[30:31], v[30:31], -v[55:56]
	v_add_f64 v[55:56], v[59:60], v[28:29]
	v_add_f64 v[34:35], v[61:62], -v[34:35]
	v_add_f64 v[36:37], v[36:37], -v[57:58]
	v_ldexp_f64 v[57:58], v[61:62], -2
	v_add_f64 v[63:64], v[55:56], -v[59:60]
	v_add_f64 v[34:35], v[53:54], -v[34:35]
	v_add_f64 v[30:31], v[30:31], v[36:37]
	v_fract_f64_e32 v[36:37], v[57:58]
	v_cmp_neq_f64_e64 s[8:9], |v[57:58]|, s[8:9]
	v_add_f64 v[28:29], v[28:29], -v[63:64]
	v_add_f64 v[53:54], v[55:56], v[30:31]
	v_ldexp_f64 v[36:37], v[36:37], 2
	v_add_f64 v[57:58], v[34:35], v[53:54]
	v_cndmask_b32_e64 v37, 0, v37, s[8:9]
	v_cndmask_b32_e64 v36, 0, v36, s[8:9]
	v_add_f64 v[65:66], v[53:54], -v[55:56]
	v_add_f64 v[61:62], v[57:58], v[36:37]
	v_add_f64 v[32:33], v[57:58], -v[34:35]
	v_add_f64 v[67:68], v[53:54], -v[65:66]
	;; [unrolled: 1-line block ×3, first 2 shown]
	v_cmp_gt_f64_e64 s[8:9], 0, v[61:62]
	v_add_f64 v[61:62], v[55:56], -v[63:64]
	v_add_f64 v[32:33], v[53:54], -v[32:33]
	;; [unrolled: 1-line block ×3, first 2 shown]
	v_cndmask_b32_e64 v22, 0, v47, s[8:9]
	v_add_f64 v[36:37], v[36:37], v[21:22]
	v_add_f64 v[61:62], v[59:60], -v[61:62]
	v_add_f64 v[30:31], v[30:31], v[55:56]
	v_add_f64 v[69:70], v[57:58], v[36:37]
	;; [unrolled: 1-line block ×3, first 2 shown]
	v_cvt_i32_f64_e32 v51, v[69:70]
	v_add_f64 v[28:29], v[28:29], v[30:31]
	v_cvt_f64_i32_e32 v[63:64], v51
	v_add_f64 v[36:37], v[36:37], -v[63:64]
	v_add_f64 v[13:14], v[13:14], v[28:29]
	v_add_f64 v[30:31], v[57:58], v[36:37]
	;; [unrolled: 1-line block ×3, first 2 shown]
	v_add_f64 v[28:29], v[30:31], -v[36:37]
	v_cmp_le_f64_e64 s[8:9], 0.5, v[30:31]
	v_add_f64 v[28:29], v[57:58], -v[28:29]
	v_cndmask_b32_e64 v22, 0, v48, s[8:9]
	v_add_f64 v[13:14], v[13:14], v[28:29]
	v_add_f64 v[28:29], v[30:31], -v[21:22]
	v_addc_co_u32_e64 v22, s[8:9], 0, v51, s[8:9]
	v_add_f64 v[30:31], v[28:29], v[13:14]
	v_mul_f64 v[34:35], v[30:31], s[86:87]
	v_add_f64 v[28:29], v[30:31], -v[28:29]
	v_fma_f64 v[32:33], v[30:31], s[86:87], -v[34:35]
	v_add_f64 v[13:14], v[13:14], -v[28:29]
	v_fma_f64 v[28:29], v[30:31], s[90:91], v[32:33]
	v_fma_f64 v[13:14], v[13:14], s[86:87], v[28:29]
	v_add_f64 v[32:33], v[34:35], v[13:14]
	v_add_f64 v[28:29], v[32:33], -v[34:35]
	v_add_f64 v[36:37], v[13:14], -v[28:29]
	s_andn2_saveexec_b64 s[8:9], s[10:11]
	s_cbranch_execnz .LBB137_50
	s_branch .LBB137_51
.LBB137_49:                             ;   in Loop: Header=BB137_4 Depth=1
	s_andn2_saveexec_b64 s[8:9], s[10:11]
	s_cbranch_execz .LBB137_51
.LBB137_50:                             ;   in Loop: Header=BB137_4 Depth=1
	s_mov_b32 s10, 0x6dc9c883
	s_mov_b32 s11, 0x3fe45f30
	v_mul_f64 v[13:14], |v[15:16]|, s[10:11]
	s_mov_b32 s88, s28
	s_mov_b32 s10, 0x252049c0
	;; [unrolled: 1-line block ×3, first 2 shown]
	v_rndne_f64_e32 v[13:14], v[13:14]
	v_fma_f64 v[28:29], v[13:14], s[24:25], |v[15:16]|
	v_mul_f64 v[30:31], v[13:14], s[28:29]
	v_cvt_i32_f64_e32 v22, v[13:14]
	v_add_f64 v[32:33], v[28:29], v[30:31]
	v_add_f64 v[34:35], v[28:29], -v[32:33]
	v_fma_f64 v[28:29], v[13:14], s[28:29], v[28:29]
	v_add_f64 v[34:35], v[34:35], v[30:31]
	v_add_f64 v[32:33], v[32:33], -v[28:29]
	v_fma_f64 v[30:31], v[13:14], s[88:89], v[30:31]
	;; [unrolled: 3-line block ×3, first 2 shown]
	v_add_f64 v[32:33], v[28:29], v[30:31]
	v_add_f64 v[28:29], v[32:33], -v[28:29]
	v_add_f64 v[36:37], v[30:31], -v[28:29]
.LBB137_51:                             ;   in Loop: Header=BB137_4 Depth=1
	s_or_b64 exec, exec, s[8:9]
	v_mul_f64 v[13:14], v[5:6], v[5:6]
	v_mul_f64 v[28:29], v[32:33], v[32:33]
	v_mov_b32_e32 v30, s68
	v_mov_b32_e32 v31, s69
	;; [unrolled: 1-line block ×4, first 2 shown]
	v_mul_f64 v[61:62], v[7:8], 0.5
	v_mul_f64 v[65:66], v[36:37], 0.5
	v_fma_f64 v[34:35], v[13:14], s[70:71], v[30:31]
	v_fma_f64 v[30:31], v[28:29], s[70:71], v[30:31]
	v_mul_f64 v[57:58], v[13:14], 0.5
	v_fma_f64 v[55:56], v[13:14], s[60:61], v[53:54]
	v_fma_f64 v[53:54], v[28:29], s[60:61], v[53:54]
	v_mul_f64 v[59:60], v[28:29], 0.5
	v_mul_f64 v[69:70], v[5:6], -v[13:14]
	v_mul_f64 v[73:74], v[32:33], -v[28:29]
	v_fma_f64 v[34:35], v[13:14], v[34:35], s[72:73]
	v_fma_f64 v[30:31], v[28:29], v[30:31], s[72:73]
	v_add_f64 v[63:64], -v[57:58], 1.0
	v_fma_f64 v[55:56], v[13:14], v[55:56], s[62:63]
	v_fma_f64 v[53:54], v[28:29], v[53:54], s[62:63]
	v_add_f64 v[67:68], -v[59:60], 1.0
	s_mov_b32 s52, s16
	v_cmp_class_f64_e64 s[10:11], v[15:16], s83
	v_fma_f64 v[34:35], v[13:14], v[34:35], s[74:75]
	v_fma_f64 v[30:31], v[28:29], v[30:31], s[74:75]
	v_add_f64 v[71:72], -v[63:64], 1.0
	v_fma_f64 v[55:56], v[13:14], v[55:56], s[64:65]
	v_fma_f64 v[53:54], v[28:29], v[53:54], s[64:65]
	v_add_f64 v[75:76], -v[67:68], 1.0
	v_fma_f64 v[34:35], v[13:14], v[34:35], s[50:51]
	v_fma_f64 v[30:31], v[28:29], v[30:31], s[50:51]
	v_add_f64 v[57:58], v[71:72], -v[57:58]
	v_fma_f64 v[55:56], v[13:14], v[55:56], s[66:67]
	v_fma_f64 v[53:54], v[28:29], v[53:54], s[66:67]
	v_add_f64 v[59:60], v[75:76], -v[59:60]
	v_fma_f64 v[34:35], v[69:70], v[34:35], v[61:62]
	v_fma_f64 v[30:31], v[73:74], v[30:31], v[65:66]
	v_fma_f64 v[57:58], v[5:6], -v[7:8], v[57:58]
	v_mul_f64 v[61:62], v[13:14], v[13:14]
	v_fma_f64 v[55:56], v[13:14], v[55:56], s[16:17]
	v_fma_f64 v[7:8], v[13:14], v[34:35], -v[7:8]
	v_mul_f64 v[13:14], v[28:29], v[28:29]
	v_fma_f64 v[34:35], v[28:29], v[53:54], s[16:17]
	v_fma_f64 v[53:54], v[32:33], -v[36:37], v[59:60]
	v_fma_f64 v[28:29], v[28:29], v[30:31], -v[36:37]
	v_fma_f64 v[30:31], v[61:62], v[55:56], v[57:58]
	v_and_b32_e32 v36, 1, v52
	v_cmp_eq_u32_e64 s[8:9], 0, v36
	v_fma_f64 v[7:8], v[69:70], s[52:53], v[7:8]
	v_fma_f64 v[13:14], v[13:14], v[34:35], v[53:54]
	;; [unrolled: 1-line block ×3, first 2 shown]
	v_add_f64 v[30:31], v[63:64], v[30:31]
	v_and_b32_e32 v35, 1, v22
	v_lshlrev_b32_e32 v22, 30, v22
	v_add_f64 v[5:6], v[5:6], -v[7:8]
	v_lshlrev_b32_e32 v34, 30, v52
	v_xor_b32_e32 v22, v22, v16
	v_add_f64 v[7:8], v[67:68], v[13:14]
	v_add_f64 v[13:14], v[32:33], -v[28:29]
	v_cmp_eq_u32_e64 s[12:13], 0, v35
	v_and_b32_e32 v34, 0x80000000, v34
	v_and_b32_e32 v22, 0x80000000, v22
	v_xor_b32_e32 v6, 0x80000000, v6
	v_cndmask_b32_e64 v6, v6, v31, s[8:9]
	v_cndmask_b32_e64 v5, v5, v30, s[8:9]
	v_xor_b32_e32 v6, v6, v34
	v_cndmask_b32_e64 v8, v8, v14, s[12:13]
	v_cndmask_b32_e64 v7, v7, v13, s[12:13]
	;; [unrolled: 3-line block ×3, first 2 shown]
	v_cndmask_b32_e64 v6, v50, v6, s[10:11]
	v_cndmask_b32_e64 v8, v50, v8, s[10:11]
.LBB137_52:                             ;   in Loop: Header=BB137_4 Depth=1
	s_or_b64 exec, exec, s[4:5]
                                        ; implicit-def: $vgpr13_vgpr14
.LBB137_53:                             ;   in Loop: Header=BB137_4 Depth=1
	s_andn2_saveexec_b64 s[4:5], s[18:19]
	s_cbranch_execz .LBB137_55
; %bb.54:                               ;   in Loop: Header=BB137_4 Depth=1
	v_mul_f64 v[5:6], v[13:14], s[34:35]
	s_mov_b32 s93, s51
	s_mov_b32 s95, s17
	v_cmp_nlt_f64_e64 s[8:9], s[76:77], v[13:14]
	v_cmp_ngt_f64_e64 s[10:11], s[14:15], v[13:14]
	v_rndne_f64_e32 v[5:6], v[5:6]
	v_fma_f64 v[7:8], v[5:6], s[36:37], v[13:14]
	v_fma_f64 v[7:8], v[5:6], s[38:39], v[7:8]
	v_cvt_i32_f64_e32 v5, v[5:6]
	v_fma_f64 v[28:29], v[7:8], s[40:41], v[26:27]
	v_fma_f64 v[28:29], v[7:8], v[28:29], s[42:43]
	;; [unrolled: 1-line block ×9, first 2 shown]
	v_fma_f64 v[28:29], v[7:8], v[28:29], 1.0
	v_fma_f64 v[7:8], v[7:8], v[28:29], 1.0
	v_ldexp_f64 v[5:6], v[7:8], v5
	v_mov_b32_e32 v7, v15
	v_mov_b32_e32 v8, v16
	v_cndmask_b32_e64 v6, v49, v6, s[8:9]
	s_and_b64 s[8:9], s[10:11], s[8:9]
	v_cndmask_b32_e64 v6, 0, v6, s[10:11]
	v_cndmask_b32_e64 v5, 0, v5, s[8:9]
.LBB137_55:                             ;   in Loop: Header=BB137_4 Depth=1
	s_or_b64 exec, exec, s[4:5]
	v_and_b32_e32 v51, 0x7fffffff, v20
	v_or_b32_e32 v13, v51, v19
	v_cmp_ne_u32_e64 s[8:9], 0, v13
                                        ; implicit-def: $vgpr15_vgpr16
	s_and_saveexec_b64 s[4:5], s[8:9]
	s_xor_b64 s[18:19], exec, s[4:5]
	s_cbranch_execz .LBB137_97
; %bb.56:                               ;   in Loop: Header=BB137_4 Depth=1
	v_and_b32_e32 v22, 0x7fffffff, v18
	v_or_b32_e32 v13, v22, v17
	v_cmp_ne_u32_e64 s[8:9], 0, v13
                                        ; implicit-def: $vgpr15_vgpr16
	s_and_saveexec_b64 s[4:5], s[8:9]
	s_xor_b64 s[4:5], exec, s[4:5]
	s_cbranch_execz .LBB137_86
; %bb.57:                               ;   in Loop: Header=BB137_4 Depth=1
	v_cmp_gt_u32_e64 s[8:9], s84, v51
                                        ; implicit-def: $vgpr15_vgpr16
	s_and_saveexec_b64 s[10:11], s[8:9]
	s_xor_b64 s[26:27], exec, s[10:11]
	s_cbranch_execz .LBB137_79
; %bb.58:                               ;   in Loop: Header=BB137_4 Depth=1
	v_add_u32_e32 v13, 0xbf79d1be, v18
	s_mov_b32 s8, 0x108aa2
	v_cmp_lt_u32_e64 s[8:9], s8, v13
                                        ; implicit-def: $vgpr15_vgpr16
	s_and_saveexec_b64 s[10:11], s[8:9]
	s_xor_b64 s[12:13], exec, s[10:11]
	s_cbranch_execz .LBB137_68
; %bb.59:                               ;   in Loop: Header=BB137_4 Depth=1
	s_mov_b32 s8, 0
	s_mov_b32 s9, 0x41d00000
	v_cmp_nlt_f64_e64 s[10:11], |v[19:20]|, s[8:9]
	s_movk_i32 s52, 0xff80
                                        ; implicit-def: $vgpr34
                                        ; implicit-def: $vgpr13_vgpr14
                                        ; implicit-def: $vgpr32_vgpr33
	s_and_saveexec_b64 s[8:9], s[10:11]
	s_xor_b64 s[30:31], exec, s[8:9]
	s_cbranch_execz .LBB137_61
; %bb.60:                               ;   in Loop: Header=BB137_4 Depth=1
	v_trig_preop_f64 v[13:14], |v[19:20]|, 0
	s_mov_b32 s8, 0
	s_mov_b32 s9, 0x7b000000
	v_ldexp_f64 v[15:16], |v[19:20]|, s52
	v_cmp_ge_f64_e64 s[8:9], |v[19:20]|, s[8:9]
	v_trig_preop_f64 v[28:29], |v[19:20]|, 1
	v_trig_preop_f64 v[36:37], |v[19:20]|, 2
	s_mov_b32 s86, s24
	s_mov_b32 s91, s89
	v_cndmask_b32_e64 v16, v51, v16, s[8:9]
	v_cndmask_b32_e64 v15, v19, v15, s[8:9]
	s_mov_b32 s8, 0
	s_mov_b32 s9, 0x7ff00000
	v_mul_f64 v[30:31], v[13:14], v[15:16]
	v_mul_f64 v[32:33], v[28:29], v[15:16]
	;; [unrolled: 1-line block ×3, first 2 shown]
	v_fma_f64 v[13:14], v[13:14], v[15:16], -v[30:31]
	v_fma_f64 v[28:29], v[28:29], v[15:16], -v[32:33]
	;; [unrolled: 1-line block ×3, first 2 shown]
	v_add_f64 v[34:35], v[32:33], v[13:14]
	v_add_f64 v[52:53], v[34:35], -v[32:33]
	v_add_f64 v[58:59], v[30:31], v[34:35]
	v_add_f64 v[54:55], v[34:35], -v[52:53]
	v_add_f64 v[13:14], v[13:14], -v[52:53]
	v_add_f64 v[52:53], v[56:57], v[28:29]
	v_add_f64 v[30:31], v[58:59], -v[30:31]
	v_add_f64 v[32:33], v[32:33], -v[54:55]
	v_ldexp_f64 v[54:55], v[58:59], -2
	v_add_f64 v[60:61], v[52:53], -v[56:57]
	v_add_f64 v[30:31], v[34:35], -v[30:31]
	v_add_f64 v[13:14], v[13:14], v[32:33]
	v_fract_f64_e32 v[32:33], v[54:55]
	v_cmp_neq_f64_e64 s[8:9], |v[54:55]|, s[8:9]
	v_add_f64 v[28:29], v[28:29], -v[60:61]
	v_add_f64 v[34:35], v[52:53], v[13:14]
	v_ldexp_f64 v[32:33], v[32:33], 2
	v_add_f64 v[54:55], v[30:31], v[34:35]
	v_cndmask_b32_e64 v33, 0, v33, s[8:9]
	v_cndmask_b32_e64 v32, 0, v32, s[8:9]
	v_add_f64 v[62:63], v[34:35], -v[52:53]
	v_add_f64 v[58:59], v[54:55], v[32:33]
	v_add_f64 v[30:31], v[54:55], -v[30:31]
	v_add_f64 v[64:65], v[34:35], -v[62:63]
	v_add_f64 v[13:14], v[13:14], -v[62:63]
	v_cmp_gt_f64_e64 s[8:9], 0, v[58:59]
	v_add_f64 v[58:59], v[52:53], -v[60:61]
	v_add_f64 v[30:31], v[34:35], -v[30:31]
	v_add_f64 v[52:53], v[52:53], -v[64:65]
	v_cndmask_b32_e64 v22, 0, v47, s[8:9]
	v_add_f64 v[32:33], v[32:33], v[21:22]
	v_add_f64 v[58:59], v[56:57], -v[58:59]
	v_add_f64 v[13:14], v[13:14], v[52:53]
	v_add_f64 v[66:67], v[54:55], v[32:33]
	;; [unrolled: 1-line block ×3, first 2 shown]
	v_cvt_i32_f64_e32 v62, v[66:67]
	v_add_f64 v[13:14], v[28:29], v[13:14]
	v_cvt_f64_i32_e32 v[60:61], v62
	v_add_f64 v[32:33], v[32:33], -v[60:61]
	v_add_f64 v[13:14], v[15:16], v[13:14]
	v_add_f64 v[28:29], v[54:55], v[32:33]
	;; [unrolled: 1-line block ×3, first 2 shown]
	v_add_f64 v[15:16], v[28:29], -v[32:33]
	v_cmp_le_f64_e64 s[8:9], 0.5, v[28:29]
	v_add_f64 v[15:16], v[54:55], -v[15:16]
	v_cndmask_b32_e64 v22, 0, v48, s[8:9]
	v_addc_co_u32_e64 v34, s[8:9], 0, v62, s[8:9]
	v_add_f64 v[13:14], v[13:14], v[15:16]
	v_add_f64 v[15:16], v[28:29], -v[21:22]
	v_add_f64 v[28:29], v[15:16], v[13:14]
	v_mul_f64 v[30:31], v[28:29], s[86:87]
	v_add_f64 v[15:16], v[28:29], -v[15:16]
	v_fma_f64 v[32:33], v[28:29], s[86:87], -v[30:31]
	v_add_f64 v[13:14], v[13:14], -v[15:16]
	v_fma_f64 v[15:16], v[28:29], s[90:91], v[32:33]
	v_fma_f64 v[15:16], v[13:14], s[86:87], v[15:16]
	v_add_f64 v[13:14], v[30:31], v[15:16]
	v_add_f64 v[28:29], v[13:14], -v[30:31]
	v_add_f64 v[32:33], v[15:16], -v[28:29]
.LBB137_61:                             ;   in Loop: Header=BB137_4 Depth=1
	s_andn2_saveexec_b64 s[8:9], s[30:31]
	s_cbranch_execz .LBB137_63
; %bb.62:                               ;   in Loop: Header=BB137_4 Depth=1
	s_mov_b32 s30, 0x6dc9c883
	s_mov_b32 s31, 0x3fe45f30
	v_mul_f64 v[13:14], |v[19:20]|, s[30:31]
	s_mov_b32 s88, s28
	s_mov_b32 s30, 0x252049c0
	;; [unrolled: 1-line block ×3, first 2 shown]
	v_rndne_f64_e32 v[15:16], v[13:14]
	v_fma_f64 v[13:14], v[15:16], s[24:25], |v[19:20]|
	v_mul_f64 v[28:29], v[15:16], s[28:29]
	v_fma_f64 v[34:35], v[15:16], s[28:29], v[13:14]
	v_add_f64 v[30:31], v[13:14], v[28:29]
	v_add_f64 v[32:33], v[13:14], -v[30:31]
	v_add_f64 v[30:31], v[30:31], -v[34:35]
	v_add_f64 v[13:14], v[32:33], v[28:29]
	v_fma_f64 v[28:29], v[15:16], s[88:89], v[28:29]
	v_add_f64 v[13:14], v[30:31], v[13:14]
	v_add_f64 v[13:14], v[13:14], -v[28:29]
	v_fma_f64 v[28:29], v[15:16], s[30:31], v[13:14]
	v_add_f64 v[13:14], v[34:35], v[28:29]
	v_add_f64 v[30:31], v[13:14], -v[34:35]
	v_cvt_i32_f64_e32 v34, v[15:16]
	v_add_f64 v[32:33], v[28:29], -v[30:31]
.LBB137_63:                             ;   in Loop: Header=BB137_4 Depth=1
	s_or_b64 exec, exec, s[8:9]
                                        ; implicit-def: $vgpr22
                                        ; implicit-def: $vgpr28_vgpr29
                                        ; implicit-def: $vgpr30_vgpr31
	s_and_saveexec_b64 s[8:9], s[10:11]
	s_xor_b64 s[10:11], exec, s[8:9]
	s_mov_b32 s84, 0x7ff00000
	s_movk_i32 s85, 0xff80
	s_cbranch_execz .LBB137_65
; %bb.64:                               ;   in Loop: Header=BB137_4 Depth=1
	v_trig_preop_f64 v[15:16], |v[19:20]|, 0
	s_mov_b32 s8, 0
	s_mov_b32 s9, 0x7b000000
	v_ldexp_f64 v[28:29], |v[19:20]|, s85
	v_cmp_ge_f64_e64 s[8:9], |v[19:20]|, s[8:9]
	v_trig_preop_f64 v[30:31], |v[19:20]|, 1
	v_trig_preop_f64 v[55:56], |v[19:20]|, 2
	s_mov_b32 s86, s24
	s_mov_b32 s91, s89
	v_cndmask_b32_e64 v29, v51, v29, s[8:9]
	v_cndmask_b32_e64 v28, v19, v28, s[8:9]
	s_mov_b32 s8, 0
	s_mov_b32 s9, 0x7ff00000
	v_mul_f64 v[35:36], v[15:16], v[28:29]
	v_mul_f64 v[51:52], v[30:31], v[28:29]
	;; [unrolled: 1-line block ×3, first 2 shown]
	v_fma_f64 v[15:16], v[15:16], v[28:29], -v[35:36]
	v_fma_f64 v[30:31], v[30:31], v[28:29], -v[51:52]
	;; [unrolled: 1-line block ×3, first 2 shown]
	v_add_f64 v[53:54], v[51:52], v[15:16]
	v_add_f64 v[57:58], v[53:54], -v[51:52]
	v_add_f64 v[63:64], v[35:36], v[53:54]
	v_add_f64 v[59:60], v[53:54], -v[57:58]
	v_add_f64 v[15:16], v[15:16], -v[57:58]
	v_add_f64 v[57:58], v[61:62], v[30:31]
	v_add_f64 v[35:36], v[63:64], -v[35:36]
	v_add_f64 v[51:52], v[51:52], -v[59:60]
	v_ldexp_f64 v[59:60], v[63:64], -2
	v_add_f64 v[65:66], v[57:58], -v[61:62]
	v_add_f64 v[35:36], v[53:54], -v[35:36]
	v_add_f64 v[15:16], v[15:16], v[51:52]
	v_fract_f64_e32 v[51:52], v[59:60]
	v_cmp_neq_f64_e64 s[8:9], |v[59:60]|, s[8:9]
	v_add_f64 v[30:31], v[30:31], -v[65:66]
	v_add_f64 v[53:54], v[57:58], v[15:16]
	v_ldexp_f64 v[51:52], v[51:52], 2
	v_add_f64 v[59:60], v[35:36], v[53:54]
	v_cndmask_b32_e64 v52, 0, v52, s[8:9]
	v_cndmask_b32_e64 v51, 0, v51, s[8:9]
	v_add_f64 v[67:68], v[53:54], -v[57:58]
	v_add_f64 v[63:64], v[59:60], v[51:52]
	v_add_f64 v[35:36], v[59:60], -v[35:36]
	v_add_f64 v[69:70], v[53:54], -v[67:68]
	;; [unrolled: 1-line block ×3, first 2 shown]
	v_cmp_gt_f64_e64 s[8:9], 0, v[63:64]
	v_add_f64 v[63:64], v[57:58], -v[65:66]
	v_add_f64 v[35:36], v[53:54], -v[35:36]
	;; [unrolled: 1-line block ×3, first 2 shown]
	v_cndmask_b32_e64 v22, 0, v47, s[8:9]
	v_add_f64 v[51:52], v[51:52], v[21:22]
	v_add_f64 v[63:64], v[61:62], -v[63:64]
	v_add_f64 v[15:16], v[15:16], v[57:58]
	v_add_f64 v[71:72], v[59:60], v[51:52]
	;; [unrolled: 1-line block ×3, first 2 shown]
	v_cvt_i32_f64_e32 v37, v[71:72]
	v_add_f64 v[15:16], v[30:31], v[15:16]
	v_cvt_f64_i32_e32 v[65:66], v37
	v_add_f64 v[51:52], v[51:52], -v[65:66]
	v_add_f64 v[15:16], v[28:29], v[15:16]
	v_add_f64 v[30:31], v[59:60], v[51:52]
	;; [unrolled: 1-line block ×3, first 2 shown]
	v_add_f64 v[28:29], v[30:31], -v[51:52]
	v_cmp_le_f64_e64 s[8:9], 0.5, v[30:31]
	v_add_f64 v[28:29], v[59:60], -v[28:29]
	v_cndmask_b32_e64 v22, 0, v48, s[8:9]
	v_add_f64 v[15:16], v[15:16], v[28:29]
	v_add_f64 v[28:29], v[30:31], -v[21:22]
	v_addc_co_u32_e64 v22, s[8:9], 0, v37, s[8:9]
	v_add_f64 v[30:31], v[28:29], v[15:16]
	v_mul_f64 v[35:36], v[30:31], s[86:87]
	v_add_f64 v[28:29], v[30:31], -v[28:29]
	v_fma_f64 v[51:52], v[30:31], s[86:87], -v[35:36]
	v_add_f64 v[15:16], v[15:16], -v[28:29]
	v_fma_f64 v[28:29], v[30:31], s[90:91], v[51:52]
	v_fma_f64 v[15:16], v[15:16], s[86:87], v[28:29]
	v_add_f64 v[28:29], v[35:36], v[15:16]
	v_add_f64 v[30:31], v[28:29], -v[35:36]
	v_add_f64 v[30:31], v[15:16], -v[30:31]
.LBB137_65:                             ;   in Loop: Header=BB137_4 Depth=1
	s_andn2_saveexec_b64 s[8:9], s[10:11]
	s_cbranch_execz .LBB137_67
; %bb.66:                               ;   in Loop: Header=BB137_4 Depth=1
	s_mov_b32 s10, 0x6dc9c883
	s_mov_b32 s11, 0x3fe45f30
	v_mul_f64 v[15:16], |v[19:20]|, s[10:11]
	s_mov_b32 s88, s28
	s_mov_b32 s10, 0x252049c0
	;; [unrolled: 1-line block ×3, first 2 shown]
	v_rndne_f64_e32 v[15:16], v[15:16]
	v_fma_f64 v[28:29], v[15:16], s[24:25], |v[19:20]|
	v_mul_f64 v[30:31], v[15:16], s[28:29]
	v_cvt_i32_f64_e32 v22, v[15:16]
	v_fma_f64 v[53:54], v[15:16], s[28:29], v[28:29]
	v_add_f64 v[35:36], v[28:29], v[30:31]
	v_add_f64 v[51:52], v[28:29], -v[35:36]
	v_add_f64 v[35:36], v[35:36], -v[53:54]
	v_add_f64 v[28:29], v[51:52], v[30:31]
	v_fma_f64 v[30:31], v[15:16], s[88:89], v[30:31]
	v_add_f64 v[28:29], v[35:36], v[28:29]
	v_add_f64 v[28:29], v[28:29], -v[30:31]
	v_fma_f64 v[30:31], v[15:16], s[10:11], v[28:29]
	v_add_f64 v[28:29], v[53:54], v[30:31]
	v_add_f64 v[35:36], v[28:29], -v[53:54]
	v_add_f64 v[30:31], v[30:31], -v[35:36]
.LBB137_67:                             ;   in Loop: Header=BB137_4 Depth=1
	s_or_b64 exec, exec, s[8:9]
	v_mul_f64 v[15:16], v[17:18], s[34:35]
	s_mov_b32 s93, s51
	s_mov_b32 s95, s17
	v_cmp_nlt_f64_e64 s[8:9], s[76:77], v[17:18]
	v_cmp_ngt_f64_e64 s[10:11], s[14:15], v[17:18]
	v_mov_b32_e32 v55, s58
	v_mov_b32_e32 v56, s59
	v_mul_f64 v[59:60], v[32:33], 0.5
	v_rndne_f64_e32 v[15:16], v[15:16]
	s_mov_b32 s52, s16
	v_fma_f64 v[35:36], v[15:16], s[36:37], v[17:18]
	v_mul_f64 v[17:18], v[13:14], v[13:14]
	v_fma_f64 v[35:36], v[15:16], s[38:39], v[35:36]
	v_cvt_i32_f64_e32 v15, v[15:16]
	v_fma_f64 v[57:58], v[17:18], s[60:61], v[55:56]
	v_fma_f64 v[51:52], v[35:36], s[40:41], v[26:27]
	;; [unrolled: 1-line block ×14, first 2 shown]
	v_fma_f64 v[51:52], v[35:36], v[51:52], 1.0
	v_fma_f64 v[35:36], v[35:36], v[51:52], 1.0
	v_ldexp_f64 v[15:16], v[35:36], v15
	v_mul_f64 v[35:36], v[17:18], 0.5
	v_cndmask_b32_e64 v16, v49, v16, s[8:9]
	v_add_f64 v[51:52], -v[35:36], 1.0
	s_and_b64 s[8:9], s[10:11], s[8:9]
	v_cndmask_b32_e64 v15, 0, v15, s[8:9]
	v_cndmask_b32_e64 v16, 0, v16, s[10:11]
	v_add_f64 v[53:54], -v[51:52], 1.0
	v_add_f64 v[35:36], v[53:54], -v[35:36]
	v_mul_f64 v[53:54], v[17:18], v[17:18]
	v_fma_f64 v[35:36], v[13:14], -v[32:33], v[35:36]
	v_fma_f64 v[35:36], v[53:54], v[57:58], v[35:36]
	v_mul_f64 v[57:58], v[13:14], -v[17:18]
	v_add_f64 v[35:36], v[51:52], v[35:36]
	v_mov_b32_e32 v51, s68
	v_mov_b32_e32 v52, s69
	v_fma_f64 v[53:54], v[17:18], s[70:71], v[51:52]
	v_fma_f64 v[53:54], v[17:18], v[53:54], s[72:73]
	;; [unrolled: 1-line block ×5, first 2 shown]
	v_fma_f64 v[17:18], v[17:18], v[53:54], -v[32:33]
	v_fma_f64 v[17:18], v[57:58], s[52:53], v[17:18]
	v_add_f64 v[13:14], v[13:14], -v[17:18]
	v_and_b32_e32 v17, 1, v34
	v_cmp_eq_u32_e64 s[8:9], 0, v17
	v_lshlrev_b32_e32 v17, 30, v34
	v_and_b32_e32 v17, 0x80000000, v17
	v_xor_b32_e32 v14, 0x80000000, v14
	v_cndmask_b32_e64 v14, v14, v36, s[8:9]
	v_xor_b32_e32 v14, v14, v17
	v_mul_f64 v[17:18], v[28:29], v[28:29]
	v_cndmask_b32_e64 v13, v13, v35, s[8:9]
	v_cmp_class_f64_e64 s[8:9], v[19:20], s83
	v_and_b32_e32 v19, 1, v22
	v_cmp_eq_u32_e64 s[10:11], 0, v19
	v_lshlrev_b32_e32 v19, 30, v22
	v_xor_b32_e32 v19, v19, v20
	v_and_b32_e32 v19, 0x80000000, v19
	v_mul_f64 v[32:33], v[17:18], 0.5
	v_fma_f64 v[53:54], v[17:18], s[60:61], v[55:56]
	v_cndmask_b32_e64 v13, 0, v13, s[8:9]
	v_cndmask_b32_e64 v14, v50, v14, s[8:9]
	v_mul_f64 v[13:14], v[15:16], v[13:14]
	v_add_f64 v[34:35], -v[32:33], 1.0
	v_fma_f64 v[53:54], v[17:18], v[53:54], s[62:63]
	v_add_f64 v[36:37], -v[34:35], 1.0
	v_fma_f64 v[53:54], v[17:18], v[53:54], s[64:65]
	v_add_f64 v[32:33], v[36:37], -v[32:33]
	v_fma_f64 v[53:54], v[17:18], v[53:54], s[66:67]
	v_mul_f64 v[36:37], v[17:18], v[17:18]
	v_fma_f64 v[32:33], v[28:29], -v[30:31], v[32:33]
	v_fma_f64 v[53:54], v[17:18], v[53:54], s[16:17]
	v_fma_f64 v[32:33], v[36:37], v[53:54], v[32:33]
	v_mul_f64 v[36:37], v[28:29], -v[17:18]
	v_add_f64 v[32:33], v[34:35], v[32:33]
	v_fma_f64 v[34:35], v[17:18], s[70:71], v[51:52]
	v_mul_f64 v[51:52], v[30:31], 0.5
	v_fma_f64 v[34:35], v[17:18], v[34:35], s[72:73]
	v_fma_f64 v[34:35], v[17:18], v[34:35], s[74:75]
	;; [unrolled: 1-line block ×4, first 2 shown]
                                        ; implicit-def: $vgpr51
	v_fma_f64 v[17:18], v[17:18], v[34:35], -v[30:31]
	v_fma_f64 v[17:18], v[36:37], s[52:53], v[17:18]
	v_add_f64 v[17:18], v[28:29], -v[17:18]
	v_cndmask_b32_e64 v18, v33, v18, s[10:11]
	v_cndmask_b32_e64 v17, v32, v17, s[10:11]
	v_xor_b32_e32 v18, v18, v19
	v_cndmask_b32_e64 v17, 0, v17, s[8:9]
	v_cndmask_b32_e64 v18, v50, v18, s[8:9]
	v_mul_f64 v[15:16], v[15:16], v[17:18]
                                        ; implicit-def: $vgpr19_vgpr20
.LBB137_68:                             ;   in Loop: Header=BB137_4 Depth=1
	s_andn2_saveexec_b64 s[30:31], s[12:13]
	s_cbranch_execz .LBB137_78
; %bb.69:                               ;   in Loop: Header=BB137_4 Depth=1
	s_mov_b32 s8, 0
	s_mov_b32 s9, 0x41d00000
	v_cmp_nlt_f64_e64 s[10:11], |v[19:20]|, s[8:9]
	s_movk_i32 s52, 0xff80
                                        ; implicit-def: $vgpr37
                                        ; implicit-def: $vgpr13_vgpr14
                                        ; implicit-def: $vgpr30_vgpr31
	s_and_saveexec_b64 s[8:9], s[10:11]
	s_xor_b64 s[12:13], exec, s[8:9]
	s_cbranch_execz .LBB137_71
; %bb.70:                               ;   in Loop: Header=BB137_4 Depth=1
	v_trig_preop_f64 v[13:14], |v[19:20]|, 0
	s_mov_b32 s8, 0
	s_mov_b32 s9, 0x7b000000
	v_ldexp_f64 v[15:16], |v[19:20]|, s52
	v_cmp_ge_f64_e64 s[8:9], |v[19:20]|, s[8:9]
	v_trig_preop_f64 v[28:29], |v[19:20]|, 1
	v_trig_preop_f64 v[36:37], |v[19:20]|, 2
	s_mov_b32 s86, s24
	s_mov_b32 s91, s89
	v_cndmask_b32_e64 v16, v51, v16, s[8:9]
	v_cndmask_b32_e64 v15, v19, v15, s[8:9]
	s_mov_b32 s8, 0
	s_mov_b32 s9, 0x7ff00000
	v_mul_f64 v[30:31], v[13:14], v[15:16]
	v_mul_f64 v[32:33], v[28:29], v[15:16]
	;; [unrolled: 1-line block ×3, first 2 shown]
	v_fma_f64 v[13:14], v[13:14], v[15:16], -v[30:31]
	v_fma_f64 v[28:29], v[28:29], v[15:16], -v[32:33]
	;; [unrolled: 1-line block ×3, first 2 shown]
	v_add_f64 v[34:35], v[32:33], v[13:14]
	v_add_f64 v[52:53], v[34:35], -v[32:33]
	v_add_f64 v[58:59], v[30:31], v[34:35]
	v_add_f64 v[54:55], v[34:35], -v[52:53]
	v_add_f64 v[13:14], v[13:14], -v[52:53]
	v_add_f64 v[52:53], v[56:57], v[28:29]
	v_add_f64 v[30:31], v[58:59], -v[30:31]
	v_add_f64 v[32:33], v[32:33], -v[54:55]
	v_ldexp_f64 v[54:55], v[58:59], -2
	v_add_f64 v[60:61], v[52:53], -v[56:57]
	v_add_f64 v[30:31], v[34:35], -v[30:31]
	v_add_f64 v[13:14], v[13:14], v[32:33]
	v_fract_f64_e32 v[32:33], v[54:55]
	v_cmp_neq_f64_e64 s[8:9], |v[54:55]|, s[8:9]
	v_add_f64 v[28:29], v[28:29], -v[60:61]
	v_add_f64 v[34:35], v[52:53], v[13:14]
	v_ldexp_f64 v[32:33], v[32:33], 2
	v_add_f64 v[54:55], v[30:31], v[34:35]
	v_cndmask_b32_e64 v33, 0, v33, s[8:9]
	v_cndmask_b32_e64 v32, 0, v32, s[8:9]
	v_add_f64 v[62:63], v[34:35], -v[52:53]
	v_add_f64 v[58:59], v[54:55], v[32:33]
	v_add_f64 v[30:31], v[54:55], -v[30:31]
	v_add_f64 v[64:65], v[34:35], -v[62:63]
	v_add_f64 v[13:14], v[13:14], -v[62:63]
	v_cmp_gt_f64_e64 s[8:9], 0, v[58:59]
	v_add_f64 v[58:59], v[52:53], -v[60:61]
	v_add_f64 v[30:31], v[34:35], -v[30:31]
	;; [unrolled: 1-line block ×3, first 2 shown]
	v_cndmask_b32_e64 v22, 0, v47, s[8:9]
	v_add_f64 v[32:33], v[32:33], v[21:22]
	v_add_f64 v[58:59], v[56:57], -v[58:59]
	v_add_f64 v[13:14], v[13:14], v[52:53]
	v_add_f64 v[66:67], v[54:55], v[32:33]
	;; [unrolled: 1-line block ×3, first 2 shown]
	v_cvt_i32_f64_e32 v62, v[66:67]
	v_add_f64 v[13:14], v[28:29], v[13:14]
	v_cvt_f64_i32_e32 v[60:61], v62
	v_add_f64 v[32:33], v[32:33], -v[60:61]
	v_add_f64 v[13:14], v[15:16], v[13:14]
	v_add_f64 v[28:29], v[54:55], v[32:33]
	;; [unrolled: 1-line block ×3, first 2 shown]
	v_add_f64 v[15:16], v[28:29], -v[32:33]
	v_cmp_le_f64_e64 s[8:9], 0.5, v[28:29]
	v_add_f64 v[15:16], v[54:55], -v[15:16]
	v_cndmask_b32_e64 v22, 0, v48, s[8:9]
	v_addc_co_u32_e64 v37, s[8:9], 0, v62, s[8:9]
	v_add_f64 v[13:14], v[13:14], v[15:16]
	v_add_f64 v[15:16], v[28:29], -v[21:22]
	v_add_f64 v[28:29], v[15:16], v[13:14]
	v_mul_f64 v[30:31], v[28:29], s[86:87]
	v_add_f64 v[15:16], v[28:29], -v[15:16]
	v_fma_f64 v[32:33], v[28:29], s[86:87], -v[30:31]
	v_add_f64 v[13:14], v[13:14], -v[15:16]
	v_fma_f64 v[15:16], v[28:29], s[90:91], v[32:33]
	v_fma_f64 v[15:16], v[13:14], s[86:87], v[15:16]
	v_add_f64 v[13:14], v[30:31], v[15:16]
	v_add_f64 v[28:29], v[13:14], -v[30:31]
	v_add_f64 v[30:31], v[15:16], -v[28:29]
.LBB137_71:                             ;   in Loop: Header=BB137_4 Depth=1
	s_andn2_saveexec_b64 s[8:9], s[12:13]
	s_cbranch_execz .LBB137_73
; %bb.72:                               ;   in Loop: Header=BB137_4 Depth=1
	s_mov_b32 s12, 0x6dc9c883
	s_mov_b32 s13, 0x3fe45f30
	v_mul_f64 v[13:14], |v[19:20]|, s[12:13]
	s_mov_b32 s88, s28
	s_mov_b32 s12, 0x252049c0
	;; [unrolled: 1-line block ×3, first 2 shown]
	v_rndne_f64_e32 v[15:16], v[13:14]
	v_fma_f64 v[13:14], v[15:16], s[24:25], |v[19:20]|
	v_mul_f64 v[28:29], v[15:16], s[28:29]
	v_cvt_i32_f64_e32 v37, v[15:16]
	v_fma_f64 v[34:35], v[15:16], s[28:29], v[13:14]
	v_add_f64 v[30:31], v[13:14], v[28:29]
	v_add_f64 v[32:33], v[13:14], -v[30:31]
	v_add_f64 v[30:31], v[30:31], -v[34:35]
	v_add_f64 v[13:14], v[32:33], v[28:29]
	v_fma_f64 v[28:29], v[15:16], s[88:89], v[28:29]
	v_add_f64 v[13:14], v[30:31], v[13:14]
	v_add_f64 v[13:14], v[13:14], -v[28:29]
	v_fma_f64 v[28:29], v[15:16], s[12:13], v[13:14]
	v_add_f64 v[13:14], v[34:35], v[28:29]
	v_add_f64 v[30:31], v[13:14], -v[34:35]
	v_add_f64 v[30:31], v[28:29], -v[30:31]
.LBB137_73:                             ;   in Loop: Header=BB137_4 Depth=1
	s_or_b64 exec, exec, s[8:9]
                                        ; implicit-def: $vgpr36
                                        ; implicit-def: $vgpr15_vgpr16
                                        ; implicit-def: $vgpr28_vgpr29
	s_and_saveexec_b64 s[8:9], s[10:11]
	s_xor_b64 s[10:11], exec, s[8:9]
	s_mov_b32 s84, 0x7ff00000
	s_movk_i32 s85, 0xff80
	s_cbranch_execz .LBB137_75
; %bb.74:                               ;   in Loop: Header=BB137_4 Depth=1
	v_trig_preop_f64 v[15:16], |v[19:20]|, 0
	s_mov_b32 s8, 0
	s_mov_b32 s9, 0x7b000000
	v_ldexp_f64 v[28:29], |v[19:20]|, s85
	v_cmp_ge_f64_e64 s[8:9], |v[19:20]|, s[8:9]
	v_trig_preop_f64 v[32:33], |v[19:20]|, 1
	v_trig_preop_f64 v[55:56], |v[19:20]|, 2
	s_mov_b32 s86, s24
	s_mov_b32 s91, s89
	v_cndmask_b32_e64 v29, v51, v29, s[8:9]
	v_cndmask_b32_e64 v28, v19, v28, s[8:9]
	s_mov_b32 s8, 0
	s_mov_b32 s9, 0x7ff00000
	v_mul_f64 v[34:35], v[15:16], v[28:29]
	v_mul_f64 v[51:52], v[32:33], v[28:29]
	;; [unrolled: 1-line block ×3, first 2 shown]
	v_fma_f64 v[15:16], v[15:16], v[28:29], -v[34:35]
	v_fma_f64 v[32:33], v[32:33], v[28:29], -v[51:52]
	;; [unrolled: 1-line block ×3, first 2 shown]
	v_add_f64 v[53:54], v[51:52], v[15:16]
	v_add_f64 v[57:58], v[53:54], -v[51:52]
	v_add_f64 v[63:64], v[34:35], v[53:54]
	v_add_f64 v[59:60], v[53:54], -v[57:58]
	v_add_f64 v[15:16], v[15:16], -v[57:58]
	v_add_f64 v[57:58], v[61:62], v[32:33]
	v_add_f64 v[34:35], v[63:64], -v[34:35]
	v_add_f64 v[51:52], v[51:52], -v[59:60]
	v_ldexp_f64 v[59:60], v[63:64], -2
	v_add_f64 v[65:66], v[57:58], -v[61:62]
	v_add_f64 v[34:35], v[53:54], -v[34:35]
	v_add_f64 v[15:16], v[15:16], v[51:52]
	v_fract_f64_e32 v[51:52], v[59:60]
	v_cmp_neq_f64_e64 s[8:9], |v[59:60]|, s[8:9]
	v_add_f64 v[32:33], v[32:33], -v[65:66]
	v_add_f64 v[53:54], v[57:58], v[15:16]
	v_ldexp_f64 v[51:52], v[51:52], 2
	v_add_f64 v[59:60], v[34:35], v[53:54]
	v_cndmask_b32_e64 v52, 0, v52, s[8:9]
	v_cndmask_b32_e64 v51, 0, v51, s[8:9]
	v_add_f64 v[67:68], v[53:54], -v[57:58]
	v_add_f64 v[63:64], v[59:60], v[51:52]
	v_add_f64 v[34:35], v[59:60], -v[34:35]
	v_add_f64 v[69:70], v[53:54], -v[67:68]
	;; [unrolled: 1-line block ×3, first 2 shown]
	v_cmp_gt_f64_e64 s[8:9], 0, v[63:64]
	v_add_f64 v[63:64], v[57:58], -v[65:66]
	v_add_f64 v[34:35], v[53:54], -v[34:35]
	;; [unrolled: 1-line block ×3, first 2 shown]
	v_cndmask_b32_e64 v22, 0, v47, s[8:9]
	v_add_f64 v[51:52], v[51:52], v[21:22]
	v_add_f64 v[63:64], v[61:62], -v[63:64]
	v_add_f64 v[15:16], v[15:16], v[57:58]
	v_add_f64 v[71:72], v[59:60], v[51:52]
	;; [unrolled: 1-line block ×3, first 2 shown]
	v_cvt_i32_f64_e32 v36, v[71:72]
	v_add_f64 v[15:16], v[32:33], v[15:16]
	v_cvt_f64_i32_e32 v[65:66], v36
	v_add_f64 v[51:52], v[51:52], -v[65:66]
	v_add_f64 v[15:16], v[28:29], v[15:16]
	v_add_f64 v[32:33], v[59:60], v[51:52]
	;; [unrolled: 1-line block ×3, first 2 shown]
	v_add_f64 v[28:29], v[32:33], -v[51:52]
	v_cmp_le_f64_e64 s[8:9], 0.5, v[32:33]
	v_add_f64 v[28:29], v[59:60], -v[28:29]
	v_cndmask_b32_e64 v22, 0, v48, s[8:9]
	v_addc_co_u32_e64 v36, s[8:9], 0, v36, s[8:9]
	v_add_f64 v[15:16], v[15:16], v[28:29]
	v_add_f64 v[28:29], v[32:33], -v[21:22]
	v_add_f64 v[32:33], v[28:29], v[15:16]
	v_mul_f64 v[34:35], v[32:33], s[86:87]
	v_add_f64 v[28:29], v[32:33], -v[28:29]
	v_fma_f64 v[51:52], v[32:33], s[86:87], -v[34:35]
	v_add_f64 v[15:16], v[15:16], -v[28:29]
	v_fma_f64 v[28:29], v[32:33], s[90:91], v[51:52]
	v_fma_f64 v[28:29], v[15:16], s[86:87], v[28:29]
	v_add_f64 v[15:16], v[34:35], v[28:29]
	v_add_f64 v[32:33], v[15:16], -v[34:35]
	v_add_f64 v[28:29], v[28:29], -v[32:33]
.LBB137_75:                             ;   in Loop: Header=BB137_4 Depth=1
	s_andn2_saveexec_b64 s[8:9], s[10:11]
	s_cbranch_execz .LBB137_77
; %bb.76:                               ;   in Loop: Header=BB137_4 Depth=1
	s_mov_b32 s10, 0x6dc9c883
	s_mov_b32 s11, 0x3fe45f30
	v_mul_f64 v[15:16], |v[19:20]|, s[10:11]
	s_mov_b32 s88, s28
	s_mov_b32 s10, 0x252049c0
	;; [unrolled: 1-line block ×3, first 2 shown]
	v_rndne_f64_e32 v[32:33], v[15:16]
	v_fma_f64 v[15:16], v[32:33], s[24:25], |v[19:20]|
	v_mul_f64 v[28:29], v[32:33], s[28:29]
	v_cvt_i32_f64_e32 v36, v[32:33]
	v_fma_f64 v[53:54], v[32:33], s[28:29], v[15:16]
	v_add_f64 v[34:35], v[15:16], v[28:29]
	v_add_f64 v[51:52], v[15:16], -v[34:35]
	v_add_f64 v[34:35], v[34:35], -v[53:54]
	v_add_f64 v[15:16], v[51:52], v[28:29]
	v_fma_f64 v[28:29], v[32:33], s[88:89], v[28:29]
	v_add_f64 v[15:16], v[34:35], v[15:16]
	v_add_f64 v[15:16], v[15:16], -v[28:29]
	v_fma_f64 v[28:29], v[32:33], s[10:11], v[15:16]
	v_add_f64 v[15:16], v[53:54], v[28:29]
	v_add_f64 v[34:35], v[15:16], -v[53:54]
	v_add_f64 v[28:29], v[28:29], -v[34:35]
.LBB137_77:                             ;   in Loop: Header=BB137_4 Depth=1
	s_or_b64 exec, exec, s[8:9]
	v_mul_f64 v[51:52], v[13:14], v[13:14]
	v_mov_b32_e32 v34, s58
	v_mov_b32_e32 v35, s59
	s_mov_b32 s52, s16
	v_cmp_class_f64_e64 s[8:9], v[19:20], s83
	v_and_b32_e32 v19, 1, v37
	v_cmp_eq_u32_e64 s[10:11], 0, v19
	s_mov_b32 s93, s51
	v_mul_f64 v[32:33], v[51:52], 0.5
	v_fma_f64 v[57:58], v[51:52], s[60:61], v[34:35]
	v_mul_f64 v[55:56], v[51:52], v[51:52]
	s_mov_b32 s95, s17
	v_lshlrev_b32_e32 v19, 30, v37
	v_and_b32_e32 v19, 0x80000000, v19
	v_add_f64 v[53:54], -v[32:33], 1.0
	v_fma_f64 v[57:58], v[51:52], v[57:58], s[62:63]
	v_add_f64 v[59:60], -v[53:54], 1.0
	v_fma_f64 v[57:58], v[51:52], v[57:58], s[64:65]
	v_add_f64 v[32:33], v[59:60], -v[32:33]
	v_fma_f64 v[57:58], v[51:52], v[57:58], s[66:67]
	v_mul_f64 v[59:60], v[30:31], 0.5
	v_fma_f64 v[32:33], v[13:14], -v[30:31], v[32:33]
	v_fma_f64 v[57:58], v[51:52], v[57:58], s[16:17]
	v_fma_f64 v[32:33], v[55:56], v[57:58], v[32:33]
	v_mul_f64 v[55:56], v[13:14], -v[51:52]
	v_add_f64 v[53:54], v[53:54], v[32:33]
	v_mov_b32_e32 v32, s68
	v_mov_b32_e32 v33, s69
	v_fma_f64 v[57:58], v[51:52], s[70:71], v[32:33]
	v_fma_f64 v[57:58], v[51:52], v[57:58], s[72:73]
	;; [unrolled: 1-line block ×5, first 2 shown]
	v_fma_f64 v[30:31], v[51:52], v[57:58], -v[30:31]
	v_fma_f64 v[30:31], v[55:56], s[52:53], v[30:31]
	v_add_f64 v[13:14], v[13:14], -v[30:31]
	v_xor_b32_e32 v14, 0x80000000, v14
	v_cndmask_b32_e64 v13, v13, v53, s[10:11]
	v_cndmask_b32_e64 v14, v14, v54, s[10:11]
	s_mov_b32 s10, 0x19ba0da4
	s_mov_b32 s11, 0xc0937be3
	v_add_f64 v[17:18], v[17:18], s[10:11]
	v_xor_b32_e32 v14, v14, v19
	v_cndmask_b32_e64 v13, 0, v13, s[8:9]
	v_cndmask_b32_e64 v14, v50, v14, s[8:9]
	v_mul_f64 v[30:31], v[17:18], s[34:35]
	v_cmp_nlt_f64_e64 s[10:11], s[76:77], v[17:18]
	v_cmp_ngt_f64_e64 s[12:13], s[14:15], v[17:18]
	v_rndne_f64_e32 v[30:31], v[30:31]
	v_fma_f64 v[51:52], v[30:31], s[36:37], v[17:18]
	v_cvt_i32_f64_e32 v19, v[30:31]
	v_fma_f64 v[51:52], v[30:31], s[38:39], v[51:52]
	v_fma_f64 v[53:54], v[51:52], s[40:41], v[26:27]
	;; [unrolled: 1-line block ×10, first 2 shown]
	v_fma_f64 v[53:54], v[51:52], v[53:54], 1.0
	v_fma_f64 v[51:52], v[51:52], v[53:54], 1.0
	v_ldexp_f64 v[30:31], v[51:52], v19
	v_mul_f64 v[51:52], v[15:16], v[15:16]
	v_cndmask_b32_e64 v19, v49, v31, s[10:11]
	v_mul_f64 v[53:54], v[51:52], 0.5
	v_fma_f64 v[34:35], v[51:52], s[60:61], v[34:35]
	v_fma_f64 v[32:33], v[51:52], s[70:71], v[32:33]
	s_and_b64 s[10:11], s[12:13], s[10:11]
	v_cndmask_b32_e64 v17, 0, v19, s[12:13]
	v_and_b32_e32 v19, 1, v36
	v_cndmask_b32_e64 v30, 0, v30, s[10:11]
	v_cmp_eq_u32_e64 s[10:11], 0, v19
	v_add_f64 v[55:56], -v[53:54], 1.0
	v_fma_f64 v[34:35], v[51:52], v[34:35], s[62:63]
	v_fma_f64 v[32:33], v[51:52], v[32:33], s[72:73]
	v_lshlrev_b32_e32 v19, 30, v36
	v_xor_b32_e32 v19, v19, v20
	v_and_b32_e32 v19, 0x80000000, v19
	v_and_b32_e32 v18, 0xfffff, v17
	v_or_b32_e32 v31, 0x7fe00000, v18
	v_add_f64 v[57:58], -v[55:56], 1.0
	v_fma_f64 v[34:35], v[51:52], v[34:35], s[64:65]
	v_fma_f64 v[32:33], v[51:52], v[32:33], s[74:75]
	v_mul_f64 v[13:14], v[30:31], v[13:14]
	v_lshrrev_b32_e32 v17, 20, v17
	v_add_u32_e32 v17, 0xffffff09, v17
	v_lshrrev_b16_e32 v18, 15, v17
	v_add_u16_e32 v18, v17, v18
	v_add_f64 v[53:54], v[57:58], -v[53:54]
	v_fma_f64 v[34:35], v[51:52], v[34:35], s[66:67]
	v_mul_f64 v[57:58], v[51:52], v[51:52]
	v_fma_f64 v[32:33], v[51:52], v[32:33], s[50:51]
	v_ashrrev_i16_e32 v18, 1, v18
	v_bfe_i32 v18, v18, 0, 16
	v_lshl_add_u32 v22, v18, 20, v48
	v_mul_f64 v[13:14], v[13:14], v[21:22]
	v_fma_f64 v[53:54], v[15:16], -v[28:29], v[53:54]
	v_fma_f64 v[34:35], v[51:52], v[34:35], s[16:17]
	v_sub_u32_e32 v17, v17, v18
	v_lshl_add_u32 v18, v17, 20, v48
	v_mov_b32_e32 v17, v21
	v_mul_f64 v[13:14], v[13:14], v[17:18]
	v_fma_f64 v[34:35], v[57:58], v[34:35], v[53:54]
	v_mul_f64 v[53:54], v[15:16], -v[51:52]
	v_add_f64 v[34:35], v[55:56], v[34:35]
	v_mul_f64 v[55:56], v[28:29], 0.5
	v_fma_f64 v[32:33], v[53:54], v[32:33], v[55:56]
	v_fma_f64 v[28:29], v[51:52], v[32:33], -v[28:29]
	v_fma_f64 v[28:29], v[53:54], s[52:53], v[28:29]
	v_add_f64 v[15:16], v[15:16], -v[28:29]
	v_cndmask_b32_e64 v16, v35, v16, s[10:11]
	v_cndmask_b32_e64 v15, v34, v15, s[10:11]
	v_xor_b32_e32 v16, v16, v19
	v_cndmask_b32_e64 v15, 0, v15, s[8:9]
	v_cndmask_b32_e64 v16, v50, v16, s[8:9]
	v_mul_f64 v[15:16], v[30:31], v[15:16]
	v_mul_f64 v[15:16], v[15:16], v[21:22]
	;; [unrolled: 1-line block ×3, first 2 shown]
.LBB137_78:                             ;   in Loop: Header=BB137_4 Depth=1
	s_or_b64 exec, exec, s[30:31]
                                        ; implicit-def: $vgpr17_vgpr18
                                        ; implicit-def: $vgpr22
.LBB137_79:                             ;   in Loop: Header=BB137_4 Depth=1
	s_andn2_saveexec_b64 s[12:13], s[26:27]
	s_cbranch_execz .LBB137_85
; %bb.80:                               ;   in Loop: Header=BB137_4 Depth=1
	v_add_f64 v[15:16], v[19:20], -v[19:20]
	v_cmp_ne_u32_e64 s[8:9], 0, v17
	v_cmp_ne_u32_e64 s[10:11], s84, v22
	s_or_b64 s[8:9], s[8:9], s[10:11]
	s_and_saveexec_b64 s[10:11], s[8:9]
	s_xor_b64 s[8:9], exec, s[10:11]
; %bb.81:                               ;   in Loop: Header=BB137_4 Depth=1
                                        ; implicit-def: $vgpr17_vgpr18
; %bb.82:                               ;   in Loop: Header=BB137_4 Depth=1
	s_or_saveexec_b64 s[10:11], s[8:9]
	v_mov_b32_e32 v13, v15
	v_mov_b32_e32 v14, v16
	s_xor_b64 exec, exec, s[10:11]
; %bb.83:                               ;   in Loop: Header=BB137_4 Depth=1
	v_cmp_lt_i64_e64 s[8:9], -1, v[17:18]
	v_cndmask_b32_e64 v14, 0, v18, s[8:9]
	v_cndmask_b32_e64 v13, 0, v17, s[8:9]
	;; [unrolled: 1-line block ×4, first 2 shown]
; %bb.84:                               ;   in Loop: Header=BB137_4 Depth=1
	s_or_b64 exec, exec, s[10:11]
.LBB137_85:                             ;   in Loop: Header=BB137_4 Depth=1
	s_or_b64 exec, exec, s[12:13]
                                        ; implicit-def: $vgpr19_vgpr20
                                        ; implicit-def: $vgpr51
.LBB137_86:                             ;   in Loop: Header=BB137_4 Depth=1
	s_andn2_saveexec_b64 s[4:5], s[4:5]
	s_cbranch_execz .LBB137_96
; %bb.87:                               ;   in Loop: Header=BB137_4 Depth=1
	v_trig_preop_f64 v[30:31], |v[19:20]|, 0
	v_trig_preop_f64 v[28:29], |v[19:20]|, 1
	;; [unrolled: 1-line block ×3, first 2 shown]
	s_mov_b32 s8, 0
	s_mov_b32 s9, 0x41d00000
	v_cmp_nlt_f64_e64 s[10:11], |v[19:20]|, s[8:9]
	v_ldexp_f64 v[34:35], |v[19:20]|, s85
                                        ; implicit-def: $vgpr52
                                        ; implicit-def: $vgpr13_vgpr14
                                        ; implicit-def: $vgpr15_vgpr16
	s_and_saveexec_b64 s[8:9], s[10:11]
	s_xor_b64 s[12:13], exec, s[8:9]
	s_cbranch_execz .LBB137_89
; %bb.88:                               ;   in Loop: Header=BB137_4 Depth=1
	s_mov_b32 s8, 0
	s_mov_b32 s9, 0x7b000000
	v_cmp_ge_f64_e64 s[8:9], |v[19:20]|, s[8:9]
	s_mov_b32 s86, s24
	s_mov_b32 s91, s89
	v_cndmask_b32_e64 v14, v51, v35, s[8:9]
	v_cndmask_b32_e64 v13, v19, v34, s[8:9]
	v_mul_f64 v[15:16], v[30:31], v[13:14]
	v_mul_f64 v[32:33], v[28:29], v[13:14]
	;; [unrolled: 1-line block ×3, first 2 shown]
	s_mov_b32 s8, 0
	s_mov_b32 s9, 0x7ff00000
	v_fma_f64 v[36:37], v[30:31], v[13:14], -v[15:16]
	v_fma_f64 v[60:61], v[28:29], v[13:14], -v[32:33]
	;; [unrolled: 1-line block ×3, first 2 shown]
	v_add_f64 v[52:53], v[32:33], v[36:37]
	v_add_f64 v[54:55], v[52:53], -v[32:33]
	v_add_f64 v[62:63], v[15:16], v[52:53]
	v_add_f64 v[56:57], v[52:53], -v[54:55]
	v_add_f64 v[36:37], v[36:37], -v[54:55]
	v_add_f64 v[54:55], v[58:59], v[60:61]
	v_add_f64 v[15:16], v[62:63], -v[15:16]
	v_add_f64 v[32:33], v[32:33], -v[56:57]
	v_ldexp_f64 v[56:57], v[62:63], -2
	v_add_f64 v[64:65], v[54:55], -v[58:59]
	v_add_f64 v[15:16], v[52:53], -v[15:16]
	v_add_f64 v[32:33], v[36:37], v[32:33]
	v_fract_f64_e32 v[36:37], v[56:57]
	v_cmp_neq_f64_e64 s[8:9], |v[56:57]|, s[8:9]
	v_add_f64 v[60:61], v[60:61], -v[64:65]
	v_add_f64 v[52:53], v[54:55], v[32:33]
	v_ldexp_f64 v[36:37], v[36:37], 2
	v_add_f64 v[56:57], v[15:16], v[52:53]
	v_cndmask_b32_e64 v37, 0, v37, s[8:9]
	v_cndmask_b32_e64 v36, 0, v36, s[8:9]
	v_add_f64 v[66:67], v[52:53], -v[54:55]
	v_add_f64 v[62:63], v[56:57], v[36:37]
	v_add_f64 v[15:16], v[56:57], -v[15:16]
	v_add_f64 v[68:69], v[52:53], -v[66:67]
	;; [unrolled: 1-line block ×3, first 2 shown]
	v_cmp_gt_f64_e64 s[8:9], 0, v[62:63]
	v_add_f64 v[62:63], v[54:55], -v[64:65]
	v_add_f64 v[15:16], v[52:53], -v[15:16]
	;; [unrolled: 1-line block ×3, first 2 shown]
	v_cndmask_b32_e64 v22, 0, v47, s[8:9]
	v_add_f64 v[36:37], v[36:37], v[21:22]
	v_add_f64 v[62:63], v[58:59], -v[62:63]
	v_add_f64 v[32:33], v[32:33], v[54:55]
	v_add_f64 v[70:71], v[56:57], v[36:37]
	;; [unrolled: 1-line block ×3, first 2 shown]
	v_cvt_i32_f64_e32 v66, v[70:71]
	v_add_f64 v[32:33], v[60:61], v[32:33]
	v_cvt_f64_i32_e32 v[64:65], v66
	v_add_f64 v[36:37], v[36:37], -v[64:65]
	v_add_f64 v[13:14], v[13:14], v[32:33]
	v_add_f64 v[54:55], v[56:57], v[36:37]
	;; [unrolled: 1-line block ×3, first 2 shown]
	v_add_f64 v[32:33], v[54:55], -v[36:37]
	v_cmp_le_f64_e64 s[8:9], 0.5, v[54:55]
	v_add_f64 v[15:16], v[56:57], -v[32:33]
	v_cndmask_b32_e64 v22, 0, v48, s[8:9]
	v_add_f64 v[13:14], v[13:14], v[15:16]
	v_add_f64 v[15:16], v[54:55], -v[21:22]
	v_add_f64 v[32:33], v[15:16], v[13:14]
	v_mul_f64 v[36:37], v[32:33], s[86:87]
	v_add_f64 v[15:16], v[32:33], -v[15:16]
	v_fma_f64 v[52:53], v[32:33], s[86:87], -v[36:37]
	v_add_f64 v[13:14], v[13:14], -v[15:16]
	v_fma_f64 v[15:16], v[32:33], s[90:91], v[52:53]
	v_addc_co_u32_e64 v52, s[8:9], 0, v66, s[8:9]
	v_fma_f64 v[15:16], v[13:14], s[86:87], v[15:16]
	v_add_f64 v[13:14], v[36:37], v[15:16]
	v_add_f64 v[32:33], v[13:14], -v[36:37]
	v_add_f64 v[15:16], v[15:16], -v[32:33]
	s_andn2_saveexec_b64 s[8:9], s[12:13]
	s_cbranch_execz .LBB137_91
	s_branch .LBB137_90
.LBB137_89:                             ;   in Loop: Header=BB137_4 Depth=1
	s_andn2_saveexec_b64 s[8:9], s[12:13]
	s_cbranch_execz .LBB137_91
.LBB137_90:                             ;   in Loop: Header=BB137_4 Depth=1
	s_mov_b32 s12, 0x6dc9c883
	s_mov_b32 s13, 0x3fe45f30
	v_mul_f64 v[13:14], |v[19:20]|, s[12:13]
	s_mov_b32 s88, s28
	s_mov_b32 s12, 0x252049c0
	;; [unrolled: 1-line block ×3, first 2 shown]
	v_rndne_f64_e32 v[32:33], v[13:14]
	v_fma_f64 v[13:14], v[32:33], s[24:25], |v[19:20]|
	v_mul_f64 v[15:16], v[32:33], s[28:29]
	v_fma_f64 v[54:55], v[32:33], s[28:29], v[13:14]
	v_add_f64 v[36:37], v[13:14], v[15:16]
	v_add_f64 v[52:53], v[13:14], -v[36:37]
	v_add_f64 v[36:37], v[36:37], -v[54:55]
	v_add_f64 v[13:14], v[52:53], v[15:16]
	v_fma_f64 v[15:16], v[32:33], s[88:89], v[15:16]
	v_cvt_i32_f64_e32 v52, v[32:33]
	v_add_f64 v[13:14], v[36:37], v[13:14]
	v_add_f64 v[13:14], v[13:14], -v[15:16]
	v_fma_f64 v[15:16], v[32:33], s[12:13], v[13:14]
	v_add_f64 v[13:14], v[54:55], v[15:16]
	v_add_f64 v[36:37], v[13:14], -v[54:55]
	v_add_f64 v[15:16], v[15:16], -v[36:37]
.LBB137_91:                             ;   in Loop: Header=BB137_4 Depth=1
	s_or_b64 exec, exec, s[8:9]
                                        ; implicit-def: $vgpr22
                                        ; implicit-def: $vgpr32_vgpr33
                                        ; implicit-def: $vgpr36_vgpr37
	s_and_saveexec_b64 s[8:9], s[10:11]
	s_xor_b64 s[10:11], exec, s[8:9]
	s_cbranch_execz .LBB137_93
; %bb.92:                               ;   in Loop: Header=BB137_4 Depth=1
	s_mov_b32 s8, 0
	s_mov_b32 s9, 0x7b000000
	v_cmp_ge_f64_e64 s[8:9], |v[19:20]|, s[8:9]
	s_mov_b32 s86, s24
	s_mov_b32 s91, s89
	v_cndmask_b32_e64 v33, v51, v35, s[8:9]
	v_cndmask_b32_e64 v32, v19, v34, s[8:9]
	v_mul_f64 v[34:35], v[30:31], v[32:33]
	v_mul_f64 v[36:37], v[28:29], v[32:33]
	;; [unrolled: 1-line block ×3, first 2 shown]
	s_mov_b32 s8, 0
	s_mov_b32 s9, 0x7ff00000
	v_fma_f64 v[30:31], v[30:31], v[32:33], -v[34:35]
	v_fma_f64 v[28:29], v[28:29], v[32:33], -v[36:37]
	;; [unrolled: 1-line block ×3, first 2 shown]
	v_add_f64 v[53:54], v[36:37], v[30:31]
	v_add_f64 v[55:56], v[53:54], -v[36:37]
	v_add_f64 v[61:62], v[34:35], v[53:54]
	v_add_f64 v[57:58], v[53:54], -v[55:56]
	v_add_f64 v[30:31], v[30:31], -v[55:56]
	v_add_f64 v[55:56], v[59:60], v[28:29]
	v_add_f64 v[34:35], v[61:62], -v[34:35]
	v_add_f64 v[36:37], v[36:37], -v[57:58]
	v_ldexp_f64 v[57:58], v[61:62], -2
	v_add_f64 v[63:64], v[55:56], -v[59:60]
	v_add_f64 v[34:35], v[53:54], -v[34:35]
	v_add_f64 v[30:31], v[30:31], v[36:37]
	v_fract_f64_e32 v[36:37], v[57:58]
	v_cmp_neq_f64_e64 s[8:9], |v[57:58]|, s[8:9]
	v_add_f64 v[28:29], v[28:29], -v[63:64]
	v_add_f64 v[53:54], v[55:56], v[30:31]
	v_ldexp_f64 v[36:37], v[36:37], 2
	v_add_f64 v[57:58], v[34:35], v[53:54]
	v_cndmask_b32_e64 v37, 0, v37, s[8:9]
	v_cndmask_b32_e64 v36, 0, v36, s[8:9]
	v_add_f64 v[65:66], v[53:54], -v[55:56]
	v_add_f64 v[61:62], v[57:58], v[36:37]
	v_add_f64 v[32:33], v[57:58], -v[34:35]
	v_add_f64 v[67:68], v[53:54], -v[65:66]
	;; [unrolled: 1-line block ×3, first 2 shown]
	v_cmp_gt_f64_e64 s[8:9], 0, v[61:62]
	v_add_f64 v[61:62], v[55:56], -v[63:64]
	v_add_f64 v[32:33], v[53:54], -v[32:33]
	;; [unrolled: 1-line block ×3, first 2 shown]
	v_cndmask_b32_e64 v22, 0, v47, s[8:9]
	v_add_f64 v[36:37], v[36:37], v[21:22]
	v_add_f64 v[61:62], v[59:60], -v[61:62]
	v_add_f64 v[30:31], v[30:31], v[55:56]
	v_add_f64 v[69:70], v[57:58], v[36:37]
	;; [unrolled: 1-line block ×3, first 2 shown]
	v_cvt_i32_f64_e32 v51, v[69:70]
	v_add_f64 v[28:29], v[28:29], v[30:31]
	v_cvt_f64_i32_e32 v[63:64], v51
	v_add_f64 v[36:37], v[36:37], -v[63:64]
	v_add_f64 v[17:18], v[17:18], v[28:29]
	v_add_f64 v[30:31], v[57:58], v[36:37]
	;; [unrolled: 1-line block ×3, first 2 shown]
	v_add_f64 v[28:29], v[30:31], -v[36:37]
	v_cmp_le_f64_e64 s[8:9], 0.5, v[30:31]
	v_add_f64 v[28:29], v[57:58], -v[28:29]
	v_cndmask_b32_e64 v22, 0, v48, s[8:9]
	v_add_f64 v[17:18], v[17:18], v[28:29]
	v_add_f64 v[28:29], v[30:31], -v[21:22]
	v_addc_co_u32_e64 v22, s[8:9], 0, v51, s[8:9]
	v_add_f64 v[30:31], v[28:29], v[17:18]
	v_mul_f64 v[34:35], v[30:31], s[86:87]
	v_add_f64 v[28:29], v[30:31], -v[28:29]
	v_fma_f64 v[32:33], v[30:31], s[86:87], -v[34:35]
	v_add_f64 v[17:18], v[17:18], -v[28:29]
	v_fma_f64 v[28:29], v[30:31], s[90:91], v[32:33]
	v_fma_f64 v[17:18], v[17:18], s[86:87], v[28:29]
	v_add_f64 v[32:33], v[34:35], v[17:18]
	v_add_f64 v[28:29], v[32:33], -v[34:35]
	v_add_f64 v[36:37], v[17:18], -v[28:29]
	s_andn2_saveexec_b64 s[8:9], s[10:11]
	s_cbranch_execnz .LBB137_94
	s_branch .LBB137_95
.LBB137_93:                             ;   in Loop: Header=BB137_4 Depth=1
	s_andn2_saveexec_b64 s[8:9], s[10:11]
	s_cbranch_execz .LBB137_95
.LBB137_94:                             ;   in Loop: Header=BB137_4 Depth=1
	s_mov_b32 s10, 0x6dc9c883
	s_mov_b32 s11, 0x3fe45f30
	v_mul_f64 v[17:18], |v[19:20]|, s[10:11]
	s_mov_b32 s88, s28
	s_mov_b32 s10, 0x252049c0
	;; [unrolled: 1-line block ×3, first 2 shown]
	v_rndne_f64_e32 v[17:18], v[17:18]
	v_fma_f64 v[28:29], v[17:18], s[24:25], |v[19:20]|
	v_mul_f64 v[30:31], v[17:18], s[28:29]
	v_cvt_i32_f64_e32 v22, v[17:18]
	v_add_f64 v[32:33], v[28:29], v[30:31]
	v_add_f64 v[34:35], v[28:29], -v[32:33]
	v_fma_f64 v[28:29], v[17:18], s[28:29], v[28:29]
	v_add_f64 v[34:35], v[34:35], v[30:31]
	v_add_f64 v[32:33], v[32:33], -v[28:29]
	v_fma_f64 v[30:31], v[17:18], s[88:89], v[30:31]
	;; [unrolled: 3-line block ×3, first 2 shown]
	v_add_f64 v[32:33], v[28:29], v[30:31]
	v_add_f64 v[28:29], v[32:33], -v[28:29]
	v_add_f64 v[36:37], v[30:31], -v[28:29]
.LBB137_95:                             ;   in Loop: Header=BB137_4 Depth=1
	s_or_b64 exec, exec, s[8:9]
	v_mul_f64 v[17:18], v[13:14], v[13:14]
	v_mul_f64 v[28:29], v[32:33], v[32:33]
	v_mov_b32_e32 v30, s68
	v_mov_b32_e32 v31, s69
	;; [unrolled: 1-line block ×4, first 2 shown]
	v_mul_f64 v[61:62], v[15:16], 0.5
	v_mul_f64 v[65:66], v[36:37], 0.5
	v_fma_f64 v[34:35], v[17:18], s[70:71], v[30:31]
	v_fma_f64 v[30:31], v[28:29], s[70:71], v[30:31]
	v_mul_f64 v[57:58], v[17:18], 0.5
	v_fma_f64 v[55:56], v[17:18], s[60:61], v[53:54]
	v_fma_f64 v[53:54], v[28:29], s[60:61], v[53:54]
	v_mul_f64 v[59:60], v[28:29], 0.5
	v_mul_f64 v[69:70], v[13:14], -v[17:18]
	v_mul_f64 v[73:74], v[32:33], -v[28:29]
	v_fma_f64 v[34:35], v[17:18], v[34:35], s[72:73]
	v_fma_f64 v[30:31], v[28:29], v[30:31], s[72:73]
	v_add_f64 v[63:64], -v[57:58], 1.0
	v_fma_f64 v[55:56], v[17:18], v[55:56], s[62:63]
	v_fma_f64 v[53:54], v[28:29], v[53:54], s[62:63]
	v_add_f64 v[67:68], -v[59:60], 1.0
	s_mov_b32 s52, s16
	v_cmp_class_f64_e64 s[10:11], v[19:20], s83
	v_fma_f64 v[34:35], v[17:18], v[34:35], s[74:75]
	v_fma_f64 v[30:31], v[28:29], v[30:31], s[74:75]
	v_add_f64 v[71:72], -v[63:64], 1.0
	v_fma_f64 v[55:56], v[17:18], v[55:56], s[64:65]
	v_fma_f64 v[53:54], v[28:29], v[53:54], s[64:65]
	v_add_f64 v[75:76], -v[67:68], 1.0
	v_fma_f64 v[34:35], v[17:18], v[34:35], s[50:51]
	v_fma_f64 v[30:31], v[28:29], v[30:31], s[50:51]
	v_add_f64 v[57:58], v[71:72], -v[57:58]
	v_fma_f64 v[55:56], v[17:18], v[55:56], s[66:67]
	v_fma_f64 v[53:54], v[28:29], v[53:54], s[66:67]
	v_add_f64 v[59:60], v[75:76], -v[59:60]
	v_fma_f64 v[34:35], v[69:70], v[34:35], v[61:62]
	v_fma_f64 v[30:31], v[73:74], v[30:31], v[65:66]
	v_fma_f64 v[57:58], v[13:14], -v[15:16], v[57:58]
	v_mul_f64 v[61:62], v[17:18], v[17:18]
	v_fma_f64 v[55:56], v[17:18], v[55:56], s[16:17]
	v_fma_f64 v[15:16], v[17:18], v[34:35], -v[15:16]
	v_mul_f64 v[17:18], v[28:29], v[28:29]
	v_fma_f64 v[34:35], v[28:29], v[53:54], s[16:17]
	v_fma_f64 v[53:54], v[32:33], -v[36:37], v[59:60]
	v_fma_f64 v[28:29], v[28:29], v[30:31], -v[36:37]
	v_fma_f64 v[30:31], v[61:62], v[55:56], v[57:58]
	v_and_b32_e32 v36, 1, v52
	v_cmp_eq_u32_e64 s[8:9], 0, v36
	v_fma_f64 v[15:16], v[69:70], s[52:53], v[15:16]
	v_fma_f64 v[17:18], v[17:18], v[34:35], v[53:54]
	;; [unrolled: 1-line block ×3, first 2 shown]
	v_add_f64 v[30:31], v[63:64], v[30:31]
	v_and_b32_e32 v35, 1, v22
	v_lshlrev_b32_e32 v22, 30, v22
	v_add_f64 v[13:14], v[13:14], -v[15:16]
	v_lshlrev_b32_e32 v34, 30, v52
	v_xor_b32_e32 v22, v22, v20
	v_add_f64 v[15:16], v[67:68], v[17:18]
	v_add_f64 v[17:18], v[32:33], -v[28:29]
	v_cmp_eq_u32_e64 s[12:13], 0, v35
	v_and_b32_e32 v34, 0x80000000, v34
	v_and_b32_e32 v22, 0x80000000, v22
	v_xor_b32_e32 v14, 0x80000000, v14
	v_cndmask_b32_e64 v14, v14, v31, s[8:9]
	v_cndmask_b32_e64 v13, v13, v30, s[8:9]
	v_xor_b32_e32 v14, v14, v34
	v_cndmask_b32_e64 v16, v16, v18, s[12:13]
	v_cndmask_b32_e64 v15, v15, v17, s[12:13]
	;; [unrolled: 3-line block ×3, first 2 shown]
	v_cndmask_b32_e64 v14, v50, v14, s[10:11]
	v_cndmask_b32_e64 v16, v50, v16, s[10:11]
.LBB137_96:                             ;   in Loop: Header=BB137_4 Depth=1
	s_or_b64 exec, exec, s[4:5]
                                        ; implicit-def: $vgpr17_vgpr18
.LBB137_97:                             ;   in Loop: Header=BB137_4 Depth=1
	s_andn2_saveexec_b64 s[4:5], s[18:19]
	s_cbranch_execz .LBB137_99
; %bb.98:                               ;   in Loop: Header=BB137_4 Depth=1
	v_mul_f64 v[13:14], v[17:18], s[34:35]
	s_mov_b32 s93, s51
	s_mov_b32 s95, s17
	v_cmp_nlt_f64_e64 s[8:9], s[76:77], v[17:18]
	v_cmp_ngt_f64_e64 s[10:11], s[14:15], v[17:18]
	v_rndne_f64_e32 v[13:14], v[13:14]
	v_fma_f64 v[15:16], v[13:14], s[36:37], v[17:18]
	v_fma_f64 v[15:16], v[13:14], s[38:39], v[15:16]
	v_cvt_i32_f64_e32 v13, v[13:14]
	v_fma_f64 v[28:29], v[15:16], s[40:41], v[26:27]
	v_fma_f64 v[28:29], v[15:16], v[28:29], s[42:43]
	;; [unrolled: 1-line block ×9, first 2 shown]
	v_fma_f64 v[28:29], v[15:16], v[28:29], 1.0
	v_fma_f64 v[15:16], v[15:16], v[28:29], 1.0
	v_ldexp_f64 v[13:14], v[15:16], v13
	v_mov_b32_e32 v15, v19
	v_mov_b32_e32 v16, v20
	v_cndmask_b32_e64 v14, v49, v14, s[8:9]
	s_and_b64 s[8:9], s[10:11], s[8:9]
	v_cndmask_b32_e64 v14, 0, v14, s[10:11]
	v_cndmask_b32_e64 v13, 0, v13, s[8:9]
.LBB137_99:                             ;   in Loop: Header=BB137_4 Depth=1
	s_or_b64 exec, exec, s[4:5]
	v_and_b32_e32 v51, 0x7fffffff, v12
	v_or_b32_e32 v17, v51, v11
	v_cmp_ne_u32_e64 s[8:9], 0, v17
                                        ; implicit-def: $vgpr19_vgpr20
	s_and_saveexec_b64 s[4:5], s[8:9]
	s_xor_b64 s[18:19], exec, s[4:5]
	s_cbranch_execz .LBB137_141
; %bb.100:                              ;   in Loop: Header=BB137_4 Depth=1
	v_and_b32_e32 v22, 0x7fffffff, v10
	v_or_b32_e32 v17, v22, v9
	v_cmp_ne_u32_e64 s[8:9], 0, v17
                                        ; implicit-def: $vgpr19_vgpr20
	s_and_saveexec_b64 s[4:5], s[8:9]
	s_xor_b64 s[4:5], exec, s[4:5]
	s_cbranch_execz .LBB137_130
; %bb.101:                              ;   in Loop: Header=BB137_4 Depth=1
	v_cmp_gt_u32_e64 s[8:9], s84, v51
                                        ; implicit-def: $vgpr19_vgpr20
	s_and_saveexec_b64 s[10:11], s[8:9]
	s_xor_b64 s[26:27], exec, s[10:11]
	s_cbranch_execz .LBB137_123
; %bb.102:                              ;   in Loop: Header=BB137_4 Depth=1
	v_add_u32_e32 v17, 0xbf79d1be, v10
	s_mov_b32 s8, 0x108aa2
	v_cmp_lt_u32_e64 s[8:9], s8, v17
                                        ; implicit-def: $vgpr19_vgpr20
	s_and_saveexec_b64 s[10:11], s[8:9]
	s_xor_b64 s[12:13], exec, s[10:11]
	s_cbranch_execz .LBB137_112
; %bb.103:                              ;   in Loop: Header=BB137_4 Depth=1
	s_mov_b32 s8, 0
	s_mov_b32 s9, 0x41d00000
	v_cmp_nlt_f64_e64 s[10:11], |v[11:12]|, s[8:9]
	s_movk_i32 s52, 0xff80
                                        ; implicit-def: $vgpr32
                                        ; implicit-def: $vgpr17_vgpr18
                                        ; implicit-def: $vgpr30_vgpr31
	s_and_saveexec_b64 s[8:9], s[10:11]
	s_xor_b64 s[30:31], exec, s[8:9]
	s_cbranch_execz .LBB137_105
; %bb.104:                              ;   in Loop: Header=BB137_4 Depth=1
	v_trig_preop_f64 v[17:18], |v[11:12]|, 0
	s_mov_b32 s8, 0
	s_mov_b32 s9, 0x7b000000
	v_ldexp_f64 v[19:20], |v[11:12]|, s52
	v_cmp_ge_f64_e64 s[8:9], |v[11:12]|, s[8:9]
	v_trig_preop_f64 v[28:29], |v[11:12]|, 1
	v_trig_preop_f64 v[36:37], |v[11:12]|, 2
	s_mov_b32 s86, s24
	s_mov_b32 s91, s89
	v_cndmask_b32_e64 v20, v51, v20, s[8:9]
	v_cndmask_b32_e64 v19, v11, v19, s[8:9]
	s_mov_b32 s8, 0
	s_mov_b32 s9, 0x7ff00000
	v_mul_f64 v[30:31], v[17:18], v[19:20]
	v_mul_f64 v[32:33], v[28:29], v[19:20]
	;; [unrolled: 1-line block ×3, first 2 shown]
	v_fma_f64 v[17:18], v[17:18], v[19:20], -v[30:31]
	v_fma_f64 v[28:29], v[28:29], v[19:20], -v[32:33]
	;; [unrolled: 1-line block ×3, first 2 shown]
	v_add_f64 v[34:35], v[32:33], v[17:18]
	v_add_f64 v[52:53], v[34:35], -v[32:33]
	v_add_f64 v[58:59], v[30:31], v[34:35]
	v_add_f64 v[54:55], v[34:35], -v[52:53]
	v_add_f64 v[17:18], v[17:18], -v[52:53]
	v_add_f64 v[52:53], v[56:57], v[28:29]
	v_add_f64 v[30:31], v[58:59], -v[30:31]
	v_add_f64 v[32:33], v[32:33], -v[54:55]
	v_ldexp_f64 v[54:55], v[58:59], -2
	v_add_f64 v[60:61], v[52:53], -v[56:57]
	v_add_f64 v[30:31], v[34:35], -v[30:31]
	v_add_f64 v[17:18], v[17:18], v[32:33]
	v_fract_f64_e32 v[32:33], v[54:55]
	v_cmp_neq_f64_e64 s[8:9], |v[54:55]|, s[8:9]
	v_add_f64 v[28:29], v[28:29], -v[60:61]
	v_add_f64 v[34:35], v[52:53], v[17:18]
	v_ldexp_f64 v[32:33], v[32:33], 2
	v_add_f64 v[54:55], v[30:31], v[34:35]
	v_cndmask_b32_e64 v33, 0, v33, s[8:9]
	v_cndmask_b32_e64 v32, 0, v32, s[8:9]
	v_add_f64 v[62:63], v[34:35], -v[52:53]
	v_add_f64 v[58:59], v[54:55], v[32:33]
	v_add_f64 v[30:31], v[54:55], -v[30:31]
	v_add_f64 v[64:65], v[34:35], -v[62:63]
	;; [unrolled: 1-line block ×3, first 2 shown]
	v_cmp_gt_f64_e64 s[8:9], 0, v[58:59]
	v_add_f64 v[58:59], v[52:53], -v[60:61]
	v_add_f64 v[30:31], v[34:35], -v[30:31]
	;; [unrolled: 1-line block ×3, first 2 shown]
	v_cndmask_b32_e64 v22, 0, v47, s[8:9]
	v_add_f64 v[32:33], v[32:33], v[21:22]
	v_add_f64 v[58:59], v[56:57], -v[58:59]
	v_add_f64 v[17:18], v[17:18], v[52:53]
	v_add_f64 v[66:67], v[54:55], v[32:33]
	;; [unrolled: 1-line block ×3, first 2 shown]
	v_cvt_i32_f64_e32 v62, v[66:67]
	v_add_f64 v[17:18], v[28:29], v[17:18]
	v_cvt_f64_i32_e32 v[60:61], v62
	v_add_f64 v[32:33], v[32:33], -v[60:61]
	v_add_f64 v[17:18], v[19:20], v[17:18]
	v_add_f64 v[28:29], v[54:55], v[32:33]
	;; [unrolled: 1-line block ×3, first 2 shown]
	v_add_f64 v[19:20], v[28:29], -v[32:33]
	v_cmp_le_f64_e64 s[8:9], 0.5, v[28:29]
	v_add_f64 v[19:20], v[54:55], -v[19:20]
	v_cndmask_b32_e64 v22, 0, v48, s[8:9]
	v_add_f64 v[17:18], v[17:18], v[19:20]
	v_add_f64 v[19:20], v[28:29], -v[21:22]
	v_add_f64 v[28:29], v[19:20], v[17:18]
	v_mul_f64 v[30:31], v[28:29], s[86:87]
	v_add_f64 v[19:20], v[28:29], -v[19:20]
	v_fma_f64 v[32:33], v[28:29], s[86:87], -v[30:31]
	v_add_f64 v[17:18], v[17:18], -v[19:20]
	v_fma_f64 v[19:20], v[28:29], s[90:91], v[32:33]
	v_addc_co_u32_e64 v32, s[8:9], 0, v62, s[8:9]
	v_fma_f64 v[19:20], v[17:18], s[86:87], v[19:20]
	v_add_f64 v[17:18], v[30:31], v[19:20]
	v_add_f64 v[28:29], v[17:18], -v[30:31]
	v_add_f64 v[30:31], v[19:20], -v[28:29]
.LBB137_105:                            ;   in Loop: Header=BB137_4 Depth=1
	s_andn2_saveexec_b64 s[8:9], s[30:31]
	s_cbranch_execz .LBB137_107
; %bb.106:                              ;   in Loop: Header=BB137_4 Depth=1
	s_mov_b32 s30, 0x6dc9c883
	s_mov_b32 s31, 0x3fe45f30
	v_mul_f64 v[17:18], |v[11:12]|, s[30:31]
	s_mov_b32 s88, s28
	s_mov_b32 s30, 0x252049c0
	;; [unrolled: 1-line block ×3, first 2 shown]
	v_rndne_f64_e32 v[19:20], v[17:18]
	v_fma_f64 v[17:18], v[19:20], s[24:25], |v[11:12]|
	v_mul_f64 v[28:29], v[19:20], s[28:29]
	v_fma_f64 v[34:35], v[19:20], s[28:29], v[17:18]
	v_add_f64 v[30:31], v[17:18], v[28:29]
	v_add_f64 v[32:33], v[17:18], -v[30:31]
	v_add_f64 v[30:31], v[30:31], -v[34:35]
	v_add_f64 v[17:18], v[32:33], v[28:29]
	v_fma_f64 v[28:29], v[19:20], s[88:89], v[28:29]
	v_cvt_i32_f64_e32 v32, v[19:20]
	v_add_f64 v[17:18], v[30:31], v[17:18]
	v_add_f64 v[17:18], v[17:18], -v[28:29]
	v_fma_f64 v[28:29], v[19:20], s[30:31], v[17:18]
	v_add_f64 v[17:18], v[34:35], v[28:29]
	v_add_f64 v[30:31], v[17:18], -v[34:35]
	v_add_f64 v[30:31], v[28:29], -v[30:31]
.LBB137_107:                            ;   in Loop: Header=BB137_4 Depth=1
	s_or_b64 exec, exec, s[8:9]
                                        ; implicit-def: $vgpr22
                                        ; implicit-def: $vgpr19_vgpr20
                                        ; implicit-def: $vgpr28_vgpr29
	s_and_saveexec_b64 s[8:9], s[10:11]
	s_xor_b64 s[10:11], exec, s[8:9]
	s_mov_b32 s84, 0x7ff00000
	s_movk_i32 s85, 0xff80
	s_cbranch_execz .LBB137_109
; %bb.108:                              ;   in Loop: Header=BB137_4 Depth=1
	v_trig_preop_f64 v[19:20], |v[11:12]|, 0
	s_mov_b32 s8, 0
	s_mov_b32 s9, 0x7b000000
	v_ldexp_f64 v[28:29], |v[11:12]|, s85
	v_cmp_ge_f64_e64 s[8:9], |v[11:12]|, s[8:9]
	v_trig_preop_f64 v[33:34], |v[11:12]|, 1
	v_trig_preop_f64 v[55:56], |v[11:12]|, 2
	s_mov_b32 s86, s24
	s_mov_b32 s91, s89
	v_cndmask_b32_e64 v29, v51, v29, s[8:9]
	v_cndmask_b32_e64 v28, v11, v28, s[8:9]
	s_mov_b32 s8, 0
	s_mov_b32 s9, 0x7ff00000
	v_mul_f64 v[35:36], v[19:20], v[28:29]
	v_mul_f64 v[51:52], v[33:34], v[28:29]
	;; [unrolled: 1-line block ×3, first 2 shown]
	v_fma_f64 v[19:20], v[19:20], v[28:29], -v[35:36]
	v_fma_f64 v[33:34], v[33:34], v[28:29], -v[51:52]
	;; [unrolled: 1-line block ×3, first 2 shown]
	v_add_f64 v[53:54], v[51:52], v[19:20]
	v_add_f64 v[57:58], v[53:54], -v[51:52]
	v_add_f64 v[63:64], v[35:36], v[53:54]
	v_add_f64 v[59:60], v[53:54], -v[57:58]
	v_add_f64 v[19:20], v[19:20], -v[57:58]
	v_add_f64 v[57:58], v[61:62], v[33:34]
	v_add_f64 v[35:36], v[63:64], -v[35:36]
	v_add_f64 v[51:52], v[51:52], -v[59:60]
	v_ldexp_f64 v[59:60], v[63:64], -2
	v_add_f64 v[65:66], v[57:58], -v[61:62]
	v_add_f64 v[35:36], v[53:54], -v[35:36]
	v_add_f64 v[19:20], v[19:20], v[51:52]
	v_fract_f64_e32 v[51:52], v[59:60]
	v_cmp_neq_f64_e64 s[8:9], |v[59:60]|, s[8:9]
	v_add_f64 v[33:34], v[33:34], -v[65:66]
	v_add_f64 v[53:54], v[57:58], v[19:20]
	v_ldexp_f64 v[51:52], v[51:52], 2
	v_add_f64 v[59:60], v[35:36], v[53:54]
	v_cndmask_b32_e64 v52, 0, v52, s[8:9]
	v_cndmask_b32_e64 v51, 0, v51, s[8:9]
	v_add_f64 v[67:68], v[53:54], -v[57:58]
	v_add_f64 v[63:64], v[59:60], v[51:52]
	v_add_f64 v[35:36], v[59:60], -v[35:36]
	v_add_f64 v[69:70], v[53:54], -v[67:68]
	;; [unrolled: 1-line block ×3, first 2 shown]
	v_cmp_gt_f64_e64 s[8:9], 0, v[63:64]
	v_add_f64 v[63:64], v[57:58], -v[65:66]
	v_add_f64 v[35:36], v[53:54], -v[35:36]
	;; [unrolled: 1-line block ×3, first 2 shown]
	v_cndmask_b32_e64 v22, 0, v47, s[8:9]
	v_add_f64 v[51:52], v[51:52], v[21:22]
	v_add_f64 v[63:64], v[61:62], -v[63:64]
	v_add_f64 v[19:20], v[19:20], v[57:58]
	v_add_f64 v[71:72], v[59:60], v[51:52]
	;; [unrolled: 1-line block ×3, first 2 shown]
	v_cvt_i32_f64_e32 v37, v[71:72]
	v_add_f64 v[19:20], v[33:34], v[19:20]
	v_cvt_f64_i32_e32 v[65:66], v37
	v_add_f64 v[51:52], v[51:52], -v[65:66]
	v_add_f64 v[19:20], v[28:29], v[19:20]
	v_add_f64 v[33:34], v[59:60], v[51:52]
	;; [unrolled: 1-line block ×3, first 2 shown]
	v_add_f64 v[28:29], v[33:34], -v[51:52]
	v_cmp_le_f64_e64 s[8:9], 0.5, v[33:34]
	v_add_f64 v[28:29], v[59:60], -v[28:29]
	v_cndmask_b32_e64 v22, 0, v48, s[8:9]
	v_add_f64 v[19:20], v[19:20], v[28:29]
	v_add_f64 v[28:29], v[33:34], -v[21:22]
	v_addc_co_u32_e64 v22, s[8:9], 0, v37, s[8:9]
	v_add_f64 v[33:34], v[28:29], v[19:20]
	v_mul_f64 v[35:36], v[33:34], s[86:87]
	v_add_f64 v[28:29], v[33:34], -v[28:29]
	v_fma_f64 v[51:52], v[33:34], s[86:87], -v[35:36]
	v_add_f64 v[19:20], v[19:20], -v[28:29]
	v_fma_f64 v[28:29], v[33:34], s[90:91], v[51:52]
	v_fma_f64 v[28:29], v[19:20], s[86:87], v[28:29]
	v_add_f64 v[19:20], v[35:36], v[28:29]
	v_add_f64 v[33:34], v[19:20], -v[35:36]
	v_add_f64 v[28:29], v[28:29], -v[33:34]
.LBB137_109:                            ;   in Loop: Header=BB137_4 Depth=1
	s_andn2_saveexec_b64 s[8:9], s[10:11]
	s_cbranch_execz .LBB137_111
; %bb.110:                              ;   in Loop: Header=BB137_4 Depth=1
	s_mov_b32 s10, 0x6dc9c883
	s_mov_b32 s11, 0x3fe45f30
	v_mul_f64 v[19:20], |v[11:12]|, s[10:11]
	s_mov_b32 s88, s28
	s_mov_b32 s10, 0x252049c0
	;; [unrolled: 1-line block ×3, first 2 shown]
	v_rndne_f64_e32 v[33:34], v[19:20]
	v_fma_f64 v[19:20], v[33:34], s[24:25], |v[11:12]|
	v_mul_f64 v[28:29], v[33:34], s[28:29]
	v_cvt_i32_f64_e32 v22, v[33:34]
	v_fma_f64 v[53:54], v[33:34], s[28:29], v[19:20]
	v_add_f64 v[35:36], v[19:20], v[28:29]
	v_add_f64 v[51:52], v[19:20], -v[35:36]
	v_add_f64 v[35:36], v[35:36], -v[53:54]
	v_add_f64 v[19:20], v[51:52], v[28:29]
	v_fma_f64 v[28:29], v[33:34], s[88:89], v[28:29]
	v_add_f64 v[19:20], v[35:36], v[19:20]
	v_add_f64 v[19:20], v[19:20], -v[28:29]
	v_fma_f64 v[28:29], v[33:34], s[10:11], v[19:20]
	v_add_f64 v[19:20], v[53:54], v[28:29]
	v_add_f64 v[35:36], v[19:20], -v[53:54]
	v_add_f64 v[28:29], v[28:29], -v[35:36]
.LBB137_111:                            ;   in Loop: Header=BB137_4 Depth=1
	s_or_b64 exec, exec, s[8:9]
	v_mul_f64 v[33:34], v[9:10], s[34:35]
	s_mov_b32 s93, s51
	s_mov_b32 s95, s17
	v_cmp_nlt_f64_e64 s[8:9], s[76:77], v[9:10]
	v_cmp_ngt_f64_e64 s[10:11], s[14:15], v[9:10]
	v_mov_b32_e32 v55, s58
	v_mov_b32_e32 v56, s59
	v_mul_f64 v[59:60], v[30:31], 0.5
	v_rndne_f64_e32 v[33:34], v[33:34]
	s_mov_b32 s52, s16
	v_fma_f64 v[35:36], v[33:34], s[36:37], v[9:10]
	v_fma_f64 v[35:36], v[33:34], s[38:39], v[35:36]
	v_cvt_i32_f64_e32 v33, v[33:34]
	v_fma_f64 v[51:52], v[35:36], s[40:41], v[26:27]
	v_fma_f64 v[51:52], v[35:36], v[51:52], s[42:43]
	;; [unrolled: 1-line block ×9, first 2 shown]
	v_fma_f64 v[51:52], v[35:36], v[51:52], 1.0
	v_fma_f64 v[35:36], v[35:36], v[51:52], 1.0
	v_ldexp_f64 v[33:34], v[35:36], v33
	v_cndmask_b32_e64 v34, v49, v34, s[8:9]
	s_and_b64 s[8:9], s[10:11], s[8:9]
	v_cndmask_b32_e64 v9, 0, v33, s[8:9]
	v_cndmask_b32_e64 v10, 0, v34, s[10:11]
	v_mul_f64 v[33:34], v[17:18], v[17:18]
	v_mul_f64 v[35:36], v[33:34], 0.5
	v_fma_f64 v[57:58], v[33:34], s[60:61], v[55:56]
	v_add_f64 v[51:52], -v[35:36], 1.0
	v_fma_f64 v[57:58], v[33:34], v[57:58], s[62:63]
	v_add_f64 v[53:54], -v[51:52], 1.0
	v_fma_f64 v[57:58], v[33:34], v[57:58], s[64:65]
	v_add_f64 v[35:36], v[53:54], -v[35:36]
	v_fma_f64 v[57:58], v[33:34], v[57:58], s[66:67]
	v_mul_f64 v[53:54], v[33:34], v[33:34]
	v_fma_f64 v[35:36], v[17:18], -v[30:31], v[35:36]
	v_fma_f64 v[57:58], v[33:34], v[57:58], s[16:17]
	v_fma_f64 v[35:36], v[53:54], v[57:58], v[35:36]
	v_mul_f64 v[57:58], v[17:18], -v[33:34]
	v_add_f64 v[35:36], v[51:52], v[35:36]
	v_mov_b32_e32 v51, s68
	v_mov_b32_e32 v52, s69
	v_fma_f64 v[53:54], v[33:34], s[70:71], v[51:52]
	v_fma_f64 v[53:54], v[33:34], v[53:54], s[72:73]
	;; [unrolled: 1-line block ×5, first 2 shown]
	v_fma_f64 v[30:31], v[33:34], v[53:54], -v[30:31]
	v_fma_f64 v[30:31], v[57:58], s[52:53], v[30:31]
	v_add_f64 v[17:18], v[17:18], -v[30:31]
	v_and_b32_e32 v30, 1, v32
	v_cmp_eq_u32_e64 s[8:9], 0, v30
	v_lshlrev_b32_e32 v30, 30, v32
	v_and_b32_e32 v30, 0x80000000, v30
	v_xor_b32_e32 v18, 0x80000000, v18
	v_cndmask_b32_e64 v18, v18, v36, s[8:9]
	v_xor_b32_e32 v18, v18, v30
	v_mul_f64 v[30:31], v[19:20], v[19:20]
	v_cndmask_b32_e64 v17, v17, v35, s[8:9]
	v_cmp_class_f64_e64 s[8:9], v[11:12], s83
	v_and_b32_e32 v11, 1, v22
	v_cmp_eq_u32_e64 s[10:11], 0, v11
	v_mul_f64 v[32:33], v[30:31], 0.5
	v_fma_f64 v[53:54], v[30:31], s[60:61], v[55:56]
	v_cndmask_b32_e64 v17, 0, v17, s[8:9]
	v_cndmask_b32_e64 v18, v50, v18, s[8:9]
	v_mul_f64 v[17:18], v[9:10], v[17:18]
	v_add_f64 v[34:35], -v[32:33], 1.0
	v_fma_f64 v[53:54], v[30:31], v[53:54], s[62:63]
	v_add_f64 v[36:37], -v[34:35], 1.0
	v_fma_f64 v[53:54], v[30:31], v[53:54], s[64:65]
	v_add_f64 v[32:33], v[36:37], -v[32:33]
	v_fma_f64 v[53:54], v[30:31], v[53:54], s[66:67]
	v_mul_f64 v[36:37], v[30:31], v[30:31]
	v_fma_f64 v[32:33], v[19:20], -v[28:29], v[32:33]
	v_fma_f64 v[53:54], v[30:31], v[53:54], s[16:17]
	v_fma_f64 v[32:33], v[36:37], v[53:54], v[32:33]
	v_mul_f64 v[36:37], v[19:20], -v[30:31]
	v_add_f64 v[32:33], v[34:35], v[32:33]
	v_fma_f64 v[34:35], v[30:31], s[70:71], v[51:52]
	v_mul_f64 v[51:52], v[28:29], 0.5
	v_fma_f64 v[34:35], v[30:31], v[34:35], s[72:73]
	v_fma_f64 v[34:35], v[30:31], v[34:35], s[74:75]
	;; [unrolled: 1-line block ×4, first 2 shown]
                                        ; implicit-def: $vgpr51
	v_fma_f64 v[28:29], v[30:31], v[34:35], -v[28:29]
	v_fma_f64 v[28:29], v[36:37], s[52:53], v[28:29]
	v_add_f64 v[19:20], v[19:20], -v[28:29]
	v_cndmask_b32_e64 v11, v32, v19, s[10:11]
	v_cndmask_b32_e64 v19, v33, v20, s[10:11]
	v_lshlrev_b32_e32 v20, 30, v22
	v_xor_b32_e32 v12, v20, v12
	v_and_b32_e32 v12, 0x80000000, v12
	v_xor_b32_e32 v12, v19, v12
	v_cndmask_b32_e64 v11, 0, v11, s[8:9]
	v_cndmask_b32_e64 v12, v50, v12, s[8:9]
	v_mul_f64 v[19:20], v[9:10], v[11:12]
                                        ; implicit-def: $vgpr11_vgpr12
.LBB137_112:                            ;   in Loop: Header=BB137_4 Depth=1
	s_andn2_saveexec_b64 s[30:31], s[12:13]
	s_cbranch_execz .LBB137_122
; %bb.113:                              ;   in Loop: Header=BB137_4 Depth=1
	s_mov_b32 s8, 0
	s_mov_b32 s9, 0x41d00000
	v_cmp_nlt_f64_e64 s[10:11], |v[11:12]|, s[8:9]
	s_movk_i32 s52, 0xff80
                                        ; implicit-def: $vgpr37
                                        ; implicit-def: $vgpr17_vgpr18
                                        ; implicit-def: $vgpr30_vgpr31
	s_and_saveexec_b64 s[8:9], s[10:11]
	s_xor_b64 s[12:13], exec, s[8:9]
	s_cbranch_execz .LBB137_115
; %bb.114:                              ;   in Loop: Header=BB137_4 Depth=1
	v_trig_preop_f64 v[17:18], |v[11:12]|, 0
	s_mov_b32 s8, 0
	s_mov_b32 s9, 0x7b000000
	v_ldexp_f64 v[19:20], |v[11:12]|, s52
	v_cmp_ge_f64_e64 s[8:9], |v[11:12]|, s[8:9]
	v_trig_preop_f64 v[28:29], |v[11:12]|, 1
	v_trig_preop_f64 v[36:37], |v[11:12]|, 2
	s_mov_b32 s86, s24
	s_mov_b32 s91, s89
	v_cndmask_b32_e64 v20, v51, v20, s[8:9]
	v_cndmask_b32_e64 v19, v11, v19, s[8:9]
	s_mov_b32 s8, 0
	s_mov_b32 s9, 0x7ff00000
	v_mul_f64 v[30:31], v[17:18], v[19:20]
	v_mul_f64 v[32:33], v[28:29], v[19:20]
	;; [unrolled: 1-line block ×3, first 2 shown]
	v_fma_f64 v[17:18], v[17:18], v[19:20], -v[30:31]
	v_fma_f64 v[28:29], v[28:29], v[19:20], -v[32:33]
	;; [unrolled: 1-line block ×3, first 2 shown]
	v_add_f64 v[34:35], v[32:33], v[17:18]
	v_add_f64 v[52:53], v[34:35], -v[32:33]
	v_add_f64 v[58:59], v[30:31], v[34:35]
	v_add_f64 v[54:55], v[34:35], -v[52:53]
	v_add_f64 v[17:18], v[17:18], -v[52:53]
	v_add_f64 v[52:53], v[56:57], v[28:29]
	v_add_f64 v[30:31], v[58:59], -v[30:31]
	v_add_f64 v[32:33], v[32:33], -v[54:55]
	v_ldexp_f64 v[54:55], v[58:59], -2
	v_add_f64 v[60:61], v[52:53], -v[56:57]
	v_add_f64 v[30:31], v[34:35], -v[30:31]
	v_add_f64 v[17:18], v[17:18], v[32:33]
	v_fract_f64_e32 v[32:33], v[54:55]
	v_cmp_neq_f64_e64 s[8:9], |v[54:55]|, s[8:9]
	v_add_f64 v[28:29], v[28:29], -v[60:61]
	v_add_f64 v[34:35], v[52:53], v[17:18]
	v_ldexp_f64 v[32:33], v[32:33], 2
	v_add_f64 v[54:55], v[30:31], v[34:35]
	v_cndmask_b32_e64 v33, 0, v33, s[8:9]
	v_cndmask_b32_e64 v32, 0, v32, s[8:9]
	v_add_f64 v[62:63], v[34:35], -v[52:53]
	v_add_f64 v[58:59], v[54:55], v[32:33]
	v_add_f64 v[30:31], v[54:55], -v[30:31]
	v_add_f64 v[64:65], v[34:35], -v[62:63]
	;; [unrolled: 1-line block ×3, first 2 shown]
	v_cmp_gt_f64_e64 s[8:9], 0, v[58:59]
	v_add_f64 v[58:59], v[52:53], -v[60:61]
	v_add_f64 v[30:31], v[34:35], -v[30:31]
	;; [unrolled: 1-line block ×3, first 2 shown]
	v_cndmask_b32_e64 v22, 0, v47, s[8:9]
	v_add_f64 v[32:33], v[32:33], v[21:22]
	v_add_f64 v[58:59], v[56:57], -v[58:59]
	v_add_f64 v[17:18], v[17:18], v[52:53]
	v_add_f64 v[66:67], v[54:55], v[32:33]
	v_add_f64 v[28:29], v[28:29], v[58:59]
	v_cvt_i32_f64_e32 v62, v[66:67]
	v_add_f64 v[17:18], v[28:29], v[17:18]
	v_cvt_f64_i32_e32 v[60:61], v62
	v_add_f64 v[32:33], v[32:33], -v[60:61]
	v_add_f64 v[17:18], v[19:20], v[17:18]
	v_add_f64 v[28:29], v[54:55], v[32:33]
	;; [unrolled: 1-line block ×3, first 2 shown]
	v_add_f64 v[19:20], v[28:29], -v[32:33]
	v_cmp_le_f64_e64 s[8:9], 0.5, v[28:29]
	v_add_f64 v[19:20], v[54:55], -v[19:20]
	v_cndmask_b32_e64 v22, 0, v48, s[8:9]
	v_addc_co_u32_e64 v37, s[8:9], 0, v62, s[8:9]
	v_add_f64 v[17:18], v[17:18], v[19:20]
	v_add_f64 v[19:20], v[28:29], -v[21:22]
	v_add_f64 v[28:29], v[19:20], v[17:18]
	v_mul_f64 v[30:31], v[28:29], s[86:87]
	v_add_f64 v[19:20], v[28:29], -v[19:20]
	v_fma_f64 v[32:33], v[28:29], s[86:87], -v[30:31]
	v_add_f64 v[17:18], v[17:18], -v[19:20]
	v_fma_f64 v[19:20], v[28:29], s[90:91], v[32:33]
	v_fma_f64 v[19:20], v[17:18], s[86:87], v[19:20]
	v_add_f64 v[17:18], v[30:31], v[19:20]
	v_add_f64 v[28:29], v[17:18], -v[30:31]
	v_add_f64 v[30:31], v[19:20], -v[28:29]
.LBB137_115:                            ;   in Loop: Header=BB137_4 Depth=1
	s_andn2_saveexec_b64 s[8:9], s[12:13]
	s_cbranch_execz .LBB137_117
; %bb.116:                              ;   in Loop: Header=BB137_4 Depth=1
	s_mov_b32 s12, 0x6dc9c883
	s_mov_b32 s13, 0x3fe45f30
	v_mul_f64 v[17:18], |v[11:12]|, s[12:13]
	s_mov_b32 s88, s28
	s_mov_b32 s12, 0x252049c0
	;; [unrolled: 1-line block ×3, first 2 shown]
	v_rndne_f64_e32 v[19:20], v[17:18]
	v_fma_f64 v[17:18], v[19:20], s[24:25], |v[11:12]|
	v_mul_f64 v[28:29], v[19:20], s[28:29]
	v_cvt_i32_f64_e32 v37, v[19:20]
	v_fma_f64 v[34:35], v[19:20], s[28:29], v[17:18]
	v_add_f64 v[30:31], v[17:18], v[28:29]
	v_add_f64 v[32:33], v[17:18], -v[30:31]
	v_add_f64 v[30:31], v[30:31], -v[34:35]
	v_add_f64 v[17:18], v[32:33], v[28:29]
	v_fma_f64 v[28:29], v[19:20], s[88:89], v[28:29]
	v_add_f64 v[17:18], v[30:31], v[17:18]
	v_add_f64 v[17:18], v[17:18], -v[28:29]
	v_fma_f64 v[28:29], v[19:20], s[12:13], v[17:18]
	v_add_f64 v[17:18], v[34:35], v[28:29]
	v_add_f64 v[30:31], v[17:18], -v[34:35]
	v_add_f64 v[30:31], v[28:29], -v[30:31]
.LBB137_117:                            ;   in Loop: Header=BB137_4 Depth=1
	s_or_b64 exec, exec, s[8:9]
                                        ; implicit-def: $vgpr36
                                        ; implicit-def: $vgpr19_vgpr20
                                        ; implicit-def: $vgpr28_vgpr29
	s_and_saveexec_b64 s[8:9], s[10:11]
	s_xor_b64 s[10:11], exec, s[8:9]
	s_mov_b32 s84, 0x7ff00000
	s_movk_i32 s85, 0xff80
	s_cbranch_execz .LBB137_119
; %bb.118:                              ;   in Loop: Header=BB137_4 Depth=1
	v_trig_preop_f64 v[19:20], |v[11:12]|, 0
	s_mov_b32 s8, 0
	s_mov_b32 s9, 0x7b000000
	v_ldexp_f64 v[28:29], |v[11:12]|, s85
	v_cmp_ge_f64_e64 s[8:9], |v[11:12]|, s[8:9]
	v_trig_preop_f64 v[32:33], |v[11:12]|, 1
	v_trig_preop_f64 v[55:56], |v[11:12]|, 2
	s_mov_b32 s86, s24
	s_mov_b32 s91, s89
	v_cndmask_b32_e64 v29, v51, v29, s[8:9]
	v_cndmask_b32_e64 v28, v11, v28, s[8:9]
	s_mov_b32 s8, 0
	s_mov_b32 s9, 0x7ff00000
	v_mul_f64 v[34:35], v[19:20], v[28:29]
	v_mul_f64 v[51:52], v[32:33], v[28:29]
	v_mul_f64 v[61:62], v[55:56], v[28:29]
	v_fma_f64 v[19:20], v[19:20], v[28:29], -v[34:35]
	v_fma_f64 v[32:33], v[32:33], v[28:29], -v[51:52]
	v_fma_f64 v[28:29], v[55:56], v[28:29], -v[61:62]
	v_add_f64 v[53:54], v[51:52], v[19:20]
	v_add_f64 v[57:58], v[53:54], -v[51:52]
	v_add_f64 v[63:64], v[34:35], v[53:54]
	v_add_f64 v[59:60], v[53:54], -v[57:58]
	v_add_f64 v[19:20], v[19:20], -v[57:58]
	v_add_f64 v[57:58], v[61:62], v[32:33]
	v_add_f64 v[34:35], v[63:64], -v[34:35]
	v_add_f64 v[51:52], v[51:52], -v[59:60]
	v_ldexp_f64 v[59:60], v[63:64], -2
	v_add_f64 v[65:66], v[57:58], -v[61:62]
	v_add_f64 v[34:35], v[53:54], -v[34:35]
	v_add_f64 v[19:20], v[19:20], v[51:52]
	v_fract_f64_e32 v[51:52], v[59:60]
	v_cmp_neq_f64_e64 s[8:9], |v[59:60]|, s[8:9]
	v_add_f64 v[32:33], v[32:33], -v[65:66]
	v_add_f64 v[53:54], v[57:58], v[19:20]
	v_ldexp_f64 v[51:52], v[51:52], 2
	v_add_f64 v[59:60], v[34:35], v[53:54]
	v_cndmask_b32_e64 v52, 0, v52, s[8:9]
	v_cndmask_b32_e64 v51, 0, v51, s[8:9]
	v_add_f64 v[67:68], v[53:54], -v[57:58]
	v_add_f64 v[63:64], v[59:60], v[51:52]
	v_add_f64 v[34:35], v[59:60], -v[34:35]
	v_add_f64 v[69:70], v[53:54], -v[67:68]
	;; [unrolled: 1-line block ×3, first 2 shown]
	v_cmp_gt_f64_e64 s[8:9], 0, v[63:64]
	v_add_f64 v[63:64], v[57:58], -v[65:66]
	v_add_f64 v[34:35], v[53:54], -v[34:35]
	;; [unrolled: 1-line block ×3, first 2 shown]
	v_cndmask_b32_e64 v22, 0, v47, s[8:9]
	v_add_f64 v[51:52], v[51:52], v[21:22]
	v_add_f64 v[63:64], v[61:62], -v[63:64]
	v_add_f64 v[19:20], v[19:20], v[57:58]
	v_add_f64 v[71:72], v[59:60], v[51:52]
	;; [unrolled: 1-line block ×3, first 2 shown]
	v_cvt_i32_f64_e32 v36, v[71:72]
	v_add_f64 v[19:20], v[32:33], v[19:20]
	v_cvt_f64_i32_e32 v[65:66], v36
	v_add_f64 v[51:52], v[51:52], -v[65:66]
	v_add_f64 v[19:20], v[28:29], v[19:20]
	v_add_f64 v[32:33], v[59:60], v[51:52]
	;; [unrolled: 1-line block ×3, first 2 shown]
	v_add_f64 v[28:29], v[32:33], -v[51:52]
	v_cmp_le_f64_e64 s[8:9], 0.5, v[32:33]
	v_add_f64 v[28:29], v[59:60], -v[28:29]
	v_cndmask_b32_e64 v22, 0, v48, s[8:9]
	v_addc_co_u32_e64 v36, s[8:9], 0, v36, s[8:9]
	v_add_f64 v[19:20], v[19:20], v[28:29]
	v_add_f64 v[28:29], v[32:33], -v[21:22]
	v_add_f64 v[32:33], v[28:29], v[19:20]
	v_mul_f64 v[34:35], v[32:33], s[86:87]
	v_add_f64 v[28:29], v[32:33], -v[28:29]
	v_fma_f64 v[51:52], v[32:33], s[86:87], -v[34:35]
	v_add_f64 v[19:20], v[19:20], -v[28:29]
	v_fma_f64 v[28:29], v[32:33], s[90:91], v[51:52]
	v_fma_f64 v[28:29], v[19:20], s[86:87], v[28:29]
	v_add_f64 v[19:20], v[34:35], v[28:29]
	v_add_f64 v[32:33], v[19:20], -v[34:35]
	v_add_f64 v[28:29], v[28:29], -v[32:33]
.LBB137_119:                            ;   in Loop: Header=BB137_4 Depth=1
	s_andn2_saveexec_b64 s[8:9], s[10:11]
	s_cbranch_execz .LBB137_121
; %bb.120:                              ;   in Loop: Header=BB137_4 Depth=1
	s_mov_b32 s10, 0x6dc9c883
	s_mov_b32 s11, 0x3fe45f30
	v_mul_f64 v[19:20], |v[11:12]|, s[10:11]
	s_mov_b32 s88, s28
	s_mov_b32 s10, 0x252049c0
	;; [unrolled: 1-line block ×3, first 2 shown]
	v_rndne_f64_e32 v[32:33], v[19:20]
	v_fma_f64 v[19:20], v[32:33], s[24:25], |v[11:12]|
	v_mul_f64 v[28:29], v[32:33], s[28:29]
	v_cvt_i32_f64_e32 v36, v[32:33]
	v_fma_f64 v[53:54], v[32:33], s[28:29], v[19:20]
	v_add_f64 v[34:35], v[19:20], v[28:29]
	v_add_f64 v[51:52], v[19:20], -v[34:35]
	v_add_f64 v[34:35], v[34:35], -v[53:54]
	v_add_f64 v[19:20], v[51:52], v[28:29]
	v_fma_f64 v[28:29], v[32:33], s[88:89], v[28:29]
	v_add_f64 v[19:20], v[34:35], v[19:20]
	v_add_f64 v[19:20], v[19:20], -v[28:29]
	v_fma_f64 v[28:29], v[32:33], s[10:11], v[19:20]
	v_add_f64 v[19:20], v[53:54], v[28:29]
	v_add_f64 v[34:35], v[19:20], -v[53:54]
	v_add_f64 v[28:29], v[28:29], -v[34:35]
.LBB137_121:                            ;   in Loop: Header=BB137_4 Depth=1
	s_or_b64 exec, exec, s[8:9]
	v_mul_f64 v[51:52], v[17:18], v[17:18]
	v_mov_b32_e32 v34, s58
	v_mov_b32_e32 v35, s59
	s_mov_b32 s52, s16
	v_cmp_class_f64_e64 s[8:9], v[11:12], s83
	v_and_b32_e32 v11, 1, v37
	v_cmp_eq_u32_e64 s[10:11], 0, v11
	s_mov_b32 s93, s51
	v_mul_f64 v[32:33], v[51:52], 0.5
	v_fma_f64 v[57:58], v[51:52], s[60:61], v[34:35]
	v_mul_f64 v[55:56], v[51:52], v[51:52]
	s_mov_b32 s95, s17
	v_add_f64 v[53:54], -v[32:33], 1.0
	v_fma_f64 v[57:58], v[51:52], v[57:58], s[62:63]
	v_add_f64 v[59:60], -v[53:54], 1.0
	v_fma_f64 v[57:58], v[51:52], v[57:58], s[64:65]
	v_add_f64 v[32:33], v[59:60], -v[32:33]
	v_fma_f64 v[57:58], v[51:52], v[57:58], s[66:67]
	v_mul_f64 v[59:60], v[30:31], 0.5
	v_fma_f64 v[32:33], v[17:18], -v[30:31], v[32:33]
	v_fma_f64 v[57:58], v[51:52], v[57:58], s[16:17]
	v_fma_f64 v[32:33], v[55:56], v[57:58], v[32:33]
	v_mul_f64 v[55:56], v[17:18], -v[51:52]
	v_add_f64 v[53:54], v[53:54], v[32:33]
	v_mov_b32_e32 v32, s68
	v_mov_b32_e32 v33, s69
	v_fma_f64 v[57:58], v[51:52], s[70:71], v[32:33]
	v_fma_f64 v[57:58], v[51:52], v[57:58], s[72:73]
	;; [unrolled: 1-line block ×5, first 2 shown]
	v_fma_f64 v[30:31], v[51:52], v[57:58], -v[30:31]
	v_fma_f64 v[30:31], v[55:56], s[52:53], v[30:31]
	v_add_f64 v[17:18], v[17:18], -v[30:31]
	v_xor_b32_e32 v11, 0x80000000, v18
	v_cndmask_b32_e64 v17, v17, v53, s[10:11]
	v_cndmask_b32_e64 v11, v11, v54, s[10:11]
	s_mov_b32 s10, 0x19ba0da4
	s_mov_b32 s11, 0xc0937be3
	v_add_f64 v[9:10], v[9:10], s[10:11]
	v_lshlrev_b32_e32 v18, 30, v37
	v_and_b32_e32 v18, 0x80000000, v18
	v_xor_b32_e32 v11, v11, v18
	v_cndmask_b32_e64 v18, v50, v11, s[8:9]
	v_cndmask_b32_e64 v17, 0, v17, s[8:9]
	v_mul_f64 v[30:31], v[9:10], s[34:35]
	v_cmp_nlt_f64_e64 s[10:11], s[76:77], v[9:10]
	v_cmp_ngt_f64_e64 s[12:13], s[14:15], v[9:10]
	v_rndne_f64_e32 v[30:31], v[30:31]
	v_fma_f64 v[51:52], v[30:31], s[36:37], v[9:10]
	v_cvt_i32_f64_e32 v11, v[30:31]
	v_fma_f64 v[51:52], v[30:31], s[38:39], v[51:52]
	v_fma_f64 v[53:54], v[51:52], s[40:41], v[26:27]
	;; [unrolled: 1-line block ×10, first 2 shown]
	v_fma_f64 v[53:54], v[51:52], v[53:54], 1.0
	v_fma_f64 v[51:52], v[51:52], v[53:54], 1.0
	v_ldexp_f64 v[30:31], v[51:52], v11
	v_mul_f64 v[51:52], v[19:20], v[19:20]
	v_cndmask_b32_e64 v11, v49, v31, s[10:11]
	v_mul_f64 v[53:54], v[51:52], 0.5
	v_fma_f64 v[34:35], v[51:52], s[60:61], v[34:35]
	v_fma_f64 v[32:33], v[51:52], s[70:71], v[32:33]
	v_cndmask_b32_e64 v11, 0, v11, s[12:13]
	s_and_b64 s[10:11], s[12:13], s[10:11]
	v_and_b32_e32 v9, 0xfffff, v11
	v_cndmask_b32_e64 v30, 0, v30, s[10:11]
	v_or_b32_e32 v31, 0x7fe00000, v9
	v_add_f64 v[55:56], -v[53:54], 1.0
	v_fma_f64 v[34:35], v[51:52], v[34:35], s[62:63]
	v_fma_f64 v[32:33], v[51:52], v[32:33], s[72:73]
	v_mul_f64 v[9:10], v[30:31], v[17:18]
	v_lshrrev_b32_e32 v11, 20, v11
	v_add_u32_e32 v11, 0xffffff09, v11
	v_lshrrev_b16_e32 v17, 15, v11
	v_add_u16_e32 v17, v11, v17
	v_add_f64 v[57:58], -v[55:56], 1.0
	v_fma_f64 v[34:35], v[51:52], v[34:35], s[64:65]
	v_fma_f64 v[32:33], v[51:52], v[32:33], s[74:75]
	v_ashrrev_i16_e32 v17, 1, v17
	v_bfe_i32 v37, v17, 0, 16
	v_lshl_add_u32 v22, v37, 20, v48
	v_mul_f64 v[17:18], v[9:10], v[21:22]
	v_sub_u32_e32 v9, v11, v37
	v_add_f64 v[53:54], v[57:58], -v[53:54]
	v_fma_f64 v[34:35], v[51:52], v[34:35], s[66:67]
	v_mul_f64 v[57:58], v[51:52], v[51:52]
	v_fma_f64 v[32:33], v[51:52], v[32:33], s[50:51]
	v_and_b32_e32 v11, 1, v36
	v_cmp_eq_u32_e64 s[10:11], 0, v11
	v_lshl_add_u32 v10, v9, 20, v48
	v_mov_b32_e32 v9, v21
	v_fma_f64 v[53:54], v[19:20], -v[28:29], v[53:54]
	v_fma_f64 v[34:35], v[51:52], v[34:35], s[16:17]
	v_mul_f64 v[17:18], v[17:18], v[9:10]
	v_fma_f64 v[34:35], v[57:58], v[34:35], v[53:54]
	v_mul_f64 v[53:54], v[19:20], -v[51:52]
	v_add_f64 v[34:35], v[55:56], v[34:35]
	v_mul_f64 v[55:56], v[28:29], 0.5
	v_fma_f64 v[32:33], v[53:54], v[32:33], v[55:56]
	v_fma_f64 v[28:29], v[51:52], v[32:33], -v[28:29]
	v_fma_f64 v[28:29], v[53:54], s[52:53], v[28:29]
	v_add_f64 v[19:20], v[19:20], -v[28:29]
	v_cndmask_b32_e64 v11, v34, v19, s[10:11]
	v_cndmask_b32_e64 v19, v35, v20, s[10:11]
	v_lshlrev_b32_e32 v20, 30, v36
	v_xor_b32_e32 v12, v20, v12
	v_and_b32_e32 v12, 0x80000000, v12
	v_xor_b32_e32 v12, v19, v12
	v_cndmask_b32_e64 v11, 0, v11, s[8:9]
	v_cndmask_b32_e64 v12, v50, v12, s[8:9]
	v_mul_f64 v[11:12], v[30:31], v[11:12]
	v_mul_f64 v[11:12], v[11:12], v[21:22]
	;; [unrolled: 1-line block ×3, first 2 shown]
.LBB137_122:                            ;   in Loop: Header=BB137_4 Depth=1
	s_or_b64 exec, exec, s[30:31]
                                        ; implicit-def: $vgpr9_vgpr10
                                        ; implicit-def: $vgpr22
.LBB137_123:                            ;   in Loop: Header=BB137_4 Depth=1
	s_andn2_saveexec_b64 s[12:13], s[26:27]
	s_cbranch_execz .LBB137_129
; %bb.124:                              ;   in Loop: Header=BB137_4 Depth=1
	v_add_f64 v[19:20], v[11:12], -v[11:12]
	v_cmp_ne_u32_e64 s[8:9], 0, v9
	v_cmp_ne_u32_e64 s[10:11], s84, v22
	s_or_b64 s[8:9], s[8:9], s[10:11]
	s_and_saveexec_b64 s[10:11], s[8:9]
	s_xor_b64 s[8:9], exec, s[10:11]
; %bb.125:                              ;   in Loop: Header=BB137_4 Depth=1
                                        ; implicit-def: $vgpr9_vgpr10
; %bb.126:                              ;   in Loop: Header=BB137_4 Depth=1
	s_or_saveexec_b64 s[10:11], s[8:9]
	v_mov_b32_e32 v17, v19
	v_mov_b32_e32 v18, v20
	s_xor_b64 exec, exec, s[10:11]
; %bb.127:                              ;   in Loop: Header=BB137_4 Depth=1
	v_cmp_lt_i64_e64 s[8:9], -1, v[9:10]
	v_cndmask_b32_e64 v18, 0, v10, s[8:9]
	v_cndmask_b32_e64 v17, 0, v9, s[8:9]
	;; [unrolled: 1-line block ×4, first 2 shown]
; %bb.128:                              ;   in Loop: Header=BB137_4 Depth=1
	s_or_b64 exec, exec, s[10:11]
.LBB137_129:                            ;   in Loop: Header=BB137_4 Depth=1
	s_or_b64 exec, exec, s[12:13]
                                        ; implicit-def: $vgpr11_vgpr12
                                        ; implicit-def: $vgpr51
.LBB137_130:                            ;   in Loop: Header=BB137_4 Depth=1
	s_andn2_saveexec_b64 s[4:5], s[4:5]
	s_cbranch_execz .LBB137_140
; %bb.131:                              ;   in Loop: Header=BB137_4 Depth=1
	v_trig_preop_f64 v[30:31], |v[11:12]|, 0
	v_trig_preop_f64 v[28:29], |v[11:12]|, 1
	;; [unrolled: 1-line block ×3, first 2 shown]
	s_mov_b32 s8, 0
	s_mov_b32 s9, 0x41d00000
	v_cmp_nlt_f64_e64 s[10:11], |v[11:12]|, s[8:9]
	v_ldexp_f64 v[34:35], |v[11:12]|, s85
                                        ; implicit-def: $vgpr52
                                        ; implicit-def: $vgpr9_vgpr10
                                        ; implicit-def: $vgpr17_vgpr18
	s_and_saveexec_b64 s[8:9], s[10:11]
	s_xor_b64 s[12:13], exec, s[8:9]
	s_cbranch_execz .LBB137_133
; %bb.132:                              ;   in Loop: Header=BB137_4 Depth=1
	s_mov_b32 s8, 0
	s_mov_b32 s9, 0x7b000000
	v_cmp_ge_f64_e64 s[8:9], |v[11:12]|, s[8:9]
	s_mov_b32 s86, s24
	s_mov_b32 s91, s89
	v_cndmask_b32_e64 v10, v51, v35, s[8:9]
	v_cndmask_b32_e64 v9, v11, v34, s[8:9]
	v_mul_f64 v[17:18], v[30:31], v[9:10]
	v_mul_f64 v[32:33], v[28:29], v[9:10]
	;; [unrolled: 1-line block ×3, first 2 shown]
	s_mov_b32 s8, 0
	s_mov_b32 s9, 0x7ff00000
	v_fma_f64 v[36:37], v[30:31], v[9:10], -v[17:18]
	v_fma_f64 v[60:61], v[28:29], v[9:10], -v[32:33]
	;; [unrolled: 1-line block ×3, first 2 shown]
	v_add_f64 v[52:53], v[32:33], v[36:37]
	v_add_f64 v[54:55], v[52:53], -v[32:33]
	v_add_f64 v[62:63], v[17:18], v[52:53]
	v_add_f64 v[56:57], v[52:53], -v[54:55]
	v_add_f64 v[36:37], v[36:37], -v[54:55]
	v_add_f64 v[54:55], v[58:59], v[60:61]
	v_add_f64 v[17:18], v[62:63], -v[17:18]
	v_add_f64 v[32:33], v[32:33], -v[56:57]
	v_ldexp_f64 v[56:57], v[62:63], -2
	v_add_f64 v[64:65], v[54:55], -v[58:59]
	v_add_f64 v[17:18], v[52:53], -v[17:18]
	v_add_f64 v[32:33], v[36:37], v[32:33]
	v_fract_f64_e32 v[36:37], v[56:57]
	v_cmp_neq_f64_e64 s[8:9], |v[56:57]|, s[8:9]
	v_add_f64 v[60:61], v[60:61], -v[64:65]
	v_add_f64 v[52:53], v[54:55], v[32:33]
	v_ldexp_f64 v[36:37], v[36:37], 2
	v_add_f64 v[56:57], v[17:18], v[52:53]
	v_cndmask_b32_e64 v37, 0, v37, s[8:9]
	v_cndmask_b32_e64 v36, 0, v36, s[8:9]
	v_add_f64 v[66:67], v[52:53], -v[54:55]
	v_add_f64 v[62:63], v[56:57], v[36:37]
	v_add_f64 v[17:18], v[56:57], -v[17:18]
	v_add_f64 v[68:69], v[52:53], -v[66:67]
	;; [unrolled: 1-line block ×3, first 2 shown]
	v_cmp_gt_f64_e64 s[8:9], 0, v[62:63]
	v_add_f64 v[62:63], v[54:55], -v[64:65]
	v_add_f64 v[17:18], v[52:53], -v[17:18]
	;; [unrolled: 1-line block ×3, first 2 shown]
	v_cndmask_b32_e64 v22, 0, v47, s[8:9]
	v_add_f64 v[36:37], v[36:37], v[21:22]
	v_add_f64 v[62:63], v[58:59], -v[62:63]
	v_add_f64 v[32:33], v[32:33], v[54:55]
	v_add_f64 v[70:71], v[56:57], v[36:37]
	;; [unrolled: 1-line block ×3, first 2 shown]
	v_cvt_i32_f64_e32 v66, v[70:71]
	v_add_f64 v[32:33], v[60:61], v[32:33]
	v_cvt_f64_i32_e32 v[64:65], v66
	v_add_f64 v[36:37], v[36:37], -v[64:65]
	v_add_f64 v[9:10], v[9:10], v[32:33]
	v_add_f64 v[54:55], v[56:57], v[36:37]
	;; [unrolled: 1-line block ×3, first 2 shown]
	v_add_f64 v[32:33], v[54:55], -v[36:37]
	v_cmp_le_f64_e64 s[8:9], 0.5, v[54:55]
	v_add_f64 v[17:18], v[56:57], -v[32:33]
	v_cndmask_b32_e64 v22, 0, v48, s[8:9]
	v_add_f64 v[9:10], v[9:10], v[17:18]
	v_add_f64 v[17:18], v[54:55], -v[21:22]
	v_add_f64 v[32:33], v[17:18], v[9:10]
	v_mul_f64 v[36:37], v[32:33], s[86:87]
	v_add_f64 v[17:18], v[32:33], -v[17:18]
	v_fma_f64 v[52:53], v[32:33], s[86:87], -v[36:37]
	v_add_f64 v[9:10], v[9:10], -v[17:18]
	v_fma_f64 v[17:18], v[32:33], s[90:91], v[52:53]
	v_addc_co_u32_e64 v52, s[8:9], 0, v66, s[8:9]
	v_fma_f64 v[17:18], v[9:10], s[86:87], v[17:18]
	v_add_f64 v[9:10], v[36:37], v[17:18]
	v_add_f64 v[32:33], v[9:10], -v[36:37]
	v_add_f64 v[17:18], v[17:18], -v[32:33]
	s_andn2_saveexec_b64 s[8:9], s[12:13]
	s_cbranch_execz .LBB137_135
	s_branch .LBB137_134
.LBB137_133:                            ;   in Loop: Header=BB137_4 Depth=1
	s_andn2_saveexec_b64 s[8:9], s[12:13]
	s_cbranch_execz .LBB137_135
.LBB137_134:                            ;   in Loop: Header=BB137_4 Depth=1
	s_mov_b32 s12, 0x6dc9c883
	s_mov_b32 s13, 0x3fe45f30
	v_mul_f64 v[9:10], |v[11:12]|, s[12:13]
	s_mov_b32 s88, s28
	s_mov_b32 s12, 0x252049c0
	;; [unrolled: 1-line block ×3, first 2 shown]
	v_rndne_f64_e32 v[32:33], v[9:10]
	v_fma_f64 v[9:10], v[32:33], s[24:25], |v[11:12]|
	v_mul_f64 v[17:18], v[32:33], s[28:29]
	v_fma_f64 v[54:55], v[32:33], s[28:29], v[9:10]
	v_add_f64 v[36:37], v[9:10], v[17:18]
	v_add_f64 v[52:53], v[9:10], -v[36:37]
	v_add_f64 v[36:37], v[36:37], -v[54:55]
	v_add_f64 v[9:10], v[52:53], v[17:18]
	v_fma_f64 v[17:18], v[32:33], s[88:89], v[17:18]
	v_cvt_i32_f64_e32 v52, v[32:33]
	v_add_f64 v[9:10], v[36:37], v[9:10]
	v_add_f64 v[9:10], v[9:10], -v[17:18]
	v_fma_f64 v[17:18], v[32:33], s[12:13], v[9:10]
	v_add_f64 v[9:10], v[54:55], v[17:18]
	v_add_f64 v[36:37], v[9:10], -v[54:55]
	v_add_f64 v[17:18], v[17:18], -v[36:37]
.LBB137_135:                            ;   in Loop: Header=BB137_4 Depth=1
	s_or_b64 exec, exec, s[8:9]
                                        ; implicit-def: $vgpr22
                                        ; implicit-def: $vgpr32_vgpr33
                                        ; implicit-def: $vgpr36_vgpr37
	s_and_saveexec_b64 s[8:9], s[10:11]
	s_xor_b64 s[10:11], exec, s[8:9]
	s_cbranch_execz .LBB137_137
; %bb.136:                              ;   in Loop: Header=BB137_4 Depth=1
	s_mov_b32 s8, 0
	s_mov_b32 s9, 0x7b000000
	v_cmp_ge_f64_e64 s[8:9], |v[11:12]|, s[8:9]
	s_mov_b32 s86, s24
	s_mov_b32 s91, s89
	v_cndmask_b32_e64 v33, v51, v35, s[8:9]
	v_cndmask_b32_e64 v32, v11, v34, s[8:9]
	v_mul_f64 v[34:35], v[30:31], v[32:33]
	v_mul_f64 v[36:37], v[28:29], v[32:33]
	;; [unrolled: 1-line block ×3, first 2 shown]
	s_mov_b32 s8, 0
	s_mov_b32 s9, 0x7ff00000
	v_fma_f64 v[30:31], v[30:31], v[32:33], -v[34:35]
	v_fma_f64 v[28:29], v[28:29], v[32:33], -v[36:37]
	;; [unrolled: 1-line block ×3, first 2 shown]
	v_add_f64 v[53:54], v[36:37], v[30:31]
	v_add_f64 v[55:56], v[53:54], -v[36:37]
	v_add_f64 v[61:62], v[34:35], v[53:54]
	v_add_f64 v[57:58], v[53:54], -v[55:56]
	v_add_f64 v[30:31], v[30:31], -v[55:56]
	v_add_f64 v[55:56], v[59:60], v[28:29]
	v_add_f64 v[34:35], v[61:62], -v[34:35]
	v_add_f64 v[36:37], v[36:37], -v[57:58]
	v_ldexp_f64 v[57:58], v[61:62], -2
	v_add_f64 v[63:64], v[55:56], -v[59:60]
	v_add_f64 v[34:35], v[53:54], -v[34:35]
	v_add_f64 v[30:31], v[30:31], v[36:37]
	v_fract_f64_e32 v[36:37], v[57:58]
	v_cmp_neq_f64_e64 s[8:9], |v[57:58]|, s[8:9]
	v_add_f64 v[28:29], v[28:29], -v[63:64]
	v_add_f64 v[53:54], v[55:56], v[30:31]
	v_ldexp_f64 v[36:37], v[36:37], 2
	v_add_f64 v[57:58], v[34:35], v[53:54]
	v_cndmask_b32_e64 v37, 0, v37, s[8:9]
	v_cndmask_b32_e64 v36, 0, v36, s[8:9]
	v_add_f64 v[65:66], v[53:54], -v[55:56]
	v_add_f64 v[61:62], v[57:58], v[36:37]
	v_add_f64 v[32:33], v[57:58], -v[34:35]
	v_add_f64 v[67:68], v[53:54], -v[65:66]
	;; [unrolled: 1-line block ×3, first 2 shown]
	v_cmp_gt_f64_e64 s[8:9], 0, v[61:62]
	v_add_f64 v[61:62], v[55:56], -v[63:64]
	v_add_f64 v[32:33], v[53:54], -v[32:33]
	;; [unrolled: 1-line block ×3, first 2 shown]
	v_cndmask_b32_e64 v22, 0, v47, s[8:9]
	v_add_f64 v[36:37], v[36:37], v[21:22]
	v_add_f64 v[61:62], v[59:60], -v[61:62]
	v_add_f64 v[30:31], v[30:31], v[55:56]
	v_add_f64 v[69:70], v[57:58], v[36:37]
	;; [unrolled: 1-line block ×3, first 2 shown]
	v_cvt_i32_f64_e32 v51, v[69:70]
	v_add_f64 v[28:29], v[28:29], v[30:31]
	v_cvt_f64_i32_e32 v[63:64], v51
	v_add_f64 v[36:37], v[36:37], -v[63:64]
	v_add_f64 v[19:20], v[19:20], v[28:29]
	v_add_f64 v[30:31], v[57:58], v[36:37]
	;; [unrolled: 1-line block ×3, first 2 shown]
	v_add_f64 v[28:29], v[30:31], -v[36:37]
	v_cmp_le_f64_e64 s[8:9], 0.5, v[30:31]
	v_add_f64 v[28:29], v[57:58], -v[28:29]
	v_cndmask_b32_e64 v22, 0, v48, s[8:9]
	v_add_f64 v[19:20], v[19:20], v[28:29]
	v_add_f64 v[28:29], v[30:31], -v[21:22]
	v_addc_co_u32_e64 v22, s[8:9], 0, v51, s[8:9]
	v_add_f64 v[30:31], v[28:29], v[19:20]
	v_mul_f64 v[34:35], v[30:31], s[86:87]
	v_add_f64 v[28:29], v[30:31], -v[28:29]
	v_fma_f64 v[32:33], v[30:31], s[86:87], -v[34:35]
	v_add_f64 v[19:20], v[19:20], -v[28:29]
	v_fma_f64 v[28:29], v[30:31], s[90:91], v[32:33]
	v_fma_f64 v[19:20], v[19:20], s[86:87], v[28:29]
	v_add_f64 v[32:33], v[34:35], v[19:20]
	v_add_f64 v[28:29], v[32:33], -v[34:35]
	v_add_f64 v[36:37], v[19:20], -v[28:29]
	s_andn2_saveexec_b64 s[8:9], s[10:11]
	s_cbranch_execnz .LBB137_138
	s_branch .LBB137_139
.LBB137_137:                            ;   in Loop: Header=BB137_4 Depth=1
	s_andn2_saveexec_b64 s[8:9], s[10:11]
	s_cbranch_execz .LBB137_139
.LBB137_138:                            ;   in Loop: Header=BB137_4 Depth=1
	s_mov_b32 s10, 0x6dc9c883
	s_mov_b32 s11, 0x3fe45f30
	v_mul_f64 v[19:20], |v[11:12]|, s[10:11]
	s_mov_b32 s88, s28
	s_mov_b32 s10, 0x252049c0
	;; [unrolled: 1-line block ×3, first 2 shown]
	v_rndne_f64_e32 v[19:20], v[19:20]
	v_fma_f64 v[28:29], v[19:20], s[24:25], |v[11:12]|
	v_mul_f64 v[30:31], v[19:20], s[28:29]
	v_cvt_i32_f64_e32 v22, v[19:20]
	v_add_f64 v[32:33], v[28:29], v[30:31]
	v_add_f64 v[34:35], v[28:29], -v[32:33]
	v_fma_f64 v[28:29], v[19:20], s[28:29], v[28:29]
	v_add_f64 v[34:35], v[34:35], v[30:31]
	v_add_f64 v[32:33], v[32:33], -v[28:29]
	v_fma_f64 v[30:31], v[19:20], s[88:89], v[30:31]
	;; [unrolled: 3-line block ×3, first 2 shown]
	v_add_f64 v[32:33], v[28:29], v[30:31]
	v_add_f64 v[28:29], v[32:33], -v[28:29]
	v_add_f64 v[36:37], v[30:31], -v[28:29]
.LBB137_139:                            ;   in Loop: Header=BB137_4 Depth=1
	s_or_b64 exec, exec, s[8:9]
	v_mul_f64 v[19:20], v[9:10], v[9:10]
	v_mul_f64 v[28:29], v[32:33], v[32:33]
	v_mov_b32_e32 v30, s68
	v_mov_b32_e32 v31, s69
	;; [unrolled: 1-line block ×4, first 2 shown]
	v_mul_f64 v[61:62], v[17:18], 0.5
	v_mul_f64 v[65:66], v[36:37], 0.5
	v_fma_f64 v[34:35], v[19:20], s[70:71], v[30:31]
	v_fma_f64 v[30:31], v[28:29], s[70:71], v[30:31]
	v_mul_f64 v[57:58], v[19:20], 0.5
	v_fma_f64 v[55:56], v[19:20], s[60:61], v[53:54]
	v_fma_f64 v[53:54], v[28:29], s[60:61], v[53:54]
	v_mul_f64 v[59:60], v[28:29], 0.5
	v_mul_f64 v[69:70], v[9:10], -v[19:20]
	v_mul_f64 v[73:74], v[32:33], -v[28:29]
	v_fma_f64 v[34:35], v[19:20], v[34:35], s[72:73]
	v_fma_f64 v[30:31], v[28:29], v[30:31], s[72:73]
	v_add_f64 v[63:64], -v[57:58], 1.0
	v_fma_f64 v[55:56], v[19:20], v[55:56], s[62:63]
	v_fma_f64 v[53:54], v[28:29], v[53:54], s[62:63]
	v_add_f64 v[67:68], -v[59:60], 1.0
	s_mov_b32 s52, s16
	v_cmp_class_f64_e64 s[10:11], v[11:12], s83
	v_fma_f64 v[34:35], v[19:20], v[34:35], s[74:75]
	v_fma_f64 v[30:31], v[28:29], v[30:31], s[74:75]
	v_add_f64 v[71:72], -v[63:64], 1.0
	v_fma_f64 v[55:56], v[19:20], v[55:56], s[64:65]
	v_fma_f64 v[53:54], v[28:29], v[53:54], s[64:65]
	v_add_f64 v[75:76], -v[67:68], 1.0
	v_fma_f64 v[34:35], v[19:20], v[34:35], s[50:51]
	v_fma_f64 v[30:31], v[28:29], v[30:31], s[50:51]
	v_add_f64 v[57:58], v[71:72], -v[57:58]
	v_fma_f64 v[55:56], v[19:20], v[55:56], s[66:67]
	v_fma_f64 v[53:54], v[28:29], v[53:54], s[66:67]
	v_add_f64 v[59:60], v[75:76], -v[59:60]
	v_fma_f64 v[34:35], v[69:70], v[34:35], v[61:62]
	v_fma_f64 v[30:31], v[73:74], v[30:31], v[65:66]
	v_fma_f64 v[57:58], v[9:10], -v[17:18], v[57:58]
	v_mul_f64 v[61:62], v[19:20], v[19:20]
	v_fma_f64 v[55:56], v[19:20], v[55:56], s[16:17]
	v_fma_f64 v[17:18], v[19:20], v[34:35], -v[17:18]
	v_mul_f64 v[19:20], v[28:29], v[28:29]
	v_fma_f64 v[34:35], v[28:29], v[53:54], s[16:17]
	v_fma_f64 v[53:54], v[32:33], -v[36:37], v[59:60]
	v_fma_f64 v[28:29], v[28:29], v[30:31], -v[36:37]
	v_fma_f64 v[30:31], v[61:62], v[55:56], v[57:58]
	v_and_b32_e32 v36, 1, v52
	v_cmp_eq_u32_e64 s[8:9], 0, v36
	v_fma_f64 v[17:18], v[69:70], s[52:53], v[17:18]
	v_fma_f64 v[19:20], v[19:20], v[34:35], v[53:54]
	v_fma_f64 v[28:29], v[73:74], s[52:53], v[28:29]
	v_add_f64 v[30:31], v[63:64], v[30:31]
	v_and_b32_e32 v35, 1, v22
	v_lshlrev_b32_e32 v22, 30, v22
	v_add_f64 v[9:10], v[9:10], -v[17:18]
	v_lshlrev_b32_e32 v34, 30, v52
	v_xor_b32_e32 v22, v22, v12
	v_add_f64 v[17:18], v[67:68], v[19:20]
	v_add_f64 v[19:20], v[32:33], -v[28:29]
	v_cmp_eq_u32_e64 s[12:13], 0, v35
	v_and_b32_e32 v34, 0x80000000, v34
	v_and_b32_e32 v22, 0x80000000, v22
	v_xor_b32_e32 v10, 0x80000000, v10
	v_cndmask_b32_e64 v9, v9, v30, s[8:9]
	v_cndmask_b32_e64 v10, v10, v31, s[8:9]
	v_xor_b32_e32 v10, v10, v34
	v_cndmask_b32_e64 v12, v18, v20, s[12:13]
	v_cndmask_b32_e64 v11, v17, v19, s[12:13]
	;; [unrolled: 1-line block ×3, first 2 shown]
	v_xor_b32_e32 v9, v12, v22
	v_cndmask_b32_e64 v19, 0, v11, s[10:11]
	v_cndmask_b32_e64 v18, v50, v10, s[10:11]
	;; [unrolled: 1-line block ×3, first 2 shown]
.LBB137_140:                            ;   in Loop: Header=BB137_4 Depth=1
	s_or_b64 exec, exec, s[4:5]
                                        ; implicit-def: $vgpr9_vgpr10
.LBB137_141:                            ;   in Loop: Header=BB137_4 Depth=1
	s_andn2_saveexec_b64 s[4:5], s[18:19]
	s_cbranch_execz .LBB137_143
; %bb.142:                              ;   in Loop: Header=BB137_4 Depth=1
	v_mul_f64 v[17:18], v[9:10], s[34:35]
	s_mov_b32 s93, s51
	s_mov_b32 s95, s17
	v_cmp_nlt_f64_e64 s[8:9], s[76:77], v[9:10]
	v_cmp_ngt_f64_e64 s[10:11], s[14:15], v[9:10]
	v_rndne_f64_e32 v[17:18], v[17:18]
	v_fma_f64 v[19:20], v[17:18], s[36:37], v[9:10]
	v_fma_f64 v[19:20], v[17:18], s[38:39], v[19:20]
	v_cvt_i32_f64_e32 v17, v[17:18]
	v_fma_f64 v[28:29], v[19:20], s[40:41], v[26:27]
	v_fma_f64 v[28:29], v[19:20], v[28:29], s[42:43]
	;; [unrolled: 1-line block ×9, first 2 shown]
	v_fma_f64 v[28:29], v[19:20], v[28:29], 1.0
	v_fma_f64 v[19:20], v[19:20], v[28:29], 1.0
	v_ldexp_f64 v[17:18], v[19:20], v17
	v_mov_b32_e32 v20, v12
	v_mov_b32_e32 v19, v11
	v_cndmask_b32_e64 v18, v49, v18, s[8:9]
	s_and_b64 s[8:9], s[10:11], s[8:9]
	v_cndmask_b32_e64 v18, 0, v18, s[10:11]
	v_cndmask_b32_e64 v17, 0, v17, s[8:9]
.LBB137_143:                            ;   in Loop: Header=BB137_4 Depth=1
	s_or_b64 exec, exec, s[4:5]
	v_and_b32_e32 v51, 0x7fffffff, v4
	v_or_b32_e32 v9, v51, v3
	v_cmp_ne_u32_e64 s[8:9], 0, v9
                                        ; implicit-def: $vgpr11_vgpr12
	s_and_saveexec_b64 s[4:5], s[8:9]
	s_xor_b64 s[18:19], exec, s[4:5]
	s_cbranch_execz .LBB137_177
; %bb.144:                              ;   in Loop: Header=BB137_4 Depth=1
	v_and_b32_e32 v22, 0x7fffffff, v2
	v_or_b32_e32 v9, v22, v1
	v_cmp_ne_u32_e64 s[8:9], 0, v9
                                        ; implicit-def: $vgpr11_vgpr12
	s_and_saveexec_b64 s[4:5], s[8:9]
	s_xor_b64 s[4:5], exec, s[4:5]
	s_cbranch_execz .LBB137_174
; %bb.145:                              ;   in Loop: Header=BB137_4 Depth=1
	v_cmp_gt_u32_e64 s[8:9], s84, v51
                                        ; implicit-def: $vgpr11_vgpr12
	s_and_saveexec_b64 s[10:11], s[8:9]
	s_xor_b64 s[26:27], exec, s[10:11]
	s_cbranch_execz .LBB137_167
; %bb.146:                              ;   in Loop: Header=BB137_4 Depth=1
	v_add_u32_e32 v9, 0xbf79d1be, v2
	s_mov_b32 s8, 0x108aa2
	v_cmp_lt_u32_e64 s[8:9], s8, v9
                                        ; implicit-def: $vgpr11_vgpr12
	s_and_saveexec_b64 s[10:11], s[8:9]
	s_xor_b64 s[12:13], exec, s[10:11]
	s_cbranch_execz .LBB137_156
; %bb.147:                              ;   in Loop: Header=BB137_4 Depth=1
	s_mov_b32 s8, 0
	s_mov_b32 s9, 0x41d00000
	v_cmp_nlt_f64_e64 s[10:11], |v[3:4]|, s[8:9]
	s_movk_i32 s52, 0xff80
                                        ; implicit-def: $vgpr32
                                        ; implicit-def: $vgpr9_vgpr10
                                        ; implicit-def: $vgpr30_vgpr31
	s_and_saveexec_b64 s[8:9], s[10:11]
	s_xor_b64 s[30:31], exec, s[8:9]
	s_cbranch_execz .LBB137_149
; %bb.148:                              ;   in Loop: Header=BB137_4 Depth=1
	v_trig_preop_f64 v[9:10], |v[3:4]|, 0
	s_mov_b32 s8, 0
	s_mov_b32 s9, 0x7b000000
	v_ldexp_f64 v[11:12], |v[3:4]|, s52
	v_cmp_ge_f64_e64 s[8:9], |v[3:4]|, s[8:9]
	v_trig_preop_f64 v[28:29], |v[3:4]|, 1
	v_trig_preop_f64 v[36:37], |v[3:4]|, 2
	s_mov_b32 s86, s24
	s_mov_b32 s91, s89
	v_cndmask_b32_e64 v12, v51, v12, s[8:9]
	v_cndmask_b32_e64 v11, v3, v11, s[8:9]
	s_mov_b32 s8, 0
	s_mov_b32 s9, 0x7ff00000
	v_mul_f64 v[30:31], v[9:10], v[11:12]
	v_mul_f64 v[32:33], v[28:29], v[11:12]
	;; [unrolled: 1-line block ×3, first 2 shown]
	v_fma_f64 v[9:10], v[9:10], v[11:12], -v[30:31]
	v_fma_f64 v[28:29], v[28:29], v[11:12], -v[32:33]
	;; [unrolled: 1-line block ×3, first 2 shown]
	v_add_f64 v[34:35], v[32:33], v[9:10]
	v_add_f64 v[52:53], v[34:35], -v[32:33]
	v_add_f64 v[58:59], v[30:31], v[34:35]
	v_add_f64 v[54:55], v[34:35], -v[52:53]
	v_add_f64 v[9:10], v[9:10], -v[52:53]
	v_add_f64 v[52:53], v[56:57], v[28:29]
	v_add_f64 v[30:31], v[58:59], -v[30:31]
	v_add_f64 v[32:33], v[32:33], -v[54:55]
	v_ldexp_f64 v[54:55], v[58:59], -2
	v_add_f64 v[60:61], v[52:53], -v[56:57]
	v_add_f64 v[30:31], v[34:35], -v[30:31]
	v_add_f64 v[9:10], v[9:10], v[32:33]
	v_fract_f64_e32 v[32:33], v[54:55]
	v_cmp_neq_f64_e64 s[8:9], |v[54:55]|, s[8:9]
	v_add_f64 v[28:29], v[28:29], -v[60:61]
	v_add_f64 v[34:35], v[52:53], v[9:10]
	v_ldexp_f64 v[32:33], v[32:33], 2
	v_add_f64 v[54:55], v[30:31], v[34:35]
	v_cndmask_b32_e64 v33, 0, v33, s[8:9]
	v_cndmask_b32_e64 v32, 0, v32, s[8:9]
	v_add_f64 v[62:63], v[34:35], -v[52:53]
	v_add_f64 v[58:59], v[54:55], v[32:33]
	v_add_f64 v[30:31], v[54:55], -v[30:31]
	v_add_f64 v[64:65], v[34:35], -v[62:63]
	;; [unrolled: 1-line block ×3, first 2 shown]
	v_cmp_gt_f64_e64 s[8:9], 0, v[58:59]
	v_add_f64 v[58:59], v[52:53], -v[60:61]
	v_add_f64 v[30:31], v[34:35], -v[30:31]
	;; [unrolled: 1-line block ×3, first 2 shown]
	v_cndmask_b32_e64 v22, 0, v47, s[8:9]
	v_add_f64 v[32:33], v[32:33], v[21:22]
	v_add_f64 v[58:59], v[56:57], -v[58:59]
	v_add_f64 v[9:10], v[9:10], v[52:53]
	v_add_f64 v[66:67], v[54:55], v[32:33]
	;; [unrolled: 1-line block ×3, first 2 shown]
	v_cvt_i32_f64_e32 v62, v[66:67]
	v_add_f64 v[9:10], v[28:29], v[9:10]
	v_cvt_f64_i32_e32 v[60:61], v62
	v_add_f64 v[32:33], v[32:33], -v[60:61]
	v_add_f64 v[9:10], v[11:12], v[9:10]
	v_add_f64 v[28:29], v[54:55], v[32:33]
	;; [unrolled: 1-line block ×3, first 2 shown]
	v_add_f64 v[11:12], v[28:29], -v[32:33]
	v_cmp_le_f64_e64 s[8:9], 0.5, v[28:29]
	v_add_f64 v[11:12], v[54:55], -v[11:12]
	v_cndmask_b32_e64 v22, 0, v48, s[8:9]
	v_add_f64 v[9:10], v[9:10], v[11:12]
	v_add_f64 v[11:12], v[28:29], -v[21:22]
	v_add_f64 v[28:29], v[11:12], v[9:10]
	v_mul_f64 v[30:31], v[28:29], s[86:87]
	v_add_f64 v[11:12], v[28:29], -v[11:12]
	v_fma_f64 v[32:33], v[28:29], s[86:87], -v[30:31]
	v_add_f64 v[9:10], v[9:10], -v[11:12]
	v_fma_f64 v[11:12], v[28:29], s[90:91], v[32:33]
	v_addc_co_u32_e64 v32, s[8:9], 0, v62, s[8:9]
	v_fma_f64 v[11:12], v[9:10], s[86:87], v[11:12]
	v_add_f64 v[9:10], v[30:31], v[11:12]
	v_add_f64 v[28:29], v[9:10], -v[30:31]
	v_add_f64 v[30:31], v[11:12], -v[28:29]
.LBB137_149:                            ;   in Loop: Header=BB137_4 Depth=1
	s_andn2_saveexec_b64 s[8:9], s[30:31]
	s_cbranch_execz .LBB137_151
; %bb.150:                              ;   in Loop: Header=BB137_4 Depth=1
	s_mov_b32 s30, 0x6dc9c883
	s_mov_b32 s31, 0x3fe45f30
	v_mul_f64 v[9:10], |v[3:4]|, s[30:31]
	s_mov_b32 s88, s28
	s_mov_b32 s30, 0x252049c0
	;; [unrolled: 1-line block ×3, first 2 shown]
	v_rndne_f64_e32 v[11:12], v[9:10]
	v_fma_f64 v[9:10], v[11:12], s[24:25], |v[3:4]|
	v_mul_f64 v[28:29], v[11:12], s[28:29]
	v_fma_f64 v[34:35], v[11:12], s[28:29], v[9:10]
	v_add_f64 v[30:31], v[9:10], v[28:29]
	v_add_f64 v[32:33], v[9:10], -v[30:31]
	v_add_f64 v[30:31], v[30:31], -v[34:35]
	v_add_f64 v[9:10], v[32:33], v[28:29]
	v_fma_f64 v[28:29], v[11:12], s[88:89], v[28:29]
	v_cvt_i32_f64_e32 v32, v[11:12]
	v_add_f64 v[9:10], v[30:31], v[9:10]
	v_add_f64 v[9:10], v[9:10], -v[28:29]
	v_fma_f64 v[28:29], v[11:12], s[30:31], v[9:10]
	v_add_f64 v[9:10], v[34:35], v[28:29]
	v_add_f64 v[30:31], v[9:10], -v[34:35]
	v_add_f64 v[30:31], v[28:29], -v[30:31]
.LBB137_151:                            ;   in Loop: Header=BB137_4 Depth=1
	s_or_b64 exec, exec, s[8:9]
                                        ; implicit-def: $vgpr22
                                        ; implicit-def: $vgpr11_vgpr12
                                        ; implicit-def: $vgpr28_vgpr29
	s_and_saveexec_b64 s[8:9], s[10:11]
	s_xor_b64 s[10:11], exec, s[8:9]
	s_mov_b32 s84, 0x7ff00000
	s_movk_i32 s85, 0xff80
	s_cbranch_execz .LBB137_153
; %bb.152:                              ;   in Loop: Header=BB137_4 Depth=1
	v_trig_preop_f64 v[11:12], |v[3:4]|, 0
	s_mov_b32 s8, 0
	s_mov_b32 s9, 0x7b000000
	v_ldexp_f64 v[28:29], |v[3:4]|, s85
	v_cmp_ge_f64_e64 s[8:9], |v[3:4]|, s[8:9]
	v_trig_preop_f64 v[33:34], |v[3:4]|, 1
	v_trig_preop_f64 v[55:56], |v[3:4]|, 2
	s_mov_b32 s86, s24
	s_mov_b32 s91, s89
	v_cndmask_b32_e64 v29, v51, v29, s[8:9]
	v_cndmask_b32_e64 v28, v3, v28, s[8:9]
	s_mov_b32 s8, 0
	s_mov_b32 s9, 0x7ff00000
	v_mul_f64 v[35:36], v[11:12], v[28:29]
	v_mul_f64 v[51:52], v[33:34], v[28:29]
	;; [unrolled: 1-line block ×3, first 2 shown]
	v_fma_f64 v[11:12], v[11:12], v[28:29], -v[35:36]
	v_fma_f64 v[33:34], v[33:34], v[28:29], -v[51:52]
	;; [unrolled: 1-line block ×3, first 2 shown]
	v_add_f64 v[53:54], v[51:52], v[11:12]
	v_add_f64 v[57:58], v[53:54], -v[51:52]
	v_add_f64 v[63:64], v[35:36], v[53:54]
	v_add_f64 v[59:60], v[53:54], -v[57:58]
	v_add_f64 v[11:12], v[11:12], -v[57:58]
	v_add_f64 v[57:58], v[61:62], v[33:34]
	v_add_f64 v[35:36], v[63:64], -v[35:36]
	v_add_f64 v[51:52], v[51:52], -v[59:60]
	v_ldexp_f64 v[59:60], v[63:64], -2
	v_add_f64 v[65:66], v[57:58], -v[61:62]
	v_add_f64 v[35:36], v[53:54], -v[35:36]
	v_add_f64 v[11:12], v[11:12], v[51:52]
	v_fract_f64_e32 v[51:52], v[59:60]
	v_cmp_neq_f64_e64 s[8:9], |v[59:60]|, s[8:9]
	v_add_f64 v[33:34], v[33:34], -v[65:66]
	v_add_f64 v[53:54], v[57:58], v[11:12]
	v_ldexp_f64 v[51:52], v[51:52], 2
	v_add_f64 v[59:60], v[35:36], v[53:54]
	v_cndmask_b32_e64 v52, 0, v52, s[8:9]
	v_cndmask_b32_e64 v51, 0, v51, s[8:9]
	v_add_f64 v[67:68], v[53:54], -v[57:58]
	v_add_f64 v[63:64], v[59:60], v[51:52]
	v_add_f64 v[35:36], v[59:60], -v[35:36]
	v_add_f64 v[69:70], v[53:54], -v[67:68]
	;; [unrolled: 1-line block ×3, first 2 shown]
	v_cmp_gt_f64_e64 s[8:9], 0, v[63:64]
	v_add_f64 v[63:64], v[57:58], -v[65:66]
	v_add_f64 v[35:36], v[53:54], -v[35:36]
	;; [unrolled: 1-line block ×3, first 2 shown]
	v_cndmask_b32_e64 v22, 0, v47, s[8:9]
	v_add_f64 v[51:52], v[51:52], v[21:22]
	v_add_f64 v[63:64], v[61:62], -v[63:64]
	v_add_f64 v[11:12], v[11:12], v[57:58]
	v_add_f64 v[71:72], v[59:60], v[51:52]
	;; [unrolled: 1-line block ×3, first 2 shown]
	v_cvt_i32_f64_e32 v37, v[71:72]
	v_add_f64 v[11:12], v[33:34], v[11:12]
	v_cvt_f64_i32_e32 v[65:66], v37
	v_add_f64 v[51:52], v[51:52], -v[65:66]
	v_add_f64 v[11:12], v[28:29], v[11:12]
	v_add_f64 v[33:34], v[59:60], v[51:52]
	;; [unrolled: 1-line block ×3, first 2 shown]
	v_add_f64 v[28:29], v[33:34], -v[51:52]
	v_cmp_le_f64_e64 s[8:9], 0.5, v[33:34]
	v_add_f64 v[28:29], v[59:60], -v[28:29]
	v_cndmask_b32_e64 v22, 0, v48, s[8:9]
	v_add_f64 v[11:12], v[11:12], v[28:29]
	v_add_f64 v[28:29], v[33:34], -v[21:22]
	v_addc_co_u32_e64 v22, s[8:9], 0, v37, s[8:9]
	v_add_f64 v[33:34], v[28:29], v[11:12]
	v_mul_f64 v[35:36], v[33:34], s[86:87]
	v_add_f64 v[28:29], v[33:34], -v[28:29]
	v_fma_f64 v[51:52], v[33:34], s[86:87], -v[35:36]
	v_add_f64 v[11:12], v[11:12], -v[28:29]
	v_fma_f64 v[28:29], v[33:34], s[90:91], v[51:52]
	v_fma_f64 v[28:29], v[11:12], s[86:87], v[28:29]
	v_add_f64 v[11:12], v[35:36], v[28:29]
	v_add_f64 v[33:34], v[11:12], -v[35:36]
	v_add_f64 v[28:29], v[28:29], -v[33:34]
.LBB137_153:                            ;   in Loop: Header=BB137_4 Depth=1
	s_andn2_saveexec_b64 s[8:9], s[10:11]
	s_cbranch_execz .LBB137_155
; %bb.154:                              ;   in Loop: Header=BB137_4 Depth=1
	s_mov_b32 s10, 0x6dc9c883
	s_mov_b32 s11, 0x3fe45f30
	v_mul_f64 v[11:12], |v[3:4]|, s[10:11]
	s_mov_b32 s88, s28
	s_mov_b32 s10, 0x252049c0
	;; [unrolled: 1-line block ×3, first 2 shown]
	v_rndne_f64_e32 v[33:34], v[11:12]
	v_fma_f64 v[11:12], v[33:34], s[24:25], |v[3:4]|
	v_mul_f64 v[28:29], v[33:34], s[28:29]
	v_cvt_i32_f64_e32 v22, v[33:34]
	v_fma_f64 v[53:54], v[33:34], s[28:29], v[11:12]
	v_add_f64 v[35:36], v[11:12], v[28:29]
	v_add_f64 v[51:52], v[11:12], -v[35:36]
	v_add_f64 v[35:36], v[35:36], -v[53:54]
	v_add_f64 v[11:12], v[51:52], v[28:29]
	v_fma_f64 v[28:29], v[33:34], s[88:89], v[28:29]
	v_add_f64 v[11:12], v[35:36], v[11:12]
	v_add_f64 v[11:12], v[11:12], -v[28:29]
	v_fma_f64 v[28:29], v[33:34], s[10:11], v[11:12]
	v_add_f64 v[11:12], v[53:54], v[28:29]
	v_add_f64 v[35:36], v[11:12], -v[53:54]
	v_add_f64 v[28:29], v[28:29], -v[35:36]
.LBB137_155:                            ;   in Loop: Header=BB137_4 Depth=1
	s_or_b64 exec, exec, s[8:9]
	v_mul_f64 v[33:34], v[1:2], s[34:35]
	s_mov_b32 s93, s51
	s_mov_b32 s95, s17
	v_cmp_nlt_f64_e64 s[8:9], s[76:77], v[1:2]
	v_cmp_ngt_f64_e64 s[10:11], s[14:15], v[1:2]
	v_mov_b32_e32 v55, s58
	v_mov_b32_e32 v56, s59
	v_mul_f64 v[59:60], v[30:31], 0.5
	v_rndne_f64_e32 v[33:34], v[33:34]
	s_mov_b32 s52, s16
	v_fma_f64 v[35:36], v[33:34], s[36:37], v[1:2]
	v_fma_f64 v[35:36], v[33:34], s[38:39], v[35:36]
	v_cvt_i32_f64_e32 v33, v[33:34]
	v_fma_f64 v[51:52], v[35:36], s[40:41], v[26:27]
	v_fma_f64 v[51:52], v[35:36], v[51:52], s[42:43]
	;; [unrolled: 1-line block ×9, first 2 shown]
	v_fma_f64 v[51:52], v[35:36], v[51:52], 1.0
	v_fma_f64 v[35:36], v[35:36], v[51:52], 1.0
	v_ldexp_f64 v[33:34], v[35:36], v33
	v_cndmask_b32_e64 v34, v49, v34, s[8:9]
	s_and_b64 s[8:9], s[10:11], s[8:9]
	v_cndmask_b32_e64 v1, 0, v33, s[8:9]
	v_cndmask_b32_e64 v2, 0, v34, s[10:11]
	v_mul_f64 v[33:34], v[9:10], v[9:10]
	v_mul_f64 v[35:36], v[33:34], 0.5
	v_fma_f64 v[57:58], v[33:34], s[60:61], v[55:56]
	v_add_f64 v[51:52], -v[35:36], 1.0
	v_fma_f64 v[57:58], v[33:34], v[57:58], s[62:63]
	v_add_f64 v[53:54], -v[51:52], 1.0
	v_fma_f64 v[57:58], v[33:34], v[57:58], s[64:65]
	v_add_f64 v[35:36], v[53:54], -v[35:36]
	v_fma_f64 v[57:58], v[33:34], v[57:58], s[66:67]
	v_mul_f64 v[53:54], v[33:34], v[33:34]
	v_fma_f64 v[35:36], v[9:10], -v[30:31], v[35:36]
	v_fma_f64 v[57:58], v[33:34], v[57:58], s[16:17]
	v_fma_f64 v[35:36], v[53:54], v[57:58], v[35:36]
	v_mul_f64 v[57:58], v[9:10], -v[33:34]
	v_add_f64 v[35:36], v[51:52], v[35:36]
	v_mov_b32_e32 v51, s68
	v_mov_b32_e32 v52, s69
	v_fma_f64 v[53:54], v[33:34], s[70:71], v[51:52]
	v_fma_f64 v[53:54], v[33:34], v[53:54], s[72:73]
	;; [unrolled: 1-line block ×5, first 2 shown]
	v_fma_f64 v[30:31], v[33:34], v[53:54], -v[30:31]
	v_fma_f64 v[30:31], v[57:58], s[52:53], v[30:31]
	v_add_f64 v[9:10], v[9:10], -v[30:31]
	v_and_b32_e32 v30, 1, v32
	v_cmp_eq_u32_e64 s[8:9], 0, v30
	v_lshlrev_b32_e32 v30, 30, v32
	v_and_b32_e32 v30, 0x80000000, v30
	v_xor_b32_e32 v10, 0x80000000, v10
	v_cndmask_b32_e64 v10, v10, v36, s[8:9]
	v_xor_b32_e32 v10, v10, v30
	v_mul_f64 v[30:31], v[11:12], v[11:12]
	v_cndmask_b32_e64 v9, v9, v35, s[8:9]
	v_cmp_class_f64_e64 s[8:9], v[3:4], s83
	v_and_b32_e32 v3, 1, v22
	v_cmp_eq_u32_e64 s[10:11], 0, v3
	v_mul_f64 v[32:33], v[30:31], 0.5
	v_fma_f64 v[53:54], v[30:31], s[60:61], v[55:56]
	v_cndmask_b32_e64 v9, 0, v9, s[8:9]
	v_cndmask_b32_e64 v10, v50, v10, s[8:9]
	v_mul_f64 v[9:10], v[1:2], v[9:10]
	v_add_f64 v[34:35], -v[32:33], 1.0
	v_fma_f64 v[53:54], v[30:31], v[53:54], s[62:63]
	v_add_f64 v[36:37], -v[34:35], 1.0
	v_fma_f64 v[53:54], v[30:31], v[53:54], s[64:65]
	v_add_f64 v[32:33], v[36:37], -v[32:33]
	v_fma_f64 v[53:54], v[30:31], v[53:54], s[66:67]
	v_mul_f64 v[36:37], v[30:31], v[30:31]
	v_fma_f64 v[32:33], v[11:12], -v[28:29], v[32:33]
	v_fma_f64 v[53:54], v[30:31], v[53:54], s[16:17]
	v_fma_f64 v[32:33], v[36:37], v[53:54], v[32:33]
	v_mul_f64 v[36:37], v[11:12], -v[30:31]
	v_add_f64 v[32:33], v[34:35], v[32:33]
	v_fma_f64 v[34:35], v[30:31], s[70:71], v[51:52]
	v_mul_f64 v[51:52], v[28:29], 0.5
	v_fma_f64 v[34:35], v[30:31], v[34:35], s[72:73]
	v_fma_f64 v[34:35], v[30:31], v[34:35], s[74:75]
	;; [unrolled: 1-line block ×4, first 2 shown]
                                        ; implicit-def: $vgpr51
	v_fma_f64 v[28:29], v[30:31], v[34:35], -v[28:29]
	v_fma_f64 v[28:29], v[36:37], s[52:53], v[28:29]
	v_add_f64 v[11:12], v[11:12], -v[28:29]
	v_cndmask_b32_e64 v3, v32, v11, s[10:11]
	v_cndmask_b32_e64 v11, v33, v12, s[10:11]
	v_lshlrev_b32_e32 v12, 30, v22
	v_xor_b32_e32 v4, v12, v4
	v_and_b32_e32 v4, 0x80000000, v4
	v_xor_b32_e32 v4, v11, v4
	v_cndmask_b32_e64 v3, 0, v3, s[8:9]
	v_cndmask_b32_e64 v4, v50, v4, s[8:9]
	v_mul_f64 v[11:12], v[1:2], v[3:4]
                                        ; implicit-def: $vgpr3_vgpr4
.LBB137_156:                            ;   in Loop: Header=BB137_4 Depth=1
	s_andn2_saveexec_b64 s[30:31], s[12:13]
	s_cbranch_execz .LBB137_166
; %bb.157:                              ;   in Loop: Header=BB137_4 Depth=1
	s_mov_b32 s8, 0
	s_mov_b32 s9, 0x41d00000
	v_cmp_nlt_f64_e64 s[10:11], |v[3:4]|, s[8:9]
	s_movk_i32 s52, 0xff80
                                        ; implicit-def: $vgpr37
                                        ; implicit-def: $vgpr9_vgpr10
                                        ; implicit-def: $vgpr30_vgpr31
	s_and_saveexec_b64 s[8:9], s[10:11]
	s_xor_b64 s[12:13], exec, s[8:9]
	s_cbranch_execz .LBB137_159
; %bb.158:                              ;   in Loop: Header=BB137_4 Depth=1
	v_trig_preop_f64 v[9:10], |v[3:4]|, 0
	s_mov_b32 s8, 0
	s_mov_b32 s9, 0x7b000000
	v_ldexp_f64 v[11:12], |v[3:4]|, s52
	v_cmp_ge_f64_e64 s[8:9], |v[3:4]|, s[8:9]
	v_trig_preop_f64 v[28:29], |v[3:4]|, 1
	v_trig_preop_f64 v[36:37], |v[3:4]|, 2
	s_mov_b32 s86, s24
	s_mov_b32 s91, s89
	v_cndmask_b32_e64 v12, v51, v12, s[8:9]
	v_cndmask_b32_e64 v11, v3, v11, s[8:9]
	s_mov_b32 s8, 0
	s_mov_b32 s9, 0x7ff00000
	v_mul_f64 v[30:31], v[9:10], v[11:12]
	v_mul_f64 v[32:33], v[28:29], v[11:12]
	v_mul_f64 v[56:57], v[36:37], v[11:12]
	v_fma_f64 v[9:10], v[9:10], v[11:12], -v[30:31]
	v_fma_f64 v[28:29], v[28:29], v[11:12], -v[32:33]
	;; [unrolled: 1-line block ×3, first 2 shown]
	v_add_f64 v[34:35], v[32:33], v[9:10]
	v_add_f64 v[52:53], v[34:35], -v[32:33]
	v_add_f64 v[58:59], v[30:31], v[34:35]
	v_add_f64 v[54:55], v[34:35], -v[52:53]
	v_add_f64 v[9:10], v[9:10], -v[52:53]
	v_add_f64 v[52:53], v[56:57], v[28:29]
	v_add_f64 v[30:31], v[58:59], -v[30:31]
	v_add_f64 v[32:33], v[32:33], -v[54:55]
	v_ldexp_f64 v[54:55], v[58:59], -2
	v_add_f64 v[60:61], v[52:53], -v[56:57]
	v_add_f64 v[30:31], v[34:35], -v[30:31]
	v_add_f64 v[9:10], v[9:10], v[32:33]
	v_fract_f64_e32 v[32:33], v[54:55]
	v_cmp_neq_f64_e64 s[8:9], |v[54:55]|, s[8:9]
	v_add_f64 v[28:29], v[28:29], -v[60:61]
	v_add_f64 v[34:35], v[52:53], v[9:10]
	v_ldexp_f64 v[32:33], v[32:33], 2
	v_add_f64 v[54:55], v[30:31], v[34:35]
	v_cndmask_b32_e64 v33, 0, v33, s[8:9]
	v_cndmask_b32_e64 v32, 0, v32, s[8:9]
	v_add_f64 v[62:63], v[34:35], -v[52:53]
	v_add_f64 v[58:59], v[54:55], v[32:33]
	v_add_f64 v[30:31], v[54:55], -v[30:31]
	v_add_f64 v[64:65], v[34:35], -v[62:63]
	;; [unrolled: 1-line block ×3, first 2 shown]
	v_cmp_gt_f64_e64 s[8:9], 0, v[58:59]
	v_add_f64 v[58:59], v[52:53], -v[60:61]
	v_add_f64 v[30:31], v[34:35], -v[30:31]
	;; [unrolled: 1-line block ×3, first 2 shown]
	v_cndmask_b32_e64 v22, 0, v47, s[8:9]
	v_add_f64 v[32:33], v[32:33], v[21:22]
	v_add_f64 v[58:59], v[56:57], -v[58:59]
	v_add_f64 v[9:10], v[9:10], v[52:53]
	v_add_f64 v[66:67], v[54:55], v[32:33]
	;; [unrolled: 1-line block ×3, first 2 shown]
	v_cvt_i32_f64_e32 v62, v[66:67]
	v_add_f64 v[9:10], v[28:29], v[9:10]
	v_cvt_f64_i32_e32 v[60:61], v62
	v_add_f64 v[32:33], v[32:33], -v[60:61]
	v_add_f64 v[9:10], v[11:12], v[9:10]
	v_add_f64 v[28:29], v[54:55], v[32:33]
	;; [unrolled: 1-line block ×3, first 2 shown]
	v_add_f64 v[11:12], v[28:29], -v[32:33]
	v_cmp_le_f64_e64 s[8:9], 0.5, v[28:29]
	v_add_f64 v[11:12], v[54:55], -v[11:12]
	v_cndmask_b32_e64 v22, 0, v48, s[8:9]
	v_addc_co_u32_e64 v37, s[8:9], 0, v62, s[8:9]
	v_add_f64 v[9:10], v[9:10], v[11:12]
	v_add_f64 v[11:12], v[28:29], -v[21:22]
	v_add_f64 v[28:29], v[11:12], v[9:10]
	v_mul_f64 v[30:31], v[28:29], s[86:87]
	v_add_f64 v[11:12], v[28:29], -v[11:12]
	v_fma_f64 v[32:33], v[28:29], s[86:87], -v[30:31]
	v_add_f64 v[9:10], v[9:10], -v[11:12]
	v_fma_f64 v[11:12], v[28:29], s[90:91], v[32:33]
	v_fma_f64 v[11:12], v[9:10], s[86:87], v[11:12]
	v_add_f64 v[9:10], v[30:31], v[11:12]
	v_add_f64 v[28:29], v[9:10], -v[30:31]
	v_add_f64 v[30:31], v[11:12], -v[28:29]
.LBB137_159:                            ;   in Loop: Header=BB137_4 Depth=1
	s_andn2_saveexec_b64 s[8:9], s[12:13]
	s_cbranch_execz .LBB137_161
; %bb.160:                              ;   in Loop: Header=BB137_4 Depth=1
	s_mov_b32 s12, 0x6dc9c883
	s_mov_b32 s13, 0x3fe45f30
	v_mul_f64 v[9:10], |v[3:4]|, s[12:13]
	s_mov_b32 s88, s28
	s_mov_b32 s12, 0x252049c0
	;; [unrolled: 1-line block ×3, first 2 shown]
	v_rndne_f64_e32 v[11:12], v[9:10]
	v_fma_f64 v[9:10], v[11:12], s[24:25], |v[3:4]|
	v_mul_f64 v[28:29], v[11:12], s[28:29]
	v_cvt_i32_f64_e32 v37, v[11:12]
	v_fma_f64 v[34:35], v[11:12], s[28:29], v[9:10]
	v_add_f64 v[30:31], v[9:10], v[28:29]
	v_add_f64 v[32:33], v[9:10], -v[30:31]
	v_add_f64 v[30:31], v[30:31], -v[34:35]
	v_add_f64 v[9:10], v[32:33], v[28:29]
	v_fma_f64 v[28:29], v[11:12], s[88:89], v[28:29]
	v_add_f64 v[9:10], v[30:31], v[9:10]
	v_add_f64 v[9:10], v[9:10], -v[28:29]
	v_fma_f64 v[28:29], v[11:12], s[12:13], v[9:10]
	v_add_f64 v[9:10], v[34:35], v[28:29]
	v_add_f64 v[30:31], v[9:10], -v[34:35]
	v_add_f64 v[30:31], v[28:29], -v[30:31]
.LBB137_161:                            ;   in Loop: Header=BB137_4 Depth=1
	s_or_b64 exec, exec, s[8:9]
                                        ; implicit-def: $vgpr36
                                        ; implicit-def: $vgpr11_vgpr12
                                        ; implicit-def: $vgpr28_vgpr29
	s_and_saveexec_b64 s[8:9], s[10:11]
	s_xor_b64 s[10:11], exec, s[8:9]
	s_mov_b32 s84, 0x7ff00000
	s_movk_i32 s85, 0xff80
	s_cbranch_execz .LBB137_163
; %bb.162:                              ;   in Loop: Header=BB137_4 Depth=1
	v_trig_preop_f64 v[11:12], |v[3:4]|, 0
	s_mov_b32 s8, 0
	s_mov_b32 s9, 0x7b000000
	v_ldexp_f64 v[28:29], |v[3:4]|, s85
	v_cmp_ge_f64_e64 s[8:9], |v[3:4]|, s[8:9]
	v_trig_preop_f64 v[32:33], |v[3:4]|, 1
	v_trig_preop_f64 v[55:56], |v[3:4]|, 2
	s_mov_b32 s86, s24
	s_mov_b32 s91, s89
	v_cndmask_b32_e64 v29, v51, v29, s[8:9]
	v_cndmask_b32_e64 v28, v3, v28, s[8:9]
	s_mov_b32 s8, 0
	s_mov_b32 s9, 0x7ff00000
	v_mul_f64 v[34:35], v[11:12], v[28:29]
	v_mul_f64 v[51:52], v[32:33], v[28:29]
	;; [unrolled: 1-line block ×3, first 2 shown]
	v_fma_f64 v[11:12], v[11:12], v[28:29], -v[34:35]
	v_fma_f64 v[32:33], v[32:33], v[28:29], -v[51:52]
	;; [unrolled: 1-line block ×3, first 2 shown]
	v_add_f64 v[53:54], v[51:52], v[11:12]
	v_add_f64 v[57:58], v[53:54], -v[51:52]
	v_add_f64 v[63:64], v[34:35], v[53:54]
	v_add_f64 v[59:60], v[53:54], -v[57:58]
	v_add_f64 v[11:12], v[11:12], -v[57:58]
	v_add_f64 v[57:58], v[61:62], v[32:33]
	v_add_f64 v[34:35], v[63:64], -v[34:35]
	v_add_f64 v[51:52], v[51:52], -v[59:60]
	v_ldexp_f64 v[59:60], v[63:64], -2
	v_add_f64 v[65:66], v[57:58], -v[61:62]
	v_add_f64 v[34:35], v[53:54], -v[34:35]
	v_add_f64 v[11:12], v[11:12], v[51:52]
	v_fract_f64_e32 v[51:52], v[59:60]
	v_cmp_neq_f64_e64 s[8:9], |v[59:60]|, s[8:9]
	v_add_f64 v[32:33], v[32:33], -v[65:66]
	v_add_f64 v[53:54], v[57:58], v[11:12]
	v_ldexp_f64 v[51:52], v[51:52], 2
	v_add_f64 v[59:60], v[34:35], v[53:54]
	v_cndmask_b32_e64 v52, 0, v52, s[8:9]
	v_cndmask_b32_e64 v51, 0, v51, s[8:9]
	v_add_f64 v[67:68], v[53:54], -v[57:58]
	v_add_f64 v[63:64], v[59:60], v[51:52]
	v_add_f64 v[34:35], v[59:60], -v[34:35]
	v_add_f64 v[69:70], v[53:54], -v[67:68]
	;; [unrolled: 1-line block ×3, first 2 shown]
	v_cmp_gt_f64_e64 s[8:9], 0, v[63:64]
	v_add_f64 v[63:64], v[57:58], -v[65:66]
	v_add_f64 v[34:35], v[53:54], -v[34:35]
	;; [unrolled: 1-line block ×3, first 2 shown]
	v_cndmask_b32_e64 v22, 0, v47, s[8:9]
	v_add_f64 v[51:52], v[51:52], v[21:22]
	v_add_f64 v[63:64], v[61:62], -v[63:64]
	v_add_f64 v[11:12], v[11:12], v[57:58]
	v_add_f64 v[71:72], v[59:60], v[51:52]
	;; [unrolled: 1-line block ×3, first 2 shown]
	v_cvt_i32_f64_e32 v36, v[71:72]
	v_add_f64 v[11:12], v[32:33], v[11:12]
	v_cvt_f64_i32_e32 v[65:66], v36
	v_add_f64 v[51:52], v[51:52], -v[65:66]
	v_add_f64 v[11:12], v[28:29], v[11:12]
	v_add_f64 v[32:33], v[59:60], v[51:52]
	;; [unrolled: 1-line block ×3, first 2 shown]
	v_add_f64 v[28:29], v[32:33], -v[51:52]
	v_cmp_le_f64_e64 s[8:9], 0.5, v[32:33]
	v_add_f64 v[28:29], v[59:60], -v[28:29]
	v_cndmask_b32_e64 v22, 0, v48, s[8:9]
	v_addc_co_u32_e64 v36, s[8:9], 0, v36, s[8:9]
	v_add_f64 v[11:12], v[11:12], v[28:29]
	v_add_f64 v[28:29], v[32:33], -v[21:22]
	v_add_f64 v[32:33], v[28:29], v[11:12]
	v_mul_f64 v[34:35], v[32:33], s[86:87]
	v_add_f64 v[28:29], v[32:33], -v[28:29]
	v_fma_f64 v[51:52], v[32:33], s[86:87], -v[34:35]
	v_add_f64 v[11:12], v[11:12], -v[28:29]
	v_fma_f64 v[28:29], v[32:33], s[90:91], v[51:52]
	v_fma_f64 v[28:29], v[11:12], s[86:87], v[28:29]
	v_add_f64 v[11:12], v[34:35], v[28:29]
	v_add_f64 v[32:33], v[11:12], -v[34:35]
	v_add_f64 v[28:29], v[28:29], -v[32:33]
.LBB137_163:                            ;   in Loop: Header=BB137_4 Depth=1
	s_andn2_saveexec_b64 s[8:9], s[10:11]
	s_cbranch_execz .LBB137_165
; %bb.164:                              ;   in Loop: Header=BB137_4 Depth=1
	s_mov_b32 s10, 0x6dc9c883
	s_mov_b32 s11, 0x3fe45f30
	v_mul_f64 v[11:12], |v[3:4]|, s[10:11]
	s_mov_b32 s88, s28
	s_mov_b32 s10, 0x252049c0
	;; [unrolled: 1-line block ×3, first 2 shown]
	v_rndne_f64_e32 v[32:33], v[11:12]
	v_fma_f64 v[11:12], v[32:33], s[24:25], |v[3:4]|
	v_mul_f64 v[28:29], v[32:33], s[28:29]
	v_cvt_i32_f64_e32 v36, v[32:33]
	v_fma_f64 v[53:54], v[32:33], s[28:29], v[11:12]
	v_add_f64 v[34:35], v[11:12], v[28:29]
	v_add_f64 v[51:52], v[11:12], -v[34:35]
	v_add_f64 v[34:35], v[34:35], -v[53:54]
	v_add_f64 v[11:12], v[51:52], v[28:29]
	v_fma_f64 v[28:29], v[32:33], s[88:89], v[28:29]
	v_add_f64 v[11:12], v[34:35], v[11:12]
	v_add_f64 v[11:12], v[11:12], -v[28:29]
	v_fma_f64 v[28:29], v[32:33], s[10:11], v[11:12]
	v_add_f64 v[11:12], v[53:54], v[28:29]
	v_add_f64 v[34:35], v[11:12], -v[53:54]
	v_add_f64 v[28:29], v[28:29], -v[34:35]
.LBB137_165:                            ;   in Loop: Header=BB137_4 Depth=1
	s_or_b64 exec, exec, s[8:9]
	v_mul_f64 v[51:52], v[9:10], v[9:10]
	v_mov_b32_e32 v34, s58
	v_mov_b32_e32 v35, s59
	s_mov_b32 s52, s16
	v_cmp_class_f64_e64 s[8:9], v[3:4], s83
	v_and_b32_e32 v3, 1, v37
	v_cmp_eq_u32_e64 s[10:11], 0, v3
	s_mov_b32 s93, s51
	v_mul_f64 v[32:33], v[51:52], 0.5
	v_fma_f64 v[57:58], v[51:52], s[60:61], v[34:35]
	v_mul_f64 v[55:56], v[51:52], v[51:52]
	s_mov_b32 s95, s17
	v_add_f64 v[53:54], -v[32:33], 1.0
	v_fma_f64 v[57:58], v[51:52], v[57:58], s[62:63]
	v_add_f64 v[59:60], -v[53:54], 1.0
	v_fma_f64 v[57:58], v[51:52], v[57:58], s[64:65]
	v_add_f64 v[32:33], v[59:60], -v[32:33]
	v_fma_f64 v[57:58], v[51:52], v[57:58], s[66:67]
	v_mul_f64 v[59:60], v[30:31], 0.5
	v_fma_f64 v[32:33], v[9:10], -v[30:31], v[32:33]
	v_fma_f64 v[57:58], v[51:52], v[57:58], s[16:17]
	v_fma_f64 v[32:33], v[55:56], v[57:58], v[32:33]
	v_mul_f64 v[55:56], v[9:10], -v[51:52]
	v_add_f64 v[53:54], v[53:54], v[32:33]
	v_mov_b32_e32 v32, s68
	v_mov_b32_e32 v33, s69
	v_fma_f64 v[57:58], v[51:52], s[70:71], v[32:33]
	v_fma_f64 v[57:58], v[51:52], v[57:58], s[72:73]
	;; [unrolled: 1-line block ×5, first 2 shown]
	v_fma_f64 v[30:31], v[51:52], v[57:58], -v[30:31]
	v_fma_f64 v[30:31], v[55:56], s[52:53], v[30:31]
	v_add_f64 v[9:10], v[9:10], -v[30:31]
	v_xor_b32_e32 v3, 0x80000000, v10
	v_cndmask_b32_e64 v9, v9, v53, s[10:11]
	v_cndmask_b32_e64 v3, v3, v54, s[10:11]
	s_mov_b32 s10, 0x19ba0da4
	s_mov_b32 s11, 0xc0937be3
	v_add_f64 v[1:2], v[1:2], s[10:11]
	v_lshlrev_b32_e32 v10, 30, v37
	v_and_b32_e32 v10, 0x80000000, v10
	v_xor_b32_e32 v3, v3, v10
	v_cndmask_b32_e64 v10, v50, v3, s[8:9]
	v_cndmask_b32_e64 v9, 0, v9, s[8:9]
	v_mul_f64 v[30:31], v[1:2], s[34:35]
	v_cmp_nlt_f64_e64 s[10:11], s[76:77], v[1:2]
	v_cmp_ngt_f64_e64 s[12:13], s[14:15], v[1:2]
	v_rndne_f64_e32 v[30:31], v[30:31]
	v_fma_f64 v[51:52], v[30:31], s[36:37], v[1:2]
	v_cvt_i32_f64_e32 v3, v[30:31]
	v_fma_f64 v[51:52], v[30:31], s[38:39], v[51:52]
	v_fma_f64 v[53:54], v[51:52], s[40:41], v[26:27]
	;; [unrolled: 1-line block ×10, first 2 shown]
	v_fma_f64 v[53:54], v[51:52], v[53:54], 1.0
	v_fma_f64 v[51:52], v[51:52], v[53:54], 1.0
	v_ldexp_f64 v[30:31], v[51:52], v3
	v_mul_f64 v[51:52], v[11:12], v[11:12]
	v_cndmask_b32_e64 v3, v49, v31, s[10:11]
	v_mul_f64 v[53:54], v[51:52], 0.5
	v_fma_f64 v[34:35], v[51:52], s[60:61], v[34:35]
	v_fma_f64 v[32:33], v[51:52], s[70:71], v[32:33]
	v_cndmask_b32_e64 v3, 0, v3, s[12:13]
	s_and_b64 s[10:11], s[12:13], s[10:11]
	v_and_b32_e32 v1, 0xfffff, v3
	v_cndmask_b32_e64 v30, 0, v30, s[10:11]
	v_or_b32_e32 v31, 0x7fe00000, v1
	v_add_f64 v[55:56], -v[53:54], 1.0
	v_fma_f64 v[34:35], v[51:52], v[34:35], s[62:63]
	v_fma_f64 v[32:33], v[51:52], v[32:33], s[72:73]
	v_mul_f64 v[1:2], v[30:31], v[9:10]
	v_lshrrev_b32_e32 v3, 20, v3
	v_add_u32_e32 v3, 0xffffff09, v3
	v_lshrrev_b16_e32 v9, 15, v3
	v_add_u16_e32 v9, v3, v9
	v_add_f64 v[57:58], -v[55:56], 1.0
	v_fma_f64 v[34:35], v[51:52], v[34:35], s[64:65]
	v_fma_f64 v[32:33], v[51:52], v[32:33], s[74:75]
	v_ashrrev_i16_e32 v9, 1, v9
	v_bfe_i32 v37, v9, 0, 16
	v_lshl_add_u32 v22, v37, 20, v48
	v_mul_f64 v[9:10], v[1:2], v[21:22]
	v_sub_u32_e32 v1, v3, v37
	v_add_f64 v[53:54], v[57:58], -v[53:54]
	v_fma_f64 v[34:35], v[51:52], v[34:35], s[66:67]
	v_mul_f64 v[57:58], v[51:52], v[51:52]
	v_fma_f64 v[32:33], v[51:52], v[32:33], s[50:51]
	v_and_b32_e32 v3, 1, v36
	v_cmp_eq_u32_e64 s[10:11], 0, v3
	v_lshl_add_u32 v2, v1, 20, v48
	v_mov_b32_e32 v1, v21
	v_fma_f64 v[53:54], v[11:12], -v[28:29], v[53:54]
	v_fma_f64 v[34:35], v[51:52], v[34:35], s[16:17]
	v_mul_f64 v[9:10], v[9:10], v[1:2]
	v_fma_f64 v[34:35], v[57:58], v[34:35], v[53:54]
	v_mul_f64 v[53:54], v[11:12], -v[51:52]
	v_add_f64 v[34:35], v[55:56], v[34:35]
	v_mul_f64 v[55:56], v[28:29], 0.5
	v_fma_f64 v[32:33], v[53:54], v[32:33], v[55:56]
	v_fma_f64 v[28:29], v[51:52], v[32:33], -v[28:29]
	v_fma_f64 v[28:29], v[53:54], s[52:53], v[28:29]
	v_add_f64 v[11:12], v[11:12], -v[28:29]
	v_cndmask_b32_e64 v3, v34, v11, s[10:11]
	v_cndmask_b32_e64 v11, v35, v12, s[10:11]
	v_lshlrev_b32_e32 v12, 30, v36
	v_xor_b32_e32 v4, v12, v4
	v_and_b32_e32 v4, 0x80000000, v4
	v_xor_b32_e32 v4, v11, v4
	v_cndmask_b32_e64 v3, 0, v3, s[8:9]
	v_cndmask_b32_e64 v4, v50, v4, s[8:9]
	v_mul_f64 v[3:4], v[30:31], v[3:4]
	v_mul_f64 v[3:4], v[3:4], v[21:22]
	;; [unrolled: 1-line block ×3, first 2 shown]
.LBB137_166:                            ;   in Loop: Header=BB137_4 Depth=1
	s_or_b64 exec, exec, s[30:31]
                                        ; implicit-def: $vgpr1_vgpr2
                                        ; implicit-def: $vgpr22
.LBB137_167:                            ;   in Loop: Header=BB137_4 Depth=1
	s_andn2_saveexec_b64 s[12:13], s[26:27]
	s_cbranch_execz .LBB137_173
; %bb.168:                              ;   in Loop: Header=BB137_4 Depth=1
	v_add_f64 v[11:12], v[3:4], -v[3:4]
	v_cmp_ne_u32_e64 s[8:9], 0, v1
	v_cmp_ne_u32_e64 s[10:11], s84, v22
	s_or_b64 s[8:9], s[8:9], s[10:11]
	s_and_saveexec_b64 s[10:11], s[8:9]
	s_xor_b64 s[8:9], exec, s[10:11]
; %bb.169:                              ;   in Loop: Header=BB137_4 Depth=1
                                        ; implicit-def: $vgpr1_vgpr2
; %bb.170:                              ;   in Loop: Header=BB137_4 Depth=1
	s_or_saveexec_b64 s[10:11], s[8:9]
	v_mov_b32_e32 v9, v11
	v_mov_b32_e32 v10, v12
	s_xor_b64 exec, exec, s[10:11]
; %bb.171:                              ;   in Loop: Header=BB137_4 Depth=1
	v_cmp_lt_i64_e64 s[8:9], -1, v[1:2]
	v_cndmask_b32_e64 v10, 0, v2, s[8:9]
	v_cndmask_b32_e64 v9, 0, v1, s[8:9]
	;; [unrolled: 1-line block ×4, first 2 shown]
; %bb.172:                              ;   in Loop: Header=BB137_4 Depth=1
	s_or_b64 exec, exec, s[10:11]
.LBB137_173:                            ;   in Loop: Header=BB137_4 Depth=1
	s_or_b64 exec, exec, s[12:13]
                                        ; implicit-def: $vgpr3_vgpr4
                                        ; implicit-def: $vgpr51
.LBB137_174:                            ;   in Loop: Header=BB137_4 Depth=1
	s_andn2_saveexec_b64 s[4:5], s[4:5]
	s_cbranch_execz .LBB137_189
; %bb.175:                              ;   in Loop: Header=BB137_4 Depth=1
	v_trig_preop_f64 v[30:31], |v[3:4]|, 0
	v_trig_preop_f64 v[28:29], |v[3:4]|, 1
	;; [unrolled: 1-line block ×3, first 2 shown]
	s_mov_b32 s8, 0
	s_mov_b32 s9, 0x41d00000
	v_cmp_nlt_f64_e64 s[10:11], |v[3:4]|, s[8:9]
	v_ldexp_f64 v[34:35], |v[3:4]|, s85
                                        ; implicit-def: $vgpr52
                                        ; implicit-def: $vgpr1_vgpr2
                                        ; implicit-def: $vgpr9_vgpr10
	s_and_saveexec_b64 s[8:9], s[10:11]
	s_xor_b64 s[12:13], exec, s[8:9]
	s_cbranch_execz .LBB137_182
; %bb.176:                              ;   in Loop: Header=BB137_4 Depth=1
	s_mov_b32 s8, 0
	s_mov_b32 s9, 0x7b000000
	v_cmp_ge_f64_e64 s[8:9], |v[3:4]|, s[8:9]
	s_mov_b32 s86, s24
	s_mov_b32 s91, s89
	v_cndmask_b32_e64 v2, v51, v35, s[8:9]
	v_cndmask_b32_e64 v1, v3, v34, s[8:9]
	v_mul_f64 v[9:10], v[30:31], v[1:2]
	v_mul_f64 v[32:33], v[28:29], v[1:2]
	;; [unrolled: 1-line block ×3, first 2 shown]
	s_mov_b32 s8, 0
	s_mov_b32 s9, 0x7ff00000
	v_fma_f64 v[36:37], v[30:31], v[1:2], -v[9:10]
	v_fma_f64 v[60:61], v[28:29], v[1:2], -v[32:33]
	;; [unrolled: 1-line block ×3, first 2 shown]
	v_add_f64 v[52:53], v[32:33], v[36:37]
	v_add_f64 v[54:55], v[52:53], -v[32:33]
	v_add_f64 v[62:63], v[9:10], v[52:53]
	v_add_f64 v[56:57], v[52:53], -v[54:55]
	v_add_f64 v[36:37], v[36:37], -v[54:55]
	v_add_f64 v[54:55], v[58:59], v[60:61]
	v_add_f64 v[9:10], v[62:63], -v[9:10]
	v_add_f64 v[32:33], v[32:33], -v[56:57]
	v_ldexp_f64 v[56:57], v[62:63], -2
	v_add_f64 v[64:65], v[54:55], -v[58:59]
	v_add_f64 v[9:10], v[52:53], -v[9:10]
	v_add_f64 v[32:33], v[36:37], v[32:33]
	v_fract_f64_e32 v[36:37], v[56:57]
	v_cmp_neq_f64_e64 s[8:9], |v[56:57]|, s[8:9]
	v_add_f64 v[60:61], v[60:61], -v[64:65]
	v_add_f64 v[52:53], v[54:55], v[32:33]
	v_ldexp_f64 v[36:37], v[36:37], 2
	v_add_f64 v[56:57], v[9:10], v[52:53]
	v_cndmask_b32_e64 v37, 0, v37, s[8:9]
	v_cndmask_b32_e64 v36, 0, v36, s[8:9]
	v_add_f64 v[66:67], v[52:53], -v[54:55]
	v_add_f64 v[62:63], v[56:57], v[36:37]
	v_add_f64 v[9:10], v[56:57], -v[9:10]
	v_add_f64 v[68:69], v[52:53], -v[66:67]
	;; [unrolled: 1-line block ×3, first 2 shown]
	v_cmp_gt_f64_e64 s[8:9], 0, v[62:63]
	v_add_f64 v[62:63], v[54:55], -v[64:65]
	v_add_f64 v[9:10], v[52:53], -v[9:10]
	;; [unrolled: 1-line block ×3, first 2 shown]
	v_cndmask_b32_e64 v22, 0, v47, s[8:9]
	v_add_f64 v[36:37], v[36:37], v[21:22]
	v_add_f64 v[62:63], v[58:59], -v[62:63]
	v_add_f64 v[32:33], v[32:33], v[54:55]
	v_add_f64 v[70:71], v[56:57], v[36:37]
	;; [unrolled: 1-line block ×3, first 2 shown]
	v_cvt_i32_f64_e32 v66, v[70:71]
	v_add_f64 v[32:33], v[60:61], v[32:33]
	v_cvt_f64_i32_e32 v[64:65], v66
	v_add_f64 v[36:37], v[36:37], -v[64:65]
	v_add_f64 v[1:2], v[1:2], v[32:33]
	v_add_f64 v[54:55], v[56:57], v[36:37]
	;; [unrolled: 1-line block ×3, first 2 shown]
	v_add_f64 v[32:33], v[54:55], -v[36:37]
	v_cmp_le_f64_e64 s[8:9], 0.5, v[54:55]
	v_add_f64 v[9:10], v[56:57], -v[32:33]
	v_cndmask_b32_e64 v22, 0, v48, s[8:9]
	v_add_f64 v[1:2], v[1:2], v[9:10]
	v_add_f64 v[9:10], v[54:55], -v[21:22]
	v_add_f64 v[32:33], v[9:10], v[1:2]
	v_mul_f64 v[36:37], v[32:33], s[86:87]
	v_add_f64 v[9:10], v[32:33], -v[9:10]
	v_fma_f64 v[52:53], v[32:33], s[86:87], -v[36:37]
	v_add_f64 v[1:2], v[1:2], -v[9:10]
	v_fma_f64 v[9:10], v[32:33], s[90:91], v[52:53]
	v_addc_co_u32_e64 v52, s[8:9], 0, v66, s[8:9]
	v_fma_f64 v[9:10], v[1:2], s[86:87], v[9:10]
	v_add_f64 v[1:2], v[36:37], v[9:10]
	v_add_f64 v[32:33], v[1:2], -v[36:37]
	v_add_f64 v[9:10], v[9:10], -v[32:33]
	s_andn2_saveexec_b64 s[8:9], s[12:13]
	s_cbranch_execz .LBB137_184
	s_branch .LBB137_183
.LBB137_177:                            ;   in Loop: Header=BB137_4 Depth=1
	s_andn2_saveexec_b64 s[4:5], s[18:19]
	s_cbranch_execz .LBB137_190
.LBB137_178:                            ;   in Loop: Header=BB137_4 Depth=1
	v_mul_f64 v[9:10], v[1:2], s[34:35]
	s_mov_b32 s93, s51
	s_mov_b32 s95, s17
	v_cmp_nlt_f64_e64 s[8:9], s[76:77], v[1:2]
	v_cmp_ngt_f64_e64 s[10:11], s[14:15], v[1:2]
	v_rndne_f64_e32 v[9:10], v[9:10]
	v_fma_f64 v[11:12], v[9:10], s[36:37], v[1:2]
	v_fma_f64 v[11:12], v[9:10], s[38:39], v[11:12]
	v_cvt_i32_f64_e32 v9, v[9:10]
	v_fma_f64 v[28:29], v[11:12], s[40:41], v[26:27]
	v_fma_f64 v[28:29], v[11:12], v[28:29], s[42:43]
	;; [unrolled: 1-line block ×9, first 2 shown]
	v_fma_f64 v[28:29], v[11:12], v[28:29], 1.0
	v_fma_f64 v[11:12], v[11:12], v[28:29], 1.0
	v_ldexp_f64 v[9:10], v[11:12], v9
	v_mov_b32_e32 v12, v4
	v_mov_b32_e32 v11, v3
	v_cndmask_b32_e64 v10, v49, v10, s[8:9]
	s_and_b64 s[8:9], s[10:11], s[8:9]
	v_cndmask_b32_e64 v10, 0, v10, s[10:11]
	v_cndmask_b32_e64 v9, 0, v9, s[8:9]
	s_or_b64 exec, exec, s[4:5]
	s_and_saveexec_b64 s[4:5], vcc
	s_xor_b64 s[4:5], exec, s[4:5]
	s_cbranch_execnz .LBB137_191
.LBB137_179:                            ;   in Loop: Header=BB137_4 Depth=1
	s_or_b64 exec, exec, s[4:5]
	s_and_saveexec_b64 s[4:5], s[0:1]
	s_cbranch_execz .LBB137_192
.LBB137_180:                            ;   in Loop: Header=BB137_4 Depth=1
	v_mov_b32_e32 v2, s80
	v_add_co_u32_e32 v1, vcc, s33, v42
	v_addc_co_u32_e32 v2, vcc, 0, v2, vcc
	global_store_dwordx4 v[1:2], v[13:16], off
	s_or_b64 exec, exec, s[4:5]
	s_and_saveexec_b64 s[0:1], s[2:3]
	s_cbranch_execnz .LBB137_193
.LBB137_181:                            ;   in Loop: Header=BB137_4 Depth=1
	s_or_b64 exec, exec, s[0:1]
	s_and_saveexec_b64 s[0:1], s[6:7]
	s_cbranch_execz .LBB137_3
	s_branch .LBB137_194
.LBB137_182:                            ;   in Loop: Header=BB137_4 Depth=1
	s_andn2_saveexec_b64 s[8:9], s[12:13]
	s_cbranch_execz .LBB137_184
.LBB137_183:                            ;   in Loop: Header=BB137_4 Depth=1
	s_mov_b32 s12, 0x6dc9c883
	s_mov_b32 s13, 0x3fe45f30
	v_mul_f64 v[1:2], |v[3:4]|, s[12:13]
	s_mov_b32 s88, s28
	s_mov_b32 s12, 0x252049c0
	;; [unrolled: 1-line block ×3, first 2 shown]
	v_rndne_f64_e32 v[32:33], v[1:2]
	v_fma_f64 v[1:2], v[32:33], s[24:25], |v[3:4]|
	v_mul_f64 v[9:10], v[32:33], s[28:29]
	v_fma_f64 v[54:55], v[32:33], s[28:29], v[1:2]
	v_add_f64 v[36:37], v[1:2], v[9:10]
	v_add_f64 v[52:53], v[1:2], -v[36:37]
	v_add_f64 v[36:37], v[36:37], -v[54:55]
	v_add_f64 v[1:2], v[52:53], v[9:10]
	v_fma_f64 v[9:10], v[32:33], s[88:89], v[9:10]
	v_cvt_i32_f64_e32 v52, v[32:33]
	v_add_f64 v[1:2], v[36:37], v[1:2]
	v_add_f64 v[1:2], v[1:2], -v[9:10]
	v_fma_f64 v[9:10], v[32:33], s[12:13], v[1:2]
	v_add_f64 v[1:2], v[54:55], v[9:10]
	v_add_f64 v[36:37], v[1:2], -v[54:55]
	v_add_f64 v[9:10], v[9:10], -v[36:37]
.LBB137_184:                            ;   in Loop: Header=BB137_4 Depth=1
	s_or_b64 exec, exec, s[8:9]
                                        ; implicit-def: $vgpr22
                                        ; implicit-def: $vgpr32_vgpr33
                                        ; implicit-def: $vgpr36_vgpr37
	s_and_saveexec_b64 s[8:9], s[10:11]
	s_xor_b64 s[10:11], exec, s[8:9]
	s_cbranch_execz .LBB137_186
; %bb.185:                              ;   in Loop: Header=BB137_4 Depth=1
	s_mov_b32 s8, 0
	s_mov_b32 s9, 0x7b000000
	v_cmp_ge_f64_e64 s[8:9], |v[3:4]|, s[8:9]
	s_mov_b32 s86, s24
	s_mov_b32 s91, s89
	v_cndmask_b32_e64 v33, v51, v35, s[8:9]
	v_cndmask_b32_e64 v32, v3, v34, s[8:9]
	v_mul_f64 v[34:35], v[30:31], v[32:33]
	v_mul_f64 v[36:37], v[28:29], v[32:33]
	;; [unrolled: 1-line block ×3, first 2 shown]
	s_mov_b32 s8, 0
	s_mov_b32 s9, 0x7ff00000
	v_fma_f64 v[30:31], v[30:31], v[32:33], -v[34:35]
	v_fma_f64 v[28:29], v[28:29], v[32:33], -v[36:37]
	;; [unrolled: 1-line block ×3, first 2 shown]
	v_add_f64 v[53:54], v[36:37], v[30:31]
	v_add_f64 v[55:56], v[53:54], -v[36:37]
	v_add_f64 v[61:62], v[34:35], v[53:54]
	v_add_f64 v[57:58], v[53:54], -v[55:56]
	v_add_f64 v[30:31], v[30:31], -v[55:56]
	v_add_f64 v[55:56], v[59:60], v[28:29]
	v_add_f64 v[34:35], v[61:62], -v[34:35]
	v_add_f64 v[36:37], v[36:37], -v[57:58]
	v_ldexp_f64 v[57:58], v[61:62], -2
	v_add_f64 v[63:64], v[55:56], -v[59:60]
	v_add_f64 v[34:35], v[53:54], -v[34:35]
	v_add_f64 v[30:31], v[30:31], v[36:37]
	v_fract_f64_e32 v[36:37], v[57:58]
	v_cmp_neq_f64_e64 s[8:9], |v[57:58]|, s[8:9]
	v_add_f64 v[28:29], v[28:29], -v[63:64]
	v_add_f64 v[53:54], v[55:56], v[30:31]
	v_ldexp_f64 v[36:37], v[36:37], 2
	v_add_f64 v[57:58], v[34:35], v[53:54]
	v_cndmask_b32_e64 v37, 0, v37, s[8:9]
	v_cndmask_b32_e64 v36, 0, v36, s[8:9]
	v_add_f64 v[65:66], v[53:54], -v[55:56]
	v_add_f64 v[61:62], v[57:58], v[36:37]
	v_add_f64 v[32:33], v[57:58], -v[34:35]
	v_add_f64 v[67:68], v[53:54], -v[65:66]
	;; [unrolled: 1-line block ×3, first 2 shown]
	v_cmp_gt_f64_e64 s[8:9], 0, v[61:62]
	v_add_f64 v[61:62], v[55:56], -v[63:64]
	v_add_f64 v[32:33], v[53:54], -v[32:33]
	;; [unrolled: 1-line block ×3, first 2 shown]
	v_cndmask_b32_e64 v22, 0, v47, s[8:9]
	v_add_f64 v[36:37], v[36:37], v[21:22]
	v_add_f64 v[61:62], v[59:60], -v[61:62]
	v_add_f64 v[30:31], v[30:31], v[55:56]
	v_add_f64 v[69:70], v[57:58], v[36:37]
	;; [unrolled: 1-line block ×3, first 2 shown]
	v_cvt_i32_f64_e32 v51, v[69:70]
	v_add_f64 v[28:29], v[28:29], v[30:31]
	v_cvt_f64_i32_e32 v[63:64], v51
	v_add_f64 v[36:37], v[36:37], -v[63:64]
	v_add_f64 v[11:12], v[11:12], v[28:29]
	v_add_f64 v[30:31], v[57:58], v[36:37]
	;; [unrolled: 1-line block ×3, first 2 shown]
	v_add_f64 v[28:29], v[30:31], -v[36:37]
	v_cmp_le_f64_e64 s[8:9], 0.5, v[30:31]
	v_add_f64 v[28:29], v[57:58], -v[28:29]
	v_cndmask_b32_e64 v22, 0, v48, s[8:9]
	v_add_f64 v[11:12], v[11:12], v[28:29]
	v_add_f64 v[28:29], v[30:31], -v[21:22]
	v_addc_co_u32_e64 v22, s[8:9], 0, v51, s[8:9]
	v_add_f64 v[30:31], v[28:29], v[11:12]
	v_mul_f64 v[34:35], v[30:31], s[86:87]
	v_add_f64 v[28:29], v[30:31], -v[28:29]
	v_fma_f64 v[32:33], v[30:31], s[86:87], -v[34:35]
	v_add_f64 v[11:12], v[11:12], -v[28:29]
	v_fma_f64 v[28:29], v[30:31], s[90:91], v[32:33]
	v_fma_f64 v[11:12], v[11:12], s[86:87], v[28:29]
	v_add_f64 v[32:33], v[34:35], v[11:12]
	v_add_f64 v[28:29], v[32:33], -v[34:35]
	v_add_f64 v[36:37], v[11:12], -v[28:29]
	s_andn2_saveexec_b64 s[8:9], s[10:11]
	s_cbranch_execnz .LBB137_187
	s_branch .LBB137_188
.LBB137_186:                            ;   in Loop: Header=BB137_4 Depth=1
	s_andn2_saveexec_b64 s[8:9], s[10:11]
	s_cbranch_execz .LBB137_188
.LBB137_187:                            ;   in Loop: Header=BB137_4 Depth=1
	s_mov_b32 s10, 0x6dc9c883
	s_mov_b32 s11, 0x3fe45f30
	v_mul_f64 v[11:12], |v[3:4]|, s[10:11]
	s_mov_b32 s88, s28
	s_mov_b32 s10, 0x252049c0
	;; [unrolled: 1-line block ×3, first 2 shown]
	v_rndne_f64_e32 v[11:12], v[11:12]
	v_fma_f64 v[28:29], v[11:12], s[24:25], |v[3:4]|
	v_mul_f64 v[30:31], v[11:12], s[28:29]
	v_cvt_i32_f64_e32 v22, v[11:12]
	v_add_f64 v[32:33], v[28:29], v[30:31]
	v_add_f64 v[34:35], v[28:29], -v[32:33]
	v_fma_f64 v[28:29], v[11:12], s[28:29], v[28:29]
	v_add_f64 v[34:35], v[34:35], v[30:31]
	v_add_f64 v[32:33], v[32:33], -v[28:29]
	v_fma_f64 v[30:31], v[11:12], s[88:89], v[30:31]
	;; [unrolled: 3-line block ×3, first 2 shown]
	v_add_f64 v[32:33], v[28:29], v[30:31]
	v_add_f64 v[28:29], v[32:33], -v[28:29]
	v_add_f64 v[36:37], v[30:31], -v[28:29]
.LBB137_188:                            ;   in Loop: Header=BB137_4 Depth=1
	s_or_b64 exec, exec, s[8:9]
	v_mul_f64 v[11:12], v[1:2], v[1:2]
	v_mul_f64 v[28:29], v[32:33], v[32:33]
	v_mov_b32_e32 v30, s68
	v_mov_b32_e32 v31, s69
	;; [unrolled: 1-line block ×4, first 2 shown]
	v_mul_f64 v[61:62], v[9:10], 0.5
	v_mul_f64 v[65:66], v[36:37], 0.5
	v_fma_f64 v[34:35], v[11:12], s[70:71], v[30:31]
	v_fma_f64 v[30:31], v[28:29], s[70:71], v[30:31]
	v_mul_f64 v[57:58], v[11:12], 0.5
	v_fma_f64 v[55:56], v[11:12], s[60:61], v[53:54]
	v_fma_f64 v[53:54], v[28:29], s[60:61], v[53:54]
	v_mul_f64 v[59:60], v[28:29], 0.5
	v_mul_f64 v[69:70], v[1:2], -v[11:12]
	v_mul_f64 v[73:74], v[32:33], -v[28:29]
	v_fma_f64 v[34:35], v[11:12], v[34:35], s[72:73]
	v_fma_f64 v[30:31], v[28:29], v[30:31], s[72:73]
	v_add_f64 v[63:64], -v[57:58], 1.0
	v_fma_f64 v[55:56], v[11:12], v[55:56], s[62:63]
	v_fma_f64 v[53:54], v[28:29], v[53:54], s[62:63]
	v_add_f64 v[67:68], -v[59:60], 1.0
	s_mov_b32 s52, s16
	v_cmp_class_f64_e64 s[10:11], v[3:4], s83
	v_fma_f64 v[34:35], v[11:12], v[34:35], s[74:75]
	v_fma_f64 v[30:31], v[28:29], v[30:31], s[74:75]
	v_add_f64 v[71:72], -v[63:64], 1.0
	v_fma_f64 v[55:56], v[11:12], v[55:56], s[64:65]
	v_fma_f64 v[53:54], v[28:29], v[53:54], s[64:65]
	v_add_f64 v[75:76], -v[67:68], 1.0
	v_fma_f64 v[34:35], v[11:12], v[34:35], s[50:51]
	v_fma_f64 v[30:31], v[28:29], v[30:31], s[50:51]
	v_add_f64 v[57:58], v[71:72], -v[57:58]
	v_fma_f64 v[55:56], v[11:12], v[55:56], s[66:67]
	v_fma_f64 v[53:54], v[28:29], v[53:54], s[66:67]
	v_add_f64 v[59:60], v[75:76], -v[59:60]
	v_fma_f64 v[34:35], v[69:70], v[34:35], v[61:62]
	v_fma_f64 v[30:31], v[73:74], v[30:31], v[65:66]
	v_fma_f64 v[57:58], v[1:2], -v[9:10], v[57:58]
	v_mul_f64 v[61:62], v[11:12], v[11:12]
	v_fma_f64 v[55:56], v[11:12], v[55:56], s[16:17]
	v_fma_f64 v[9:10], v[11:12], v[34:35], -v[9:10]
	v_mul_f64 v[11:12], v[28:29], v[28:29]
	v_fma_f64 v[34:35], v[28:29], v[53:54], s[16:17]
	v_fma_f64 v[53:54], v[32:33], -v[36:37], v[59:60]
	v_fma_f64 v[28:29], v[28:29], v[30:31], -v[36:37]
	v_fma_f64 v[30:31], v[61:62], v[55:56], v[57:58]
	v_and_b32_e32 v36, 1, v52
	v_cmp_eq_u32_e64 s[8:9], 0, v36
	v_fma_f64 v[9:10], v[69:70], s[52:53], v[9:10]
	v_fma_f64 v[11:12], v[11:12], v[34:35], v[53:54]
	;; [unrolled: 1-line block ×3, first 2 shown]
	v_add_f64 v[30:31], v[63:64], v[30:31]
	v_and_b32_e32 v35, 1, v22
	v_lshlrev_b32_e32 v22, 30, v22
	v_add_f64 v[1:2], v[1:2], -v[9:10]
	v_lshlrev_b32_e32 v34, 30, v52
	v_xor_b32_e32 v22, v22, v4
	v_add_f64 v[9:10], v[67:68], v[11:12]
	v_add_f64 v[11:12], v[32:33], -v[28:29]
	v_cmp_eq_u32_e64 s[12:13], 0, v35
	v_and_b32_e32 v34, 0x80000000, v34
	v_and_b32_e32 v22, 0x80000000, v22
	v_xor_b32_e32 v2, 0x80000000, v2
	v_cndmask_b32_e64 v1, v1, v30, s[8:9]
	v_cndmask_b32_e64 v2, v2, v31, s[8:9]
	v_xor_b32_e32 v2, v2, v34
	v_cndmask_b32_e64 v4, v10, v12, s[12:13]
	v_cndmask_b32_e64 v3, v9, v11, s[12:13]
	;; [unrolled: 1-line block ×3, first 2 shown]
	v_xor_b32_e32 v1, v4, v22
	v_cndmask_b32_e64 v11, 0, v3, s[10:11]
	v_cndmask_b32_e64 v10, v50, v2, s[10:11]
	;; [unrolled: 1-line block ×3, first 2 shown]
.LBB137_189:                            ;   in Loop: Header=BB137_4 Depth=1
	s_or_b64 exec, exec, s[4:5]
                                        ; implicit-def: $vgpr1_vgpr2
	s_andn2_saveexec_b64 s[4:5], s[18:19]
	s_cbranch_execnz .LBB137_178
.LBB137_190:                            ;   in Loop: Header=BB137_4 Depth=1
	s_or_b64 exec, exec, s[4:5]
	s_and_saveexec_b64 s[4:5], vcc
	s_xor_b64 s[4:5], exec, s[4:5]
	s_cbranch_execz .LBB137_179
.LBB137_191:                            ;   in Loop: Header=BB137_4 Depth=1
	v_mov_b32_e32 v2, s80
	v_add_co_u32_e32 v1, vcc, s33, v23
	v_addc_co_u32_e32 v2, vcc, 0, v2, vcc
	global_store_dwordx4 v[1:2], v[5:8], off
	s_or_b64 exec, exec, s[4:5]
	s_and_saveexec_b64 s[4:5], s[0:1]
	s_cbranch_execnz .LBB137_180
.LBB137_192:                            ;   in Loop: Header=BB137_4 Depth=1
	s_or_b64 exec, exec, s[4:5]
	s_and_saveexec_b64 s[0:1], s[2:3]
	s_cbranch_execz .LBB137_181
.LBB137_193:                            ;   in Loop: Header=BB137_4 Depth=1
	v_mov_b32_e32 v2, s80
	v_add_co_u32_e32 v1, vcc, s33, v44
	v_addc_co_u32_e32 v2, vcc, v2, v43, vcc
	global_store_dwordx4 v[1:2], v[17:20], off offset:-8
	s_or_b64 exec, exec, s[0:1]
	s_and_saveexec_b64 s[0:1], s[6:7]
	s_cbranch_execz .LBB137_3
.LBB137_194:                            ;   in Loop: Header=BB137_4 Depth=1
	v_mov_b32_e32 v2, s80
	v_add_co_u32_e32 v1, vcc, s33, v24
	v_addc_co_u32_e32 v2, vcc, v2, v25, vcc
	global_store_dwordx4 v[1:2], v[9:12], off offset:-8
	s_branch .LBB137_3
.LBB137_195:                            ;   in Loop: Header=BB137_4 Depth=1
	s_or_b64 exec, exec, s[30:31]
                                        ; implicit-def: $vgpr13_vgpr14
                                        ; implicit-def: $vgpr22
	s_andn2_saveexec_b64 s[12:13], s[26:27]
	s_cbranch_execnz .LBB137_36
	s_branch .LBB137_41
.LBB137_196:
	v_readlane_b32 s6, v77, 6
	v_readlane_b32 s7, v77, 7
	s_cbranch_execz .LBB137_198
	s_branch .LBB137_377
.LBB137_197:
.LBB137_198:
	v_mov_b32_e32 v1, 0x10000
	v_mov_b32_e32 v2, 0
	v_cmp_lt_i64_e32 vcc, s[6:7], v[1:2]
	v_mov_b32_e32 v22, 0
	s_and_b64 s[0:1], vcc, exec
	s_cselect_b32 s7, s7, 0
	s_cselect_b32 s6, s6, 0x10000
	v_lshlrev_b32_e32 v1, 2, v0
	v_mov_b32_e32 v2, v22
	v_cmp_gt_i64_e32 vcc, s[6:7], v[1:2]
	s_and_saveexec_b64 s[0:1], vcc
	s_cbranch_execz .LBB137_377
; %bb.199:
	v_readlane_b32 s0, v77, 0
	v_readlane_b32 s1, v77, 1
	s_load_dword s0, s[0:1], 0xd3c
	v_readlane_b32 s2, v77, 4
	v_readlane_b32 s3, v77, 5
	v_lshlrev_b32_e32 v2, 6, v0
	s_mov_b32 s8, 0
	s_waitcnt lgkmcnt(0)
	s_and_b32 s33, s0, 0xffff
	v_readlane_b32 s0, v77, 2
	v_readlane_b32 s1, v77, 3
	s_add_u32 s0, s0, s2
	s_addc_u32 s1, s1, s3
	v_mov_b32_e32 v3, s1
	v_add_co_u32_e32 v24, vcc, s0, v2
	s_mov_b32 s10, 0
	s_mov_b32 s12, 0
	;; [unrolled: 1-line block ×29, first 2 shown]
	v_mov_b32_e32 v1, v22
	v_addc_co_u32_e32 v25, vcc, 0, v3, vcc
	s_lshl_b32 s94, s33, 6
	s_mov_b64 s[4:5], 0
	s_mov_b32 s95, 0x7ff00000
	s_mov_b32 s9, 0x41d00000
	;; [unrolled: 1-line block ×3, first 2 shown]
	s_movk_i32 s77, 0xff80
	s_mov_b32 s13, 0x7ff00000
	s_mov_b32 s15, 0x3ff921fb
	;; [unrolled: 1-line block ×31, first 2 shown]
	s_movk_i32 s76, 0x1f8
	v_mov_b32_e32 v36, 0x40100000
	v_mov_b32_e32 v37, 0x3ff00000
	;; [unrolled: 1-line block ×6, first 2 shown]
	s_mov_b32 s79, 0x40900000
	s_mov_b32 s81, 0xc090cc00
	s_mov_b32 s83, 0xbfc55555
	s_branch .LBB137_201
.LBB137_200:                            ;   in Loop: Header=BB137_201 Depth=1
	s_or_b64 exec, exec, s[2:3]
	v_add_co_u32_e32 v0, vcc, s33, v0
	v_addc_co_u32_e32 v1, vcc, 0, v1, vcc
	v_lshlrev_b64 v[2:3], 2, v[0:1]
	global_store_dwordx4 v[24:25], v[6:9], off
	global_store_dwordx4 v[24:25], v[14:17], off offset:16
	v_cmp_le_i64_e32 vcc, s[6:7], v[2:3]
	global_store_dwordx4 v[24:25], v[18:21], off offset:32
	global_store_dwordx4 v[24:25], v[10:13], off offset:48
	s_or_b64 s[4:5], vcc, s[4:5]
	v_add_co_u32_e32 v24, vcc, s94, v24
	v_addc_co_u32_e32 v25, vcc, 0, v25, vcc
	s_andn2_b64 exec, exec, s[4:5]
	s_cbranch_execz .LBB137_377
.LBB137_201:                            ; =>This Inner Loop Header: Depth=1
	global_load_dwordx4 v[14:17], v[24:25], off
	global_load_dwordx4 v[18:21], v[24:25], off offset:16
	global_load_dwordx4 v[2:5], v[24:25], off offset:48
	global_load_dwordx4 v[10:13], v[24:25], off offset:32
	s_waitcnt vmcnt(3)
	v_and_b32_e32 v6, 0x7fffffff, v17
	v_or_b32_e32 v7, v6, v16
	v_cmp_ne_u32_e32 vcc, 0, v7
                                        ; implicit-def: $vgpr8_vgpr9
	s_and_saveexec_b64 s[0:1], vcc
	s_xor_b64 s[84:85], exec, s[0:1]
	s_cbranch_execz .LBB137_243
; %bb.202:                              ;   in Loop: Header=BB137_201 Depth=1
	v_and_b32_e32 v23, 0x7fffffff, v15
	v_or_b32_e32 v7, v23, v14
	v_cmp_ne_u32_e32 vcc, 0, v7
                                        ; implicit-def: $vgpr8_vgpr9
	s_and_saveexec_b64 s[0:1], vcc
	s_xor_b64 s[86:87], exec, s[0:1]
	s_cbranch_execz .LBB137_232
; %bb.203:                              ;   in Loop: Header=BB137_201 Depth=1
	v_cmp_gt_u32_e32 vcc, s95, v6
                                        ; implicit-def: $vgpr8_vgpr9
	s_and_saveexec_b64 s[0:1], vcc
	s_xor_b64 s[88:89], exec, s[0:1]
	s_cbranch_execz .LBB137_225
; %bb.204:                              ;   in Loop: Header=BB137_201 Depth=1
	v_add_u32_e32 v6, 0xbf79d1be, v15
	s_mov_b32 s0, 0x108aa2
	v_cmp_lt_u32_e32 vcc, s0, v6
                                        ; implicit-def: $vgpr8_vgpr9
	s_and_saveexec_b64 s[0:1], vcc
	s_xor_b64 s[2:3], exec, s[0:1]
	s_cbranch_execz .LBB137_214
; %bb.205:                              ;   in Loop: Header=BB137_201 Depth=1
	v_cmp_nlt_f64_e64 s[90:91], |v[16:17]|, s[8:9]
                                        ; implicit-def: $vgpr32
                                        ; implicit-def: $vgpr6_vgpr7
                                        ; implicit-def: $vgpr8_vgpr9
	s_and_saveexec_b64 s[0:1], s[90:91]
	s_xor_b64 s[92:93], exec, s[0:1]
	s_cbranch_execz .LBB137_207
; %bb.206:                              ;   in Loop: Header=BB137_201 Depth=1
	v_trig_preop_f64 v[6:7], |v[16:17]|, 0
	v_ldexp_f64 v[28:29], |v[16:17]|, s77
	v_cmp_ge_f64_e64 vcc, |v[16:17]|, s[10:11]
	v_trig_preop_f64 v[8:9], |v[16:17]|, 1
	v_and_b32_e32 v23, 0x7fffffff, v17
	v_trig_preop_f64 v[40:41], |v[16:17]|, 2
	s_mov_b32 s14, s16
	s_mov_b32 s21, s19
	v_cndmask_b32_e32 v29, v23, v29, vcc
	v_cndmask_b32_e32 v28, v16, v28, vcc
	v_mul_f64 v[30:31], v[6:7], v[28:29]
	v_mul_f64 v[32:33], v[8:9], v[28:29]
	;; [unrolled: 1-line block ×3, first 2 shown]
	v_fma_f64 v[6:7], v[6:7], v[28:29], -v[30:31]
	v_fma_f64 v[8:9], v[8:9], v[28:29], -v[32:33]
	;; [unrolled: 1-line block ×3, first 2 shown]
	v_add_f64 v[34:35], v[32:33], v[6:7]
	v_add_f64 v[42:43], v[34:35], -v[32:33]
	v_add_f64 v[48:49], v[30:31], v[34:35]
	v_add_f64 v[44:45], v[34:35], -v[42:43]
	v_add_f64 v[6:7], v[6:7], -v[42:43]
	v_add_f64 v[42:43], v[46:47], v[8:9]
	v_add_f64 v[30:31], v[48:49], -v[30:31]
	v_add_f64 v[32:33], v[32:33], -v[44:45]
	v_ldexp_f64 v[44:45], v[48:49], -2
	v_add_f64 v[50:51], v[42:43], -v[46:47]
	v_add_f64 v[30:31], v[34:35], -v[30:31]
	v_add_f64 v[6:7], v[6:7], v[32:33]
	v_fract_f64_e32 v[32:33], v[44:45]
	v_cmp_neq_f64_e64 vcc, |v[44:45]|, s[12:13]
	v_add_f64 v[8:9], v[8:9], -v[50:51]
	v_add_f64 v[34:35], v[42:43], v[6:7]
	v_ldexp_f64 v[32:33], v[32:33], 2
	v_add_f64 v[44:45], v[30:31], v[34:35]
	v_cndmask_b32_e32 v33, 0, v33, vcc
	v_cndmask_b32_e32 v32, 0, v32, vcc
	v_add_f64 v[52:53], v[34:35], -v[42:43]
	v_add_f64 v[48:49], v[44:45], v[32:33]
	v_add_f64 v[30:31], v[44:45], -v[30:31]
	v_add_f64 v[54:55], v[34:35], -v[52:53]
	;; [unrolled: 1-line block ×3, first 2 shown]
	v_cmp_gt_f64_e32 vcc, 0, v[48:49]
	v_add_f64 v[48:49], v[42:43], -v[50:51]
	v_add_f64 v[30:31], v[34:35], -v[30:31]
	;; [unrolled: 1-line block ×3, first 2 shown]
	v_cndmask_b32_e32 v23, 0, v36, vcc
	v_add_f64 v[32:33], v[32:33], v[22:23]
	v_add_f64 v[48:49], v[46:47], -v[48:49]
	v_add_f64 v[6:7], v[6:7], v[42:43]
	v_add_f64 v[56:57], v[44:45], v[32:33]
	;; [unrolled: 1-line block ×3, first 2 shown]
	v_cvt_i32_f64_e32 v23, v[56:57]
	v_add_f64 v[6:7], v[8:9], v[6:7]
	v_cvt_f64_i32_e32 v[50:51], v23
	v_add_f64 v[32:33], v[32:33], -v[50:51]
	v_add_f64 v[6:7], v[28:29], v[6:7]
	v_add_f64 v[8:9], v[44:45], v[32:33]
	;; [unrolled: 1-line block ×3, first 2 shown]
	v_add_f64 v[28:29], v[8:9], -v[32:33]
	v_cmp_le_f64_e32 vcc, 0.5, v[8:9]
	v_add_f64 v[28:29], v[44:45], -v[28:29]
	v_addc_co_u32_e64 v32, s[0:1], 0, v23, vcc
	v_cndmask_b32_e32 v23, 0, v37, vcc
	v_add_f64 v[8:9], v[8:9], -v[22:23]
	v_add_f64 v[6:7], v[6:7], v[28:29]
	v_add_f64 v[28:29], v[8:9], v[6:7]
	v_mul_f64 v[30:31], v[28:29], s[14:15]
	v_add_f64 v[8:9], v[28:29], -v[8:9]
	v_fma_f64 v[33:34], v[28:29], s[14:15], -v[30:31]
	v_add_f64 v[6:7], v[6:7], -v[8:9]
	v_fma_f64 v[8:9], v[28:29], s[20:21], v[33:34]
	v_fma_f64 v[8:9], v[6:7], s[14:15], v[8:9]
	v_add_f64 v[6:7], v[30:31], v[8:9]
	v_add_f64 v[28:29], v[6:7], -v[30:31]
	v_add_f64 v[8:9], v[8:9], -v[28:29]
	s_andn2_saveexec_b64 s[0:1], s[92:93]
	s_cbranch_execz .LBB137_209
	s_branch .LBB137_208
.LBB137_207:                            ;   in Loop: Header=BB137_201 Depth=1
	s_andn2_saveexec_b64 s[0:1], s[92:93]
	s_cbranch_execz .LBB137_209
.LBB137_208:                            ;   in Loop: Header=BB137_201 Depth=1
	v_mul_f64 v[6:7], |v[16:17]|, s[22:23]
	s_mov_b32 s18, s24
	v_rndne_f64_e32 v[28:29], v[6:7]
	v_fma_f64 v[6:7], v[28:29], s[16:17], |v[16:17]|
	v_mul_f64 v[8:9], v[28:29], s[24:25]
	v_fma_f64 v[34:35], v[28:29], s[24:25], v[6:7]
	v_add_f64 v[30:31], v[6:7], v[8:9]
	v_add_f64 v[32:33], v[6:7], -v[30:31]
	v_add_f64 v[30:31], v[30:31], -v[34:35]
	v_add_f64 v[6:7], v[32:33], v[8:9]
	v_fma_f64 v[8:9], v[28:29], s[18:19], v[8:9]
	v_cvt_i32_f64_e32 v32, v[28:29]
	v_add_f64 v[6:7], v[30:31], v[6:7]
	v_add_f64 v[6:7], v[6:7], -v[8:9]
	v_fma_f64 v[8:9], v[28:29], s[26:27], v[6:7]
	v_add_f64 v[6:7], v[34:35], v[8:9]
	v_add_f64 v[30:31], v[6:7], -v[34:35]
	v_add_f64 v[8:9], v[8:9], -v[30:31]
.LBB137_209:                            ;   in Loop: Header=BB137_201 Depth=1
	s_or_b64 exec, exec, s[0:1]
                                        ; implicit-def: $vgpr33
                                        ; implicit-def: $vgpr28_vgpr29
                                        ; implicit-def: $vgpr30_vgpr31
	s_and_saveexec_b64 s[0:1], s[90:91]
	s_xor_b64 s[90:91], exec, s[0:1]
	s_cbranch_execz .LBB137_211
; %bb.210:                              ;   in Loop: Header=BB137_201 Depth=1
	v_trig_preop_f64 v[28:29], |v[16:17]|, 0
	v_ldexp_f64 v[33:34], |v[16:17]|, s77
	v_cmp_ge_f64_e64 vcc, |v[16:17]|, s[10:11]
	v_trig_preop_f64 v[30:31], |v[16:17]|, 1
	v_and_b32_e32 v23, 0x7fffffff, v17
	v_trig_preop_f64 v[46:47], |v[16:17]|, 2
	s_mov_b32 s14, s16
	s_mov_b32 s21, s19
	v_cndmask_b32_e32 v34, v23, v34, vcc
	v_cndmask_b32_e32 v33, v16, v33, vcc
	v_mul_f64 v[40:41], v[28:29], v[33:34]
	v_mul_f64 v[42:43], v[30:31], v[33:34]
	;; [unrolled: 1-line block ×3, first 2 shown]
	v_fma_f64 v[28:29], v[28:29], v[33:34], -v[40:41]
	v_fma_f64 v[30:31], v[30:31], v[33:34], -v[42:43]
	;; [unrolled: 1-line block ×3, first 2 shown]
	v_add_f64 v[44:45], v[42:43], v[28:29]
	v_add_f64 v[48:49], v[44:45], -v[42:43]
	v_add_f64 v[54:55], v[40:41], v[44:45]
	v_add_f64 v[50:51], v[44:45], -v[48:49]
	v_add_f64 v[28:29], v[28:29], -v[48:49]
	v_add_f64 v[48:49], v[52:53], v[30:31]
	v_add_f64 v[40:41], v[54:55], -v[40:41]
	v_add_f64 v[42:43], v[42:43], -v[50:51]
	v_ldexp_f64 v[50:51], v[54:55], -2
	v_add_f64 v[56:57], v[48:49], -v[52:53]
	v_add_f64 v[40:41], v[44:45], -v[40:41]
	v_add_f64 v[28:29], v[28:29], v[42:43]
	v_fract_f64_e32 v[42:43], v[50:51]
	v_cmp_neq_f64_e64 vcc, |v[50:51]|, s[12:13]
	v_add_f64 v[30:31], v[30:31], -v[56:57]
	v_add_f64 v[44:45], v[48:49], v[28:29]
	v_ldexp_f64 v[42:43], v[42:43], 2
	v_add_f64 v[50:51], v[40:41], v[44:45]
	v_cndmask_b32_e32 v43, 0, v43, vcc
	v_cndmask_b32_e32 v42, 0, v42, vcc
	v_add_f64 v[58:59], v[44:45], -v[48:49]
	v_add_f64 v[54:55], v[50:51], v[42:43]
	v_add_f64 v[40:41], v[50:51], -v[40:41]
	v_add_f64 v[60:61], v[44:45], -v[58:59]
	;; [unrolled: 1-line block ×3, first 2 shown]
	v_cmp_gt_f64_e32 vcc, 0, v[54:55]
	v_add_f64 v[54:55], v[48:49], -v[56:57]
	v_add_f64 v[40:41], v[44:45], -v[40:41]
	;; [unrolled: 1-line block ×3, first 2 shown]
	v_cndmask_b32_e32 v23, 0, v36, vcc
	v_add_f64 v[42:43], v[42:43], v[22:23]
	v_add_f64 v[54:55], v[52:53], -v[54:55]
	v_add_f64 v[28:29], v[28:29], v[48:49]
	v_add_f64 v[62:63], v[50:51], v[42:43]
	;; [unrolled: 1-line block ×3, first 2 shown]
	v_cvt_i32_f64_e32 v23, v[62:63]
	v_add_f64 v[28:29], v[30:31], v[28:29]
	v_cvt_f64_i32_e32 v[56:57], v23
	v_add_f64 v[42:43], v[42:43], -v[56:57]
	v_add_f64 v[28:29], v[33:34], v[28:29]
	v_add_f64 v[30:31], v[50:51], v[42:43]
	;; [unrolled: 1-line block ×3, first 2 shown]
	v_add_f64 v[33:34], v[30:31], -v[42:43]
	v_cmp_le_f64_e32 vcc, 0.5, v[30:31]
	v_add_f64 v[34:35], v[50:51], -v[33:34]
	v_addc_co_u32_e64 v33, s[0:1], 0, v23, vcc
	v_cndmask_b32_e32 v23, 0, v37, vcc
	v_add_f64 v[30:31], v[30:31], -v[22:23]
	v_add_f64 v[28:29], v[28:29], v[34:35]
	v_add_f64 v[34:35], v[30:31], v[28:29]
	v_mul_f64 v[40:41], v[34:35], s[14:15]
	v_add_f64 v[30:31], v[34:35], -v[30:31]
	v_fma_f64 v[42:43], v[34:35], s[14:15], -v[40:41]
	v_add_f64 v[28:29], v[28:29], -v[30:31]
	v_fma_f64 v[30:31], v[34:35], s[20:21], v[42:43]
	v_fma_f64 v[30:31], v[28:29], s[14:15], v[30:31]
	v_add_f64 v[28:29], v[40:41], v[30:31]
	v_add_f64 v[34:35], v[28:29], -v[40:41]
	v_add_f64 v[30:31], v[30:31], -v[34:35]
	s_andn2_saveexec_b64 s[0:1], s[90:91]
	s_cbranch_execnz .LBB137_212
	s_branch .LBB137_213
.LBB137_211:                            ;   in Loop: Header=BB137_201 Depth=1
	s_andn2_saveexec_b64 s[0:1], s[90:91]
	s_cbranch_execz .LBB137_213
.LBB137_212:                            ;   in Loop: Header=BB137_201 Depth=1
	v_mul_f64 v[28:29], |v[16:17]|, s[22:23]
	s_mov_b32 s18, s24
	v_rndne_f64_e32 v[33:34], v[28:29]
	v_fma_f64 v[28:29], v[33:34], s[16:17], |v[16:17]|
	v_mul_f64 v[30:31], v[33:34], s[24:25]
	v_fma_f64 v[44:45], v[33:34], s[24:25], v[28:29]
	v_add_f64 v[40:41], v[28:29], v[30:31]
	v_add_f64 v[42:43], v[28:29], -v[40:41]
	v_add_f64 v[40:41], v[40:41], -v[44:45]
	v_add_f64 v[28:29], v[42:43], v[30:31]
	v_fma_f64 v[30:31], v[33:34], s[18:19], v[30:31]
	v_add_f64 v[28:29], v[40:41], v[28:29]
	v_add_f64 v[28:29], v[28:29], -v[30:31]
	v_fma_f64 v[30:31], v[33:34], s[26:27], v[28:29]
	v_cvt_i32_f64_e32 v33, v[33:34]
	v_add_f64 v[28:29], v[44:45], v[30:31]
	v_add_f64 v[40:41], v[28:29], -v[44:45]
	v_add_f64 v[30:31], v[30:31], -v[40:41]
.LBB137_213:                            ;   in Loop: Header=BB137_201 Depth=1
	s_or_b64 exec, exec, s[0:1]
	v_mul_f64 v[34:35], v[14:15], s[28:29]
	s_mov_b32 s49, s47
	s_mov_b32 s53, s51
	v_cmp_nlt_f64_e32 vcc, s[78:79], v[14:15]
	v_cmp_ngt_f64_e64 s[0:1], s[80:81], v[14:15]
	v_mov_b32_e32 v46, s58
	v_mov_b32_e32 v47, s59
	v_mul_f64 v[50:51], v[8:9], 0.5
	v_rndne_f64_e32 v[34:35], v[34:35]
	s_mov_b32 s82, s50
	v_fma_f64 v[40:41], v[34:35], s[30:31], v[14:15]
	v_cvt_i32_f64_e32 v23, v[34:35]
	v_fma_f64 v[40:41], v[34:35], s[34:35], v[40:41]
	v_fma_f64 v[42:43], v[40:41], s[36:37], v[26:27]
	;; [unrolled: 1-line block ×10, first 2 shown]
	v_fma_f64 v[42:43], v[40:41], v[42:43], 1.0
	v_fma_f64 v[40:41], v[40:41], v[42:43], 1.0
	v_ldexp_f64 v[34:35], v[40:41], v23
	v_cndmask_b32_e32 v23, v38, v35, vcc
	s_and_b64 vcc, s[0:1], vcc
	v_cndmask_b32_e32 v14, 0, v34, vcc
	v_mul_f64 v[34:35], v[6:7], v[6:7]
	v_cndmask_b32_e64 v15, 0, v23, s[0:1]
	v_mul_f64 v[40:41], v[34:35], 0.5
	v_fma_f64 v[48:49], v[34:35], s[60:61], v[46:47]
	v_add_f64 v[42:43], -v[40:41], 1.0
	v_fma_f64 v[48:49], v[34:35], v[48:49], s[62:63]
	v_add_f64 v[44:45], -v[42:43], 1.0
	v_fma_f64 v[48:49], v[34:35], v[48:49], s[64:65]
	v_add_f64 v[40:41], v[44:45], -v[40:41]
	v_fma_f64 v[48:49], v[34:35], v[48:49], s[66:67]
	v_mul_f64 v[44:45], v[34:35], v[34:35]
	v_fma_f64 v[40:41], v[6:7], -v[8:9], v[40:41]
	v_fma_f64 v[48:49], v[34:35], v[48:49], s[50:51]
	v_fma_f64 v[40:41], v[44:45], v[48:49], v[40:41]
	v_mul_f64 v[48:49], v[6:7], -v[34:35]
	v_add_f64 v[40:41], v[42:43], v[40:41]
	v_mov_b32_e32 v42, s68
	v_mov_b32_e32 v43, s69
	v_fma_f64 v[44:45], v[34:35], s[70:71], v[42:43]
	v_fma_f64 v[44:45], v[34:35], v[44:45], s[72:73]
	v_fma_f64 v[44:45], v[34:35], v[44:45], s[74:75]
	v_fma_f64 v[44:45], v[34:35], v[44:45], s[46:47]
	v_fma_f64 v[44:45], v[48:49], v[44:45], v[50:51]
	v_fma_f64 v[8:9], v[34:35], v[44:45], -v[8:9]
	v_fma_f64 v[8:9], v[48:49], s[82:83], v[8:9]
	v_add_f64 v[6:7], v[6:7], -v[8:9]
	v_and_b32_e32 v8, 1, v32
	v_cmp_eq_u32_e32 vcc, 0, v8
	v_lshlrev_b32_e32 v8, 30, v32
	v_and_b32_e32 v8, 0x80000000, v8
	v_xor_b32_e32 v7, 0x80000000, v7
	v_cndmask_b32_e32 v7, v7, v41, vcc
	v_xor_b32_e32 v7, v7, v8
	v_mul_f64 v[8:9], v[28:29], v[28:29]
	v_cndmask_b32_e32 v6, v6, v40, vcc
	v_cmp_class_f64_e64 vcc, v[16:17], s76
	v_and_b32_e32 v16, 1, v33
	v_cmp_eq_u32_e64 s[0:1], 0, v16
	v_lshlrev_b32_e32 v16, 30, v33
	v_xor_b32_e32 v16, v16, v17
	v_and_b32_e32 v16, 0x80000000, v16
	v_mul_f64 v[34:35], v[8:9], 0.5
	v_fma_f64 v[46:47], v[8:9], s[60:61], v[46:47]
	v_cndmask_b32_e32 v6, 0, v6, vcc
	v_cndmask_b32_e32 v7, v39, v7, vcc
	v_mul_f64 v[6:7], v[14:15], v[6:7]
	v_add_f64 v[40:41], -v[34:35], 1.0
	v_fma_f64 v[46:47], v[8:9], v[46:47], s[62:63]
	v_add_f64 v[44:45], -v[40:41], 1.0
	v_fma_f64 v[46:47], v[8:9], v[46:47], s[64:65]
	v_add_f64 v[34:35], v[44:45], -v[34:35]
	v_fma_f64 v[46:47], v[8:9], v[46:47], s[66:67]
	v_mul_f64 v[44:45], v[8:9], v[8:9]
	v_fma_f64 v[34:35], v[28:29], -v[30:31], v[34:35]
	v_fma_f64 v[46:47], v[8:9], v[46:47], s[50:51]
	v_fma_f64 v[34:35], v[44:45], v[46:47], v[34:35]
	v_mul_f64 v[44:45], v[30:31], 0.5
	v_add_f64 v[34:35], v[40:41], v[34:35]
	v_fma_f64 v[40:41], v[8:9], s[70:71], v[42:43]
	v_mul_f64 v[42:43], v[28:29], -v[8:9]
	v_fma_f64 v[40:41], v[8:9], v[40:41], s[72:73]
	v_fma_f64 v[40:41], v[8:9], v[40:41], s[74:75]
	v_fma_f64 v[40:41], v[8:9], v[40:41], s[46:47]
	v_fma_f64 v[40:41], v[42:43], v[40:41], v[44:45]
	v_fma_f64 v[8:9], v[8:9], v[40:41], -v[30:31]
	v_fma_f64 v[8:9], v[42:43], s[82:83], v[8:9]
	v_add_f64 v[8:9], v[28:29], -v[8:9]
	v_cndmask_b32_e64 v9, v35, v9, s[0:1]
	v_cndmask_b32_e64 v8, v34, v8, s[0:1]
	v_xor_b32_e32 v9, v9, v16
	v_cndmask_b32_e32 v8, 0, v8, vcc
	v_cndmask_b32_e32 v9, v39, v9, vcc
	v_mul_f64 v[8:9], v[14:15], v[8:9]
                                        ; implicit-def: $vgpr16_vgpr17
.LBB137_214:                            ;   in Loop: Header=BB137_201 Depth=1
	s_andn2_saveexec_b64 s[90:91], s[2:3]
	s_cbranch_execz .LBB137_217
; %bb.215:                              ;   in Loop: Header=BB137_201 Depth=1
	v_cmp_nlt_f64_e64 s[2:3], |v[16:17]|, s[8:9]
                                        ; implicit-def: $vgpr40
                                        ; implicit-def: $vgpr6_vgpr7
                                        ; implicit-def: $vgpr8_vgpr9
	s_and_saveexec_b64 s[0:1], s[2:3]
	s_xor_b64 s[92:93], exec, s[0:1]
	s_cbranch_execz .LBB137_218
; %bb.216:                              ;   in Loop: Header=BB137_201 Depth=1
	v_trig_preop_f64 v[6:7], |v[16:17]|, 0
	v_ldexp_f64 v[28:29], |v[16:17]|, s77
	v_cmp_ge_f64_e64 vcc, |v[16:17]|, s[10:11]
	v_trig_preop_f64 v[8:9], |v[16:17]|, 1
	v_and_b32_e32 v23, 0x7fffffff, v17
	v_trig_preop_f64 v[40:41], |v[16:17]|, 2
	s_mov_b32 s14, s16
	s_mov_b32 s21, s19
	v_cndmask_b32_e32 v29, v23, v29, vcc
	v_cndmask_b32_e32 v28, v16, v28, vcc
	v_mul_f64 v[30:31], v[6:7], v[28:29]
	v_mul_f64 v[32:33], v[8:9], v[28:29]
	v_mul_f64 v[46:47], v[40:41], v[28:29]
	v_fma_f64 v[6:7], v[6:7], v[28:29], -v[30:31]
	v_fma_f64 v[8:9], v[8:9], v[28:29], -v[32:33]
	;; [unrolled: 1-line block ×3, first 2 shown]
	v_add_f64 v[34:35], v[32:33], v[6:7]
	v_add_f64 v[42:43], v[34:35], -v[32:33]
	v_add_f64 v[48:49], v[30:31], v[34:35]
	v_add_f64 v[44:45], v[34:35], -v[42:43]
	v_add_f64 v[6:7], v[6:7], -v[42:43]
	v_add_f64 v[42:43], v[46:47], v[8:9]
	v_add_f64 v[30:31], v[48:49], -v[30:31]
	v_add_f64 v[32:33], v[32:33], -v[44:45]
	v_ldexp_f64 v[44:45], v[48:49], -2
	v_add_f64 v[50:51], v[42:43], -v[46:47]
	v_add_f64 v[30:31], v[34:35], -v[30:31]
	v_add_f64 v[6:7], v[6:7], v[32:33]
	v_fract_f64_e32 v[32:33], v[44:45]
	v_cmp_neq_f64_e64 vcc, |v[44:45]|, s[12:13]
	v_add_f64 v[8:9], v[8:9], -v[50:51]
	v_add_f64 v[34:35], v[42:43], v[6:7]
	v_ldexp_f64 v[32:33], v[32:33], 2
	v_add_f64 v[44:45], v[30:31], v[34:35]
	v_cndmask_b32_e32 v33, 0, v33, vcc
	v_cndmask_b32_e32 v32, 0, v32, vcc
	v_add_f64 v[52:53], v[34:35], -v[42:43]
	v_add_f64 v[48:49], v[44:45], v[32:33]
	v_add_f64 v[30:31], v[44:45], -v[30:31]
	v_add_f64 v[54:55], v[34:35], -v[52:53]
	;; [unrolled: 1-line block ×3, first 2 shown]
	v_cmp_gt_f64_e32 vcc, 0, v[48:49]
	v_add_f64 v[48:49], v[42:43], -v[50:51]
	v_add_f64 v[30:31], v[34:35], -v[30:31]
	;; [unrolled: 1-line block ×3, first 2 shown]
	v_cndmask_b32_e32 v23, 0, v36, vcc
	v_add_f64 v[32:33], v[32:33], v[22:23]
	v_add_f64 v[48:49], v[46:47], -v[48:49]
	v_add_f64 v[6:7], v[6:7], v[42:43]
	v_add_f64 v[56:57], v[44:45], v[32:33]
	;; [unrolled: 1-line block ×3, first 2 shown]
	v_cvt_i32_f64_e32 v23, v[56:57]
	v_add_f64 v[6:7], v[8:9], v[6:7]
	v_cvt_f64_i32_e32 v[50:51], v23
	v_add_f64 v[32:33], v[32:33], -v[50:51]
	v_add_f64 v[6:7], v[28:29], v[6:7]
	v_add_f64 v[8:9], v[44:45], v[32:33]
	;; [unrolled: 1-line block ×3, first 2 shown]
	v_add_f64 v[28:29], v[8:9], -v[32:33]
	v_cmp_le_f64_e32 vcc, 0.5, v[8:9]
	v_add_f64 v[28:29], v[44:45], -v[28:29]
	v_addc_co_u32_e64 v40, s[0:1], 0, v23, vcc
	v_cndmask_b32_e32 v23, 0, v37, vcc
	v_add_f64 v[8:9], v[8:9], -v[22:23]
	v_add_f64 v[6:7], v[6:7], v[28:29]
	v_add_f64 v[28:29], v[8:9], v[6:7]
	v_mul_f64 v[30:31], v[28:29], s[14:15]
	v_add_f64 v[8:9], v[28:29], -v[8:9]
	v_fma_f64 v[32:33], v[28:29], s[14:15], -v[30:31]
	v_add_f64 v[6:7], v[6:7], -v[8:9]
	v_fma_f64 v[8:9], v[28:29], s[20:21], v[32:33]
	v_fma_f64 v[8:9], v[6:7], s[14:15], v[8:9]
	v_add_f64 v[6:7], v[30:31], v[8:9]
	v_add_f64 v[28:29], v[6:7], -v[30:31]
	v_add_f64 v[8:9], v[8:9], -v[28:29]
	s_andn2_saveexec_b64 s[0:1], s[92:93]
	s_cbranch_execz .LBB137_220
	s_branch .LBB137_219
.LBB137_217:                            ;   in Loop: Header=BB137_201 Depth=1
	s_or_b64 exec, exec, s[90:91]
                                        ; implicit-def: $vgpr14_vgpr15
                                        ; implicit-def: $vgpr23
	s_andn2_saveexec_b64 s[2:3], s[88:89]
	s_cbranch_execnz .LBB137_226
	s_branch .LBB137_231
.LBB137_218:                            ;   in Loop: Header=BB137_201 Depth=1
	s_andn2_saveexec_b64 s[0:1], s[92:93]
	s_cbranch_execz .LBB137_220
.LBB137_219:                            ;   in Loop: Header=BB137_201 Depth=1
	v_mul_f64 v[6:7], |v[16:17]|, s[22:23]
	s_mov_b32 s18, s24
	v_rndne_f64_e32 v[28:29], v[6:7]
	v_fma_f64 v[6:7], v[28:29], s[16:17], |v[16:17]|
	v_mul_f64 v[8:9], v[28:29], s[24:25]
	v_cvt_i32_f64_e32 v40, v[28:29]
	v_fma_f64 v[34:35], v[28:29], s[24:25], v[6:7]
	v_add_f64 v[30:31], v[6:7], v[8:9]
	v_add_f64 v[32:33], v[6:7], -v[30:31]
	v_add_f64 v[30:31], v[30:31], -v[34:35]
	v_add_f64 v[6:7], v[32:33], v[8:9]
	v_fma_f64 v[8:9], v[28:29], s[18:19], v[8:9]
	v_add_f64 v[6:7], v[30:31], v[6:7]
	v_add_f64 v[6:7], v[6:7], -v[8:9]
	v_fma_f64 v[8:9], v[28:29], s[26:27], v[6:7]
	v_add_f64 v[6:7], v[34:35], v[8:9]
	v_add_f64 v[30:31], v[6:7], -v[34:35]
	v_add_f64 v[8:9], v[8:9], -v[30:31]
.LBB137_220:                            ;   in Loop: Header=BB137_201 Depth=1
	s_or_b64 exec, exec, s[0:1]
                                        ; implicit-def: $vgpr41
                                        ; implicit-def: $vgpr28_vgpr29
                                        ; implicit-def: $vgpr30_vgpr31
	s_and_saveexec_b64 s[0:1], s[2:3]
	s_xor_b64 s[2:3], exec, s[0:1]
	s_cbranch_execz .LBB137_222
; %bb.221:                              ;   in Loop: Header=BB137_201 Depth=1
	v_trig_preop_f64 v[28:29], |v[16:17]|, 0
	v_ldexp_f64 v[32:33], |v[16:17]|, s77
	v_cmp_ge_f64_e64 vcc, |v[16:17]|, s[10:11]
	v_trig_preop_f64 v[30:31], |v[16:17]|, 1
	v_and_b32_e32 v23, 0x7fffffff, v17
	v_trig_preop_f64 v[45:46], |v[16:17]|, 2
	s_mov_b32 s14, s16
	s_mov_b32 s21, s19
	v_cndmask_b32_e32 v33, v23, v33, vcc
	v_cndmask_b32_e32 v32, v16, v32, vcc
	v_mul_f64 v[34:35], v[28:29], v[32:33]
	v_mul_f64 v[41:42], v[30:31], v[32:33]
	;; [unrolled: 1-line block ×3, first 2 shown]
	v_fma_f64 v[28:29], v[28:29], v[32:33], -v[34:35]
	v_fma_f64 v[30:31], v[30:31], v[32:33], -v[41:42]
	;; [unrolled: 1-line block ×3, first 2 shown]
	v_add_f64 v[43:44], v[41:42], v[28:29]
	v_add_f64 v[47:48], v[43:44], -v[41:42]
	v_add_f64 v[53:54], v[34:35], v[43:44]
	v_add_f64 v[49:50], v[43:44], -v[47:48]
	v_add_f64 v[28:29], v[28:29], -v[47:48]
	v_add_f64 v[47:48], v[51:52], v[30:31]
	v_add_f64 v[34:35], v[53:54], -v[34:35]
	v_add_f64 v[41:42], v[41:42], -v[49:50]
	v_ldexp_f64 v[49:50], v[53:54], -2
	v_add_f64 v[55:56], v[47:48], -v[51:52]
	v_add_f64 v[34:35], v[43:44], -v[34:35]
	v_add_f64 v[28:29], v[28:29], v[41:42]
	v_fract_f64_e32 v[41:42], v[49:50]
	v_cmp_neq_f64_e64 vcc, |v[49:50]|, s[12:13]
	v_add_f64 v[30:31], v[30:31], -v[55:56]
	v_add_f64 v[43:44], v[47:48], v[28:29]
	v_ldexp_f64 v[41:42], v[41:42], 2
	v_add_f64 v[49:50], v[34:35], v[43:44]
	v_cndmask_b32_e32 v42, 0, v42, vcc
	v_cndmask_b32_e32 v41, 0, v41, vcc
	v_add_f64 v[57:58], v[43:44], -v[47:48]
	v_add_f64 v[53:54], v[49:50], v[41:42]
	v_add_f64 v[34:35], v[49:50], -v[34:35]
	v_add_f64 v[59:60], v[43:44], -v[57:58]
	;; [unrolled: 1-line block ×3, first 2 shown]
	v_cmp_gt_f64_e32 vcc, 0, v[53:54]
	v_add_f64 v[53:54], v[47:48], -v[55:56]
	v_add_f64 v[34:35], v[43:44], -v[34:35]
	;; [unrolled: 1-line block ×3, first 2 shown]
	v_cndmask_b32_e32 v23, 0, v36, vcc
	v_add_f64 v[41:42], v[41:42], v[22:23]
	v_add_f64 v[53:54], v[51:52], -v[53:54]
	v_add_f64 v[28:29], v[28:29], v[47:48]
	v_add_f64 v[61:62], v[49:50], v[41:42]
	;; [unrolled: 1-line block ×3, first 2 shown]
	v_cvt_i32_f64_e32 v23, v[61:62]
	v_add_f64 v[28:29], v[30:31], v[28:29]
	v_cvt_f64_i32_e32 v[55:56], v23
	v_add_f64 v[41:42], v[41:42], -v[55:56]
	v_add_f64 v[28:29], v[32:33], v[28:29]
	v_add_f64 v[30:31], v[49:50], v[41:42]
	;; [unrolled: 1-line block ×3, first 2 shown]
	v_add_f64 v[32:33], v[30:31], -v[41:42]
	v_cmp_le_f64_e32 vcc, 0.5, v[30:31]
	v_add_f64 v[32:33], v[49:50], -v[32:33]
	v_addc_co_u32_e64 v41, s[0:1], 0, v23, vcc
	v_cndmask_b32_e32 v23, 0, v37, vcc
	v_add_f64 v[30:31], v[30:31], -v[22:23]
	v_add_f64 v[28:29], v[28:29], v[32:33]
	v_add_f64 v[32:33], v[30:31], v[28:29]
	v_mul_f64 v[34:35], v[32:33], s[14:15]
	v_add_f64 v[30:31], v[32:33], -v[30:31]
	v_fma_f64 v[42:43], v[32:33], s[14:15], -v[34:35]
	v_add_f64 v[28:29], v[28:29], -v[30:31]
	v_fma_f64 v[30:31], v[32:33], s[20:21], v[42:43]
	v_fma_f64 v[30:31], v[28:29], s[14:15], v[30:31]
	v_add_f64 v[28:29], v[34:35], v[30:31]
	v_add_f64 v[32:33], v[28:29], -v[34:35]
	v_add_f64 v[30:31], v[30:31], -v[32:33]
	s_andn2_saveexec_b64 s[0:1], s[2:3]
	s_cbranch_execnz .LBB137_223
	s_branch .LBB137_224
.LBB137_222:                            ;   in Loop: Header=BB137_201 Depth=1
	s_andn2_saveexec_b64 s[0:1], s[2:3]
	s_cbranch_execz .LBB137_224
.LBB137_223:                            ;   in Loop: Header=BB137_201 Depth=1
	v_mul_f64 v[28:29], |v[16:17]|, s[22:23]
	s_mov_b32 s18, s24
	v_rndne_f64_e32 v[32:33], v[28:29]
	v_fma_f64 v[28:29], v[32:33], s[16:17], |v[16:17]|
	v_mul_f64 v[30:31], v[32:33], s[24:25]
	v_fma_f64 v[43:44], v[32:33], s[24:25], v[28:29]
	v_add_f64 v[34:35], v[28:29], v[30:31]
	v_add_f64 v[41:42], v[28:29], -v[34:35]
	v_add_f64 v[34:35], v[34:35], -v[43:44]
	v_add_f64 v[28:29], v[41:42], v[30:31]
	v_fma_f64 v[30:31], v[32:33], s[18:19], v[30:31]
	v_cvt_i32_f64_e32 v41, v[32:33]
	v_add_f64 v[28:29], v[34:35], v[28:29]
	v_add_f64 v[28:29], v[28:29], -v[30:31]
	v_fma_f64 v[30:31], v[32:33], s[26:27], v[28:29]
	v_add_f64 v[28:29], v[43:44], v[30:31]
	v_add_f64 v[34:35], v[28:29], -v[43:44]
	v_add_f64 v[30:31], v[30:31], -v[34:35]
.LBB137_224:                            ;   in Loop: Header=BB137_201 Depth=1
	s_or_b64 exec, exec, s[0:1]
	s_mov_b32 s0, 0x19ba0da4
	s_mov_b32 s1, 0xc0937be3
	v_add_f64 v[14:15], v[14:15], s[0:1]
	v_mul_f64 v[44:45], v[6:7], v[6:7]
	v_mul_f64 v[48:49], v[28:29], v[28:29]
	v_mov_b32_e32 v50, s68
	v_mov_b32_e32 v51, s69
	;; [unrolled: 1-line block ×4, first 2 shown]
	s_mov_b32 s49, s47
	v_mul_f64 v[32:33], v[14:15], s[28:29]
	v_fma_f64 v[54:55], v[44:45], s[70:71], v[50:51]
	v_fma_f64 v[50:51], v[48:49], s[70:71], v[50:51]
	v_mul_f64 v[58:59], v[44:45], 0.5
	v_fma_f64 v[56:57], v[44:45], s[60:61], v[46:47]
	v_fma_f64 v[46:47], v[48:49], s[60:61], v[46:47]
	v_mul_f64 v[62:63], v[48:49], 0.5
	v_mul_f64 v[52:53], v[8:9], 0.5
	v_rndne_f64_e32 v[32:33], v[32:33]
	v_fma_f64 v[54:55], v[44:45], v[54:55], s[72:73]
	v_fma_f64 v[50:51], v[48:49], v[50:51], s[72:73]
	v_add_f64 v[64:65], -v[58:59], 1.0
	v_fma_f64 v[56:57], v[44:45], v[56:57], s[62:63]
	v_fma_f64 v[46:47], v[48:49], v[46:47], s[62:63]
	v_add_f64 v[68:69], -v[62:63], 1.0
	s_mov_b32 s53, s51
	v_fma_f64 v[34:35], v[32:33], s[30:31], v[14:15]
	v_fma_f64 v[54:55], v[44:45], v[54:55], s[74:75]
	;; [unrolled: 1-line block ×3, first 2 shown]
	v_mul_f64 v[66:67], v[6:7], -v[44:45]
	v_add_f64 v[70:71], -v[64:65], 1.0
	v_fma_f64 v[56:57], v[44:45], v[56:57], s[64:65]
	v_mul_f64 v[60:61], v[30:31], 0.5
	v_mul_f64 v[72:73], v[28:29], -v[48:49]
	v_fma_f64 v[34:35], v[32:33], s[34:35], v[34:35]
	v_fma_f64 v[54:55], v[44:45], v[54:55], s[46:47]
	;; [unrolled: 1-line block ×3, first 2 shown]
	v_add_f64 v[74:75], -v[68:69], 1.0
	v_fma_f64 v[50:51], v[48:49], v[50:51], s[46:47]
	v_add_f64 v[58:59], v[70:71], -v[58:59]
	v_fma_f64 v[56:57], v[44:45], v[56:57], s[66:67]
	s_mov_b32 s82, s50
	v_fma_f64 v[42:43], v[34:35], s[36:37], v[26:27]
	v_fma_f64 v[52:53], v[66:67], v[54:55], v[52:53]
	;; [unrolled: 1-line block ×3, first 2 shown]
	v_add_f64 v[62:63], v[74:75], -v[62:63]
	v_fma_f64 v[50:51], v[72:73], v[50:51], v[60:61]
	v_fma_f64 v[58:59], v[6:7], -v[8:9], v[58:59]
	v_mul_f64 v[54:55], v[44:45], v[44:45]
	v_fma_f64 v[56:57], v[44:45], v[56:57], s[50:51]
	v_fma_f64 v[42:43], v[34:35], v[42:43], s[38:39]
	v_fma_f64 v[8:9], v[44:45], v[52:53], -v[8:9]
	v_mul_f64 v[44:45], v[48:49], v[48:49]
	v_fma_f64 v[46:47], v[48:49], v[46:47], s[50:51]
	v_fma_f64 v[52:53], v[28:29], -v[30:31], v[62:63]
	v_fma_f64 v[30:31], v[48:49], v[50:51], -v[30:31]
	v_and_b32_e32 v23, 1, v40
	v_lshlrev_b32_e32 v50, 30, v40
	v_fma_f64 v[42:43], v[34:35], v[42:43], s[40:41]
	v_fma_f64 v[8:9], v[66:67], s[82:83], v[8:9]
	;; [unrolled: 1-line block ×3, first 2 shown]
	v_and_b32_e32 v51, 1, v41
	v_lshlrev_b32_e32 v54, 30, v41
	v_fma_f64 v[30:31], v[72:73], s[82:83], v[30:31]
	v_cmp_eq_u32_e32 vcc, 0, v23
	v_cmp_class_f64_e64 s[0:1], v[16:17], s76
	v_fma_f64 v[42:43], v[34:35], v[42:43], s[42:43]
	v_add_f64 v[6:7], v[6:7], -v[8:9]
	v_xor_b32_e32 v8, v54, v17
	v_cmp_eq_u32_e64 s[2:3], 0, v51
	v_add_f64 v[28:29], v[28:29], -v[30:31]
	v_cvt_i32_f64_e32 v30, v[32:33]
	v_fma_f64 v[42:43], v[34:35], v[42:43], s[44:45]
	v_xor_b32_e32 v16, 0x80000000, v7
	v_fma_f64 v[42:43], v[34:35], v[42:43], s[48:49]
	v_fma_f64 v[42:43], v[34:35], v[42:43], s[52:53]
	v_fma_f64 v[42:43], v[34:35], v[42:43], s[54:55]
	v_fma_f64 v[42:43], v[34:35], v[42:43], s[56:57]
	v_fma_f64 v[40:41], v[34:35], v[42:43], 1.0
	v_fma_f64 v[42:43], v[44:45], v[46:47], v[52:53]
	v_add_f64 v[44:45], v[64:65], v[48:49]
	v_and_b32_e32 v47, 0x80000000, v8
	v_and_b32_e32 v46, 0x80000000, v50
	v_fma_f64 v[8:9], v[34:35], v[40:41], 1.0
	v_add_f64 v[34:35], v[68:69], v[42:43]
	v_cndmask_b32_e32 v23, v6, v44, vcc
	v_cndmask_b32_e32 v16, v16, v45, vcc
	v_cmp_nlt_f64_e32 vcc, s[78:79], v[14:15]
	v_ldexp_f64 v[6:7], v[8:9], v30
	v_cndmask_b32_e64 v17, v34, v28, s[2:3]
	v_cndmask_b32_e64 v9, v35, v29, s[2:3]
	v_cmp_ngt_f64_e64 s[2:3], s[80:81], v[14:15]
	v_cndmask_b32_e64 v8, 0, v23, s[0:1]
	v_xor_b32_e32 v23, v9, v47
	v_xor_b32_e32 v9, v16, v46
	v_cndmask_b32_e64 v9, v39, v9, s[0:1]
	v_cndmask_b32_e32 v7, v38, v7, vcc
	v_cndmask_b32_e64 v14, 0, v17, s[0:1]
	v_cndmask_b32_e64 v15, v39, v23, s[0:1]
	;; [unrolled: 1-line block ×3, first 2 shown]
	v_and_b32_e32 v16, 0xfffff, v7
	s_and_b64 vcc, s[2:3], vcc
	v_lshrrev_b32_e32 v17, 20, v7
	v_or_b32_e32 v7, 0x7fe00000, v16
	v_cndmask_b32_e32 v6, 0, v6, vcc
	v_mul_f64 v[8:9], v[6:7], v[8:9]
	v_mul_f64 v[6:7], v[6:7], v[14:15]
	v_add_u32_e32 v17, 0xffffff09, v17
	v_lshrrev_b16_e32 v14, 15, v17
	v_add_u16_e32 v14, v17, v14
	v_ashrrev_i16_e32 v14, 1, v14
	v_bfe_i32 v28, v14, 0, 16
	v_lshl_add_u32 v23, v28, 20, v37
	v_mul_f64 v[8:9], v[8:9], v[22:23]
	v_mul_f64 v[14:15], v[6:7], v[22:23]
	v_sub_u32_e32 v6, v17, v28
	v_mov_b32_e32 v16, v22
	v_lshl_add_u32 v17, v6, 20, v37
	v_mul_f64 v[6:7], v[8:9], v[16:17]
	v_mul_f64 v[8:9], v[14:15], v[16:17]
	s_or_b64 exec, exec, s[90:91]
                                        ; implicit-def: $vgpr14_vgpr15
                                        ; implicit-def: $vgpr23
.LBB137_225:                            ;   in Loop: Header=BB137_201 Depth=1
	s_andn2_saveexec_b64 s[2:3], s[88:89]
	s_cbranch_execz .LBB137_231
.LBB137_226:                            ;   in Loop: Header=BB137_201 Depth=1
	v_add_f64 v[8:9], v[16:17], -v[16:17]
	v_cmp_ne_u32_e32 vcc, 0, v14
	v_cmp_ne_u32_e64 s[0:1], s95, v23
	s_or_b64 s[0:1], vcc, s[0:1]
	s_and_saveexec_b64 s[88:89], s[0:1]
	s_xor_b64 s[0:1], exec, s[88:89]
; %bb.227:                              ;   in Loop: Header=BB137_201 Depth=1
                                        ; implicit-def: $vgpr14_vgpr15
; %bb.228:                              ;   in Loop: Header=BB137_201 Depth=1
	s_or_saveexec_b64 s[0:1], s[0:1]
	v_mov_b32_e32 v6, v8
	v_mov_b32_e32 v7, v9
	s_xor_b64 exec, exec, s[0:1]
; %bb.229:                              ;   in Loop: Header=BB137_201 Depth=1
	v_cmp_lt_i64_e32 vcc, -1, v[14:15]
	v_cndmask_b32_e32 v7, 0, v15, vcc
	v_cndmask_b32_e32 v6, 0, v14, vcc
	;; [unrolled: 1-line block ×4, first 2 shown]
; %bb.230:                              ;   in Loop: Header=BB137_201 Depth=1
	s_or_b64 exec, exec, s[0:1]
.LBB137_231:                            ;   in Loop: Header=BB137_201 Depth=1
	s_or_b64 exec, exec, s[2:3]
                                        ; implicit-def: $vgpr16_vgpr17
.LBB137_232:                            ;   in Loop: Header=BB137_201 Depth=1
	s_andn2_saveexec_b64 s[2:3], s[86:87]
	s_cbranch_execz .LBB137_242
; %bb.233:                              ;   in Loop: Header=BB137_201 Depth=1
	v_cmp_nlt_f64_e64 s[86:87], |v[16:17]|, s[8:9]
                                        ; implicit-def: $vgpr30
                                        ; implicit-def: $vgpr6_vgpr7
                                        ; implicit-def: $vgpr8_vgpr9
	s_and_saveexec_b64 s[0:1], s[86:87]
	s_xor_b64 s[88:89], exec, s[0:1]
	s_cbranch_execz .LBB137_235
; %bb.234:                              ;   in Loop: Header=BB137_201 Depth=1
	v_trig_preop_f64 v[6:7], |v[16:17]|, 0
	v_ldexp_f64 v[14:15], |v[16:17]|, s77
	v_cmp_ge_f64_e64 vcc, |v[16:17]|, s[10:11]
	v_trig_preop_f64 v[8:9], |v[16:17]|, 1
	v_and_b32_e32 v23, 0x7fffffff, v17
	v_trig_preop_f64 v[34:35], |v[16:17]|, 2
	s_mov_b32 s14, s16
	s_mov_b32 s21, s19
	v_cndmask_b32_e32 v15, v23, v15, vcc
	v_cndmask_b32_e32 v14, v16, v14, vcc
	v_mul_f64 v[28:29], v[6:7], v[14:15]
	v_mul_f64 v[30:31], v[8:9], v[14:15]
	;; [unrolled: 1-line block ×3, first 2 shown]
	v_fma_f64 v[6:7], v[6:7], v[14:15], -v[28:29]
	v_fma_f64 v[8:9], v[8:9], v[14:15], -v[30:31]
	;; [unrolled: 1-line block ×3, first 2 shown]
	v_add_f64 v[32:33], v[30:31], v[6:7]
	v_add_f64 v[40:41], v[32:33], -v[30:31]
	v_add_f64 v[46:47], v[28:29], v[32:33]
	v_add_f64 v[42:43], v[32:33], -v[40:41]
	v_add_f64 v[6:7], v[6:7], -v[40:41]
	v_add_f64 v[40:41], v[44:45], v[8:9]
	v_add_f64 v[28:29], v[46:47], -v[28:29]
	v_add_f64 v[30:31], v[30:31], -v[42:43]
	v_ldexp_f64 v[42:43], v[46:47], -2
	v_add_f64 v[48:49], v[40:41], -v[44:45]
	v_add_f64 v[28:29], v[32:33], -v[28:29]
	v_add_f64 v[6:7], v[6:7], v[30:31]
	v_fract_f64_e32 v[30:31], v[42:43]
	v_cmp_neq_f64_e64 vcc, |v[42:43]|, s[12:13]
	v_add_f64 v[8:9], v[8:9], -v[48:49]
	v_add_f64 v[32:33], v[40:41], v[6:7]
	v_ldexp_f64 v[30:31], v[30:31], 2
	v_add_f64 v[42:43], v[28:29], v[32:33]
	v_cndmask_b32_e32 v31, 0, v31, vcc
	v_cndmask_b32_e32 v30, 0, v30, vcc
	v_add_f64 v[50:51], v[32:33], -v[40:41]
	v_add_f64 v[46:47], v[42:43], v[30:31]
	v_add_f64 v[28:29], v[42:43], -v[28:29]
	v_add_f64 v[52:53], v[32:33], -v[50:51]
	;; [unrolled: 1-line block ×3, first 2 shown]
	v_cmp_gt_f64_e32 vcc, 0, v[46:47]
	v_add_f64 v[46:47], v[40:41], -v[48:49]
	v_add_f64 v[28:29], v[32:33], -v[28:29]
	;; [unrolled: 1-line block ×3, first 2 shown]
	v_cndmask_b32_e32 v23, 0, v36, vcc
	v_add_f64 v[30:31], v[30:31], v[22:23]
	v_add_f64 v[46:47], v[44:45], -v[46:47]
	v_add_f64 v[6:7], v[6:7], v[40:41]
	v_add_f64 v[54:55], v[42:43], v[30:31]
	;; [unrolled: 1-line block ×3, first 2 shown]
	v_cvt_i32_f64_e32 v23, v[54:55]
	v_add_f64 v[6:7], v[8:9], v[6:7]
	v_cvt_f64_i32_e32 v[48:49], v23
	v_add_f64 v[30:31], v[30:31], -v[48:49]
	v_add_f64 v[6:7], v[14:15], v[6:7]
	v_add_f64 v[8:9], v[42:43], v[30:31]
	;; [unrolled: 1-line block ×3, first 2 shown]
	v_add_f64 v[14:15], v[8:9], -v[30:31]
	v_cmp_le_f64_e32 vcc, 0.5, v[8:9]
	v_add_f64 v[14:15], v[42:43], -v[14:15]
	v_addc_co_u32_e64 v30, s[0:1], 0, v23, vcc
	v_cndmask_b32_e32 v23, 0, v37, vcc
	v_add_f64 v[8:9], v[8:9], -v[22:23]
	v_add_f64 v[6:7], v[6:7], v[14:15]
	v_add_f64 v[14:15], v[8:9], v[6:7]
	v_mul_f64 v[28:29], v[14:15], s[14:15]
	v_add_f64 v[8:9], v[14:15], -v[8:9]
	v_fma_f64 v[31:32], v[14:15], s[14:15], -v[28:29]
	v_add_f64 v[6:7], v[6:7], -v[8:9]
	v_fma_f64 v[8:9], v[14:15], s[20:21], v[31:32]
	v_fma_f64 v[8:9], v[6:7], s[14:15], v[8:9]
	v_add_f64 v[6:7], v[28:29], v[8:9]
	v_add_f64 v[14:15], v[6:7], -v[28:29]
	v_add_f64 v[8:9], v[8:9], -v[14:15]
	s_andn2_saveexec_b64 s[0:1], s[88:89]
	s_cbranch_execz .LBB137_237
	s_branch .LBB137_236
.LBB137_235:                            ;   in Loop: Header=BB137_201 Depth=1
	s_andn2_saveexec_b64 s[0:1], s[88:89]
	s_cbranch_execz .LBB137_237
.LBB137_236:                            ;   in Loop: Header=BB137_201 Depth=1
	v_mul_f64 v[6:7], |v[16:17]|, s[22:23]
	s_mov_b32 s18, s24
	v_rndne_f64_e32 v[14:15], v[6:7]
	v_fma_f64 v[6:7], v[14:15], s[16:17], |v[16:17]|
	v_mul_f64 v[8:9], v[14:15], s[24:25]
	v_fma_f64 v[32:33], v[14:15], s[24:25], v[6:7]
	v_add_f64 v[28:29], v[6:7], v[8:9]
	v_add_f64 v[30:31], v[6:7], -v[28:29]
	v_add_f64 v[28:29], v[28:29], -v[32:33]
	v_add_f64 v[6:7], v[30:31], v[8:9]
	v_fma_f64 v[8:9], v[14:15], s[18:19], v[8:9]
	v_cvt_i32_f64_e32 v30, v[14:15]
	v_add_f64 v[6:7], v[28:29], v[6:7]
	v_add_f64 v[6:7], v[6:7], -v[8:9]
	v_fma_f64 v[8:9], v[14:15], s[26:27], v[6:7]
	v_add_f64 v[6:7], v[32:33], v[8:9]
	v_add_f64 v[28:29], v[6:7], -v[32:33]
	v_add_f64 v[8:9], v[8:9], -v[28:29]
.LBB137_237:                            ;   in Loop: Header=BB137_201 Depth=1
	s_or_b64 exec, exec, s[0:1]
                                        ; implicit-def: $vgpr31
                                        ; implicit-def: $vgpr14_vgpr15
                                        ; implicit-def: $vgpr28_vgpr29
	s_and_saveexec_b64 s[0:1], s[86:87]
	s_xor_b64 s[86:87], exec, s[0:1]
	s_cbranch_execz .LBB137_239
; %bb.238:                              ;   in Loop: Header=BB137_201 Depth=1
	v_trig_preop_f64 v[14:15], |v[16:17]|, 0
	v_ldexp_f64 v[31:32], |v[16:17]|, s77
	v_cmp_ge_f64_e64 vcc, |v[16:17]|, s[10:11]
	v_trig_preop_f64 v[28:29], |v[16:17]|, 1
	v_and_b32_e32 v23, 0x7fffffff, v17
	v_trig_preop_f64 v[44:45], |v[16:17]|, 2
	s_mov_b32 s14, s16
	s_mov_b32 s21, s19
	v_cndmask_b32_e32 v32, v23, v32, vcc
	v_cndmask_b32_e32 v31, v16, v31, vcc
	v_mul_f64 v[33:34], v[14:15], v[31:32]
	v_mul_f64 v[40:41], v[28:29], v[31:32]
	v_mul_f64 v[50:51], v[44:45], v[31:32]
	v_fma_f64 v[14:15], v[14:15], v[31:32], -v[33:34]
	v_fma_f64 v[28:29], v[28:29], v[31:32], -v[40:41]
	;; [unrolled: 1-line block ×3, first 2 shown]
	v_add_f64 v[42:43], v[40:41], v[14:15]
	v_add_f64 v[46:47], v[42:43], -v[40:41]
	v_add_f64 v[52:53], v[33:34], v[42:43]
	v_add_f64 v[48:49], v[42:43], -v[46:47]
	v_add_f64 v[14:15], v[14:15], -v[46:47]
	v_add_f64 v[46:47], v[50:51], v[28:29]
	v_add_f64 v[33:34], v[52:53], -v[33:34]
	v_add_f64 v[40:41], v[40:41], -v[48:49]
	v_ldexp_f64 v[48:49], v[52:53], -2
	v_add_f64 v[54:55], v[46:47], -v[50:51]
	v_add_f64 v[33:34], v[42:43], -v[33:34]
	v_add_f64 v[14:15], v[14:15], v[40:41]
	v_fract_f64_e32 v[40:41], v[48:49]
	v_cmp_neq_f64_e64 vcc, |v[48:49]|, s[12:13]
	v_add_f64 v[28:29], v[28:29], -v[54:55]
	v_add_f64 v[42:43], v[46:47], v[14:15]
	v_ldexp_f64 v[40:41], v[40:41], 2
	v_add_f64 v[48:49], v[33:34], v[42:43]
	v_cndmask_b32_e32 v41, 0, v41, vcc
	v_cndmask_b32_e32 v40, 0, v40, vcc
	v_add_f64 v[56:57], v[42:43], -v[46:47]
	v_add_f64 v[52:53], v[48:49], v[40:41]
	v_add_f64 v[33:34], v[48:49], -v[33:34]
	v_add_f64 v[58:59], v[42:43], -v[56:57]
	;; [unrolled: 1-line block ×3, first 2 shown]
	v_cmp_gt_f64_e32 vcc, 0, v[52:53]
	v_add_f64 v[52:53], v[46:47], -v[54:55]
	v_add_f64 v[33:34], v[42:43], -v[33:34]
	;; [unrolled: 1-line block ×3, first 2 shown]
	v_cndmask_b32_e32 v23, 0, v36, vcc
	v_add_f64 v[40:41], v[40:41], v[22:23]
	v_add_f64 v[52:53], v[50:51], -v[52:53]
	v_add_f64 v[14:15], v[14:15], v[46:47]
	v_add_f64 v[60:61], v[48:49], v[40:41]
	;; [unrolled: 1-line block ×3, first 2 shown]
	v_cvt_i32_f64_e32 v23, v[60:61]
	v_add_f64 v[14:15], v[28:29], v[14:15]
	v_cvt_f64_i32_e32 v[54:55], v23
	v_add_f64 v[40:41], v[40:41], -v[54:55]
	v_add_f64 v[14:15], v[31:32], v[14:15]
	v_add_f64 v[28:29], v[48:49], v[40:41]
	;; [unrolled: 1-line block ×3, first 2 shown]
	v_add_f64 v[31:32], v[28:29], -v[40:41]
	v_cmp_le_f64_e32 vcc, 0.5, v[28:29]
	v_add_f64 v[32:33], v[48:49], -v[31:32]
	v_addc_co_u32_e64 v31, s[0:1], 0, v23, vcc
	v_cndmask_b32_e32 v23, 0, v37, vcc
	v_add_f64 v[28:29], v[28:29], -v[22:23]
	v_add_f64 v[14:15], v[14:15], v[32:33]
	v_add_f64 v[32:33], v[28:29], v[14:15]
	v_mul_f64 v[34:35], v[32:33], s[14:15]
	v_add_f64 v[28:29], v[32:33], -v[28:29]
	v_fma_f64 v[40:41], v[32:33], s[14:15], -v[34:35]
	v_add_f64 v[14:15], v[14:15], -v[28:29]
	v_fma_f64 v[28:29], v[32:33], s[20:21], v[40:41]
	v_fma_f64 v[28:29], v[14:15], s[14:15], v[28:29]
	v_add_f64 v[14:15], v[34:35], v[28:29]
	v_add_f64 v[32:33], v[14:15], -v[34:35]
	v_add_f64 v[28:29], v[28:29], -v[32:33]
	s_andn2_saveexec_b64 s[0:1], s[86:87]
	s_cbranch_execnz .LBB137_240
	s_branch .LBB137_241
.LBB137_239:                            ;   in Loop: Header=BB137_201 Depth=1
	s_andn2_saveexec_b64 s[0:1], s[86:87]
	s_cbranch_execz .LBB137_241
.LBB137_240:                            ;   in Loop: Header=BB137_201 Depth=1
	v_mul_f64 v[14:15], |v[16:17]|, s[22:23]
	s_mov_b32 s18, s24
	v_rndne_f64_e32 v[31:32], v[14:15]
	v_fma_f64 v[14:15], v[31:32], s[16:17], |v[16:17]|
	v_mul_f64 v[28:29], v[31:32], s[24:25]
	v_fma_f64 v[42:43], v[31:32], s[24:25], v[14:15]
	v_add_f64 v[33:34], v[14:15], v[28:29]
	v_add_f64 v[40:41], v[14:15], -v[33:34]
	v_add_f64 v[33:34], v[33:34], -v[42:43]
	v_add_f64 v[14:15], v[40:41], v[28:29]
	v_fma_f64 v[28:29], v[31:32], s[18:19], v[28:29]
	v_add_f64 v[14:15], v[33:34], v[14:15]
	v_add_f64 v[14:15], v[14:15], -v[28:29]
	v_fma_f64 v[28:29], v[31:32], s[26:27], v[14:15]
	v_cvt_i32_f64_e32 v31, v[31:32]
	v_add_f64 v[14:15], v[42:43], v[28:29]
	v_add_f64 v[33:34], v[14:15], -v[42:43]
	v_add_f64 v[28:29], v[28:29], -v[33:34]
.LBB137_241:                            ;   in Loop: Header=BB137_201 Depth=1
	s_or_b64 exec, exec, s[0:1]
	v_mul_f64 v[32:33], v[6:7], v[6:7]
	v_mov_b32_e32 v44, s58
	v_mov_b32_e32 v45, s59
	v_mul_f64 v[48:49], v[8:9], 0.5
	s_mov_b32 s82, s50
	v_mul_f64 v[34:35], v[32:33], 0.5
	v_fma_f64 v[46:47], v[32:33], s[60:61], v[44:45]
	v_add_f64 v[40:41], -v[34:35], 1.0
	v_fma_f64 v[46:47], v[32:33], v[46:47], s[62:63]
	v_add_f64 v[42:43], -v[40:41], 1.0
	v_fma_f64 v[46:47], v[32:33], v[46:47], s[64:65]
	v_add_f64 v[34:35], v[42:43], -v[34:35]
	v_fma_f64 v[46:47], v[32:33], v[46:47], s[66:67]
	v_mul_f64 v[42:43], v[32:33], v[32:33]
	v_fma_f64 v[34:35], v[6:7], -v[8:9], v[34:35]
	v_fma_f64 v[46:47], v[32:33], v[46:47], s[50:51]
	v_fma_f64 v[34:35], v[42:43], v[46:47], v[34:35]
	v_mul_f64 v[46:47], v[6:7], -v[32:33]
	v_add_f64 v[34:35], v[40:41], v[34:35]
	v_mov_b32_e32 v40, s68
	v_mov_b32_e32 v41, s69
	v_fma_f64 v[42:43], v[32:33], s[70:71], v[40:41]
	v_fma_f64 v[42:43], v[32:33], v[42:43], s[72:73]
	;; [unrolled: 1-line block ×5, first 2 shown]
	v_fma_f64 v[8:9], v[32:33], v[42:43], -v[8:9]
	v_fma_f64 v[8:9], v[46:47], s[82:83], v[8:9]
	v_add_f64 v[6:7], v[6:7], -v[8:9]
	v_and_b32_e32 v8, 1, v30
	v_cmp_eq_u32_e32 vcc, 0, v8
	v_lshlrev_b32_e32 v8, 30, v30
	v_and_b32_e32 v8, 0x80000000, v8
	v_xor_b32_e32 v7, 0x80000000, v7
	v_cndmask_b32_e32 v7, v7, v35, vcc
	v_xor_b32_e32 v7, v7, v8
	v_mul_f64 v[8:9], v[14:15], v[14:15]
	v_cndmask_b32_e32 v6, v6, v34, vcc
	v_cmp_class_f64_e64 vcc, v[16:17], s76
	v_mul_f64 v[32:33], v[8:9], 0.5
	v_fma_f64 v[44:45], v[8:9], s[60:61], v[44:45]
	v_cndmask_b32_e32 v6, 0, v6, vcc
	v_cndmask_b32_e32 v7, v39, v7, vcc
	v_add_f64 v[34:35], -v[32:33], 1.0
	v_fma_f64 v[44:45], v[8:9], v[44:45], s[62:63]
	v_add_f64 v[42:43], -v[34:35], 1.0
	v_fma_f64 v[44:45], v[8:9], v[44:45], s[64:65]
	v_add_f64 v[32:33], v[42:43], -v[32:33]
	v_fma_f64 v[44:45], v[8:9], v[44:45], s[66:67]
	v_mul_f64 v[42:43], v[8:9], v[8:9]
	v_fma_f64 v[32:33], v[14:15], -v[28:29], v[32:33]
	v_fma_f64 v[44:45], v[8:9], v[44:45], s[50:51]
	v_fma_f64 v[32:33], v[42:43], v[44:45], v[32:33]
	v_mul_f64 v[42:43], v[28:29], 0.5
	v_add_f64 v[32:33], v[34:35], v[32:33]
	v_fma_f64 v[34:35], v[8:9], s[70:71], v[40:41]
	v_mul_f64 v[40:41], v[14:15], -v[8:9]
	v_fma_f64 v[34:35], v[8:9], v[34:35], s[72:73]
	v_fma_f64 v[34:35], v[8:9], v[34:35], s[74:75]
	;; [unrolled: 1-line block ×4, first 2 shown]
	v_fma_f64 v[8:9], v[8:9], v[34:35], -v[28:29]
	v_fma_f64 v[8:9], v[40:41], s[82:83], v[8:9]
	v_add_f64 v[8:9], v[14:15], -v[8:9]
	v_and_b32_e32 v14, 1, v31
	v_cmp_eq_u32_e64 s[0:1], 0, v14
	v_lshlrev_b32_e32 v14, 30, v31
	v_xor_b32_e32 v14, v14, v17
	v_and_b32_e32 v14, 0x80000000, v14
	v_cndmask_b32_e64 v9, v33, v9, s[0:1]
	v_cndmask_b32_e64 v8, v32, v8, s[0:1]
	v_xor_b32_e32 v9, v9, v14
	v_cndmask_b32_e32 v8, 0, v8, vcc
	v_cndmask_b32_e32 v9, v39, v9, vcc
.LBB137_242:                            ;   in Loop: Header=BB137_201 Depth=1
	s_or_b64 exec, exec, s[2:3]
                                        ; implicit-def: $vgpr14_vgpr15
.LBB137_243:                            ;   in Loop: Header=BB137_201 Depth=1
	s_andn2_saveexec_b64 s[2:3], s[84:85]
	s_cbranch_execz .LBB137_245
; %bb.244:                              ;   in Loop: Header=BB137_201 Depth=1
	v_mul_f64 v[6:7], v[14:15], s[28:29]
	s_mov_b32 s49, s47
	s_mov_b32 s53, s51
	v_cmp_nlt_f64_e32 vcc, s[78:79], v[14:15]
	v_cmp_ngt_f64_e64 s[0:1], s[80:81], v[14:15]
	v_rndne_f64_e32 v[6:7], v[6:7]
	v_fma_f64 v[8:9], v[6:7], s[30:31], v[14:15]
	v_fma_f64 v[8:9], v[6:7], s[34:35], v[8:9]
	v_cvt_i32_f64_e32 v6, v[6:7]
	v_fma_f64 v[28:29], v[8:9], s[36:37], v[26:27]
	v_fma_f64 v[28:29], v[8:9], v[28:29], s[38:39]
	;; [unrolled: 1-line block ×9, first 2 shown]
	v_fma_f64 v[28:29], v[8:9], v[28:29], 1.0
	v_fma_f64 v[8:9], v[8:9], v[28:29], 1.0
	v_ldexp_f64 v[6:7], v[8:9], v6
	v_mov_b32_e32 v8, v16
	v_mov_b32_e32 v9, v17
	v_cndmask_b32_e32 v7, v38, v7, vcc
	s_and_b64 vcc, s[0:1], vcc
	v_cndmask_b32_e64 v7, 0, v7, s[0:1]
	v_cndmask_b32_e32 v6, 0, v6, vcc
.LBB137_245:                            ;   in Loop: Header=BB137_201 Depth=1
	s_or_b64 exec, exec, s[2:3]
	s_waitcnt vmcnt(2)
	v_and_b32_e32 v14, 0x7fffffff, v21
	v_or_b32_e32 v15, v14, v20
	v_cmp_ne_u32_e32 vcc, 0, v15
                                        ; implicit-def: $vgpr16_vgpr17
	s_and_saveexec_b64 s[0:1], vcc
	s_xor_b64 s[84:85], exec, s[0:1]
	s_cbranch_execz .LBB137_287
; %bb.246:                              ;   in Loop: Header=BB137_201 Depth=1
	v_and_b32_e32 v23, 0x7fffffff, v19
	v_or_b32_e32 v15, v23, v18
	v_cmp_ne_u32_e32 vcc, 0, v15
                                        ; implicit-def: $vgpr16_vgpr17
	s_and_saveexec_b64 s[0:1], vcc
	s_xor_b64 s[86:87], exec, s[0:1]
	s_cbranch_execz .LBB137_276
; %bb.247:                              ;   in Loop: Header=BB137_201 Depth=1
	v_cmp_gt_u32_e32 vcc, s95, v14
                                        ; implicit-def: $vgpr16_vgpr17
	s_and_saveexec_b64 s[0:1], vcc
	s_xor_b64 s[88:89], exec, s[0:1]
	s_cbranch_execz .LBB137_269
; %bb.248:                              ;   in Loop: Header=BB137_201 Depth=1
	v_add_u32_e32 v14, 0xbf79d1be, v19
	s_mov_b32 s0, 0x108aa2
	v_cmp_lt_u32_e32 vcc, s0, v14
                                        ; implicit-def: $vgpr16_vgpr17
	s_and_saveexec_b64 s[0:1], vcc
	s_xor_b64 s[2:3], exec, s[0:1]
	s_cbranch_execz .LBB137_258
; %bb.249:                              ;   in Loop: Header=BB137_201 Depth=1
	v_cmp_nlt_f64_e64 s[90:91], |v[20:21]|, s[8:9]
                                        ; implicit-def: $vgpr32
                                        ; implicit-def: $vgpr14_vgpr15
                                        ; implicit-def: $vgpr16_vgpr17
	s_and_saveexec_b64 s[0:1], s[90:91]
	s_xor_b64 s[92:93], exec, s[0:1]
	s_cbranch_execz .LBB137_251
; %bb.250:                              ;   in Loop: Header=BB137_201 Depth=1
	v_trig_preop_f64 v[14:15], |v[20:21]|, 0
	v_ldexp_f64 v[28:29], |v[20:21]|, s77
	v_cmp_ge_f64_e64 vcc, |v[20:21]|, s[10:11]
	v_trig_preop_f64 v[16:17], |v[20:21]|, 1
	v_and_b32_e32 v23, 0x7fffffff, v21
	v_trig_preop_f64 v[40:41], |v[20:21]|, 2
	s_mov_b32 s14, s16
	s_mov_b32 s21, s19
	v_cndmask_b32_e32 v29, v23, v29, vcc
	v_cndmask_b32_e32 v28, v20, v28, vcc
	v_mul_f64 v[30:31], v[14:15], v[28:29]
	v_mul_f64 v[32:33], v[16:17], v[28:29]
	v_mul_f64 v[46:47], v[40:41], v[28:29]
	v_fma_f64 v[14:15], v[14:15], v[28:29], -v[30:31]
	v_fma_f64 v[16:17], v[16:17], v[28:29], -v[32:33]
	;; [unrolled: 1-line block ×3, first 2 shown]
	v_add_f64 v[34:35], v[32:33], v[14:15]
	v_add_f64 v[42:43], v[34:35], -v[32:33]
	v_add_f64 v[48:49], v[30:31], v[34:35]
	v_add_f64 v[44:45], v[34:35], -v[42:43]
	v_add_f64 v[14:15], v[14:15], -v[42:43]
	v_add_f64 v[42:43], v[46:47], v[16:17]
	v_add_f64 v[30:31], v[48:49], -v[30:31]
	v_add_f64 v[32:33], v[32:33], -v[44:45]
	v_ldexp_f64 v[44:45], v[48:49], -2
	v_add_f64 v[50:51], v[42:43], -v[46:47]
	v_add_f64 v[30:31], v[34:35], -v[30:31]
	v_add_f64 v[14:15], v[14:15], v[32:33]
	v_fract_f64_e32 v[32:33], v[44:45]
	v_cmp_neq_f64_e64 vcc, |v[44:45]|, s[12:13]
	v_add_f64 v[16:17], v[16:17], -v[50:51]
	v_add_f64 v[34:35], v[42:43], v[14:15]
	v_ldexp_f64 v[32:33], v[32:33], 2
	v_add_f64 v[44:45], v[30:31], v[34:35]
	v_cndmask_b32_e32 v33, 0, v33, vcc
	v_cndmask_b32_e32 v32, 0, v32, vcc
	v_add_f64 v[52:53], v[34:35], -v[42:43]
	v_add_f64 v[48:49], v[44:45], v[32:33]
	v_add_f64 v[30:31], v[44:45], -v[30:31]
	v_add_f64 v[54:55], v[34:35], -v[52:53]
	;; [unrolled: 1-line block ×3, first 2 shown]
	v_cmp_gt_f64_e32 vcc, 0, v[48:49]
	v_add_f64 v[48:49], v[42:43], -v[50:51]
	v_add_f64 v[30:31], v[34:35], -v[30:31]
	;; [unrolled: 1-line block ×3, first 2 shown]
	v_cndmask_b32_e32 v23, 0, v36, vcc
	v_add_f64 v[32:33], v[32:33], v[22:23]
	v_add_f64 v[48:49], v[46:47], -v[48:49]
	v_add_f64 v[14:15], v[14:15], v[42:43]
	v_add_f64 v[56:57], v[44:45], v[32:33]
	v_add_f64 v[16:17], v[16:17], v[48:49]
	v_cvt_i32_f64_e32 v23, v[56:57]
	v_add_f64 v[14:15], v[16:17], v[14:15]
	v_cvt_f64_i32_e32 v[50:51], v23
	v_add_f64 v[32:33], v[32:33], -v[50:51]
	v_add_f64 v[14:15], v[28:29], v[14:15]
	v_add_f64 v[16:17], v[44:45], v[32:33]
	;; [unrolled: 1-line block ×3, first 2 shown]
	v_add_f64 v[28:29], v[16:17], -v[32:33]
	v_cmp_le_f64_e32 vcc, 0.5, v[16:17]
	v_add_f64 v[28:29], v[44:45], -v[28:29]
	v_addc_co_u32_e64 v32, s[0:1], 0, v23, vcc
	v_cndmask_b32_e32 v23, 0, v37, vcc
	v_add_f64 v[16:17], v[16:17], -v[22:23]
	v_add_f64 v[14:15], v[14:15], v[28:29]
	v_add_f64 v[28:29], v[16:17], v[14:15]
	v_mul_f64 v[30:31], v[28:29], s[14:15]
	v_add_f64 v[16:17], v[28:29], -v[16:17]
	v_fma_f64 v[33:34], v[28:29], s[14:15], -v[30:31]
	v_add_f64 v[14:15], v[14:15], -v[16:17]
	v_fma_f64 v[16:17], v[28:29], s[20:21], v[33:34]
	v_fma_f64 v[16:17], v[14:15], s[14:15], v[16:17]
	v_add_f64 v[14:15], v[30:31], v[16:17]
	v_add_f64 v[28:29], v[14:15], -v[30:31]
	v_add_f64 v[16:17], v[16:17], -v[28:29]
	s_andn2_saveexec_b64 s[0:1], s[92:93]
	s_cbranch_execz .LBB137_253
	s_branch .LBB137_252
.LBB137_251:                            ;   in Loop: Header=BB137_201 Depth=1
	s_andn2_saveexec_b64 s[0:1], s[92:93]
	s_cbranch_execz .LBB137_253
.LBB137_252:                            ;   in Loop: Header=BB137_201 Depth=1
	v_mul_f64 v[14:15], |v[20:21]|, s[22:23]
	s_mov_b32 s18, s24
	v_rndne_f64_e32 v[28:29], v[14:15]
	v_fma_f64 v[14:15], v[28:29], s[16:17], |v[20:21]|
	v_mul_f64 v[16:17], v[28:29], s[24:25]
	v_fma_f64 v[34:35], v[28:29], s[24:25], v[14:15]
	v_add_f64 v[30:31], v[14:15], v[16:17]
	v_add_f64 v[32:33], v[14:15], -v[30:31]
	v_add_f64 v[30:31], v[30:31], -v[34:35]
	v_add_f64 v[14:15], v[32:33], v[16:17]
	v_fma_f64 v[16:17], v[28:29], s[18:19], v[16:17]
	v_cvt_i32_f64_e32 v32, v[28:29]
	v_add_f64 v[14:15], v[30:31], v[14:15]
	v_add_f64 v[14:15], v[14:15], -v[16:17]
	v_fma_f64 v[16:17], v[28:29], s[26:27], v[14:15]
	v_add_f64 v[14:15], v[34:35], v[16:17]
	v_add_f64 v[30:31], v[14:15], -v[34:35]
	v_add_f64 v[16:17], v[16:17], -v[30:31]
.LBB137_253:                            ;   in Loop: Header=BB137_201 Depth=1
	s_or_b64 exec, exec, s[0:1]
                                        ; implicit-def: $vgpr33
                                        ; implicit-def: $vgpr28_vgpr29
                                        ; implicit-def: $vgpr30_vgpr31
	s_and_saveexec_b64 s[0:1], s[90:91]
	s_xor_b64 s[90:91], exec, s[0:1]
	s_cbranch_execz .LBB137_255
; %bb.254:                              ;   in Loop: Header=BB137_201 Depth=1
	v_trig_preop_f64 v[28:29], |v[20:21]|, 0
	v_ldexp_f64 v[33:34], |v[20:21]|, s77
	v_cmp_ge_f64_e64 vcc, |v[20:21]|, s[10:11]
	v_trig_preop_f64 v[30:31], |v[20:21]|, 1
	v_and_b32_e32 v23, 0x7fffffff, v21
	v_trig_preop_f64 v[46:47], |v[20:21]|, 2
	s_mov_b32 s14, s16
	s_mov_b32 s21, s19
	v_cndmask_b32_e32 v34, v23, v34, vcc
	v_cndmask_b32_e32 v33, v20, v33, vcc
	v_mul_f64 v[40:41], v[28:29], v[33:34]
	v_mul_f64 v[42:43], v[30:31], v[33:34]
	;; [unrolled: 1-line block ×3, first 2 shown]
	v_fma_f64 v[28:29], v[28:29], v[33:34], -v[40:41]
	v_fma_f64 v[30:31], v[30:31], v[33:34], -v[42:43]
	;; [unrolled: 1-line block ×3, first 2 shown]
	v_add_f64 v[44:45], v[42:43], v[28:29]
	v_add_f64 v[48:49], v[44:45], -v[42:43]
	v_add_f64 v[54:55], v[40:41], v[44:45]
	v_add_f64 v[50:51], v[44:45], -v[48:49]
	v_add_f64 v[28:29], v[28:29], -v[48:49]
	v_add_f64 v[48:49], v[52:53], v[30:31]
	v_add_f64 v[40:41], v[54:55], -v[40:41]
	v_add_f64 v[42:43], v[42:43], -v[50:51]
	v_ldexp_f64 v[50:51], v[54:55], -2
	v_add_f64 v[56:57], v[48:49], -v[52:53]
	v_add_f64 v[40:41], v[44:45], -v[40:41]
	v_add_f64 v[28:29], v[28:29], v[42:43]
	v_fract_f64_e32 v[42:43], v[50:51]
	v_cmp_neq_f64_e64 vcc, |v[50:51]|, s[12:13]
	v_add_f64 v[30:31], v[30:31], -v[56:57]
	v_add_f64 v[44:45], v[48:49], v[28:29]
	v_ldexp_f64 v[42:43], v[42:43], 2
	v_add_f64 v[50:51], v[40:41], v[44:45]
	v_cndmask_b32_e32 v43, 0, v43, vcc
	v_cndmask_b32_e32 v42, 0, v42, vcc
	v_add_f64 v[58:59], v[44:45], -v[48:49]
	v_add_f64 v[54:55], v[50:51], v[42:43]
	v_add_f64 v[40:41], v[50:51], -v[40:41]
	v_add_f64 v[60:61], v[44:45], -v[58:59]
	;; [unrolled: 1-line block ×3, first 2 shown]
	v_cmp_gt_f64_e32 vcc, 0, v[54:55]
	v_add_f64 v[54:55], v[48:49], -v[56:57]
	v_add_f64 v[40:41], v[44:45], -v[40:41]
	;; [unrolled: 1-line block ×3, first 2 shown]
	v_cndmask_b32_e32 v23, 0, v36, vcc
	v_add_f64 v[42:43], v[42:43], v[22:23]
	v_add_f64 v[54:55], v[52:53], -v[54:55]
	v_add_f64 v[28:29], v[28:29], v[48:49]
	v_add_f64 v[62:63], v[50:51], v[42:43]
	;; [unrolled: 1-line block ×3, first 2 shown]
	v_cvt_i32_f64_e32 v23, v[62:63]
	v_add_f64 v[28:29], v[30:31], v[28:29]
	v_cvt_f64_i32_e32 v[56:57], v23
	v_add_f64 v[42:43], v[42:43], -v[56:57]
	v_add_f64 v[28:29], v[33:34], v[28:29]
	v_add_f64 v[30:31], v[50:51], v[42:43]
	;; [unrolled: 1-line block ×3, first 2 shown]
	v_add_f64 v[33:34], v[30:31], -v[42:43]
	v_cmp_le_f64_e32 vcc, 0.5, v[30:31]
	v_add_f64 v[34:35], v[50:51], -v[33:34]
	v_addc_co_u32_e64 v33, s[0:1], 0, v23, vcc
	v_cndmask_b32_e32 v23, 0, v37, vcc
	v_add_f64 v[30:31], v[30:31], -v[22:23]
	v_add_f64 v[28:29], v[28:29], v[34:35]
	v_add_f64 v[34:35], v[30:31], v[28:29]
	v_mul_f64 v[40:41], v[34:35], s[14:15]
	v_add_f64 v[30:31], v[34:35], -v[30:31]
	v_fma_f64 v[42:43], v[34:35], s[14:15], -v[40:41]
	v_add_f64 v[28:29], v[28:29], -v[30:31]
	v_fma_f64 v[30:31], v[34:35], s[20:21], v[42:43]
	v_fma_f64 v[30:31], v[28:29], s[14:15], v[30:31]
	v_add_f64 v[28:29], v[40:41], v[30:31]
	v_add_f64 v[34:35], v[28:29], -v[40:41]
	v_add_f64 v[30:31], v[30:31], -v[34:35]
	s_andn2_saveexec_b64 s[0:1], s[90:91]
	s_cbranch_execnz .LBB137_256
	s_branch .LBB137_257
.LBB137_255:                            ;   in Loop: Header=BB137_201 Depth=1
	s_andn2_saveexec_b64 s[0:1], s[90:91]
	s_cbranch_execz .LBB137_257
.LBB137_256:                            ;   in Loop: Header=BB137_201 Depth=1
	v_mul_f64 v[28:29], |v[20:21]|, s[22:23]
	s_mov_b32 s18, s24
	v_rndne_f64_e32 v[33:34], v[28:29]
	v_fma_f64 v[28:29], v[33:34], s[16:17], |v[20:21]|
	v_mul_f64 v[30:31], v[33:34], s[24:25]
	v_fma_f64 v[44:45], v[33:34], s[24:25], v[28:29]
	v_add_f64 v[40:41], v[28:29], v[30:31]
	v_add_f64 v[42:43], v[28:29], -v[40:41]
	v_add_f64 v[40:41], v[40:41], -v[44:45]
	v_add_f64 v[28:29], v[42:43], v[30:31]
	v_fma_f64 v[30:31], v[33:34], s[18:19], v[30:31]
	v_add_f64 v[28:29], v[40:41], v[28:29]
	v_add_f64 v[28:29], v[28:29], -v[30:31]
	v_fma_f64 v[30:31], v[33:34], s[26:27], v[28:29]
	v_cvt_i32_f64_e32 v33, v[33:34]
	v_add_f64 v[28:29], v[44:45], v[30:31]
	v_add_f64 v[40:41], v[28:29], -v[44:45]
	v_add_f64 v[30:31], v[30:31], -v[40:41]
.LBB137_257:                            ;   in Loop: Header=BB137_201 Depth=1
	s_or_b64 exec, exec, s[0:1]
	v_mul_f64 v[34:35], v[18:19], s[28:29]
	s_mov_b32 s49, s47
	s_mov_b32 s53, s51
	v_cmp_nlt_f64_e32 vcc, s[78:79], v[18:19]
	v_cmp_ngt_f64_e64 s[0:1], s[80:81], v[18:19]
	v_mov_b32_e32 v46, s58
	v_mov_b32_e32 v47, s59
	v_mul_f64 v[50:51], v[16:17], 0.5
	v_rndne_f64_e32 v[34:35], v[34:35]
	s_mov_b32 s82, s50
	v_fma_f64 v[40:41], v[34:35], s[30:31], v[18:19]
	v_cvt_i32_f64_e32 v23, v[34:35]
	v_fma_f64 v[40:41], v[34:35], s[34:35], v[40:41]
	v_fma_f64 v[42:43], v[40:41], s[36:37], v[26:27]
	;; [unrolled: 1-line block ×10, first 2 shown]
	v_fma_f64 v[42:43], v[40:41], v[42:43], 1.0
	v_fma_f64 v[40:41], v[40:41], v[42:43], 1.0
	v_ldexp_f64 v[34:35], v[40:41], v23
	v_cndmask_b32_e32 v23, v38, v35, vcc
	s_and_b64 vcc, s[0:1], vcc
	v_cndmask_b32_e32 v18, 0, v34, vcc
	v_mul_f64 v[34:35], v[14:15], v[14:15]
	v_cndmask_b32_e64 v19, 0, v23, s[0:1]
	v_mul_f64 v[40:41], v[34:35], 0.5
	v_fma_f64 v[48:49], v[34:35], s[60:61], v[46:47]
	v_add_f64 v[42:43], -v[40:41], 1.0
	v_fma_f64 v[48:49], v[34:35], v[48:49], s[62:63]
	v_add_f64 v[44:45], -v[42:43], 1.0
	v_fma_f64 v[48:49], v[34:35], v[48:49], s[64:65]
	v_add_f64 v[40:41], v[44:45], -v[40:41]
	v_fma_f64 v[48:49], v[34:35], v[48:49], s[66:67]
	v_mul_f64 v[44:45], v[34:35], v[34:35]
	v_fma_f64 v[40:41], v[14:15], -v[16:17], v[40:41]
	v_fma_f64 v[48:49], v[34:35], v[48:49], s[50:51]
	v_fma_f64 v[40:41], v[44:45], v[48:49], v[40:41]
	v_mul_f64 v[48:49], v[14:15], -v[34:35]
	v_add_f64 v[40:41], v[42:43], v[40:41]
	v_mov_b32_e32 v42, s68
	v_mov_b32_e32 v43, s69
	v_fma_f64 v[44:45], v[34:35], s[70:71], v[42:43]
	v_fma_f64 v[44:45], v[34:35], v[44:45], s[72:73]
	;; [unrolled: 1-line block ×5, first 2 shown]
	v_fma_f64 v[16:17], v[34:35], v[44:45], -v[16:17]
	v_fma_f64 v[16:17], v[48:49], s[82:83], v[16:17]
	v_add_f64 v[14:15], v[14:15], -v[16:17]
	v_and_b32_e32 v16, 1, v32
	v_cmp_eq_u32_e32 vcc, 0, v16
	v_lshlrev_b32_e32 v16, 30, v32
	v_and_b32_e32 v16, 0x80000000, v16
	v_xor_b32_e32 v15, 0x80000000, v15
	v_cndmask_b32_e32 v15, v15, v41, vcc
	v_xor_b32_e32 v15, v15, v16
	v_mul_f64 v[16:17], v[28:29], v[28:29]
	v_cndmask_b32_e32 v14, v14, v40, vcc
	v_cmp_class_f64_e64 vcc, v[20:21], s76
	v_and_b32_e32 v20, 1, v33
	v_cmp_eq_u32_e64 s[0:1], 0, v20
	v_lshlrev_b32_e32 v20, 30, v33
	v_xor_b32_e32 v20, v20, v21
	v_and_b32_e32 v20, 0x80000000, v20
	v_mul_f64 v[34:35], v[16:17], 0.5
	v_fma_f64 v[46:47], v[16:17], s[60:61], v[46:47]
	v_cndmask_b32_e32 v14, 0, v14, vcc
	v_cndmask_b32_e32 v15, v39, v15, vcc
	v_mul_f64 v[14:15], v[18:19], v[14:15]
	v_add_f64 v[40:41], -v[34:35], 1.0
	v_fma_f64 v[46:47], v[16:17], v[46:47], s[62:63]
	v_add_f64 v[44:45], -v[40:41], 1.0
	v_fma_f64 v[46:47], v[16:17], v[46:47], s[64:65]
	v_add_f64 v[34:35], v[44:45], -v[34:35]
	v_fma_f64 v[46:47], v[16:17], v[46:47], s[66:67]
	v_mul_f64 v[44:45], v[16:17], v[16:17]
	v_fma_f64 v[34:35], v[28:29], -v[30:31], v[34:35]
	v_fma_f64 v[46:47], v[16:17], v[46:47], s[50:51]
	v_fma_f64 v[34:35], v[44:45], v[46:47], v[34:35]
	v_mul_f64 v[44:45], v[30:31], 0.5
	v_add_f64 v[34:35], v[40:41], v[34:35]
	v_fma_f64 v[40:41], v[16:17], s[70:71], v[42:43]
	v_mul_f64 v[42:43], v[28:29], -v[16:17]
	v_fma_f64 v[40:41], v[16:17], v[40:41], s[72:73]
	v_fma_f64 v[40:41], v[16:17], v[40:41], s[74:75]
	;; [unrolled: 1-line block ×4, first 2 shown]
	v_fma_f64 v[16:17], v[16:17], v[40:41], -v[30:31]
	v_fma_f64 v[16:17], v[42:43], s[82:83], v[16:17]
	v_add_f64 v[16:17], v[28:29], -v[16:17]
	v_cndmask_b32_e64 v17, v35, v17, s[0:1]
	v_cndmask_b32_e64 v16, v34, v16, s[0:1]
	v_xor_b32_e32 v17, v17, v20
	v_cndmask_b32_e32 v16, 0, v16, vcc
	v_cndmask_b32_e32 v17, v39, v17, vcc
	v_mul_f64 v[16:17], v[18:19], v[16:17]
                                        ; implicit-def: $vgpr20_vgpr21
.LBB137_258:                            ;   in Loop: Header=BB137_201 Depth=1
	s_andn2_saveexec_b64 s[90:91], s[2:3]
	s_cbranch_execz .LBB137_268
; %bb.259:                              ;   in Loop: Header=BB137_201 Depth=1
	v_cmp_nlt_f64_e64 s[2:3], |v[20:21]|, s[8:9]
                                        ; implicit-def: $vgpr40
                                        ; implicit-def: $vgpr14_vgpr15
                                        ; implicit-def: $vgpr16_vgpr17
	s_and_saveexec_b64 s[0:1], s[2:3]
	s_xor_b64 s[92:93], exec, s[0:1]
	s_cbranch_execz .LBB137_261
; %bb.260:                              ;   in Loop: Header=BB137_201 Depth=1
	v_trig_preop_f64 v[14:15], |v[20:21]|, 0
	v_ldexp_f64 v[28:29], |v[20:21]|, s77
	v_cmp_ge_f64_e64 vcc, |v[20:21]|, s[10:11]
	v_trig_preop_f64 v[16:17], |v[20:21]|, 1
	v_and_b32_e32 v23, 0x7fffffff, v21
	v_trig_preop_f64 v[40:41], |v[20:21]|, 2
	s_mov_b32 s14, s16
	s_mov_b32 s21, s19
	v_cndmask_b32_e32 v29, v23, v29, vcc
	v_cndmask_b32_e32 v28, v20, v28, vcc
	v_mul_f64 v[30:31], v[14:15], v[28:29]
	v_mul_f64 v[32:33], v[16:17], v[28:29]
	;; [unrolled: 1-line block ×3, first 2 shown]
	v_fma_f64 v[14:15], v[14:15], v[28:29], -v[30:31]
	v_fma_f64 v[16:17], v[16:17], v[28:29], -v[32:33]
	;; [unrolled: 1-line block ×3, first 2 shown]
	v_add_f64 v[34:35], v[32:33], v[14:15]
	v_add_f64 v[42:43], v[34:35], -v[32:33]
	v_add_f64 v[48:49], v[30:31], v[34:35]
	v_add_f64 v[44:45], v[34:35], -v[42:43]
	v_add_f64 v[14:15], v[14:15], -v[42:43]
	v_add_f64 v[42:43], v[46:47], v[16:17]
	v_add_f64 v[30:31], v[48:49], -v[30:31]
	v_add_f64 v[32:33], v[32:33], -v[44:45]
	v_ldexp_f64 v[44:45], v[48:49], -2
	v_add_f64 v[50:51], v[42:43], -v[46:47]
	v_add_f64 v[30:31], v[34:35], -v[30:31]
	v_add_f64 v[14:15], v[14:15], v[32:33]
	v_fract_f64_e32 v[32:33], v[44:45]
	v_cmp_neq_f64_e64 vcc, |v[44:45]|, s[12:13]
	v_add_f64 v[16:17], v[16:17], -v[50:51]
	v_add_f64 v[34:35], v[42:43], v[14:15]
	v_ldexp_f64 v[32:33], v[32:33], 2
	v_add_f64 v[44:45], v[30:31], v[34:35]
	v_cndmask_b32_e32 v33, 0, v33, vcc
	v_cndmask_b32_e32 v32, 0, v32, vcc
	v_add_f64 v[52:53], v[34:35], -v[42:43]
	v_add_f64 v[48:49], v[44:45], v[32:33]
	v_add_f64 v[30:31], v[44:45], -v[30:31]
	v_add_f64 v[54:55], v[34:35], -v[52:53]
	;; [unrolled: 1-line block ×3, first 2 shown]
	v_cmp_gt_f64_e32 vcc, 0, v[48:49]
	v_add_f64 v[48:49], v[42:43], -v[50:51]
	v_add_f64 v[30:31], v[34:35], -v[30:31]
	;; [unrolled: 1-line block ×3, first 2 shown]
	v_cndmask_b32_e32 v23, 0, v36, vcc
	v_add_f64 v[32:33], v[32:33], v[22:23]
	v_add_f64 v[48:49], v[46:47], -v[48:49]
	v_add_f64 v[14:15], v[14:15], v[42:43]
	v_add_f64 v[56:57], v[44:45], v[32:33]
	;; [unrolled: 1-line block ×3, first 2 shown]
	v_cvt_i32_f64_e32 v23, v[56:57]
	v_add_f64 v[14:15], v[16:17], v[14:15]
	v_cvt_f64_i32_e32 v[50:51], v23
	v_add_f64 v[32:33], v[32:33], -v[50:51]
	v_add_f64 v[14:15], v[28:29], v[14:15]
	v_add_f64 v[16:17], v[44:45], v[32:33]
	;; [unrolled: 1-line block ×3, first 2 shown]
	v_add_f64 v[28:29], v[16:17], -v[32:33]
	v_cmp_le_f64_e32 vcc, 0.5, v[16:17]
	v_add_f64 v[28:29], v[44:45], -v[28:29]
	v_addc_co_u32_e64 v40, s[0:1], 0, v23, vcc
	v_cndmask_b32_e32 v23, 0, v37, vcc
	v_add_f64 v[16:17], v[16:17], -v[22:23]
	v_add_f64 v[14:15], v[14:15], v[28:29]
	v_add_f64 v[28:29], v[16:17], v[14:15]
	v_mul_f64 v[30:31], v[28:29], s[14:15]
	v_add_f64 v[16:17], v[28:29], -v[16:17]
	v_fma_f64 v[32:33], v[28:29], s[14:15], -v[30:31]
	v_add_f64 v[14:15], v[14:15], -v[16:17]
	v_fma_f64 v[16:17], v[28:29], s[20:21], v[32:33]
	v_fma_f64 v[16:17], v[14:15], s[14:15], v[16:17]
	v_add_f64 v[14:15], v[30:31], v[16:17]
	v_add_f64 v[28:29], v[14:15], -v[30:31]
	v_add_f64 v[16:17], v[16:17], -v[28:29]
	s_andn2_saveexec_b64 s[0:1], s[92:93]
	s_cbranch_execz .LBB137_263
	s_branch .LBB137_262
.LBB137_261:                            ;   in Loop: Header=BB137_201 Depth=1
	s_andn2_saveexec_b64 s[0:1], s[92:93]
	s_cbranch_execz .LBB137_263
.LBB137_262:                            ;   in Loop: Header=BB137_201 Depth=1
	v_mul_f64 v[14:15], |v[20:21]|, s[22:23]
	s_mov_b32 s18, s24
	v_rndne_f64_e32 v[28:29], v[14:15]
	v_fma_f64 v[14:15], v[28:29], s[16:17], |v[20:21]|
	v_mul_f64 v[16:17], v[28:29], s[24:25]
	v_cvt_i32_f64_e32 v40, v[28:29]
	v_fma_f64 v[34:35], v[28:29], s[24:25], v[14:15]
	v_add_f64 v[30:31], v[14:15], v[16:17]
	v_add_f64 v[32:33], v[14:15], -v[30:31]
	v_add_f64 v[30:31], v[30:31], -v[34:35]
	v_add_f64 v[14:15], v[32:33], v[16:17]
	v_fma_f64 v[16:17], v[28:29], s[18:19], v[16:17]
	v_add_f64 v[14:15], v[30:31], v[14:15]
	v_add_f64 v[14:15], v[14:15], -v[16:17]
	v_fma_f64 v[16:17], v[28:29], s[26:27], v[14:15]
	v_add_f64 v[14:15], v[34:35], v[16:17]
	v_add_f64 v[30:31], v[14:15], -v[34:35]
	v_add_f64 v[16:17], v[16:17], -v[30:31]
.LBB137_263:                            ;   in Loop: Header=BB137_201 Depth=1
	s_or_b64 exec, exec, s[0:1]
                                        ; implicit-def: $vgpr41
                                        ; implicit-def: $vgpr28_vgpr29
                                        ; implicit-def: $vgpr30_vgpr31
	s_and_saveexec_b64 s[0:1], s[2:3]
	s_xor_b64 s[2:3], exec, s[0:1]
	s_cbranch_execz .LBB137_265
; %bb.264:                              ;   in Loop: Header=BB137_201 Depth=1
	v_trig_preop_f64 v[28:29], |v[20:21]|, 0
	v_ldexp_f64 v[32:33], |v[20:21]|, s77
	v_cmp_ge_f64_e64 vcc, |v[20:21]|, s[10:11]
	v_trig_preop_f64 v[30:31], |v[20:21]|, 1
	v_and_b32_e32 v23, 0x7fffffff, v21
	v_trig_preop_f64 v[45:46], |v[20:21]|, 2
	s_mov_b32 s14, s16
	s_mov_b32 s21, s19
	v_cndmask_b32_e32 v33, v23, v33, vcc
	v_cndmask_b32_e32 v32, v20, v32, vcc
	v_mul_f64 v[34:35], v[28:29], v[32:33]
	v_mul_f64 v[41:42], v[30:31], v[32:33]
	;; [unrolled: 1-line block ×3, first 2 shown]
	v_fma_f64 v[28:29], v[28:29], v[32:33], -v[34:35]
	v_fma_f64 v[30:31], v[30:31], v[32:33], -v[41:42]
	;; [unrolled: 1-line block ×3, first 2 shown]
	v_add_f64 v[43:44], v[41:42], v[28:29]
	v_add_f64 v[47:48], v[43:44], -v[41:42]
	v_add_f64 v[53:54], v[34:35], v[43:44]
	v_add_f64 v[49:50], v[43:44], -v[47:48]
	v_add_f64 v[28:29], v[28:29], -v[47:48]
	v_add_f64 v[47:48], v[51:52], v[30:31]
	v_add_f64 v[34:35], v[53:54], -v[34:35]
	v_add_f64 v[41:42], v[41:42], -v[49:50]
	v_ldexp_f64 v[49:50], v[53:54], -2
	v_add_f64 v[55:56], v[47:48], -v[51:52]
	v_add_f64 v[34:35], v[43:44], -v[34:35]
	v_add_f64 v[28:29], v[28:29], v[41:42]
	v_fract_f64_e32 v[41:42], v[49:50]
	v_cmp_neq_f64_e64 vcc, |v[49:50]|, s[12:13]
	v_add_f64 v[30:31], v[30:31], -v[55:56]
	v_add_f64 v[43:44], v[47:48], v[28:29]
	v_ldexp_f64 v[41:42], v[41:42], 2
	v_add_f64 v[49:50], v[34:35], v[43:44]
	v_cndmask_b32_e32 v42, 0, v42, vcc
	v_cndmask_b32_e32 v41, 0, v41, vcc
	v_add_f64 v[57:58], v[43:44], -v[47:48]
	v_add_f64 v[53:54], v[49:50], v[41:42]
	v_add_f64 v[34:35], v[49:50], -v[34:35]
	v_add_f64 v[59:60], v[43:44], -v[57:58]
	;; [unrolled: 1-line block ×3, first 2 shown]
	v_cmp_gt_f64_e32 vcc, 0, v[53:54]
	v_add_f64 v[53:54], v[47:48], -v[55:56]
	v_add_f64 v[34:35], v[43:44], -v[34:35]
	;; [unrolled: 1-line block ×3, first 2 shown]
	v_cndmask_b32_e32 v23, 0, v36, vcc
	v_add_f64 v[41:42], v[41:42], v[22:23]
	v_add_f64 v[53:54], v[51:52], -v[53:54]
	v_add_f64 v[28:29], v[28:29], v[47:48]
	v_add_f64 v[61:62], v[49:50], v[41:42]
	;; [unrolled: 1-line block ×3, first 2 shown]
	v_cvt_i32_f64_e32 v23, v[61:62]
	v_add_f64 v[28:29], v[30:31], v[28:29]
	v_cvt_f64_i32_e32 v[55:56], v23
	v_add_f64 v[41:42], v[41:42], -v[55:56]
	v_add_f64 v[28:29], v[32:33], v[28:29]
	v_add_f64 v[30:31], v[49:50], v[41:42]
	;; [unrolled: 1-line block ×3, first 2 shown]
	v_add_f64 v[32:33], v[30:31], -v[41:42]
	v_cmp_le_f64_e32 vcc, 0.5, v[30:31]
	v_add_f64 v[32:33], v[49:50], -v[32:33]
	v_addc_co_u32_e64 v41, s[0:1], 0, v23, vcc
	v_cndmask_b32_e32 v23, 0, v37, vcc
	v_add_f64 v[30:31], v[30:31], -v[22:23]
	v_add_f64 v[28:29], v[28:29], v[32:33]
	v_add_f64 v[32:33], v[30:31], v[28:29]
	v_mul_f64 v[34:35], v[32:33], s[14:15]
	v_add_f64 v[30:31], v[32:33], -v[30:31]
	v_fma_f64 v[42:43], v[32:33], s[14:15], -v[34:35]
	v_add_f64 v[28:29], v[28:29], -v[30:31]
	v_fma_f64 v[30:31], v[32:33], s[20:21], v[42:43]
	v_fma_f64 v[30:31], v[28:29], s[14:15], v[30:31]
	v_add_f64 v[28:29], v[34:35], v[30:31]
	v_add_f64 v[32:33], v[28:29], -v[34:35]
	v_add_f64 v[30:31], v[30:31], -v[32:33]
	s_andn2_saveexec_b64 s[0:1], s[2:3]
	s_cbranch_execnz .LBB137_266
	s_branch .LBB137_267
.LBB137_265:                            ;   in Loop: Header=BB137_201 Depth=1
	s_andn2_saveexec_b64 s[0:1], s[2:3]
	s_cbranch_execz .LBB137_267
.LBB137_266:                            ;   in Loop: Header=BB137_201 Depth=1
	v_mul_f64 v[28:29], |v[20:21]|, s[22:23]
	s_mov_b32 s18, s24
	v_rndne_f64_e32 v[32:33], v[28:29]
	v_fma_f64 v[28:29], v[32:33], s[16:17], |v[20:21]|
	v_mul_f64 v[30:31], v[32:33], s[24:25]
	v_fma_f64 v[43:44], v[32:33], s[24:25], v[28:29]
	v_add_f64 v[34:35], v[28:29], v[30:31]
	v_add_f64 v[41:42], v[28:29], -v[34:35]
	v_add_f64 v[34:35], v[34:35], -v[43:44]
	v_add_f64 v[28:29], v[41:42], v[30:31]
	v_fma_f64 v[30:31], v[32:33], s[18:19], v[30:31]
	v_cvt_i32_f64_e32 v41, v[32:33]
	v_add_f64 v[28:29], v[34:35], v[28:29]
	v_add_f64 v[28:29], v[28:29], -v[30:31]
	v_fma_f64 v[30:31], v[32:33], s[26:27], v[28:29]
	v_add_f64 v[28:29], v[43:44], v[30:31]
	v_add_f64 v[34:35], v[28:29], -v[43:44]
	v_add_f64 v[30:31], v[30:31], -v[34:35]
.LBB137_267:                            ;   in Loop: Header=BB137_201 Depth=1
	s_or_b64 exec, exec, s[0:1]
	s_mov_b32 s0, 0x19ba0da4
	s_mov_b32 s1, 0xc0937be3
	v_add_f64 v[18:19], v[18:19], s[0:1]
	v_mul_f64 v[44:45], v[14:15], v[14:15]
	v_mul_f64 v[48:49], v[28:29], v[28:29]
	v_mov_b32_e32 v50, s68
	v_mov_b32_e32 v51, s69
	;; [unrolled: 1-line block ×4, first 2 shown]
	s_mov_b32 s49, s47
	v_mul_f64 v[32:33], v[18:19], s[28:29]
	v_fma_f64 v[54:55], v[44:45], s[70:71], v[50:51]
	v_fma_f64 v[50:51], v[48:49], s[70:71], v[50:51]
	v_mul_f64 v[58:59], v[44:45], 0.5
	v_fma_f64 v[56:57], v[44:45], s[60:61], v[46:47]
	v_fma_f64 v[46:47], v[48:49], s[60:61], v[46:47]
	v_mul_f64 v[62:63], v[48:49], 0.5
	v_mul_f64 v[52:53], v[16:17], 0.5
	v_rndne_f64_e32 v[32:33], v[32:33]
	v_fma_f64 v[54:55], v[44:45], v[54:55], s[72:73]
	v_fma_f64 v[50:51], v[48:49], v[50:51], s[72:73]
	v_add_f64 v[64:65], -v[58:59], 1.0
	v_fma_f64 v[56:57], v[44:45], v[56:57], s[62:63]
	v_fma_f64 v[46:47], v[48:49], v[46:47], s[62:63]
	v_add_f64 v[68:69], -v[62:63], 1.0
	s_mov_b32 s53, s51
	v_fma_f64 v[34:35], v[32:33], s[30:31], v[18:19]
	v_fma_f64 v[54:55], v[44:45], v[54:55], s[74:75]
	;; [unrolled: 1-line block ×3, first 2 shown]
	v_mul_f64 v[66:67], v[14:15], -v[44:45]
	v_add_f64 v[70:71], -v[64:65], 1.0
	v_fma_f64 v[56:57], v[44:45], v[56:57], s[64:65]
	v_mul_f64 v[60:61], v[30:31], 0.5
	v_mul_f64 v[72:73], v[28:29], -v[48:49]
	v_fma_f64 v[34:35], v[32:33], s[34:35], v[34:35]
	v_fma_f64 v[54:55], v[44:45], v[54:55], s[46:47]
	;; [unrolled: 1-line block ×3, first 2 shown]
	v_add_f64 v[74:75], -v[68:69], 1.0
	v_fma_f64 v[50:51], v[48:49], v[50:51], s[46:47]
	v_add_f64 v[58:59], v[70:71], -v[58:59]
	v_fma_f64 v[56:57], v[44:45], v[56:57], s[66:67]
	s_mov_b32 s82, s50
	v_fma_f64 v[42:43], v[34:35], s[36:37], v[26:27]
	v_fma_f64 v[52:53], v[66:67], v[54:55], v[52:53]
	;; [unrolled: 1-line block ×3, first 2 shown]
	v_add_f64 v[62:63], v[74:75], -v[62:63]
	v_fma_f64 v[50:51], v[72:73], v[50:51], v[60:61]
	v_fma_f64 v[58:59], v[14:15], -v[16:17], v[58:59]
	v_mul_f64 v[54:55], v[44:45], v[44:45]
	v_fma_f64 v[56:57], v[44:45], v[56:57], s[50:51]
	v_fma_f64 v[42:43], v[34:35], v[42:43], s[38:39]
	v_fma_f64 v[16:17], v[44:45], v[52:53], -v[16:17]
	v_mul_f64 v[44:45], v[48:49], v[48:49]
	v_fma_f64 v[46:47], v[48:49], v[46:47], s[50:51]
	v_fma_f64 v[52:53], v[28:29], -v[30:31], v[62:63]
	v_fma_f64 v[30:31], v[48:49], v[50:51], -v[30:31]
	v_and_b32_e32 v23, 1, v40
	v_lshlrev_b32_e32 v50, 30, v40
	v_fma_f64 v[42:43], v[34:35], v[42:43], s[40:41]
	v_fma_f64 v[16:17], v[66:67], s[82:83], v[16:17]
	;; [unrolled: 1-line block ×3, first 2 shown]
	v_and_b32_e32 v51, 1, v41
	v_lshlrev_b32_e32 v54, 30, v41
	v_fma_f64 v[30:31], v[72:73], s[82:83], v[30:31]
	v_cmp_eq_u32_e32 vcc, 0, v23
	v_cmp_class_f64_e64 s[0:1], v[20:21], s76
	v_fma_f64 v[42:43], v[34:35], v[42:43], s[42:43]
	v_add_f64 v[14:15], v[14:15], -v[16:17]
	v_xor_b32_e32 v16, v54, v21
	v_cmp_eq_u32_e64 s[2:3], 0, v51
	v_add_f64 v[28:29], v[28:29], -v[30:31]
	v_cvt_i32_f64_e32 v30, v[32:33]
	v_fma_f64 v[42:43], v[34:35], v[42:43], s[44:45]
	v_xor_b32_e32 v20, 0x80000000, v15
	v_fma_f64 v[42:43], v[34:35], v[42:43], s[48:49]
	v_fma_f64 v[42:43], v[34:35], v[42:43], s[52:53]
	v_fma_f64 v[42:43], v[34:35], v[42:43], s[54:55]
	v_fma_f64 v[42:43], v[34:35], v[42:43], s[56:57]
	v_fma_f64 v[40:41], v[34:35], v[42:43], 1.0
	v_fma_f64 v[42:43], v[44:45], v[46:47], v[52:53]
	v_add_f64 v[44:45], v[64:65], v[48:49]
	v_and_b32_e32 v47, 0x80000000, v16
	v_and_b32_e32 v46, 0x80000000, v50
	v_fma_f64 v[16:17], v[34:35], v[40:41], 1.0
	v_add_f64 v[34:35], v[68:69], v[42:43]
	v_cndmask_b32_e32 v23, v14, v44, vcc
	v_cndmask_b32_e32 v20, v20, v45, vcc
	v_cmp_nlt_f64_e32 vcc, s[78:79], v[18:19]
	v_ldexp_f64 v[14:15], v[16:17], v30
	v_cndmask_b32_e64 v21, v34, v28, s[2:3]
	v_cndmask_b32_e64 v17, v35, v29, s[2:3]
	v_cmp_ngt_f64_e64 s[2:3], s[80:81], v[18:19]
	v_cndmask_b32_e64 v16, 0, v23, s[0:1]
	v_xor_b32_e32 v23, v17, v47
	v_xor_b32_e32 v17, v20, v46
	v_cndmask_b32_e64 v17, v39, v17, s[0:1]
	v_cndmask_b32_e32 v15, v38, v15, vcc
	v_cndmask_b32_e64 v18, 0, v21, s[0:1]
	v_cndmask_b32_e64 v19, v39, v23, s[0:1]
	v_cndmask_b32_e64 v15, 0, v15, s[2:3]
	v_and_b32_e32 v20, 0xfffff, v15
	s_and_b64 vcc, s[2:3], vcc
	v_lshrrev_b32_e32 v21, 20, v15
	v_or_b32_e32 v15, 0x7fe00000, v20
	v_cndmask_b32_e32 v14, 0, v14, vcc
	v_mul_f64 v[16:17], v[14:15], v[16:17]
	v_mul_f64 v[14:15], v[14:15], v[18:19]
	v_add_u32_e32 v21, 0xffffff09, v21
	v_lshrrev_b16_e32 v18, 15, v21
	v_add_u16_e32 v18, v21, v18
	v_ashrrev_i16_e32 v18, 1, v18
	v_bfe_i32 v28, v18, 0, 16
	v_lshl_add_u32 v23, v28, 20, v37
	v_mul_f64 v[16:17], v[16:17], v[22:23]
	v_mul_f64 v[18:19], v[14:15], v[22:23]
	v_sub_u32_e32 v14, v21, v28
	v_mov_b32_e32 v20, v22
	v_lshl_add_u32 v21, v14, 20, v37
	v_mul_f64 v[14:15], v[16:17], v[20:21]
	v_mul_f64 v[16:17], v[18:19], v[20:21]
.LBB137_268:                            ;   in Loop: Header=BB137_201 Depth=1
	s_or_b64 exec, exec, s[90:91]
                                        ; implicit-def: $vgpr18_vgpr19
                                        ; implicit-def: $vgpr23
.LBB137_269:                            ;   in Loop: Header=BB137_201 Depth=1
	s_andn2_saveexec_b64 s[2:3], s[88:89]
	s_cbranch_execz .LBB137_275
; %bb.270:                              ;   in Loop: Header=BB137_201 Depth=1
	v_add_f64 v[16:17], v[20:21], -v[20:21]
	v_cmp_ne_u32_e32 vcc, 0, v18
	v_cmp_ne_u32_e64 s[0:1], s95, v23
	s_or_b64 s[0:1], vcc, s[0:1]
	s_and_saveexec_b64 s[88:89], s[0:1]
	s_xor_b64 s[0:1], exec, s[88:89]
; %bb.271:                              ;   in Loop: Header=BB137_201 Depth=1
                                        ; implicit-def: $vgpr18_vgpr19
; %bb.272:                              ;   in Loop: Header=BB137_201 Depth=1
	s_or_saveexec_b64 s[0:1], s[0:1]
	v_mov_b32_e32 v14, v16
	v_mov_b32_e32 v15, v17
	s_xor_b64 exec, exec, s[0:1]
; %bb.273:                              ;   in Loop: Header=BB137_201 Depth=1
	v_cmp_lt_i64_e32 vcc, -1, v[18:19]
	v_cndmask_b32_e32 v15, 0, v19, vcc
	v_cndmask_b32_e32 v14, 0, v18, vcc
	;; [unrolled: 1-line block ×4, first 2 shown]
; %bb.274:                              ;   in Loop: Header=BB137_201 Depth=1
	s_or_b64 exec, exec, s[0:1]
.LBB137_275:                            ;   in Loop: Header=BB137_201 Depth=1
	s_or_b64 exec, exec, s[2:3]
                                        ; implicit-def: $vgpr20_vgpr21
.LBB137_276:                            ;   in Loop: Header=BB137_201 Depth=1
	s_andn2_saveexec_b64 s[2:3], s[86:87]
	s_cbranch_execz .LBB137_286
; %bb.277:                              ;   in Loop: Header=BB137_201 Depth=1
	v_cmp_nlt_f64_e64 s[86:87], |v[20:21]|, s[8:9]
                                        ; implicit-def: $vgpr30
                                        ; implicit-def: $vgpr14_vgpr15
                                        ; implicit-def: $vgpr16_vgpr17
	s_and_saveexec_b64 s[0:1], s[86:87]
	s_xor_b64 s[88:89], exec, s[0:1]
	s_cbranch_execz .LBB137_279
; %bb.278:                              ;   in Loop: Header=BB137_201 Depth=1
	v_trig_preop_f64 v[14:15], |v[20:21]|, 0
	v_ldexp_f64 v[18:19], |v[20:21]|, s77
	v_cmp_ge_f64_e64 vcc, |v[20:21]|, s[10:11]
	v_trig_preop_f64 v[16:17], |v[20:21]|, 1
	v_and_b32_e32 v23, 0x7fffffff, v21
	v_trig_preop_f64 v[34:35], |v[20:21]|, 2
	s_mov_b32 s14, s16
	s_mov_b32 s21, s19
	v_cndmask_b32_e32 v19, v23, v19, vcc
	v_cndmask_b32_e32 v18, v20, v18, vcc
	v_mul_f64 v[28:29], v[14:15], v[18:19]
	v_mul_f64 v[30:31], v[16:17], v[18:19]
	;; [unrolled: 1-line block ×3, first 2 shown]
	v_fma_f64 v[14:15], v[14:15], v[18:19], -v[28:29]
	v_fma_f64 v[16:17], v[16:17], v[18:19], -v[30:31]
	;; [unrolled: 1-line block ×3, first 2 shown]
	v_add_f64 v[32:33], v[30:31], v[14:15]
	v_add_f64 v[40:41], v[32:33], -v[30:31]
	v_add_f64 v[46:47], v[28:29], v[32:33]
	v_add_f64 v[42:43], v[32:33], -v[40:41]
	v_add_f64 v[14:15], v[14:15], -v[40:41]
	v_add_f64 v[40:41], v[44:45], v[16:17]
	v_add_f64 v[28:29], v[46:47], -v[28:29]
	v_add_f64 v[30:31], v[30:31], -v[42:43]
	v_ldexp_f64 v[42:43], v[46:47], -2
	v_add_f64 v[48:49], v[40:41], -v[44:45]
	v_add_f64 v[28:29], v[32:33], -v[28:29]
	v_add_f64 v[14:15], v[14:15], v[30:31]
	v_fract_f64_e32 v[30:31], v[42:43]
	v_cmp_neq_f64_e64 vcc, |v[42:43]|, s[12:13]
	v_add_f64 v[16:17], v[16:17], -v[48:49]
	v_add_f64 v[32:33], v[40:41], v[14:15]
	v_ldexp_f64 v[30:31], v[30:31], 2
	v_add_f64 v[42:43], v[28:29], v[32:33]
	v_cndmask_b32_e32 v31, 0, v31, vcc
	v_cndmask_b32_e32 v30, 0, v30, vcc
	v_add_f64 v[50:51], v[32:33], -v[40:41]
	v_add_f64 v[46:47], v[42:43], v[30:31]
	v_add_f64 v[28:29], v[42:43], -v[28:29]
	v_add_f64 v[52:53], v[32:33], -v[50:51]
	;; [unrolled: 1-line block ×3, first 2 shown]
	v_cmp_gt_f64_e32 vcc, 0, v[46:47]
	v_add_f64 v[46:47], v[40:41], -v[48:49]
	v_add_f64 v[28:29], v[32:33], -v[28:29]
	;; [unrolled: 1-line block ×3, first 2 shown]
	v_cndmask_b32_e32 v23, 0, v36, vcc
	v_add_f64 v[30:31], v[30:31], v[22:23]
	v_add_f64 v[46:47], v[44:45], -v[46:47]
	v_add_f64 v[14:15], v[14:15], v[40:41]
	v_add_f64 v[54:55], v[42:43], v[30:31]
	;; [unrolled: 1-line block ×3, first 2 shown]
	v_cvt_i32_f64_e32 v23, v[54:55]
	v_add_f64 v[14:15], v[16:17], v[14:15]
	v_cvt_f64_i32_e32 v[48:49], v23
	v_add_f64 v[30:31], v[30:31], -v[48:49]
	v_add_f64 v[14:15], v[18:19], v[14:15]
	v_add_f64 v[16:17], v[42:43], v[30:31]
	;; [unrolled: 1-line block ×3, first 2 shown]
	v_add_f64 v[18:19], v[16:17], -v[30:31]
	v_cmp_le_f64_e32 vcc, 0.5, v[16:17]
	v_add_f64 v[18:19], v[42:43], -v[18:19]
	v_addc_co_u32_e64 v30, s[0:1], 0, v23, vcc
	v_cndmask_b32_e32 v23, 0, v37, vcc
	v_add_f64 v[16:17], v[16:17], -v[22:23]
	v_add_f64 v[14:15], v[14:15], v[18:19]
	v_add_f64 v[18:19], v[16:17], v[14:15]
	v_mul_f64 v[28:29], v[18:19], s[14:15]
	v_add_f64 v[16:17], v[18:19], -v[16:17]
	v_fma_f64 v[31:32], v[18:19], s[14:15], -v[28:29]
	v_add_f64 v[14:15], v[14:15], -v[16:17]
	v_fma_f64 v[16:17], v[18:19], s[20:21], v[31:32]
	v_fma_f64 v[16:17], v[14:15], s[14:15], v[16:17]
	v_add_f64 v[14:15], v[28:29], v[16:17]
	v_add_f64 v[18:19], v[14:15], -v[28:29]
	v_add_f64 v[16:17], v[16:17], -v[18:19]
	s_andn2_saveexec_b64 s[0:1], s[88:89]
	s_cbranch_execz .LBB137_281
	s_branch .LBB137_280
.LBB137_279:                            ;   in Loop: Header=BB137_201 Depth=1
	s_andn2_saveexec_b64 s[0:1], s[88:89]
	s_cbranch_execz .LBB137_281
.LBB137_280:                            ;   in Loop: Header=BB137_201 Depth=1
	v_mul_f64 v[14:15], |v[20:21]|, s[22:23]
	s_mov_b32 s18, s24
	v_rndne_f64_e32 v[18:19], v[14:15]
	v_fma_f64 v[14:15], v[18:19], s[16:17], |v[20:21]|
	v_mul_f64 v[16:17], v[18:19], s[24:25]
	v_fma_f64 v[32:33], v[18:19], s[24:25], v[14:15]
	v_add_f64 v[28:29], v[14:15], v[16:17]
	v_add_f64 v[30:31], v[14:15], -v[28:29]
	v_add_f64 v[28:29], v[28:29], -v[32:33]
	v_add_f64 v[14:15], v[30:31], v[16:17]
	v_fma_f64 v[16:17], v[18:19], s[18:19], v[16:17]
	v_cvt_i32_f64_e32 v30, v[18:19]
	v_add_f64 v[14:15], v[28:29], v[14:15]
	v_add_f64 v[14:15], v[14:15], -v[16:17]
	v_fma_f64 v[16:17], v[18:19], s[26:27], v[14:15]
	v_add_f64 v[14:15], v[32:33], v[16:17]
	v_add_f64 v[28:29], v[14:15], -v[32:33]
	v_add_f64 v[16:17], v[16:17], -v[28:29]
.LBB137_281:                            ;   in Loop: Header=BB137_201 Depth=1
	s_or_b64 exec, exec, s[0:1]
                                        ; implicit-def: $vgpr31
                                        ; implicit-def: $vgpr18_vgpr19
                                        ; implicit-def: $vgpr28_vgpr29
	s_and_saveexec_b64 s[0:1], s[86:87]
	s_xor_b64 s[86:87], exec, s[0:1]
	s_cbranch_execz .LBB137_283
; %bb.282:                              ;   in Loop: Header=BB137_201 Depth=1
	v_trig_preop_f64 v[18:19], |v[20:21]|, 0
	v_ldexp_f64 v[31:32], |v[20:21]|, s77
	v_cmp_ge_f64_e64 vcc, |v[20:21]|, s[10:11]
	v_trig_preop_f64 v[28:29], |v[20:21]|, 1
	v_and_b32_e32 v23, 0x7fffffff, v21
	v_trig_preop_f64 v[44:45], |v[20:21]|, 2
	s_mov_b32 s14, s16
	s_mov_b32 s21, s19
	v_cndmask_b32_e32 v32, v23, v32, vcc
	v_cndmask_b32_e32 v31, v20, v31, vcc
	v_mul_f64 v[33:34], v[18:19], v[31:32]
	v_mul_f64 v[40:41], v[28:29], v[31:32]
	;; [unrolled: 1-line block ×3, first 2 shown]
	v_fma_f64 v[18:19], v[18:19], v[31:32], -v[33:34]
	v_fma_f64 v[28:29], v[28:29], v[31:32], -v[40:41]
	v_fma_f64 v[31:32], v[44:45], v[31:32], -v[50:51]
	v_add_f64 v[42:43], v[40:41], v[18:19]
	v_add_f64 v[46:47], v[42:43], -v[40:41]
	v_add_f64 v[52:53], v[33:34], v[42:43]
	v_add_f64 v[48:49], v[42:43], -v[46:47]
	v_add_f64 v[18:19], v[18:19], -v[46:47]
	v_add_f64 v[46:47], v[50:51], v[28:29]
	v_add_f64 v[33:34], v[52:53], -v[33:34]
	v_add_f64 v[40:41], v[40:41], -v[48:49]
	v_ldexp_f64 v[48:49], v[52:53], -2
	v_add_f64 v[54:55], v[46:47], -v[50:51]
	v_add_f64 v[33:34], v[42:43], -v[33:34]
	v_add_f64 v[18:19], v[18:19], v[40:41]
	v_fract_f64_e32 v[40:41], v[48:49]
	v_cmp_neq_f64_e64 vcc, |v[48:49]|, s[12:13]
	v_add_f64 v[28:29], v[28:29], -v[54:55]
	v_add_f64 v[42:43], v[46:47], v[18:19]
	v_ldexp_f64 v[40:41], v[40:41], 2
	v_add_f64 v[48:49], v[33:34], v[42:43]
	v_cndmask_b32_e32 v41, 0, v41, vcc
	v_cndmask_b32_e32 v40, 0, v40, vcc
	v_add_f64 v[56:57], v[42:43], -v[46:47]
	v_add_f64 v[52:53], v[48:49], v[40:41]
	v_add_f64 v[33:34], v[48:49], -v[33:34]
	v_add_f64 v[58:59], v[42:43], -v[56:57]
	;; [unrolled: 1-line block ×3, first 2 shown]
	v_cmp_gt_f64_e32 vcc, 0, v[52:53]
	v_add_f64 v[52:53], v[46:47], -v[54:55]
	v_add_f64 v[33:34], v[42:43], -v[33:34]
	v_add_f64 v[46:47], v[46:47], -v[58:59]
	v_cndmask_b32_e32 v23, 0, v36, vcc
	v_add_f64 v[40:41], v[40:41], v[22:23]
	v_add_f64 v[52:53], v[50:51], -v[52:53]
	v_add_f64 v[18:19], v[18:19], v[46:47]
	v_add_f64 v[60:61], v[48:49], v[40:41]
	;; [unrolled: 1-line block ×3, first 2 shown]
	v_cvt_i32_f64_e32 v23, v[60:61]
	v_add_f64 v[18:19], v[28:29], v[18:19]
	v_cvt_f64_i32_e32 v[54:55], v23
	v_add_f64 v[40:41], v[40:41], -v[54:55]
	v_add_f64 v[18:19], v[31:32], v[18:19]
	v_add_f64 v[28:29], v[48:49], v[40:41]
	;; [unrolled: 1-line block ×3, first 2 shown]
	v_add_f64 v[31:32], v[28:29], -v[40:41]
	v_cmp_le_f64_e32 vcc, 0.5, v[28:29]
	v_add_f64 v[32:33], v[48:49], -v[31:32]
	v_addc_co_u32_e64 v31, s[0:1], 0, v23, vcc
	v_cndmask_b32_e32 v23, 0, v37, vcc
	v_add_f64 v[28:29], v[28:29], -v[22:23]
	v_add_f64 v[18:19], v[18:19], v[32:33]
	v_add_f64 v[32:33], v[28:29], v[18:19]
	v_mul_f64 v[34:35], v[32:33], s[14:15]
	v_add_f64 v[28:29], v[32:33], -v[28:29]
	v_fma_f64 v[40:41], v[32:33], s[14:15], -v[34:35]
	v_add_f64 v[18:19], v[18:19], -v[28:29]
	v_fma_f64 v[28:29], v[32:33], s[20:21], v[40:41]
	v_fma_f64 v[28:29], v[18:19], s[14:15], v[28:29]
	v_add_f64 v[18:19], v[34:35], v[28:29]
	v_add_f64 v[32:33], v[18:19], -v[34:35]
	v_add_f64 v[28:29], v[28:29], -v[32:33]
	s_andn2_saveexec_b64 s[0:1], s[86:87]
	s_cbranch_execnz .LBB137_284
	s_branch .LBB137_285
.LBB137_283:                            ;   in Loop: Header=BB137_201 Depth=1
	s_andn2_saveexec_b64 s[0:1], s[86:87]
	s_cbranch_execz .LBB137_285
.LBB137_284:                            ;   in Loop: Header=BB137_201 Depth=1
	v_mul_f64 v[18:19], |v[20:21]|, s[22:23]
	s_mov_b32 s18, s24
	v_rndne_f64_e32 v[31:32], v[18:19]
	v_fma_f64 v[18:19], v[31:32], s[16:17], |v[20:21]|
	v_mul_f64 v[28:29], v[31:32], s[24:25]
	v_fma_f64 v[42:43], v[31:32], s[24:25], v[18:19]
	v_add_f64 v[33:34], v[18:19], v[28:29]
	v_add_f64 v[40:41], v[18:19], -v[33:34]
	v_add_f64 v[33:34], v[33:34], -v[42:43]
	v_add_f64 v[18:19], v[40:41], v[28:29]
	v_fma_f64 v[28:29], v[31:32], s[18:19], v[28:29]
	v_add_f64 v[18:19], v[33:34], v[18:19]
	v_add_f64 v[18:19], v[18:19], -v[28:29]
	v_fma_f64 v[28:29], v[31:32], s[26:27], v[18:19]
	v_cvt_i32_f64_e32 v31, v[31:32]
	v_add_f64 v[18:19], v[42:43], v[28:29]
	v_add_f64 v[33:34], v[18:19], -v[42:43]
	v_add_f64 v[28:29], v[28:29], -v[33:34]
.LBB137_285:                            ;   in Loop: Header=BB137_201 Depth=1
	s_or_b64 exec, exec, s[0:1]
	v_mul_f64 v[32:33], v[14:15], v[14:15]
	v_mov_b32_e32 v44, s58
	v_mov_b32_e32 v45, s59
	v_mul_f64 v[48:49], v[16:17], 0.5
	s_mov_b32 s82, s50
	v_mul_f64 v[34:35], v[32:33], 0.5
	v_fma_f64 v[46:47], v[32:33], s[60:61], v[44:45]
	v_add_f64 v[40:41], -v[34:35], 1.0
	v_fma_f64 v[46:47], v[32:33], v[46:47], s[62:63]
	v_add_f64 v[42:43], -v[40:41], 1.0
	v_fma_f64 v[46:47], v[32:33], v[46:47], s[64:65]
	v_add_f64 v[34:35], v[42:43], -v[34:35]
	v_fma_f64 v[46:47], v[32:33], v[46:47], s[66:67]
	v_mul_f64 v[42:43], v[32:33], v[32:33]
	v_fma_f64 v[34:35], v[14:15], -v[16:17], v[34:35]
	v_fma_f64 v[46:47], v[32:33], v[46:47], s[50:51]
	v_fma_f64 v[34:35], v[42:43], v[46:47], v[34:35]
	v_mul_f64 v[46:47], v[14:15], -v[32:33]
	v_add_f64 v[34:35], v[40:41], v[34:35]
	v_mov_b32_e32 v40, s68
	v_mov_b32_e32 v41, s69
	v_fma_f64 v[42:43], v[32:33], s[70:71], v[40:41]
	v_fma_f64 v[42:43], v[32:33], v[42:43], s[72:73]
	;; [unrolled: 1-line block ×5, first 2 shown]
	v_fma_f64 v[16:17], v[32:33], v[42:43], -v[16:17]
	v_fma_f64 v[16:17], v[46:47], s[82:83], v[16:17]
	v_add_f64 v[14:15], v[14:15], -v[16:17]
	v_and_b32_e32 v16, 1, v30
	v_cmp_eq_u32_e32 vcc, 0, v16
	v_lshlrev_b32_e32 v16, 30, v30
	v_and_b32_e32 v16, 0x80000000, v16
	v_xor_b32_e32 v15, 0x80000000, v15
	v_cndmask_b32_e32 v15, v15, v35, vcc
	v_xor_b32_e32 v15, v15, v16
	v_mul_f64 v[16:17], v[18:19], v[18:19]
	v_cndmask_b32_e32 v14, v14, v34, vcc
	v_cmp_class_f64_e64 vcc, v[20:21], s76
	v_mul_f64 v[32:33], v[16:17], 0.5
	v_fma_f64 v[44:45], v[16:17], s[60:61], v[44:45]
	v_cndmask_b32_e32 v14, 0, v14, vcc
	v_cndmask_b32_e32 v15, v39, v15, vcc
	v_add_f64 v[34:35], -v[32:33], 1.0
	v_fma_f64 v[44:45], v[16:17], v[44:45], s[62:63]
	v_add_f64 v[42:43], -v[34:35], 1.0
	v_fma_f64 v[44:45], v[16:17], v[44:45], s[64:65]
	v_add_f64 v[32:33], v[42:43], -v[32:33]
	v_fma_f64 v[44:45], v[16:17], v[44:45], s[66:67]
	v_mul_f64 v[42:43], v[16:17], v[16:17]
	v_fma_f64 v[32:33], v[18:19], -v[28:29], v[32:33]
	v_fma_f64 v[44:45], v[16:17], v[44:45], s[50:51]
	v_fma_f64 v[32:33], v[42:43], v[44:45], v[32:33]
	v_mul_f64 v[42:43], v[28:29], 0.5
	v_add_f64 v[32:33], v[34:35], v[32:33]
	v_fma_f64 v[34:35], v[16:17], s[70:71], v[40:41]
	v_mul_f64 v[40:41], v[18:19], -v[16:17]
	v_fma_f64 v[34:35], v[16:17], v[34:35], s[72:73]
	v_fma_f64 v[34:35], v[16:17], v[34:35], s[74:75]
	;; [unrolled: 1-line block ×4, first 2 shown]
	v_fma_f64 v[16:17], v[16:17], v[34:35], -v[28:29]
	v_fma_f64 v[16:17], v[40:41], s[82:83], v[16:17]
	v_add_f64 v[16:17], v[18:19], -v[16:17]
	v_and_b32_e32 v18, 1, v31
	v_cmp_eq_u32_e64 s[0:1], 0, v18
	v_lshlrev_b32_e32 v18, 30, v31
	v_xor_b32_e32 v18, v18, v21
	v_and_b32_e32 v18, 0x80000000, v18
	v_cndmask_b32_e64 v17, v33, v17, s[0:1]
	v_cndmask_b32_e64 v16, v32, v16, s[0:1]
	v_xor_b32_e32 v17, v17, v18
	v_cndmask_b32_e32 v16, 0, v16, vcc
	v_cndmask_b32_e32 v17, v39, v17, vcc
.LBB137_286:                            ;   in Loop: Header=BB137_201 Depth=1
	s_or_b64 exec, exec, s[2:3]
                                        ; implicit-def: $vgpr18_vgpr19
.LBB137_287:                            ;   in Loop: Header=BB137_201 Depth=1
	s_andn2_saveexec_b64 s[2:3], s[84:85]
	s_cbranch_execz .LBB137_289
; %bb.288:                              ;   in Loop: Header=BB137_201 Depth=1
	v_mul_f64 v[14:15], v[18:19], s[28:29]
	s_mov_b32 s49, s47
	s_mov_b32 s53, s51
	v_cmp_nlt_f64_e32 vcc, s[78:79], v[18:19]
	v_cmp_ngt_f64_e64 s[0:1], s[80:81], v[18:19]
	v_rndne_f64_e32 v[14:15], v[14:15]
	v_fma_f64 v[16:17], v[14:15], s[30:31], v[18:19]
	v_fma_f64 v[16:17], v[14:15], s[34:35], v[16:17]
	v_cvt_i32_f64_e32 v14, v[14:15]
	v_fma_f64 v[28:29], v[16:17], s[36:37], v[26:27]
	v_fma_f64 v[28:29], v[16:17], v[28:29], s[38:39]
	;; [unrolled: 1-line block ×9, first 2 shown]
	v_fma_f64 v[28:29], v[16:17], v[28:29], 1.0
	v_fma_f64 v[16:17], v[16:17], v[28:29], 1.0
	v_ldexp_f64 v[14:15], v[16:17], v14
	v_mov_b32_e32 v16, v20
	v_mov_b32_e32 v17, v21
	v_cndmask_b32_e32 v15, v38, v15, vcc
	s_and_b64 vcc, s[0:1], vcc
	v_cndmask_b32_e64 v15, 0, v15, s[0:1]
	v_cndmask_b32_e32 v14, 0, v14, vcc
.LBB137_289:                            ;   in Loop: Header=BB137_201 Depth=1
	s_or_b64 exec, exec, s[2:3]
	s_waitcnt vmcnt(0)
	v_and_b32_e32 v18, 0x7fffffff, v13
	v_or_b32_e32 v19, v18, v12
	v_cmp_ne_u32_e32 vcc, 0, v19
                                        ; implicit-def: $vgpr20_vgpr21
	s_and_saveexec_b64 s[0:1], vcc
	s_xor_b64 s[84:85], exec, s[0:1]
	s_cbranch_execz .LBB137_331
; %bb.290:                              ;   in Loop: Header=BB137_201 Depth=1
	v_and_b32_e32 v23, 0x7fffffff, v11
	v_or_b32_e32 v19, v23, v10
	v_cmp_ne_u32_e32 vcc, 0, v19
                                        ; implicit-def: $vgpr20_vgpr21
	s_and_saveexec_b64 s[0:1], vcc
	s_xor_b64 s[86:87], exec, s[0:1]
	s_cbranch_execz .LBB137_320
; %bb.291:                              ;   in Loop: Header=BB137_201 Depth=1
	v_cmp_gt_u32_e32 vcc, s95, v18
                                        ; implicit-def: $vgpr20_vgpr21
	s_and_saveexec_b64 s[0:1], vcc
	s_xor_b64 s[88:89], exec, s[0:1]
	s_cbranch_execz .LBB137_313
; %bb.292:                              ;   in Loop: Header=BB137_201 Depth=1
	v_add_u32_e32 v18, 0xbf79d1be, v11
	s_mov_b32 s0, 0x108aa2
	v_cmp_lt_u32_e32 vcc, s0, v18
                                        ; implicit-def: $vgpr20_vgpr21
	s_and_saveexec_b64 s[0:1], vcc
	s_xor_b64 s[2:3], exec, s[0:1]
	s_cbranch_execz .LBB137_302
; %bb.293:                              ;   in Loop: Header=BB137_201 Depth=1
	v_cmp_nlt_f64_e64 s[90:91], |v[12:13]|, s[8:9]
                                        ; implicit-def: $vgpr32
                                        ; implicit-def: $vgpr18_vgpr19
                                        ; implicit-def: $vgpr20_vgpr21
	s_and_saveexec_b64 s[0:1], s[90:91]
	s_xor_b64 s[92:93], exec, s[0:1]
	s_cbranch_execz .LBB137_295
; %bb.294:                              ;   in Loop: Header=BB137_201 Depth=1
	v_trig_preop_f64 v[18:19], |v[12:13]|, 0
	v_ldexp_f64 v[28:29], |v[12:13]|, s77
	v_cmp_ge_f64_e64 vcc, |v[12:13]|, s[10:11]
	v_trig_preop_f64 v[20:21], |v[12:13]|, 1
	v_and_b32_e32 v23, 0x7fffffff, v13
	v_trig_preop_f64 v[40:41], |v[12:13]|, 2
	s_mov_b32 s14, s16
	s_mov_b32 s21, s19
	v_cndmask_b32_e32 v29, v23, v29, vcc
	v_cndmask_b32_e32 v28, v12, v28, vcc
	v_mul_f64 v[30:31], v[18:19], v[28:29]
	v_mul_f64 v[32:33], v[20:21], v[28:29]
	;; [unrolled: 1-line block ×3, first 2 shown]
	v_fma_f64 v[18:19], v[18:19], v[28:29], -v[30:31]
	v_fma_f64 v[20:21], v[20:21], v[28:29], -v[32:33]
	;; [unrolled: 1-line block ×3, first 2 shown]
	v_add_f64 v[34:35], v[32:33], v[18:19]
	v_add_f64 v[42:43], v[34:35], -v[32:33]
	v_add_f64 v[48:49], v[30:31], v[34:35]
	v_add_f64 v[44:45], v[34:35], -v[42:43]
	v_add_f64 v[18:19], v[18:19], -v[42:43]
	v_add_f64 v[42:43], v[46:47], v[20:21]
	v_add_f64 v[30:31], v[48:49], -v[30:31]
	v_add_f64 v[32:33], v[32:33], -v[44:45]
	v_ldexp_f64 v[44:45], v[48:49], -2
	v_add_f64 v[50:51], v[42:43], -v[46:47]
	v_add_f64 v[30:31], v[34:35], -v[30:31]
	v_add_f64 v[18:19], v[18:19], v[32:33]
	v_fract_f64_e32 v[32:33], v[44:45]
	v_cmp_neq_f64_e64 vcc, |v[44:45]|, s[12:13]
	v_add_f64 v[20:21], v[20:21], -v[50:51]
	v_add_f64 v[34:35], v[42:43], v[18:19]
	v_ldexp_f64 v[32:33], v[32:33], 2
	v_add_f64 v[44:45], v[30:31], v[34:35]
	v_cndmask_b32_e32 v33, 0, v33, vcc
	v_cndmask_b32_e32 v32, 0, v32, vcc
	v_add_f64 v[52:53], v[34:35], -v[42:43]
	v_add_f64 v[48:49], v[44:45], v[32:33]
	v_add_f64 v[30:31], v[44:45], -v[30:31]
	v_add_f64 v[54:55], v[34:35], -v[52:53]
	;; [unrolled: 1-line block ×3, first 2 shown]
	v_cmp_gt_f64_e32 vcc, 0, v[48:49]
	v_add_f64 v[48:49], v[42:43], -v[50:51]
	v_add_f64 v[30:31], v[34:35], -v[30:31]
	;; [unrolled: 1-line block ×3, first 2 shown]
	v_cndmask_b32_e32 v23, 0, v36, vcc
	v_add_f64 v[32:33], v[32:33], v[22:23]
	v_add_f64 v[48:49], v[46:47], -v[48:49]
	v_add_f64 v[18:19], v[18:19], v[42:43]
	v_add_f64 v[56:57], v[44:45], v[32:33]
	;; [unrolled: 1-line block ×3, first 2 shown]
	v_cvt_i32_f64_e32 v23, v[56:57]
	v_add_f64 v[18:19], v[20:21], v[18:19]
	v_cvt_f64_i32_e32 v[50:51], v23
	v_add_f64 v[32:33], v[32:33], -v[50:51]
	v_add_f64 v[18:19], v[28:29], v[18:19]
	v_add_f64 v[20:21], v[44:45], v[32:33]
	;; [unrolled: 1-line block ×3, first 2 shown]
	v_add_f64 v[28:29], v[20:21], -v[32:33]
	v_cmp_le_f64_e32 vcc, 0.5, v[20:21]
	v_add_f64 v[28:29], v[44:45], -v[28:29]
	v_addc_co_u32_e64 v32, s[0:1], 0, v23, vcc
	v_cndmask_b32_e32 v23, 0, v37, vcc
	v_add_f64 v[20:21], v[20:21], -v[22:23]
	v_add_f64 v[18:19], v[18:19], v[28:29]
	v_add_f64 v[28:29], v[20:21], v[18:19]
	v_mul_f64 v[30:31], v[28:29], s[14:15]
	v_add_f64 v[20:21], v[28:29], -v[20:21]
	v_fma_f64 v[33:34], v[28:29], s[14:15], -v[30:31]
	v_add_f64 v[18:19], v[18:19], -v[20:21]
	v_fma_f64 v[20:21], v[28:29], s[20:21], v[33:34]
	v_fma_f64 v[20:21], v[18:19], s[14:15], v[20:21]
	v_add_f64 v[18:19], v[30:31], v[20:21]
	v_add_f64 v[28:29], v[18:19], -v[30:31]
	v_add_f64 v[20:21], v[20:21], -v[28:29]
	s_andn2_saveexec_b64 s[0:1], s[92:93]
	s_cbranch_execz .LBB137_297
	s_branch .LBB137_296
.LBB137_295:                            ;   in Loop: Header=BB137_201 Depth=1
	s_andn2_saveexec_b64 s[0:1], s[92:93]
	s_cbranch_execz .LBB137_297
.LBB137_296:                            ;   in Loop: Header=BB137_201 Depth=1
	v_mul_f64 v[18:19], |v[12:13]|, s[22:23]
	s_mov_b32 s18, s24
	v_rndne_f64_e32 v[28:29], v[18:19]
	v_fma_f64 v[18:19], v[28:29], s[16:17], |v[12:13]|
	v_mul_f64 v[20:21], v[28:29], s[24:25]
	v_fma_f64 v[34:35], v[28:29], s[24:25], v[18:19]
	v_add_f64 v[30:31], v[18:19], v[20:21]
	v_add_f64 v[32:33], v[18:19], -v[30:31]
	v_add_f64 v[30:31], v[30:31], -v[34:35]
	v_add_f64 v[18:19], v[32:33], v[20:21]
	v_fma_f64 v[20:21], v[28:29], s[18:19], v[20:21]
	v_cvt_i32_f64_e32 v32, v[28:29]
	v_add_f64 v[18:19], v[30:31], v[18:19]
	v_add_f64 v[18:19], v[18:19], -v[20:21]
	v_fma_f64 v[20:21], v[28:29], s[26:27], v[18:19]
	v_add_f64 v[18:19], v[34:35], v[20:21]
	v_add_f64 v[30:31], v[18:19], -v[34:35]
	v_add_f64 v[20:21], v[20:21], -v[30:31]
.LBB137_297:                            ;   in Loop: Header=BB137_201 Depth=1
	s_or_b64 exec, exec, s[0:1]
                                        ; implicit-def: $vgpr33
                                        ; implicit-def: $vgpr28_vgpr29
                                        ; implicit-def: $vgpr30_vgpr31
	s_and_saveexec_b64 s[0:1], s[90:91]
	s_xor_b64 s[90:91], exec, s[0:1]
	s_cbranch_execz .LBB137_299
; %bb.298:                              ;   in Loop: Header=BB137_201 Depth=1
	v_trig_preop_f64 v[28:29], |v[12:13]|, 0
	v_ldexp_f64 v[33:34], |v[12:13]|, s77
	v_cmp_ge_f64_e64 vcc, |v[12:13]|, s[10:11]
	v_trig_preop_f64 v[30:31], |v[12:13]|, 1
	v_and_b32_e32 v23, 0x7fffffff, v13
	v_trig_preop_f64 v[46:47], |v[12:13]|, 2
	s_mov_b32 s14, s16
	s_mov_b32 s21, s19
	v_cndmask_b32_e32 v34, v23, v34, vcc
	v_cndmask_b32_e32 v33, v12, v33, vcc
	v_mul_f64 v[40:41], v[28:29], v[33:34]
	v_mul_f64 v[42:43], v[30:31], v[33:34]
	;; [unrolled: 1-line block ×3, first 2 shown]
	v_fma_f64 v[28:29], v[28:29], v[33:34], -v[40:41]
	v_fma_f64 v[30:31], v[30:31], v[33:34], -v[42:43]
	;; [unrolled: 1-line block ×3, first 2 shown]
	v_add_f64 v[44:45], v[42:43], v[28:29]
	v_add_f64 v[48:49], v[44:45], -v[42:43]
	v_add_f64 v[54:55], v[40:41], v[44:45]
	v_add_f64 v[50:51], v[44:45], -v[48:49]
	v_add_f64 v[28:29], v[28:29], -v[48:49]
	v_add_f64 v[48:49], v[52:53], v[30:31]
	v_add_f64 v[40:41], v[54:55], -v[40:41]
	v_add_f64 v[42:43], v[42:43], -v[50:51]
	v_ldexp_f64 v[50:51], v[54:55], -2
	v_add_f64 v[56:57], v[48:49], -v[52:53]
	v_add_f64 v[40:41], v[44:45], -v[40:41]
	v_add_f64 v[28:29], v[28:29], v[42:43]
	v_fract_f64_e32 v[42:43], v[50:51]
	v_cmp_neq_f64_e64 vcc, |v[50:51]|, s[12:13]
	v_add_f64 v[30:31], v[30:31], -v[56:57]
	v_add_f64 v[44:45], v[48:49], v[28:29]
	v_ldexp_f64 v[42:43], v[42:43], 2
	v_add_f64 v[50:51], v[40:41], v[44:45]
	v_cndmask_b32_e32 v43, 0, v43, vcc
	v_cndmask_b32_e32 v42, 0, v42, vcc
	v_add_f64 v[58:59], v[44:45], -v[48:49]
	v_add_f64 v[54:55], v[50:51], v[42:43]
	v_add_f64 v[40:41], v[50:51], -v[40:41]
	v_add_f64 v[60:61], v[44:45], -v[58:59]
	;; [unrolled: 1-line block ×3, first 2 shown]
	v_cmp_gt_f64_e32 vcc, 0, v[54:55]
	v_add_f64 v[54:55], v[48:49], -v[56:57]
	v_add_f64 v[40:41], v[44:45], -v[40:41]
	;; [unrolled: 1-line block ×3, first 2 shown]
	v_cndmask_b32_e32 v23, 0, v36, vcc
	v_add_f64 v[42:43], v[42:43], v[22:23]
	v_add_f64 v[54:55], v[52:53], -v[54:55]
	v_add_f64 v[28:29], v[28:29], v[48:49]
	v_add_f64 v[62:63], v[50:51], v[42:43]
	;; [unrolled: 1-line block ×3, first 2 shown]
	v_cvt_i32_f64_e32 v23, v[62:63]
	v_add_f64 v[28:29], v[30:31], v[28:29]
	v_cvt_f64_i32_e32 v[56:57], v23
	v_add_f64 v[42:43], v[42:43], -v[56:57]
	v_add_f64 v[28:29], v[33:34], v[28:29]
	v_add_f64 v[30:31], v[50:51], v[42:43]
	;; [unrolled: 1-line block ×3, first 2 shown]
	v_add_f64 v[33:34], v[30:31], -v[42:43]
	v_cmp_le_f64_e32 vcc, 0.5, v[30:31]
	v_add_f64 v[34:35], v[50:51], -v[33:34]
	v_addc_co_u32_e64 v33, s[0:1], 0, v23, vcc
	v_cndmask_b32_e32 v23, 0, v37, vcc
	v_add_f64 v[30:31], v[30:31], -v[22:23]
	v_add_f64 v[28:29], v[28:29], v[34:35]
	v_add_f64 v[34:35], v[30:31], v[28:29]
	v_mul_f64 v[40:41], v[34:35], s[14:15]
	v_add_f64 v[30:31], v[34:35], -v[30:31]
	v_fma_f64 v[42:43], v[34:35], s[14:15], -v[40:41]
	v_add_f64 v[28:29], v[28:29], -v[30:31]
	v_fma_f64 v[30:31], v[34:35], s[20:21], v[42:43]
	v_fma_f64 v[30:31], v[28:29], s[14:15], v[30:31]
	v_add_f64 v[28:29], v[40:41], v[30:31]
	v_add_f64 v[34:35], v[28:29], -v[40:41]
	v_add_f64 v[30:31], v[30:31], -v[34:35]
	s_andn2_saveexec_b64 s[0:1], s[90:91]
	s_cbranch_execnz .LBB137_300
	s_branch .LBB137_301
.LBB137_299:                            ;   in Loop: Header=BB137_201 Depth=1
	s_andn2_saveexec_b64 s[0:1], s[90:91]
	s_cbranch_execz .LBB137_301
.LBB137_300:                            ;   in Loop: Header=BB137_201 Depth=1
	v_mul_f64 v[28:29], |v[12:13]|, s[22:23]
	s_mov_b32 s18, s24
	v_rndne_f64_e32 v[33:34], v[28:29]
	v_fma_f64 v[28:29], v[33:34], s[16:17], |v[12:13]|
	v_mul_f64 v[30:31], v[33:34], s[24:25]
	v_fma_f64 v[44:45], v[33:34], s[24:25], v[28:29]
	v_add_f64 v[40:41], v[28:29], v[30:31]
	v_add_f64 v[42:43], v[28:29], -v[40:41]
	v_add_f64 v[40:41], v[40:41], -v[44:45]
	v_add_f64 v[28:29], v[42:43], v[30:31]
	v_fma_f64 v[30:31], v[33:34], s[18:19], v[30:31]
	v_add_f64 v[28:29], v[40:41], v[28:29]
	v_add_f64 v[28:29], v[28:29], -v[30:31]
	v_fma_f64 v[30:31], v[33:34], s[26:27], v[28:29]
	v_cvt_i32_f64_e32 v33, v[33:34]
	v_add_f64 v[28:29], v[44:45], v[30:31]
	v_add_f64 v[40:41], v[28:29], -v[44:45]
	v_add_f64 v[30:31], v[30:31], -v[40:41]
.LBB137_301:                            ;   in Loop: Header=BB137_201 Depth=1
	s_or_b64 exec, exec, s[0:1]
	v_mul_f64 v[34:35], v[10:11], s[28:29]
	s_mov_b32 s49, s47
	s_mov_b32 s53, s51
	v_cmp_nlt_f64_e32 vcc, s[78:79], v[10:11]
	v_cmp_ngt_f64_e64 s[0:1], s[80:81], v[10:11]
	v_mov_b32_e32 v46, s58
	v_mov_b32_e32 v47, s59
	v_mul_f64 v[50:51], v[20:21], 0.5
	v_rndne_f64_e32 v[34:35], v[34:35]
	s_mov_b32 s82, s50
	v_fma_f64 v[40:41], v[34:35], s[30:31], v[10:11]
	v_cvt_i32_f64_e32 v23, v[34:35]
	v_fma_f64 v[40:41], v[34:35], s[34:35], v[40:41]
	v_fma_f64 v[42:43], v[40:41], s[36:37], v[26:27]
	;; [unrolled: 1-line block ×10, first 2 shown]
	v_fma_f64 v[42:43], v[40:41], v[42:43], 1.0
	v_fma_f64 v[40:41], v[40:41], v[42:43], 1.0
	v_ldexp_f64 v[34:35], v[40:41], v23
	v_cndmask_b32_e32 v23, v38, v35, vcc
	s_and_b64 vcc, s[0:1], vcc
	v_cndmask_b32_e32 v10, 0, v34, vcc
	v_mul_f64 v[34:35], v[18:19], v[18:19]
	v_cndmask_b32_e64 v11, 0, v23, s[0:1]
	v_mul_f64 v[40:41], v[34:35], 0.5
	v_fma_f64 v[48:49], v[34:35], s[60:61], v[46:47]
	v_add_f64 v[42:43], -v[40:41], 1.0
	v_fma_f64 v[48:49], v[34:35], v[48:49], s[62:63]
	v_add_f64 v[44:45], -v[42:43], 1.0
	v_fma_f64 v[48:49], v[34:35], v[48:49], s[64:65]
	v_add_f64 v[40:41], v[44:45], -v[40:41]
	v_fma_f64 v[48:49], v[34:35], v[48:49], s[66:67]
	v_mul_f64 v[44:45], v[34:35], v[34:35]
	v_fma_f64 v[40:41], v[18:19], -v[20:21], v[40:41]
	v_fma_f64 v[48:49], v[34:35], v[48:49], s[50:51]
	v_fma_f64 v[40:41], v[44:45], v[48:49], v[40:41]
	v_mul_f64 v[48:49], v[18:19], -v[34:35]
	v_add_f64 v[40:41], v[42:43], v[40:41]
	v_mov_b32_e32 v42, s68
	v_mov_b32_e32 v43, s69
	v_fma_f64 v[44:45], v[34:35], s[70:71], v[42:43]
	v_fma_f64 v[44:45], v[34:35], v[44:45], s[72:73]
	;; [unrolled: 1-line block ×5, first 2 shown]
	v_fma_f64 v[20:21], v[34:35], v[44:45], -v[20:21]
	v_fma_f64 v[20:21], v[48:49], s[82:83], v[20:21]
	v_add_f64 v[18:19], v[18:19], -v[20:21]
	v_and_b32_e32 v20, 1, v32
	v_cmp_eq_u32_e32 vcc, 0, v20
	v_lshlrev_b32_e32 v20, 30, v32
	v_and_b32_e32 v20, 0x80000000, v20
	v_xor_b32_e32 v19, 0x80000000, v19
	v_cndmask_b32_e32 v19, v19, v41, vcc
	v_xor_b32_e32 v19, v19, v20
	v_mul_f64 v[20:21], v[28:29], v[28:29]
	v_cndmask_b32_e32 v18, v18, v40, vcc
	v_cmp_class_f64_e64 vcc, v[12:13], s76
	v_and_b32_e32 v12, 1, v33
	v_cmp_eq_u32_e64 s[0:1], 0, v12
	v_mul_f64 v[34:35], v[20:21], 0.5
	v_fma_f64 v[46:47], v[20:21], s[60:61], v[46:47]
	v_cndmask_b32_e32 v18, 0, v18, vcc
	v_cndmask_b32_e32 v19, v39, v19, vcc
	v_mul_f64 v[18:19], v[10:11], v[18:19]
	v_add_f64 v[40:41], -v[34:35], 1.0
	v_fma_f64 v[46:47], v[20:21], v[46:47], s[62:63]
	v_add_f64 v[44:45], -v[40:41], 1.0
	v_fma_f64 v[46:47], v[20:21], v[46:47], s[64:65]
	v_add_f64 v[34:35], v[44:45], -v[34:35]
	v_fma_f64 v[46:47], v[20:21], v[46:47], s[66:67]
	v_mul_f64 v[44:45], v[20:21], v[20:21]
	v_fma_f64 v[34:35], v[28:29], -v[30:31], v[34:35]
	v_fma_f64 v[46:47], v[20:21], v[46:47], s[50:51]
	v_fma_f64 v[34:35], v[44:45], v[46:47], v[34:35]
	v_mul_f64 v[44:45], v[30:31], 0.5
	v_add_f64 v[34:35], v[40:41], v[34:35]
	v_fma_f64 v[40:41], v[20:21], s[70:71], v[42:43]
	v_mul_f64 v[42:43], v[28:29], -v[20:21]
	v_fma_f64 v[40:41], v[20:21], v[40:41], s[72:73]
	v_fma_f64 v[40:41], v[20:21], v[40:41], s[74:75]
	;; [unrolled: 1-line block ×4, first 2 shown]
	v_fma_f64 v[20:21], v[20:21], v[40:41], -v[30:31]
	v_fma_f64 v[20:21], v[42:43], s[82:83], v[20:21]
	v_add_f64 v[20:21], v[28:29], -v[20:21]
	v_cndmask_b32_e64 v12, v34, v20, s[0:1]
	v_cndmask_b32_e64 v20, v35, v21, s[0:1]
	v_lshlrev_b32_e32 v21, 30, v33
	v_xor_b32_e32 v13, v21, v13
	v_and_b32_e32 v13, 0x80000000, v13
	v_xor_b32_e32 v13, v20, v13
	v_cndmask_b32_e32 v12, 0, v12, vcc
	v_cndmask_b32_e32 v13, v39, v13, vcc
	v_mul_f64 v[20:21], v[10:11], v[12:13]
                                        ; implicit-def: $vgpr12_vgpr13
.LBB137_302:                            ;   in Loop: Header=BB137_201 Depth=1
	s_andn2_saveexec_b64 s[90:91], s[2:3]
	s_cbranch_execz .LBB137_312
; %bb.303:                              ;   in Loop: Header=BB137_201 Depth=1
	v_cmp_nlt_f64_e64 s[2:3], |v[12:13]|, s[8:9]
                                        ; implicit-def: $vgpr40
                                        ; implicit-def: $vgpr18_vgpr19
                                        ; implicit-def: $vgpr20_vgpr21
	s_and_saveexec_b64 s[0:1], s[2:3]
	s_xor_b64 s[92:93], exec, s[0:1]
	s_cbranch_execz .LBB137_305
; %bb.304:                              ;   in Loop: Header=BB137_201 Depth=1
	v_trig_preop_f64 v[18:19], |v[12:13]|, 0
	v_ldexp_f64 v[28:29], |v[12:13]|, s77
	v_cmp_ge_f64_e64 vcc, |v[12:13]|, s[10:11]
	v_trig_preop_f64 v[20:21], |v[12:13]|, 1
	v_and_b32_e32 v23, 0x7fffffff, v13
	v_trig_preop_f64 v[40:41], |v[12:13]|, 2
	s_mov_b32 s14, s16
	s_mov_b32 s21, s19
	v_cndmask_b32_e32 v29, v23, v29, vcc
	v_cndmask_b32_e32 v28, v12, v28, vcc
	v_mul_f64 v[30:31], v[18:19], v[28:29]
	v_mul_f64 v[32:33], v[20:21], v[28:29]
	;; [unrolled: 1-line block ×3, first 2 shown]
	v_fma_f64 v[18:19], v[18:19], v[28:29], -v[30:31]
	v_fma_f64 v[20:21], v[20:21], v[28:29], -v[32:33]
	;; [unrolled: 1-line block ×3, first 2 shown]
	v_add_f64 v[34:35], v[32:33], v[18:19]
	v_add_f64 v[42:43], v[34:35], -v[32:33]
	v_add_f64 v[48:49], v[30:31], v[34:35]
	v_add_f64 v[44:45], v[34:35], -v[42:43]
	v_add_f64 v[18:19], v[18:19], -v[42:43]
	v_add_f64 v[42:43], v[46:47], v[20:21]
	v_add_f64 v[30:31], v[48:49], -v[30:31]
	v_add_f64 v[32:33], v[32:33], -v[44:45]
	v_ldexp_f64 v[44:45], v[48:49], -2
	v_add_f64 v[50:51], v[42:43], -v[46:47]
	v_add_f64 v[30:31], v[34:35], -v[30:31]
	v_add_f64 v[18:19], v[18:19], v[32:33]
	v_fract_f64_e32 v[32:33], v[44:45]
	v_cmp_neq_f64_e64 vcc, |v[44:45]|, s[12:13]
	v_add_f64 v[20:21], v[20:21], -v[50:51]
	v_add_f64 v[34:35], v[42:43], v[18:19]
	v_ldexp_f64 v[32:33], v[32:33], 2
	v_add_f64 v[44:45], v[30:31], v[34:35]
	v_cndmask_b32_e32 v33, 0, v33, vcc
	v_cndmask_b32_e32 v32, 0, v32, vcc
	v_add_f64 v[52:53], v[34:35], -v[42:43]
	v_add_f64 v[48:49], v[44:45], v[32:33]
	v_add_f64 v[30:31], v[44:45], -v[30:31]
	v_add_f64 v[54:55], v[34:35], -v[52:53]
	;; [unrolled: 1-line block ×3, first 2 shown]
	v_cmp_gt_f64_e32 vcc, 0, v[48:49]
	v_add_f64 v[48:49], v[42:43], -v[50:51]
	v_add_f64 v[30:31], v[34:35], -v[30:31]
	;; [unrolled: 1-line block ×3, first 2 shown]
	v_cndmask_b32_e32 v23, 0, v36, vcc
	v_add_f64 v[32:33], v[32:33], v[22:23]
	v_add_f64 v[48:49], v[46:47], -v[48:49]
	v_add_f64 v[18:19], v[18:19], v[42:43]
	v_add_f64 v[56:57], v[44:45], v[32:33]
	;; [unrolled: 1-line block ×3, first 2 shown]
	v_cvt_i32_f64_e32 v23, v[56:57]
	v_add_f64 v[18:19], v[20:21], v[18:19]
	v_cvt_f64_i32_e32 v[50:51], v23
	v_add_f64 v[32:33], v[32:33], -v[50:51]
	v_add_f64 v[18:19], v[28:29], v[18:19]
	v_add_f64 v[20:21], v[44:45], v[32:33]
	;; [unrolled: 1-line block ×3, first 2 shown]
	v_add_f64 v[28:29], v[20:21], -v[32:33]
	v_cmp_le_f64_e32 vcc, 0.5, v[20:21]
	v_add_f64 v[28:29], v[44:45], -v[28:29]
	v_addc_co_u32_e64 v40, s[0:1], 0, v23, vcc
	v_cndmask_b32_e32 v23, 0, v37, vcc
	v_add_f64 v[20:21], v[20:21], -v[22:23]
	v_add_f64 v[18:19], v[18:19], v[28:29]
	v_add_f64 v[28:29], v[20:21], v[18:19]
	v_mul_f64 v[30:31], v[28:29], s[14:15]
	v_add_f64 v[20:21], v[28:29], -v[20:21]
	v_fma_f64 v[32:33], v[28:29], s[14:15], -v[30:31]
	v_add_f64 v[18:19], v[18:19], -v[20:21]
	v_fma_f64 v[20:21], v[28:29], s[20:21], v[32:33]
	v_fma_f64 v[20:21], v[18:19], s[14:15], v[20:21]
	v_add_f64 v[18:19], v[30:31], v[20:21]
	v_add_f64 v[28:29], v[18:19], -v[30:31]
	v_add_f64 v[20:21], v[20:21], -v[28:29]
	s_andn2_saveexec_b64 s[0:1], s[92:93]
	s_cbranch_execz .LBB137_307
	s_branch .LBB137_306
.LBB137_305:                            ;   in Loop: Header=BB137_201 Depth=1
	s_andn2_saveexec_b64 s[0:1], s[92:93]
	s_cbranch_execz .LBB137_307
.LBB137_306:                            ;   in Loop: Header=BB137_201 Depth=1
	v_mul_f64 v[18:19], |v[12:13]|, s[22:23]
	s_mov_b32 s18, s24
	v_rndne_f64_e32 v[28:29], v[18:19]
	v_fma_f64 v[18:19], v[28:29], s[16:17], |v[12:13]|
	v_mul_f64 v[20:21], v[28:29], s[24:25]
	v_cvt_i32_f64_e32 v40, v[28:29]
	v_fma_f64 v[34:35], v[28:29], s[24:25], v[18:19]
	v_add_f64 v[30:31], v[18:19], v[20:21]
	v_add_f64 v[32:33], v[18:19], -v[30:31]
	v_add_f64 v[30:31], v[30:31], -v[34:35]
	v_add_f64 v[18:19], v[32:33], v[20:21]
	v_fma_f64 v[20:21], v[28:29], s[18:19], v[20:21]
	v_add_f64 v[18:19], v[30:31], v[18:19]
	v_add_f64 v[18:19], v[18:19], -v[20:21]
	v_fma_f64 v[20:21], v[28:29], s[26:27], v[18:19]
	v_add_f64 v[18:19], v[34:35], v[20:21]
	v_add_f64 v[30:31], v[18:19], -v[34:35]
	v_add_f64 v[20:21], v[20:21], -v[30:31]
.LBB137_307:                            ;   in Loop: Header=BB137_201 Depth=1
	s_or_b64 exec, exec, s[0:1]
                                        ; implicit-def: $vgpr41
                                        ; implicit-def: $vgpr28_vgpr29
                                        ; implicit-def: $vgpr30_vgpr31
	s_and_saveexec_b64 s[0:1], s[2:3]
	s_xor_b64 s[2:3], exec, s[0:1]
	s_cbranch_execz .LBB137_309
; %bb.308:                              ;   in Loop: Header=BB137_201 Depth=1
	v_trig_preop_f64 v[28:29], |v[12:13]|, 0
	v_ldexp_f64 v[32:33], |v[12:13]|, s77
	v_cmp_ge_f64_e64 vcc, |v[12:13]|, s[10:11]
	v_trig_preop_f64 v[30:31], |v[12:13]|, 1
	v_and_b32_e32 v23, 0x7fffffff, v13
	v_trig_preop_f64 v[45:46], |v[12:13]|, 2
	s_mov_b32 s14, s16
	s_mov_b32 s21, s19
	v_cndmask_b32_e32 v33, v23, v33, vcc
	v_cndmask_b32_e32 v32, v12, v32, vcc
	v_mul_f64 v[34:35], v[28:29], v[32:33]
	v_mul_f64 v[41:42], v[30:31], v[32:33]
	v_mul_f64 v[51:52], v[45:46], v[32:33]
	v_fma_f64 v[28:29], v[28:29], v[32:33], -v[34:35]
	v_fma_f64 v[30:31], v[30:31], v[32:33], -v[41:42]
	;; [unrolled: 1-line block ×3, first 2 shown]
	v_add_f64 v[43:44], v[41:42], v[28:29]
	v_add_f64 v[47:48], v[43:44], -v[41:42]
	v_add_f64 v[53:54], v[34:35], v[43:44]
	v_add_f64 v[49:50], v[43:44], -v[47:48]
	v_add_f64 v[28:29], v[28:29], -v[47:48]
	v_add_f64 v[47:48], v[51:52], v[30:31]
	v_add_f64 v[34:35], v[53:54], -v[34:35]
	v_add_f64 v[41:42], v[41:42], -v[49:50]
	v_ldexp_f64 v[49:50], v[53:54], -2
	v_add_f64 v[55:56], v[47:48], -v[51:52]
	v_add_f64 v[34:35], v[43:44], -v[34:35]
	v_add_f64 v[28:29], v[28:29], v[41:42]
	v_fract_f64_e32 v[41:42], v[49:50]
	v_cmp_neq_f64_e64 vcc, |v[49:50]|, s[12:13]
	v_add_f64 v[30:31], v[30:31], -v[55:56]
	v_add_f64 v[43:44], v[47:48], v[28:29]
	v_ldexp_f64 v[41:42], v[41:42], 2
	v_add_f64 v[49:50], v[34:35], v[43:44]
	v_cndmask_b32_e32 v42, 0, v42, vcc
	v_cndmask_b32_e32 v41, 0, v41, vcc
	v_add_f64 v[57:58], v[43:44], -v[47:48]
	v_add_f64 v[53:54], v[49:50], v[41:42]
	v_add_f64 v[34:35], v[49:50], -v[34:35]
	v_add_f64 v[59:60], v[43:44], -v[57:58]
	;; [unrolled: 1-line block ×3, first 2 shown]
	v_cmp_gt_f64_e32 vcc, 0, v[53:54]
	v_add_f64 v[53:54], v[47:48], -v[55:56]
	v_add_f64 v[34:35], v[43:44], -v[34:35]
	;; [unrolled: 1-line block ×3, first 2 shown]
	v_cndmask_b32_e32 v23, 0, v36, vcc
	v_add_f64 v[41:42], v[41:42], v[22:23]
	v_add_f64 v[53:54], v[51:52], -v[53:54]
	v_add_f64 v[28:29], v[28:29], v[47:48]
	v_add_f64 v[61:62], v[49:50], v[41:42]
	;; [unrolled: 1-line block ×3, first 2 shown]
	v_cvt_i32_f64_e32 v23, v[61:62]
	v_add_f64 v[28:29], v[30:31], v[28:29]
	v_cvt_f64_i32_e32 v[55:56], v23
	v_add_f64 v[41:42], v[41:42], -v[55:56]
	v_add_f64 v[28:29], v[32:33], v[28:29]
	v_add_f64 v[30:31], v[49:50], v[41:42]
	;; [unrolled: 1-line block ×3, first 2 shown]
	v_add_f64 v[32:33], v[30:31], -v[41:42]
	v_cmp_le_f64_e32 vcc, 0.5, v[30:31]
	v_add_f64 v[32:33], v[49:50], -v[32:33]
	v_addc_co_u32_e64 v41, s[0:1], 0, v23, vcc
	v_cndmask_b32_e32 v23, 0, v37, vcc
	v_add_f64 v[30:31], v[30:31], -v[22:23]
	v_add_f64 v[28:29], v[28:29], v[32:33]
	v_add_f64 v[32:33], v[30:31], v[28:29]
	v_mul_f64 v[34:35], v[32:33], s[14:15]
	v_add_f64 v[30:31], v[32:33], -v[30:31]
	v_fma_f64 v[42:43], v[32:33], s[14:15], -v[34:35]
	v_add_f64 v[28:29], v[28:29], -v[30:31]
	v_fma_f64 v[30:31], v[32:33], s[20:21], v[42:43]
	v_fma_f64 v[30:31], v[28:29], s[14:15], v[30:31]
	v_add_f64 v[28:29], v[34:35], v[30:31]
	v_add_f64 v[32:33], v[28:29], -v[34:35]
	v_add_f64 v[30:31], v[30:31], -v[32:33]
	s_andn2_saveexec_b64 s[0:1], s[2:3]
	s_cbranch_execnz .LBB137_310
	s_branch .LBB137_311
.LBB137_309:                            ;   in Loop: Header=BB137_201 Depth=1
	s_andn2_saveexec_b64 s[0:1], s[2:3]
	s_cbranch_execz .LBB137_311
.LBB137_310:                            ;   in Loop: Header=BB137_201 Depth=1
	v_mul_f64 v[28:29], |v[12:13]|, s[22:23]
	s_mov_b32 s18, s24
	v_rndne_f64_e32 v[32:33], v[28:29]
	v_fma_f64 v[28:29], v[32:33], s[16:17], |v[12:13]|
	v_mul_f64 v[30:31], v[32:33], s[24:25]
	v_fma_f64 v[43:44], v[32:33], s[24:25], v[28:29]
	v_add_f64 v[34:35], v[28:29], v[30:31]
	v_add_f64 v[41:42], v[28:29], -v[34:35]
	v_add_f64 v[34:35], v[34:35], -v[43:44]
	v_add_f64 v[28:29], v[41:42], v[30:31]
	v_fma_f64 v[30:31], v[32:33], s[18:19], v[30:31]
	v_cvt_i32_f64_e32 v41, v[32:33]
	v_add_f64 v[28:29], v[34:35], v[28:29]
	v_add_f64 v[28:29], v[28:29], -v[30:31]
	v_fma_f64 v[30:31], v[32:33], s[26:27], v[28:29]
	v_add_f64 v[28:29], v[43:44], v[30:31]
	v_add_f64 v[34:35], v[28:29], -v[43:44]
	v_add_f64 v[30:31], v[30:31], -v[34:35]
.LBB137_311:                            ;   in Loop: Header=BB137_201 Depth=1
	s_or_b64 exec, exec, s[0:1]
	s_mov_b32 s0, 0x19ba0da4
	s_mov_b32 s1, 0xc0937be3
	v_add_f64 v[10:11], v[10:11], s[0:1]
	v_mul_f64 v[44:45], v[18:19], v[18:19]
	v_mul_f64 v[48:49], v[28:29], v[28:29]
	v_mov_b32_e32 v50, s68
	v_mov_b32_e32 v51, s69
	;; [unrolled: 1-line block ×4, first 2 shown]
	s_mov_b32 s49, s47
	v_mul_f64 v[32:33], v[10:11], s[28:29]
	v_fma_f64 v[54:55], v[44:45], s[70:71], v[50:51]
	v_fma_f64 v[50:51], v[48:49], s[70:71], v[50:51]
	v_mul_f64 v[58:59], v[44:45], 0.5
	v_fma_f64 v[56:57], v[44:45], s[60:61], v[46:47]
	v_fma_f64 v[46:47], v[48:49], s[60:61], v[46:47]
	v_mul_f64 v[62:63], v[48:49], 0.5
	v_mul_f64 v[52:53], v[20:21], 0.5
	v_rndne_f64_e32 v[32:33], v[32:33]
	v_fma_f64 v[54:55], v[44:45], v[54:55], s[72:73]
	v_fma_f64 v[50:51], v[48:49], v[50:51], s[72:73]
	v_add_f64 v[64:65], -v[58:59], 1.0
	v_fma_f64 v[56:57], v[44:45], v[56:57], s[62:63]
	v_fma_f64 v[46:47], v[48:49], v[46:47], s[62:63]
	v_add_f64 v[68:69], -v[62:63], 1.0
	s_mov_b32 s53, s51
	v_fma_f64 v[34:35], v[32:33], s[30:31], v[10:11]
	v_fma_f64 v[54:55], v[44:45], v[54:55], s[74:75]
	;; [unrolled: 1-line block ×3, first 2 shown]
	v_mul_f64 v[66:67], v[18:19], -v[44:45]
	v_add_f64 v[70:71], -v[64:65], 1.0
	v_fma_f64 v[56:57], v[44:45], v[56:57], s[64:65]
	v_mul_f64 v[60:61], v[30:31], 0.5
	v_mul_f64 v[72:73], v[28:29], -v[48:49]
	v_fma_f64 v[34:35], v[32:33], s[34:35], v[34:35]
	v_fma_f64 v[54:55], v[44:45], v[54:55], s[46:47]
	;; [unrolled: 1-line block ×3, first 2 shown]
	v_add_f64 v[74:75], -v[68:69], 1.0
	v_fma_f64 v[50:51], v[48:49], v[50:51], s[46:47]
	v_add_f64 v[58:59], v[70:71], -v[58:59]
	v_fma_f64 v[56:57], v[44:45], v[56:57], s[66:67]
	s_mov_b32 s82, s50
	v_fma_f64 v[42:43], v[34:35], s[36:37], v[26:27]
	v_fma_f64 v[52:53], v[66:67], v[54:55], v[52:53]
	;; [unrolled: 1-line block ×3, first 2 shown]
	v_add_f64 v[62:63], v[74:75], -v[62:63]
	v_fma_f64 v[50:51], v[72:73], v[50:51], v[60:61]
	v_fma_f64 v[58:59], v[18:19], -v[20:21], v[58:59]
	v_mul_f64 v[54:55], v[44:45], v[44:45]
	v_fma_f64 v[56:57], v[44:45], v[56:57], s[50:51]
	v_fma_f64 v[42:43], v[34:35], v[42:43], s[38:39]
	v_fma_f64 v[20:21], v[44:45], v[52:53], -v[20:21]
	v_mul_f64 v[44:45], v[48:49], v[48:49]
	v_fma_f64 v[46:47], v[48:49], v[46:47], s[50:51]
	v_fma_f64 v[52:53], v[28:29], -v[30:31], v[62:63]
	v_fma_f64 v[30:31], v[48:49], v[50:51], -v[30:31]
	v_and_b32_e32 v23, 1, v40
	v_lshlrev_b32_e32 v50, 30, v40
	v_fma_f64 v[42:43], v[34:35], v[42:43], s[40:41]
	v_fma_f64 v[20:21], v[66:67], s[82:83], v[20:21]
	;; [unrolled: 1-line block ×3, first 2 shown]
	v_and_b32_e32 v51, 1, v41
	v_lshlrev_b32_e32 v54, 30, v41
	v_fma_f64 v[30:31], v[72:73], s[82:83], v[30:31]
	v_cmp_eq_u32_e32 vcc, 0, v23
	v_cmp_class_f64_e64 s[0:1], v[12:13], s76
	v_fma_f64 v[42:43], v[34:35], v[42:43], s[42:43]
	v_add_f64 v[18:19], v[18:19], -v[20:21]
	v_xor_b32_e32 v20, v54, v13
	v_cmp_eq_u32_e64 s[2:3], 0, v51
	v_add_f64 v[28:29], v[28:29], -v[30:31]
	v_cvt_i32_f64_e32 v30, v[32:33]
	v_fma_f64 v[42:43], v[34:35], v[42:43], s[44:45]
	v_xor_b32_e32 v19, 0x80000000, v19
	v_fma_f64 v[42:43], v[34:35], v[42:43], s[48:49]
	v_fma_f64 v[42:43], v[34:35], v[42:43], s[52:53]
	;; [unrolled: 1-line block ×4, first 2 shown]
	v_fma_f64 v[40:41], v[34:35], v[42:43], 1.0
	v_fma_f64 v[42:43], v[44:45], v[46:47], v[52:53]
	v_add_f64 v[44:45], v[64:65], v[48:49]
	v_and_b32_e32 v47, 0x80000000, v20
	v_and_b32_e32 v46, 0x80000000, v50
	v_fma_f64 v[20:21], v[34:35], v[40:41], 1.0
	v_add_f64 v[34:35], v[68:69], v[42:43]
	v_cndmask_b32_e32 v18, v18, v44, vcc
	v_cndmask_b32_e32 v19, v19, v45, vcc
	v_cmp_nlt_f64_e32 vcc, s[78:79], v[10:11]
	v_xor_b32_e32 v19, v19, v46
	v_cndmask_b32_e64 v18, 0, v18, s[0:1]
	v_cndmask_b32_e64 v19, v39, v19, s[0:1]
	v_ldexp_f64 v[12:13], v[20:21], v30
	v_cndmask_b32_e64 v20, v34, v28, s[2:3]
	v_cndmask_b32_e64 v21, v35, v29, s[2:3]
	v_cmp_ngt_f64_e64 s[2:3], s[80:81], v[10:11]
	v_xor_b32_e32 v21, v21, v47
	v_cndmask_b32_e64 v10, 0, v20, s[0:1]
	v_cndmask_b32_e64 v11, v39, v21, s[0:1]
	v_cndmask_b32_e32 v13, v38, v13, vcc
	v_cndmask_b32_e64 v13, 0, v13, s[2:3]
	v_and_b32_e32 v20, 0xfffff, v13
	s_and_b64 vcc, s[2:3], vcc
	v_lshrrev_b32_e32 v21, 20, v13
	v_or_b32_e32 v13, 0x7fe00000, v20
	v_cndmask_b32_e32 v12, 0, v12, vcc
	v_mul_f64 v[18:19], v[12:13], v[18:19]
	v_mul_f64 v[10:11], v[12:13], v[10:11]
	v_add_u32_e32 v21, 0xffffff09, v21
	v_lshrrev_b16_e32 v12, 15, v21
	v_add_u16_e32 v12, v21, v12
	v_ashrrev_i16_e32 v12, 1, v12
	v_bfe_i32 v28, v12, 0, 16
	v_lshl_add_u32 v23, v28, 20, v37
	v_mul_f64 v[12:13], v[18:19], v[22:23]
	v_mul_f64 v[10:11], v[10:11], v[22:23]
	v_sub_u32_e32 v18, v21, v28
	v_mov_b32_e32 v20, v22
	v_lshl_add_u32 v21, v18, 20, v37
	v_mul_f64 v[18:19], v[12:13], v[20:21]
	v_mul_f64 v[20:21], v[10:11], v[20:21]
.LBB137_312:                            ;   in Loop: Header=BB137_201 Depth=1
	s_or_b64 exec, exec, s[90:91]
                                        ; implicit-def: $vgpr10_vgpr11
                                        ; implicit-def: $vgpr23
.LBB137_313:                            ;   in Loop: Header=BB137_201 Depth=1
	s_andn2_saveexec_b64 s[2:3], s[88:89]
	s_cbranch_execz .LBB137_319
; %bb.314:                              ;   in Loop: Header=BB137_201 Depth=1
	v_add_f64 v[20:21], v[12:13], -v[12:13]
	v_cmp_ne_u32_e32 vcc, 0, v10
	v_cmp_ne_u32_e64 s[0:1], s95, v23
	s_or_b64 s[0:1], vcc, s[0:1]
	s_and_saveexec_b64 s[88:89], s[0:1]
	s_xor_b64 s[0:1], exec, s[88:89]
; %bb.315:                              ;   in Loop: Header=BB137_201 Depth=1
                                        ; implicit-def: $vgpr10_vgpr11
; %bb.316:                              ;   in Loop: Header=BB137_201 Depth=1
	s_or_saveexec_b64 s[0:1], s[0:1]
	v_mov_b32_e32 v18, v20
	v_mov_b32_e32 v19, v21
	s_xor_b64 exec, exec, s[0:1]
; %bb.317:                              ;   in Loop: Header=BB137_201 Depth=1
	v_cmp_lt_i64_e32 vcc, -1, v[10:11]
	v_cndmask_b32_e32 v19, 0, v11, vcc
	v_cndmask_b32_e32 v18, 0, v10, vcc
	;; [unrolled: 1-line block ×4, first 2 shown]
; %bb.318:                              ;   in Loop: Header=BB137_201 Depth=1
	s_or_b64 exec, exec, s[0:1]
.LBB137_319:                            ;   in Loop: Header=BB137_201 Depth=1
	s_or_b64 exec, exec, s[2:3]
                                        ; implicit-def: $vgpr12_vgpr13
.LBB137_320:                            ;   in Loop: Header=BB137_201 Depth=1
	s_andn2_saveexec_b64 s[2:3], s[86:87]
	s_cbranch_execz .LBB137_330
; %bb.321:                              ;   in Loop: Header=BB137_201 Depth=1
	v_cmp_nlt_f64_e64 s[86:87], |v[12:13]|, s[8:9]
                                        ; implicit-def: $vgpr30
                                        ; implicit-def: $vgpr10_vgpr11
                                        ; implicit-def: $vgpr18_vgpr19
	s_and_saveexec_b64 s[0:1], s[86:87]
	s_xor_b64 s[88:89], exec, s[0:1]
	s_cbranch_execz .LBB137_323
; %bb.322:                              ;   in Loop: Header=BB137_201 Depth=1
	v_trig_preop_f64 v[10:11], |v[12:13]|, 0
	v_ldexp_f64 v[20:21], |v[12:13]|, s77
	v_cmp_ge_f64_e64 vcc, |v[12:13]|, s[10:11]
	v_trig_preop_f64 v[18:19], |v[12:13]|, 1
	v_and_b32_e32 v23, 0x7fffffff, v13
	v_trig_preop_f64 v[34:35], |v[12:13]|, 2
	s_mov_b32 s14, s16
	s_mov_b32 s21, s19
	v_cndmask_b32_e32 v21, v23, v21, vcc
	v_cndmask_b32_e32 v20, v12, v20, vcc
	v_mul_f64 v[28:29], v[10:11], v[20:21]
	v_mul_f64 v[30:31], v[18:19], v[20:21]
	;; [unrolled: 1-line block ×3, first 2 shown]
	v_fma_f64 v[10:11], v[10:11], v[20:21], -v[28:29]
	v_fma_f64 v[18:19], v[18:19], v[20:21], -v[30:31]
	;; [unrolled: 1-line block ×3, first 2 shown]
	v_add_f64 v[32:33], v[30:31], v[10:11]
	v_add_f64 v[40:41], v[32:33], -v[30:31]
	v_add_f64 v[46:47], v[28:29], v[32:33]
	v_add_f64 v[42:43], v[32:33], -v[40:41]
	v_add_f64 v[10:11], v[10:11], -v[40:41]
	v_add_f64 v[40:41], v[44:45], v[18:19]
	v_add_f64 v[28:29], v[46:47], -v[28:29]
	v_add_f64 v[30:31], v[30:31], -v[42:43]
	v_ldexp_f64 v[42:43], v[46:47], -2
	v_add_f64 v[48:49], v[40:41], -v[44:45]
	v_add_f64 v[28:29], v[32:33], -v[28:29]
	v_add_f64 v[10:11], v[10:11], v[30:31]
	v_fract_f64_e32 v[30:31], v[42:43]
	v_cmp_neq_f64_e64 vcc, |v[42:43]|, s[12:13]
	v_add_f64 v[18:19], v[18:19], -v[48:49]
	v_add_f64 v[32:33], v[40:41], v[10:11]
	v_ldexp_f64 v[30:31], v[30:31], 2
	v_add_f64 v[42:43], v[28:29], v[32:33]
	v_cndmask_b32_e32 v31, 0, v31, vcc
	v_cndmask_b32_e32 v30, 0, v30, vcc
	v_add_f64 v[50:51], v[32:33], -v[40:41]
	v_add_f64 v[46:47], v[42:43], v[30:31]
	v_add_f64 v[28:29], v[42:43], -v[28:29]
	v_add_f64 v[52:53], v[32:33], -v[50:51]
	;; [unrolled: 1-line block ×3, first 2 shown]
	v_cmp_gt_f64_e32 vcc, 0, v[46:47]
	v_add_f64 v[46:47], v[40:41], -v[48:49]
	v_add_f64 v[28:29], v[32:33], -v[28:29]
	;; [unrolled: 1-line block ×3, first 2 shown]
	v_cndmask_b32_e32 v23, 0, v36, vcc
	v_add_f64 v[30:31], v[30:31], v[22:23]
	v_add_f64 v[46:47], v[44:45], -v[46:47]
	v_add_f64 v[10:11], v[10:11], v[40:41]
	v_add_f64 v[54:55], v[42:43], v[30:31]
	;; [unrolled: 1-line block ×3, first 2 shown]
	v_cvt_i32_f64_e32 v23, v[54:55]
	v_add_f64 v[10:11], v[18:19], v[10:11]
	v_cvt_f64_i32_e32 v[48:49], v23
	v_add_f64 v[30:31], v[30:31], -v[48:49]
	v_add_f64 v[10:11], v[20:21], v[10:11]
	v_add_f64 v[18:19], v[42:43], v[30:31]
	;; [unrolled: 1-line block ×3, first 2 shown]
	v_add_f64 v[20:21], v[18:19], -v[30:31]
	v_cmp_le_f64_e32 vcc, 0.5, v[18:19]
	v_add_f64 v[20:21], v[42:43], -v[20:21]
	v_addc_co_u32_e64 v30, s[0:1], 0, v23, vcc
	v_cndmask_b32_e32 v23, 0, v37, vcc
	v_add_f64 v[18:19], v[18:19], -v[22:23]
	v_add_f64 v[10:11], v[10:11], v[20:21]
	v_add_f64 v[20:21], v[18:19], v[10:11]
	v_mul_f64 v[28:29], v[20:21], s[14:15]
	v_add_f64 v[18:19], v[20:21], -v[18:19]
	v_fma_f64 v[31:32], v[20:21], s[14:15], -v[28:29]
	v_add_f64 v[10:11], v[10:11], -v[18:19]
	v_fma_f64 v[18:19], v[20:21], s[20:21], v[31:32]
	v_fma_f64 v[18:19], v[10:11], s[14:15], v[18:19]
	v_add_f64 v[10:11], v[28:29], v[18:19]
	v_add_f64 v[20:21], v[10:11], -v[28:29]
	v_add_f64 v[18:19], v[18:19], -v[20:21]
	s_andn2_saveexec_b64 s[0:1], s[88:89]
	s_cbranch_execz .LBB137_325
	s_branch .LBB137_324
.LBB137_323:                            ;   in Loop: Header=BB137_201 Depth=1
	s_andn2_saveexec_b64 s[0:1], s[88:89]
	s_cbranch_execz .LBB137_325
.LBB137_324:                            ;   in Loop: Header=BB137_201 Depth=1
	v_mul_f64 v[10:11], |v[12:13]|, s[22:23]
	s_mov_b32 s18, s24
	v_rndne_f64_e32 v[20:21], v[10:11]
	v_fma_f64 v[10:11], v[20:21], s[16:17], |v[12:13]|
	v_mul_f64 v[18:19], v[20:21], s[24:25]
	v_fma_f64 v[32:33], v[20:21], s[24:25], v[10:11]
	v_add_f64 v[28:29], v[10:11], v[18:19]
	v_add_f64 v[30:31], v[10:11], -v[28:29]
	v_add_f64 v[28:29], v[28:29], -v[32:33]
	v_add_f64 v[10:11], v[30:31], v[18:19]
	v_fma_f64 v[18:19], v[20:21], s[18:19], v[18:19]
	v_cvt_i32_f64_e32 v30, v[20:21]
	v_add_f64 v[10:11], v[28:29], v[10:11]
	v_add_f64 v[10:11], v[10:11], -v[18:19]
	v_fma_f64 v[18:19], v[20:21], s[26:27], v[10:11]
	v_add_f64 v[10:11], v[32:33], v[18:19]
	v_add_f64 v[28:29], v[10:11], -v[32:33]
	v_add_f64 v[18:19], v[18:19], -v[28:29]
.LBB137_325:                            ;   in Loop: Header=BB137_201 Depth=1
	s_or_b64 exec, exec, s[0:1]
                                        ; implicit-def: $vgpr31
                                        ; implicit-def: $vgpr20_vgpr21
                                        ; implicit-def: $vgpr28_vgpr29
	s_and_saveexec_b64 s[0:1], s[86:87]
	s_xor_b64 s[86:87], exec, s[0:1]
	s_cbranch_execz .LBB137_327
; %bb.326:                              ;   in Loop: Header=BB137_201 Depth=1
	v_trig_preop_f64 v[20:21], |v[12:13]|, 0
	v_ldexp_f64 v[31:32], |v[12:13]|, s77
	v_cmp_ge_f64_e64 vcc, |v[12:13]|, s[10:11]
	v_trig_preop_f64 v[28:29], |v[12:13]|, 1
	v_and_b32_e32 v23, 0x7fffffff, v13
	v_trig_preop_f64 v[44:45], |v[12:13]|, 2
	s_mov_b32 s14, s16
	s_mov_b32 s21, s19
	v_cndmask_b32_e32 v32, v23, v32, vcc
	v_cndmask_b32_e32 v31, v12, v31, vcc
	v_mul_f64 v[33:34], v[20:21], v[31:32]
	v_mul_f64 v[40:41], v[28:29], v[31:32]
	;; [unrolled: 1-line block ×3, first 2 shown]
	v_fma_f64 v[20:21], v[20:21], v[31:32], -v[33:34]
	v_fma_f64 v[28:29], v[28:29], v[31:32], -v[40:41]
	;; [unrolled: 1-line block ×3, first 2 shown]
	v_add_f64 v[42:43], v[40:41], v[20:21]
	v_add_f64 v[46:47], v[42:43], -v[40:41]
	v_add_f64 v[52:53], v[33:34], v[42:43]
	v_add_f64 v[48:49], v[42:43], -v[46:47]
	v_add_f64 v[20:21], v[20:21], -v[46:47]
	v_add_f64 v[46:47], v[50:51], v[28:29]
	v_add_f64 v[33:34], v[52:53], -v[33:34]
	v_add_f64 v[40:41], v[40:41], -v[48:49]
	v_ldexp_f64 v[48:49], v[52:53], -2
	v_add_f64 v[54:55], v[46:47], -v[50:51]
	v_add_f64 v[33:34], v[42:43], -v[33:34]
	v_add_f64 v[20:21], v[20:21], v[40:41]
	v_fract_f64_e32 v[40:41], v[48:49]
	v_cmp_neq_f64_e64 vcc, |v[48:49]|, s[12:13]
	v_add_f64 v[28:29], v[28:29], -v[54:55]
	v_add_f64 v[42:43], v[46:47], v[20:21]
	v_ldexp_f64 v[40:41], v[40:41], 2
	v_add_f64 v[48:49], v[33:34], v[42:43]
	v_cndmask_b32_e32 v41, 0, v41, vcc
	v_cndmask_b32_e32 v40, 0, v40, vcc
	v_add_f64 v[56:57], v[42:43], -v[46:47]
	v_add_f64 v[52:53], v[48:49], v[40:41]
	v_add_f64 v[33:34], v[48:49], -v[33:34]
	v_add_f64 v[58:59], v[42:43], -v[56:57]
	;; [unrolled: 1-line block ×3, first 2 shown]
	v_cmp_gt_f64_e32 vcc, 0, v[52:53]
	v_add_f64 v[52:53], v[46:47], -v[54:55]
	v_add_f64 v[33:34], v[42:43], -v[33:34]
	;; [unrolled: 1-line block ×3, first 2 shown]
	v_cndmask_b32_e32 v23, 0, v36, vcc
	v_add_f64 v[40:41], v[40:41], v[22:23]
	v_add_f64 v[52:53], v[50:51], -v[52:53]
	v_add_f64 v[20:21], v[20:21], v[46:47]
	v_add_f64 v[60:61], v[48:49], v[40:41]
	;; [unrolled: 1-line block ×3, first 2 shown]
	v_cvt_i32_f64_e32 v23, v[60:61]
	v_add_f64 v[20:21], v[28:29], v[20:21]
	v_cvt_f64_i32_e32 v[54:55], v23
	v_add_f64 v[40:41], v[40:41], -v[54:55]
	v_add_f64 v[20:21], v[31:32], v[20:21]
	v_add_f64 v[28:29], v[48:49], v[40:41]
	;; [unrolled: 1-line block ×3, first 2 shown]
	v_add_f64 v[31:32], v[28:29], -v[40:41]
	v_cmp_le_f64_e32 vcc, 0.5, v[28:29]
	v_add_f64 v[32:33], v[48:49], -v[31:32]
	v_addc_co_u32_e64 v31, s[0:1], 0, v23, vcc
	v_cndmask_b32_e32 v23, 0, v37, vcc
	v_add_f64 v[28:29], v[28:29], -v[22:23]
	v_add_f64 v[20:21], v[20:21], v[32:33]
	v_add_f64 v[32:33], v[28:29], v[20:21]
	v_mul_f64 v[34:35], v[32:33], s[14:15]
	v_add_f64 v[28:29], v[32:33], -v[28:29]
	v_fma_f64 v[40:41], v[32:33], s[14:15], -v[34:35]
	v_add_f64 v[20:21], v[20:21], -v[28:29]
	v_fma_f64 v[28:29], v[32:33], s[20:21], v[40:41]
	v_fma_f64 v[28:29], v[20:21], s[14:15], v[28:29]
	v_add_f64 v[20:21], v[34:35], v[28:29]
	v_add_f64 v[32:33], v[20:21], -v[34:35]
	v_add_f64 v[28:29], v[28:29], -v[32:33]
	s_andn2_saveexec_b64 s[0:1], s[86:87]
	s_cbranch_execnz .LBB137_328
	s_branch .LBB137_329
.LBB137_327:                            ;   in Loop: Header=BB137_201 Depth=1
	s_andn2_saveexec_b64 s[0:1], s[86:87]
	s_cbranch_execz .LBB137_329
.LBB137_328:                            ;   in Loop: Header=BB137_201 Depth=1
	v_mul_f64 v[20:21], |v[12:13]|, s[22:23]
	s_mov_b32 s18, s24
	v_rndne_f64_e32 v[31:32], v[20:21]
	v_fma_f64 v[20:21], v[31:32], s[16:17], |v[12:13]|
	v_mul_f64 v[28:29], v[31:32], s[24:25]
	v_fma_f64 v[42:43], v[31:32], s[24:25], v[20:21]
	v_add_f64 v[33:34], v[20:21], v[28:29]
	v_add_f64 v[40:41], v[20:21], -v[33:34]
	v_add_f64 v[33:34], v[33:34], -v[42:43]
	v_add_f64 v[20:21], v[40:41], v[28:29]
	v_fma_f64 v[28:29], v[31:32], s[18:19], v[28:29]
	v_add_f64 v[20:21], v[33:34], v[20:21]
	v_add_f64 v[20:21], v[20:21], -v[28:29]
	v_fma_f64 v[28:29], v[31:32], s[26:27], v[20:21]
	v_cvt_i32_f64_e32 v31, v[31:32]
	v_add_f64 v[20:21], v[42:43], v[28:29]
	v_add_f64 v[33:34], v[20:21], -v[42:43]
	v_add_f64 v[28:29], v[28:29], -v[33:34]
.LBB137_329:                            ;   in Loop: Header=BB137_201 Depth=1
	s_or_b64 exec, exec, s[0:1]
	v_mul_f64 v[32:33], v[10:11], v[10:11]
	v_mov_b32_e32 v44, s58
	v_mov_b32_e32 v45, s59
	v_mul_f64 v[48:49], v[18:19], 0.5
	s_mov_b32 s82, s50
	v_mul_f64 v[34:35], v[32:33], 0.5
	v_fma_f64 v[46:47], v[32:33], s[60:61], v[44:45]
	v_add_f64 v[40:41], -v[34:35], 1.0
	v_fma_f64 v[46:47], v[32:33], v[46:47], s[62:63]
	v_add_f64 v[42:43], -v[40:41], 1.0
	v_fma_f64 v[46:47], v[32:33], v[46:47], s[64:65]
	v_add_f64 v[34:35], v[42:43], -v[34:35]
	v_fma_f64 v[46:47], v[32:33], v[46:47], s[66:67]
	v_mul_f64 v[42:43], v[32:33], v[32:33]
	v_fma_f64 v[34:35], v[10:11], -v[18:19], v[34:35]
	v_fma_f64 v[46:47], v[32:33], v[46:47], s[50:51]
	v_fma_f64 v[34:35], v[42:43], v[46:47], v[34:35]
	v_mul_f64 v[46:47], v[10:11], -v[32:33]
	v_add_f64 v[34:35], v[40:41], v[34:35]
	v_mov_b32_e32 v40, s68
	v_mov_b32_e32 v41, s69
	v_fma_f64 v[42:43], v[32:33], s[70:71], v[40:41]
	v_fma_f64 v[42:43], v[32:33], v[42:43], s[72:73]
	;; [unrolled: 1-line block ×5, first 2 shown]
	v_fma_f64 v[18:19], v[32:33], v[42:43], -v[18:19]
	v_fma_f64 v[18:19], v[46:47], s[82:83], v[18:19]
	v_add_f64 v[10:11], v[10:11], -v[18:19]
	v_and_b32_e32 v18, 1, v30
	v_cmp_eq_u32_e32 vcc, 0, v18
	v_lshlrev_b32_e32 v18, 30, v30
	v_and_b32_e32 v18, 0x80000000, v18
	v_xor_b32_e32 v11, 0x80000000, v11
	v_cndmask_b32_e32 v10, v10, v34, vcc
	v_cndmask_b32_e32 v11, v11, v35, vcc
	v_cmp_class_f64_e64 vcc, v[12:13], s76
	v_xor_b32_e32 v11, v11, v18
	v_and_b32_e32 v12, 1, v31
	v_cmp_eq_u32_e64 s[0:1], 0, v12
	v_lshlrev_b32_e32 v12, 30, v31
	v_xor_b32_e32 v12, v12, v13
	v_and_b32_e32 v12, 0x80000000, v12
	v_cndmask_b32_e32 v18, 0, v10, vcc
	v_cndmask_b32_e32 v19, v39, v11, vcc
	v_mul_f64 v[10:11], v[20:21], v[20:21]
	v_mul_f64 v[32:33], v[10:11], 0.5
	v_fma_f64 v[44:45], v[10:11], s[60:61], v[44:45]
	v_add_f64 v[34:35], -v[32:33], 1.0
	v_fma_f64 v[44:45], v[10:11], v[44:45], s[62:63]
	v_add_f64 v[42:43], -v[34:35], 1.0
	v_fma_f64 v[44:45], v[10:11], v[44:45], s[64:65]
	v_add_f64 v[32:33], v[42:43], -v[32:33]
	v_fma_f64 v[44:45], v[10:11], v[44:45], s[66:67]
	v_mul_f64 v[42:43], v[10:11], v[10:11]
	v_fma_f64 v[32:33], v[20:21], -v[28:29], v[32:33]
	v_fma_f64 v[44:45], v[10:11], v[44:45], s[50:51]
	v_fma_f64 v[32:33], v[42:43], v[44:45], v[32:33]
	v_mul_f64 v[42:43], v[28:29], 0.5
	v_add_f64 v[32:33], v[34:35], v[32:33]
	v_fma_f64 v[34:35], v[10:11], s[70:71], v[40:41]
	v_mul_f64 v[40:41], v[20:21], -v[10:11]
	v_fma_f64 v[34:35], v[10:11], v[34:35], s[72:73]
	v_fma_f64 v[34:35], v[10:11], v[34:35], s[74:75]
	;; [unrolled: 1-line block ×4, first 2 shown]
	v_fma_f64 v[10:11], v[10:11], v[34:35], -v[28:29]
	v_fma_f64 v[10:11], v[40:41], s[82:83], v[10:11]
	v_add_f64 v[10:11], v[20:21], -v[10:11]
	v_cndmask_b32_e64 v11, v33, v11, s[0:1]
	v_cndmask_b32_e64 v10, v32, v10, s[0:1]
	v_xor_b32_e32 v11, v11, v12
	v_cndmask_b32_e32 v20, 0, v10, vcc
	v_cndmask_b32_e32 v21, v39, v11, vcc
.LBB137_330:                            ;   in Loop: Header=BB137_201 Depth=1
	s_or_b64 exec, exec, s[2:3]
                                        ; implicit-def: $vgpr10_vgpr11
.LBB137_331:                            ;   in Loop: Header=BB137_201 Depth=1
	s_andn2_saveexec_b64 s[2:3], s[84:85]
	s_cbranch_execz .LBB137_333
; %bb.332:                              ;   in Loop: Header=BB137_201 Depth=1
	v_mul_f64 v[18:19], v[10:11], s[28:29]
	s_mov_b32 s49, s47
	s_mov_b32 s53, s51
	v_cmp_nlt_f64_e32 vcc, s[78:79], v[10:11]
	v_cmp_ngt_f64_e64 s[0:1], s[80:81], v[10:11]
	v_rndne_f64_e32 v[18:19], v[18:19]
	v_fma_f64 v[20:21], v[18:19], s[30:31], v[10:11]
	v_fma_f64 v[20:21], v[18:19], s[34:35], v[20:21]
	v_cvt_i32_f64_e32 v18, v[18:19]
	v_fma_f64 v[28:29], v[20:21], s[36:37], v[26:27]
	v_fma_f64 v[28:29], v[20:21], v[28:29], s[38:39]
	;; [unrolled: 1-line block ×9, first 2 shown]
	v_fma_f64 v[28:29], v[20:21], v[28:29], 1.0
	v_fma_f64 v[20:21], v[20:21], v[28:29], 1.0
	v_ldexp_f64 v[18:19], v[20:21], v18
	v_mov_b32_e32 v21, v13
	v_mov_b32_e32 v20, v12
	v_cndmask_b32_e32 v19, v38, v19, vcc
	s_and_b64 vcc, s[0:1], vcc
	v_cndmask_b32_e64 v19, 0, v19, s[0:1]
	v_cndmask_b32_e32 v18, 0, v18, vcc
.LBB137_333:                            ;   in Loop: Header=BB137_201 Depth=1
	s_or_b64 exec, exec, s[2:3]
	v_and_b32_e32 v10, 0x7fffffff, v5
	v_or_b32_e32 v11, v10, v4
	v_cmp_ne_u32_e32 vcc, 0, v11
                                        ; implicit-def: $vgpr12_vgpr13
	s_and_saveexec_b64 s[0:1], vcc
	s_xor_b64 s[84:85], exec, s[0:1]
	s_cbranch_execz .LBB137_375
; %bb.334:                              ;   in Loop: Header=BB137_201 Depth=1
	v_and_b32_e32 v23, 0x7fffffff, v3
	v_or_b32_e32 v11, v23, v2
	v_cmp_ne_u32_e32 vcc, 0, v11
                                        ; implicit-def: $vgpr12_vgpr13
	s_and_saveexec_b64 s[0:1], vcc
	s_xor_b64 s[86:87], exec, s[0:1]
	s_cbranch_execz .LBB137_364
; %bb.335:                              ;   in Loop: Header=BB137_201 Depth=1
	v_cmp_gt_u32_e32 vcc, s95, v10
                                        ; implicit-def: $vgpr12_vgpr13
	s_and_saveexec_b64 s[0:1], vcc
	s_xor_b64 s[88:89], exec, s[0:1]
	s_cbranch_execz .LBB137_357
; %bb.336:                              ;   in Loop: Header=BB137_201 Depth=1
	v_add_u32_e32 v10, 0xbf79d1be, v3
	s_mov_b32 s0, 0x108aa2
	v_cmp_lt_u32_e32 vcc, s0, v10
                                        ; implicit-def: $vgpr12_vgpr13
	s_and_saveexec_b64 s[0:1], vcc
	s_xor_b64 s[2:3], exec, s[0:1]
	s_cbranch_execz .LBB137_346
; %bb.337:                              ;   in Loop: Header=BB137_201 Depth=1
	v_cmp_nlt_f64_e64 s[90:91], |v[4:5]|, s[8:9]
                                        ; implicit-def: $vgpr32
                                        ; implicit-def: $vgpr10_vgpr11
                                        ; implicit-def: $vgpr12_vgpr13
	s_and_saveexec_b64 s[0:1], s[90:91]
	s_xor_b64 s[92:93], exec, s[0:1]
	s_cbranch_execz .LBB137_339
; %bb.338:                              ;   in Loop: Header=BB137_201 Depth=1
	v_trig_preop_f64 v[10:11], |v[4:5]|, 0
	v_ldexp_f64 v[28:29], |v[4:5]|, s77
	v_cmp_ge_f64_e64 vcc, |v[4:5]|, s[10:11]
	v_trig_preop_f64 v[12:13], |v[4:5]|, 1
	v_and_b32_e32 v23, 0x7fffffff, v5
	v_trig_preop_f64 v[40:41], |v[4:5]|, 2
	s_mov_b32 s14, s16
	s_mov_b32 s21, s19
	v_cndmask_b32_e32 v29, v23, v29, vcc
	v_cndmask_b32_e32 v28, v4, v28, vcc
	v_mul_f64 v[30:31], v[10:11], v[28:29]
	v_mul_f64 v[32:33], v[12:13], v[28:29]
	;; [unrolled: 1-line block ×3, first 2 shown]
	v_fma_f64 v[10:11], v[10:11], v[28:29], -v[30:31]
	v_fma_f64 v[12:13], v[12:13], v[28:29], -v[32:33]
	;; [unrolled: 1-line block ×3, first 2 shown]
	v_add_f64 v[34:35], v[32:33], v[10:11]
	v_add_f64 v[42:43], v[34:35], -v[32:33]
	v_add_f64 v[48:49], v[30:31], v[34:35]
	v_add_f64 v[44:45], v[34:35], -v[42:43]
	v_add_f64 v[10:11], v[10:11], -v[42:43]
	v_add_f64 v[42:43], v[46:47], v[12:13]
	v_add_f64 v[30:31], v[48:49], -v[30:31]
	v_add_f64 v[32:33], v[32:33], -v[44:45]
	v_ldexp_f64 v[44:45], v[48:49], -2
	v_add_f64 v[50:51], v[42:43], -v[46:47]
	v_add_f64 v[30:31], v[34:35], -v[30:31]
	v_add_f64 v[10:11], v[10:11], v[32:33]
	v_fract_f64_e32 v[32:33], v[44:45]
	v_cmp_neq_f64_e64 vcc, |v[44:45]|, s[12:13]
	v_add_f64 v[12:13], v[12:13], -v[50:51]
	v_add_f64 v[34:35], v[42:43], v[10:11]
	v_ldexp_f64 v[32:33], v[32:33], 2
	v_add_f64 v[44:45], v[30:31], v[34:35]
	v_cndmask_b32_e32 v33, 0, v33, vcc
	v_cndmask_b32_e32 v32, 0, v32, vcc
	v_add_f64 v[52:53], v[34:35], -v[42:43]
	v_add_f64 v[48:49], v[44:45], v[32:33]
	v_add_f64 v[30:31], v[44:45], -v[30:31]
	v_add_f64 v[54:55], v[34:35], -v[52:53]
	;; [unrolled: 1-line block ×3, first 2 shown]
	v_cmp_gt_f64_e32 vcc, 0, v[48:49]
	v_add_f64 v[48:49], v[42:43], -v[50:51]
	v_add_f64 v[30:31], v[34:35], -v[30:31]
	;; [unrolled: 1-line block ×3, first 2 shown]
	v_cndmask_b32_e32 v23, 0, v36, vcc
	v_add_f64 v[32:33], v[32:33], v[22:23]
	v_add_f64 v[48:49], v[46:47], -v[48:49]
	v_add_f64 v[10:11], v[10:11], v[42:43]
	v_add_f64 v[56:57], v[44:45], v[32:33]
	;; [unrolled: 1-line block ×3, first 2 shown]
	v_cvt_i32_f64_e32 v23, v[56:57]
	v_add_f64 v[10:11], v[12:13], v[10:11]
	v_cvt_f64_i32_e32 v[50:51], v23
	v_add_f64 v[32:33], v[32:33], -v[50:51]
	v_add_f64 v[10:11], v[28:29], v[10:11]
	v_add_f64 v[12:13], v[44:45], v[32:33]
	;; [unrolled: 1-line block ×3, first 2 shown]
	v_add_f64 v[28:29], v[12:13], -v[32:33]
	v_cmp_le_f64_e32 vcc, 0.5, v[12:13]
	v_add_f64 v[28:29], v[44:45], -v[28:29]
	v_addc_co_u32_e64 v32, s[0:1], 0, v23, vcc
	v_cndmask_b32_e32 v23, 0, v37, vcc
	v_add_f64 v[12:13], v[12:13], -v[22:23]
	v_add_f64 v[10:11], v[10:11], v[28:29]
	v_add_f64 v[28:29], v[12:13], v[10:11]
	v_mul_f64 v[30:31], v[28:29], s[14:15]
	v_add_f64 v[12:13], v[28:29], -v[12:13]
	v_fma_f64 v[33:34], v[28:29], s[14:15], -v[30:31]
	v_add_f64 v[10:11], v[10:11], -v[12:13]
	v_fma_f64 v[12:13], v[28:29], s[20:21], v[33:34]
	v_fma_f64 v[12:13], v[10:11], s[14:15], v[12:13]
	v_add_f64 v[10:11], v[30:31], v[12:13]
	v_add_f64 v[28:29], v[10:11], -v[30:31]
	v_add_f64 v[12:13], v[12:13], -v[28:29]
	s_andn2_saveexec_b64 s[0:1], s[92:93]
	s_cbranch_execz .LBB137_341
	s_branch .LBB137_340
.LBB137_339:                            ;   in Loop: Header=BB137_201 Depth=1
	s_andn2_saveexec_b64 s[0:1], s[92:93]
	s_cbranch_execz .LBB137_341
.LBB137_340:                            ;   in Loop: Header=BB137_201 Depth=1
	v_mul_f64 v[10:11], |v[4:5]|, s[22:23]
	s_mov_b32 s18, s24
	v_rndne_f64_e32 v[28:29], v[10:11]
	v_fma_f64 v[10:11], v[28:29], s[16:17], |v[4:5]|
	v_mul_f64 v[12:13], v[28:29], s[24:25]
	v_fma_f64 v[34:35], v[28:29], s[24:25], v[10:11]
	v_add_f64 v[30:31], v[10:11], v[12:13]
	v_add_f64 v[32:33], v[10:11], -v[30:31]
	v_add_f64 v[30:31], v[30:31], -v[34:35]
	v_add_f64 v[10:11], v[32:33], v[12:13]
	v_fma_f64 v[12:13], v[28:29], s[18:19], v[12:13]
	v_cvt_i32_f64_e32 v32, v[28:29]
	v_add_f64 v[10:11], v[30:31], v[10:11]
	v_add_f64 v[10:11], v[10:11], -v[12:13]
	v_fma_f64 v[12:13], v[28:29], s[26:27], v[10:11]
	v_add_f64 v[10:11], v[34:35], v[12:13]
	v_add_f64 v[30:31], v[10:11], -v[34:35]
	v_add_f64 v[12:13], v[12:13], -v[30:31]
.LBB137_341:                            ;   in Loop: Header=BB137_201 Depth=1
	s_or_b64 exec, exec, s[0:1]
                                        ; implicit-def: $vgpr33
                                        ; implicit-def: $vgpr28_vgpr29
                                        ; implicit-def: $vgpr30_vgpr31
	s_and_saveexec_b64 s[0:1], s[90:91]
	s_xor_b64 s[90:91], exec, s[0:1]
	s_cbranch_execz .LBB137_343
; %bb.342:                              ;   in Loop: Header=BB137_201 Depth=1
	v_trig_preop_f64 v[28:29], |v[4:5]|, 0
	v_ldexp_f64 v[33:34], |v[4:5]|, s77
	v_cmp_ge_f64_e64 vcc, |v[4:5]|, s[10:11]
	v_trig_preop_f64 v[30:31], |v[4:5]|, 1
	v_and_b32_e32 v23, 0x7fffffff, v5
	v_trig_preop_f64 v[46:47], |v[4:5]|, 2
	s_mov_b32 s14, s16
	s_mov_b32 s21, s19
	v_cndmask_b32_e32 v34, v23, v34, vcc
	v_cndmask_b32_e32 v33, v4, v33, vcc
	v_mul_f64 v[40:41], v[28:29], v[33:34]
	v_mul_f64 v[42:43], v[30:31], v[33:34]
	;; [unrolled: 1-line block ×3, first 2 shown]
	v_fma_f64 v[28:29], v[28:29], v[33:34], -v[40:41]
	v_fma_f64 v[30:31], v[30:31], v[33:34], -v[42:43]
	;; [unrolled: 1-line block ×3, first 2 shown]
	v_add_f64 v[44:45], v[42:43], v[28:29]
	v_add_f64 v[48:49], v[44:45], -v[42:43]
	v_add_f64 v[54:55], v[40:41], v[44:45]
	v_add_f64 v[50:51], v[44:45], -v[48:49]
	v_add_f64 v[28:29], v[28:29], -v[48:49]
	v_add_f64 v[48:49], v[52:53], v[30:31]
	v_add_f64 v[40:41], v[54:55], -v[40:41]
	v_add_f64 v[42:43], v[42:43], -v[50:51]
	v_ldexp_f64 v[50:51], v[54:55], -2
	v_add_f64 v[56:57], v[48:49], -v[52:53]
	v_add_f64 v[40:41], v[44:45], -v[40:41]
	v_add_f64 v[28:29], v[28:29], v[42:43]
	v_fract_f64_e32 v[42:43], v[50:51]
	v_cmp_neq_f64_e64 vcc, |v[50:51]|, s[12:13]
	v_add_f64 v[30:31], v[30:31], -v[56:57]
	v_add_f64 v[44:45], v[48:49], v[28:29]
	v_ldexp_f64 v[42:43], v[42:43], 2
	v_add_f64 v[50:51], v[40:41], v[44:45]
	v_cndmask_b32_e32 v43, 0, v43, vcc
	v_cndmask_b32_e32 v42, 0, v42, vcc
	v_add_f64 v[58:59], v[44:45], -v[48:49]
	v_add_f64 v[54:55], v[50:51], v[42:43]
	v_add_f64 v[40:41], v[50:51], -v[40:41]
	v_add_f64 v[60:61], v[44:45], -v[58:59]
	;; [unrolled: 1-line block ×3, first 2 shown]
	v_cmp_gt_f64_e32 vcc, 0, v[54:55]
	v_add_f64 v[54:55], v[48:49], -v[56:57]
	v_add_f64 v[40:41], v[44:45], -v[40:41]
	;; [unrolled: 1-line block ×3, first 2 shown]
	v_cndmask_b32_e32 v23, 0, v36, vcc
	v_add_f64 v[42:43], v[42:43], v[22:23]
	v_add_f64 v[54:55], v[52:53], -v[54:55]
	v_add_f64 v[28:29], v[28:29], v[48:49]
	v_add_f64 v[62:63], v[50:51], v[42:43]
	;; [unrolled: 1-line block ×3, first 2 shown]
	v_cvt_i32_f64_e32 v23, v[62:63]
	v_add_f64 v[28:29], v[30:31], v[28:29]
	v_cvt_f64_i32_e32 v[56:57], v23
	v_add_f64 v[42:43], v[42:43], -v[56:57]
	v_add_f64 v[28:29], v[33:34], v[28:29]
	v_add_f64 v[30:31], v[50:51], v[42:43]
	;; [unrolled: 1-line block ×3, first 2 shown]
	v_add_f64 v[33:34], v[30:31], -v[42:43]
	v_cmp_le_f64_e32 vcc, 0.5, v[30:31]
	v_add_f64 v[34:35], v[50:51], -v[33:34]
	v_addc_co_u32_e64 v33, s[0:1], 0, v23, vcc
	v_cndmask_b32_e32 v23, 0, v37, vcc
	v_add_f64 v[30:31], v[30:31], -v[22:23]
	v_add_f64 v[28:29], v[28:29], v[34:35]
	v_add_f64 v[34:35], v[30:31], v[28:29]
	v_mul_f64 v[40:41], v[34:35], s[14:15]
	v_add_f64 v[30:31], v[34:35], -v[30:31]
	v_fma_f64 v[42:43], v[34:35], s[14:15], -v[40:41]
	v_add_f64 v[28:29], v[28:29], -v[30:31]
	v_fma_f64 v[30:31], v[34:35], s[20:21], v[42:43]
	v_fma_f64 v[30:31], v[28:29], s[14:15], v[30:31]
	v_add_f64 v[28:29], v[40:41], v[30:31]
	v_add_f64 v[34:35], v[28:29], -v[40:41]
	v_add_f64 v[30:31], v[30:31], -v[34:35]
	s_andn2_saveexec_b64 s[0:1], s[90:91]
	s_cbranch_execnz .LBB137_344
	s_branch .LBB137_345
.LBB137_343:                            ;   in Loop: Header=BB137_201 Depth=1
	s_andn2_saveexec_b64 s[0:1], s[90:91]
	s_cbranch_execz .LBB137_345
.LBB137_344:                            ;   in Loop: Header=BB137_201 Depth=1
	v_mul_f64 v[28:29], |v[4:5]|, s[22:23]
	s_mov_b32 s18, s24
	v_rndne_f64_e32 v[33:34], v[28:29]
	v_fma_f64 v[28:29], v[33:34], s[16:17], |v[4:5]|
	v_mul_f64 v[30:31], v[33:34], s[24:25]
	v_fma_f64 v[44:45], v[33:34], s[24:25], v[28:29]
	v_add_f64 v[40:41], v[28:29], v[30:31]
	v_add_f64 v[42:43], v[28:29], -v[40:41]
	v_add_f64 v[40:41], v[40:41], -v[44:45]
	v_add_f64 v[28:29], v[42:43], v[30:31]
	v_fma_f64 v[30:31], v[33:34], s[18:19], v[30:31]
	v_add_f64 v[28:29], v[40:41], v[28:29]
	v_add_f64 v[28:29], v[28:29], -v[30:31]
	v_fma_f64 v[30:31], v[33:34], s[26:27], v[28:29]
	v_cvt_i32_f64_e32 v33, v[33:34]
	v_add_f64 v[28:29], v[44:45], v[30:31]
	v_add_f64 v[40:41], v[28:29], -v[44:45]
	v_add_f64 v[30:31], v[30:31], -v[40:41]
.LBB137_345:                            ;   in Loop: Header=BB137_201 Depth=1
	s_or_b64 exec, exec, s[0:1]
	v_mul_f64 v[34:35], v[2:3], s[28:29]
	s_mov_b32 s49, s47
	s_mov_b32 s53, s51
	v_cmp_nlt_f64_e32 vcc, s[78:79], v[2:3]
	v_cmp_ngt_f64_e64 s[0:1], s[80:81], v[2:3]
	v_mov_b32_e32 v46, s58
	v_mov_b32_e32 v47, s59
	v_mul_f64 v[50:51], v[12:13], 0.5
	v_rndne_f64_e32 v[34:35], v[34:35]
	s_mov_b32 s82, s50
	v_fma_f64 v[40:41], v[34:35], s[30:31], v[2:3]
	v_cvt_i32_f64_e32 v23, v[34:35]
	v_fma_f64 v[40:41], v[34:35], s[34:35], v[40:41]
	v_fma_f64 v[42:43], v[40:41], s[36:37], v[26:27]
	;; [unrolled: 1-line block ×10, first 2 shown]
	v_fma_f64 v[42:43], v[40:41], v[42:43], 1.0
	v_fma_f64 v[40:41], v[40:41], v[42:43], 1.0
	v_ldexp_f64 v[34:35], v[40:41], v23
	v_cndmask_b32_e32 v23, v38, v35, vcc
	s_and_b64 vcc, s[0:1], vcc
	v_cndmask_b32_e32 v2, 0, v34, vcc
	v_mul_f64 v[34:35], v[10:11], v[10:11]
	v_cndmask_b32_e64 v3, 0, v23, s[0:1]
	v_mul_f64 v[40:41], v[34:35], 0.5
	v_fma_f64 v[48:49], v[34:35], s[60:61], v[46:47]
	v_add_f64 v[42:43], -v[40:41], 1.0
	v_fma_f64 v[48:49], v[34:35], v[48:49], s[62:63]
	v_add_f64 v[44:45], -v[42:43], 1.0
	v_fma_f64 v[48:49], v[34:35], v[48:49], s[64:65]
	v_add_f64 v[40:41], v[44:45], -v[40:41]
	v_fma_f64 v[48:49], v[34:35], v[48:49], s[66:67]
	v_mul_f64 v[44:45], v[34:35], v[34:35]
	v_fma_f64 v[40:41], v[10:11], -v[12:13], v[40:41]
	v_fma_f64 v[48:49], v[34:35], v[48:49], s[50:51]
	v_fma_f64 v[40:41], v[44:45], v[48:49], v[40:41]
	v_mul_f64 v[48:49], v[10:11], -v[34:35]
	v_add_f64 v[40:41], v[42:43], v[40:41]
	v_mov_b32_e32 v42, s68
	v_mov_b32_e32 v43, s69
	v_fma_f64 v[44:45], v[34:35], s[70:71], v[42:43]
	v_fma_f64 v[44:45], v[34:35], v[44:45], s[72:73]
	;; [unrolled: 1-line block ×5, first 2 shown]
	v_fma_f64 v[12:13], v[34:35], v[44:45], -v[12:13]
	v_fma_f64 v[12:13], v[48:49], s[82:83], v[12:13]
	v_add_f64 v[10:11], v[10:11], -v[12:13]
	v_and_b32_e32 v12, 1, v32
	v_cmp_eq_u32_e32 vcc, 0, v12
	v_lshlrev_b32_e32 v12, 30, v32
	v_and_b32_e32 v12, 0x80000000, v12
	v_xor_b32_e32 v11, 0x80000000, v11
	v_cndmask_b32_e32 v11, v11, v41, vcc
	v_xor_b32_e32 v11, v11, v12
	v_mul_f64 v[12:13], v[28:29], v[28:29]
	v_cndmask_b32_e32 v10, v10, v40, vcc
	v_cmp_class_f64_e64 vcc, v[4:5], s76
	v_and_b32_e32 v4, 1, v33
	v_cmp_eq_u32_e64 s[0:1], 0, v4
	v_mul_f64 v[34:35], v[12:13], 0.5
	v_fma_f64 v[46:47], v[12:13], s[60:61], v[46:47]
	v_cndmask_b32_e32 v10, 0, v10, vcc
	v_cndmask_b32_e32 v11, v39, v11, vcc
	v_mul_f64 v[10:11], v[2:3], v[10:11]
	v_add_f64 v[40:41], -v[34:35], 1.0
	v_fma_f64 v[46:47], v[12:13], v[46:47], s[62:63]
	v_add_f64 v[44:45], -v[40:41], 1.0
	v_fma_f64 v[46:47], v[12:13], v[46:47], s[64:65]
	v_add_f64 v[34:35], v[44:45], -v[34:35]
	v_fma_f64 v[46:47], v[12:13], v[46:47], s[66:67]
	v_mul_f64 v[44:45], v[12:13], v[12:13]
	v_fma_f64 v[34:35], v[28:29], -v[30:31], v[34:35]
	v_fma_f64 v[46:47], v[12:13], v[46:47], s[50:51]
	v_fma_f64 v[34:35], v[44:45], v[46:47], v[34:35]
	v_mul_f64 v[44:45], v[30:31], 0.5
	v_add_f64 v[34:35], v[40:41], v[34:35]
	v_fma_f64 v[40:41], v[12:13], s[70:71], v[42:43]
	v_mul_f64 v[42:43], v[28:29], -v[12:13]
	v_fma_f64 v[40:41], v[12:13], v[40:41], s[72:73]
	v_fma_f64 v[40:41], v[12:13], v[40:41], s[74:75]
	v_fma_f64 v[40:41], v[12:13], v[40:41], s[46:47]
	v_fma_f64 v[40:41], v[42:43], v[40:41], v[44:45]
	v_fma_f64 v[12:13], v[12:13], v[40:41], -v[30:31]
	v_fma_f64 v[12:13], v[42:43], s[82:83], v[12:13]
	v_add_f64 v[12:13], v[28:29], -v[12:13]
	v_cndmask_b32_e64 v4, v34, v12, s[0:1]
	v_cndmask_b32_e64 v12, v35, v13, s[0:1]
	v_lshlrev_b32_e32 v13, 30, v33
	v_xor_b32_e32 v5, v13, v5
	v_and_b32_e32 v5, 0x80000000, v5
	v_xor_b32_e32 v5, v12, v5
	v_cndmask_b32_e32 v4, 0, v4, vcc
	v_cndmask_b32_e32 v5, v39, v5, vcc
	v_mul_f64 v[12:13], v[2:3], v[4:5]
                                        ; implicit-def: $vgpr4_vgpr5
.LBB137_346:                            ;   in Loop: Header=BB137_201 Depth=1
	s_andn2_saveexec_b64 s[90:91], s[2:3]
	s_cbranch_execz .LBB137_356
; %bb.347:                              ;   in Loop: Header=BB137_201 Depth=1
	v_cmp_nlt_f64_e64 s[2:3], |v[4:5]|, s[8:9]
                                        ; implicit-def: $vgpr40
                                        ; implicit-def: $vgpr10_vgpr11
                                        ; implicit-def: $vgpr12_vgpr13
	s_and_saveexec_b64 s[0:1], s[2:3]
	s_xor_b64 s[92:93], exec, s[0:1]
	s_cbranch_execz .LBB137_349
; %bb.348:                              ;   in Loop: Header=BB137_201 Depth=1
	v_trig_preop_f64 v[10:11], |v[4:5]|, 0
	v_ldexp_f64 v[28:29], |v[4:5]|, s77
	v_cmp_ge_f64_e64 vcc, |v[4:5]|, s[10:11]
	v_trig_preop_f64 v[12:13], |v[4:5]|, 1
	v_and_b32_e32 v23, 0x7fffffff, v5
	v_trig_preop_f64 v[40:41], |v[4:5]|, 2
	s_mov_b32 s14, s16
	s_mov_b32 s21, s19
	v_cndmask_b32_e32 v29, v23, v29, vcc
	v_cndmask_b32_e32 v28, v4, v28, vcc
	v_mul_f64 v[30:31], v[10:11], v[28:29]
	v_mul_f64 v[32:33], v[12:13], v[28:29]
	;; [unrolled: 1-line block ×3, first 2 shown]
	v_fma_f64 v[10:11], v[10:11], v[28:29], -v[30:31]
	v_fma_f64 v[12:13], v[12:13], v[28:29], -v[32:33]
	;; [unrolled: 1-line block ×3, first 2 shown]
	v_add_f64 v[34:35], v[32:33], v[10:11]
	v_add_f64 v[42:43], v[34:35], -v[32:33]
	v_add_f64 v[48:49], v[30:31], v[34:35]
	v_add_f64 v[44:45], v[34:35], -v[42:43]
	v_add_f64 v[10:11], v[10:11], -v[42:43]
	v_add_f64 v[42:43], v[46:47], v[12:13]
	v_add_f64 v[30:31], v[48:49], -v[30:31]
	v_add_f64 v[32:33], v[32:33], -v[44:45]
	v_ldexp_f64 v[44:45], v[48:49], -2
	v_add_f64 v[50:51], v[42:43], -v[46:47]
	v_add_f64 v[30:31], v[34:35], -v[30:31]
	v_add_f64 v[10:11], v[10:11], v[32:33]
	v_fract_f64_e32 v[32:33], v[44:45]
	v_cmp_neq_f64_e64 vcc, |v[44:45]|, s[12:13]
	v_add_f64 v[12:13], v[12:13], -v[50:51]
	v_add_f64 v[34:35], v[42:43], v[10:11]
	v_ldexp_f64 v[32:33], v[32:33], 2
	v_add_f64 v[44:45], v[30:31], v[34:35]
	v_cndmask_b32_e32 v33, 0, v33, vcc
	v_cndmask_b32_e32 v32, 0, v32, vcc
	v_add_f64 v[52:53], v[34:35], -v[42:43]
	v_add_f64 v[48:49], v[44:45], v[32:33]
	v_add_f64 v[30:31], v[44:45], -v[30:31]
	v_add_f64 v[54:55], v[34:35], -v[52:53]
	;; [unrolled: 1-line block ×3, first 2 shown]
	v_cmp_gt_f64_e32 vcc, 0, v[48:49]
	v_add_f64 v[48:49], v[42:43], -v[50:51]
	v_add_f64 v[30:31], v[34:35], -v[30:31]
	;; [unrolled: 1-line block ×3, first 2 shown]
	v_cndmask_b32_e32 v23, 0, v36, vcc
	v_add_f64 v[32:33], v[32:33], v[22:23]
	v_add_f64 v[48:49], v[46:47], -v[48:49]
	v_add_f64 v[10:11], v[10:11], v[42:43]
	v_add_f64 v[56:57], v[44:45], v[32:33]
	;; [unrolled: 1-line block ×3, first 2 shown]
	v_cvt_i32_f64_e32 v23, v[56:57]
	v_add_f64 v[10:11], v[12:13], v[10:11]
	v_cvt_f64_i32_e32 v[50:51], v23
	v_add_f64 v[32:33], v[32:33], -v[50:51]
	v_add_f64 v[10:11], v[28:29], v[10:11]
	v_add_f64 v[12:13], v[44:45], v[32:33]
	;; [unrolled: 1-line block ×3, first 2 shown]
	v_add_f64 v[28:29], v[12:13], -v[32:33]
	v_cmp_le_f64_e32 vcc, 0.5, v[12:13]
	v_add_f64 v[28:29], v[44:45], -v[28:29]
	v_addc_co_u32_e64 v40, s[0:1], 0, v23, vcc
	v_cndmask_b32_e32 v23, 0, v37, vcc
	v_add_f64 v[12:13], v[12:13], -v[22:23]
	v_add_f64 v[10:11], v[10:11], v[28:29]
	v_add_f64 v[28:29], v[12:13], v[10:11]
	v_mul_f64 v[30:31], v[28:29], s[14:15]
	v_add_f64 v[12:13], v[28:29], -v[12:13]
	v_fma_f64 v[32:33], v[28:29], s[14:15], -v[30:31]
	v_add_f64 v[10:11], v[10:11], -v[12:13]
	v_fma_f64 v[12:13], v[28:29], s[20:21], v[32:33]
	v_fma_f64 v[12:13], v[10:11], s[14:15], v[12:13]
	v_add_f64 v[10:11], v[30:31], v[12:13]
	v_add_f64 v[28:29], v[10:11], -v[30:31]
	v_add_f64 v[12:13], v[12:13], -v[28:29]
	s_andn2_saveexec_b64 s[0:1], s[92:93]
	s_cbranch_execz .LBB137_351
	s_branch .LBB137_350
.LBB137_349:                            ;   in Loop: Header=BB137_201 Depth=1
	s_andn2_saveexec_b64 s[0:1], s[92:93]
	s_cbranch_execz .LBB137_351
.LBB137_350:                            ;   in Loop: Header=BB137_201 Depth=1
	v_mul_f64 v[10:11], |v[4:5]|, s[22:23]
	s_mov_b32 s18, s24
	v_rndne_f64_e32 v[28:29], v[10:11]
	v_fma_f64 v[10:11], v[28:29], s[16:17], |v[4:5]|
	v_mul_f64 v[12:13], v[28:29], s[24:25]
	v_cvt_i32_f64_e32 v40, v[28:29]
	v_fma_f64 v[34:35], v[28:29], s[24:25], v[10:11]
	v_add_f64 v[30:31], v[10:11], v[12:13]
	v_add_f64 v[32:33], v[10:11], -v[30:31]
	v_add_f64 v[30:31], v[30:31], -v[34:35]
	v_add_f64 v[10:11], v[32:33], v[12:13]
	v_fma_f64 v[12:13], v[28:29], s[18:19], v[12:13]
	v_add_f64 v[10:11], v[30:31], v[10:11]
	v_add_f64 v[10:11], v[10:11], -v[12:13]
	v_fma_f64 v[12:13], v[28:29], s[26:27], v[10:11]
	v_add_f64 v[10:11], v[34:35], v[12:13]
	v_add_f64 v[30:31], v[10:11], -v[34:35]
	v_add_f64 v[12:13], v[12:13], -v[30:31]
.LBB137_351:                            ;   in Loop: Header=BB137_201 Depth=1
	s_or_b64 exec, exec, s[0:1]
                                        ; implicit-def: $vgpr41
                                        ; implicit-def: $vgpr28_vgpr29
                                        ; implicit-def: $vgpr30_vgpr31
	s_and_saveexec_b64 s[0:1], s[2:3]
	s_xor_b64 s[2:3], exec, s[0:1]
	s_cbranch_execz .LBB137_353
; %bb.352:                              ;   in Loop: Header=BB137_201 Depth=1
	v_trig_preop_f64 v[28:29], |v[4:5]|, 0
	v_ldexp_f64 v[32:33], |v[4:5]|, s77
	v_cmp_ge_f64_e64 vcc, |v[4:5]|, s[10:11]
	v_trig_preop_f64 v[30:31], |v[4:5]|, 1
	v_and_b32_e32 v23, 0x7fffffff, v5
	v_trig_preop_f64 v[45:46], |v[4:5]|, 2
	s_mov_b32 s14, s16
	s_mov_b32 s21, s19
	v_cndmask_b32_e32 v33, v23, v33, vcc
	v_cndmask_b32_e32 v32, v4, v32, vcc
	v_mul_f64 v[34:35], v[28:29], v[32:33]
	v_mul_f64 v[41:42], v[30:31], v[32:33]
	;; [unrolled: 1-line block ×3, first 2 shown]
	v_fma_f64 v[28:29], v[28:29], v[32:33], -v[34:35]
	v_fma_f64 v[30:31], v[30:31], v[32:33], -v[41:42]
	v_fma_f64 v[32:33], v[45:46], v[32:33], -v[51:52]
	v_add_f64 v[43:44], v[41:42], v[28:29]
	v_add_f64 v[47:48], v[43:44], -v[41:42]
	v_add_f64 v[53:54], v[34:35], v[43:44]
	v_add_f64 v[49:50], v[43:44], -v[47:48]
	v_add_f64 v[28:29], v[28:29], -v[47:48]
	v_add_f64 v[47:48], v[51:52], v[30:31]
	v_add_f64 v[34:35], v[53:54], -v[34:35]
	v_add_f64 v[41:42], v[41:42], -v[49:50]
	v_ldexp_f64 v[49:50], v[53:54], -2
	v_add_f64 v[55:56], v[47:48], -v[51:52]
	v_add_f64 v[34:35], v[43:44], -v[34:35]
	v_add_f64 v[28:29], v[28:29], v[41:42]
	v_fract_f64_e32 v[41:42], v[49:50]
	v_cmp_neq_f64_e64 vcc, |v[49:50]|, s[12:13]
	v_add_f64 v[30:31], v[30:31], -v[55:56]
	v_add_f64 v[43:44], v[47:48], v[28:29]
	v_ldexp_f64 v[41:42], v[41:42], 2
	v_add_f64 v[49:50], v[34:35], v[43:44]
	v_cndmask_b32_e32 v42, 0, v42, vcc
	v_cndmask_b32_e32 v41, 0, v41, vcc
	v_add_f64 v[57:58], v[43:44], -v[47:48]
	v_add_f64 v[53:54], v[49:50], v[41:42]
	v_add_f64 v[34:35], v[49:50], -v[34:35]
	v_add_f64 v[59:60], v[43:44], -v[57:58]
	;; [unrolled: 1-line block ×3, first 2 shown]
	v_cmp_gt_f64_e32 vcc, 0, v[53:54]
	v_add_f64 v[53:54], v[47:48], -v[55:56]
	v_add_f64 v[34:35], v[43:44], -v[34:35]
	;; [unrolled: 1-line block ×3, first 2 shown]
	v_cndmask_b32_e32 v23, 0, v36, vcc
	v_add_f64 v[41:42], v[41:42], v[22:23]
	v_add_f64 v[53:54], v[51:52], -v[53:54]
	v_add_f64 v[28:29], v[28:29], v[47:48]
	v_add_f64 v[61:62], v[49:50], v[41:42]
	;; [unrolled: 1-line block ×3, first 2 shown]
	v_cvt_i32_f64_e32 v23, v[61:62]
	v_add_f64 v[28:29], v[30:31], v[28:29]
	v_cvt_f64_i32_e32 v[55:56], v23
	v_add_f64 v[41:42], v[41:42], -v[55:56]
	v_add_f64 v[28:29], v[32:33], v[28:29]
	v_add_f64 v[30:31], v[49:50], v[41:42]
	;; [unrolled: 1-line block ×3, first 2 shown]
	v_add_f64 v[32:33], v[30:31], -v[41:42]
	v_cmp_le_f64_e32 vcc, 0.5, v[30:31]
	v_add_f64 v[32:33], v[49:50], -v[32:33]
	v_addc_co_u32_e64 v41, s[0:1], 0, v23, vcc
	v_cndmask_b32_e32 v23, 0, v37, vcc
	v_add_f64 v[30:31], v[30:31], -v[22:23]
	v_add_f64 v[28:29], v[28:29], v[32:33]
	v_add_f64 v[32:33], v[30:31], v[28:29]
	v_mul_f64 v[34:35], v[32:33], s[14:15]
	v_add_f64 v[30:31], v[32:33], -v[30:31]
	v_fma_f64 v[42:43], v[32:33], s[14:15], -v[34:35]
	v_add_f64 v[28:29], v[28:29], -v[30:31]
	v_fma_f64 v[30:31], v[32:33], s[20:21], v[42:43]
	v_fma_f64 v[30:31], v[28:29], s[14:15], v[30:31]
	v_add_f64 v[28:29], v[34:35], v[30:31]
	v_add_f64 v[32:33], v[28:29], -v[34:35]
	v_add_f64 v[30:31], v[30:31], -v[32:33]
	s_andn2_saveexec_b64 s[0:1], s[2:3]
	s_cbranch_execnz .LBB137_354
	s_branch .LBB137_355
.LBB137_353:                            ;   in Loop: Header=BB137_201 Depth=1
	s_andn2_saveexec_b64 s[0:1], s[2:3]
	s_cbranch_execz .LBB137_355
.LBB137_354:                            ;   in Loop: Header=BB137_201 Depth=1
	v_mul_f64 v[28:29], |v[4:5]|, s[22:23]
	s_mov_b32 s18, s24
	v_rndne_f64_e32 v[32:33], v[28:29]
	v_fma_f64 v[28:29], v[32:33], s[16:17], |v[4:5]|
	v_mul_f64 v[30:31], v[32:33], s[24:25]
	v_fma_f64 v[43:44], v[32:33], s[24:25], v[28:29]
	v_add_f64 v[34:35], v[28:29], v[30:31]
	v_add_f64 v[41:42], v[28:29], -v[34:35]
	v_add_f64 v[34:35], v[34:35], -v[43:44]
	v_add_f64 v[28:29], v[41:42], v[30:31]
	v_fma_f64 v[30:31], v[32:33], s[18:19], v[30:31]
	v_cvt_i32_f64_e32 v41, v[32:33]
	v_add_f64 v[28:29], v[34:35], v[28:29]
	v_add_f64 v[28:29], v[28:29], -v[30:31]
	v_fma_f64 v[30:31], v[32:33], s[26:27], v[28:29]
	v_add_f64 v[28:29], v[43:44], v[30:31]
	v_add_f64 v[34:35], v[28:29], -v[43:44]
	v_add_f64 v[30:31], v[30:31], -v[34:35]
.LBB137_355:                            ;   in Loop: Header=BB137_201 Depth=1
	s_or_b64 exec, exec, s[0:1]
	s_mov_b32 s0, 0x19ba0da4
	s_mov_b32 s1, 0xc0937be3
	v_add_f64 v[2:3], v[2:3], s[0:1]
	v_mul_f64 v[44:45], v[10:11], v[10:11]
	v_mul_f64 v[48:49], v[28:29], v[28:29]
	v_mov_b32_e32 v50, s68
	v_mov_b32_e32 v51, s69
	;; [unrolled: 1-line block ×4, first 2 shown]
	s_mov_b32 s49, s47
	v_mul_f64 v[32:33], v[2:3], s[28:29]
	v_fma_f64 v[54:55], v[44:45], s[70:71], v[50:51]
	v_fma_f64 v[50:51], v[48:49], s[70:71], v[50:51]
	v_mul_f64 v[58:59], v[44:45], 0.5
	v_fma_f64 v[56:57], v[44:45], s[60:61], v[46:47]
	v_fma_f64 v[46:47], v[48:49], s[60:61], v[46:47]
	v_mul_f64 v[62:63], v[48:49], 0.5
	v_mul_f64 v[52:53], v[12:13], 0.5
	v_rndne_f64_e32 v[32:33], v[32:33]
	v_fma_f64 v[54:55], v[44:45], v[54:55], s[72:73]
	v_fma_f64 v[50:51], v[48:49], v[50:51], s[72:73]
	v_add_f64 v[64:65], -v[58:59], 1.0
	v_fma_f64 v[56:57], v[44:45], v[56:57], s[62:63]
	v_fma_f64 v[46:47], v[48:49], v[46:47], s[62:63]
	v_add_f64 v[68:69], -v[62:63], 1.0
	s_mov_b32 s53, s51
	v_fma_f64 v[34:35], v[32:33], s[30:31], v[2:3]
	v_fma_f64 v[54:55], v[44:45], v[54:55], s[74:75]
	;; [unrolled: 1-line block ×3, first 2 shown]
	v_mul_f64 v[66:67], v[10:11], -v[44:45]
	v_add_f64 v[70:71], -v[64:65], 1.0
	v_fma_f64 v[56:57], v[44:45], v[56:57], s[64:65]
	v_mul_f64 v[60:61], v[30:31], 0.5
	v_mul_f64 v[72:73], v[28:29], -v[48:49]
	v_fma_f64 v[34:35], v[32:33], s[34:35], v[34:35]
	v_fma_f64 v[54:55], v[44:45], v[54:55], s[46:47]
	;; [unrolled: 1-line block ×3, first 2 shown]
	v_add_f64 v[74:75], -v[68:69], 1.0
	v_fma_f64 v[50:51], v[48:49], v[50:51], s[46:47]
	v_add_f64 v[58:59], v[70:71], -v[58:59]
	v_fma_f64 v[56:57], v[44:45], v[56:57], s[66:67]
	s_mov_b32 s82, s50
	v_fma_f64 v[42:43], v[34:35], s[36:37], v[26:27]
	v_fma_f64 v[52:53], v[66:67], v[54:55], v[52:53]
	;; [unrolled: 1-line block ×3, first 2 shown]
	v_add_f64 v[62:63], v[74:75], -v[62:63]
	v_fma_f64 v[50:51], v[72:73], v[50:51], v[60:61]
	v_fma_f64 v[58:59], v[10:11], -v[12:13], v[58:59]
	v_mul_f64 v[54:55], v[44:45], v[44:45]
	v_fma_f64 v[56:57], v[44:45], v[56:57], s[50:51]
	v_fma_f64 v[42:43], v[34:35], v[42:43], s[38:39]
	v_fma_f64 v[12:13], v[44:45], v[52:53], -v[12:13]
	v_mul_f64 v[44:45], v[48:49], v[48:49]
	v_fma_f64 v[46:47], v[48:49], v[46:47], s[50:51]
	v_fma_f64 v[52:53], v[28:29], -v[30:31], v[62:63]
	v_fma_f64 v[30:31], v[48:49], v[50:51], -v[30:31]
	v_and_b32_e32 v23, 1, v40
	v_lshlrev_b32_e32 v50, 30, v40
	v_fma_f64 v[42:43], v[34:35], v[42:43], s[40:41]
	v_fma_f64 v[12:13], v[66:67], s[82:83], v[12:13]
	;; [unrolled: 1-line block ×3, first 2 shown]
	v_and_b32_e32 v51, 1, v41
	v_lshlrev_b32_e32 v54, 30, v41
	v_fma_f64 v[30:31], v[72:73], s[82:83], v[30:31]
	v_cmp_eq_u32_e32 vcc, 0, v23
	v_cmp_class_f64_e64 s[0:1], v[4:5], s76
	v_fma_f64 v[42:43], v[34:35], v[42:43], s[42:43]
	v_add_f64 v[10:11], v[10:11], -v[12:13]
	v_xor_b32_e32 v12, v54, v5
	v_cmp_eq_u32_e64 s[2:3], 0, v51
	v_add_f64 v[28:29], v[28:29], -v[30:31]
	v_cvt_i32_f64_e32 v30, v[32:33]
	v_fma_f64 v[42:43], v[34:35], v[42:43], s[44:45]
	v_xor_b32_e32 v11, 0x80000000, v11
	v_fma_f64 v[42:43], v[34:35], v[42:43], s[48:49]
	v_fma_f64 v[42:43], v[34:35], v[42:43], s[52:53]
	;; [unrolled: 1-line block ×4, first 2 shown]
	v_fma_f64 v[40:41], v[34:35], v[42:43], 1.0
	v_fma_f64 v[42:43], v[44:45], v[46:47], v[52:53]
	v_add_f64 v[44:45], v[64:65], v[48:49]
	v_and_b32_e32 v47, 0x80000000, v12
	v_and_b32_e32 v46, 0x80000000, v50
	v_fma_f64 v[12:13], v[34:35], v[40:41], 1.0
	v_add_f64 v[34:35], v[68:69], v[42:43]
	v_cndmask_b32_e32 v10, v10, v44, vcc
	v_cndmask_b32_e32 v11, v11, v45, vcc
	v_cmp_nlt_f64_e32 vcc, s[78:79], v[2:3]
	v_xor_b32_e32 v11, v11, v46
	v_cndmask_b32_e64 v10, 0, v10, s[0:1]
	v_cndmask_b32_e64 v11, v39, v11, s[0:1]
	v_ldexp_f64 v[4:5], v[12:13], v30
	v_cndmask_b32_e64 v12, v34, v28, s[2:3]
	v_cndmask_b32_e64 v13, v35, v29, s[2:3]
	v_cmp_ngt_f64_e64 s[2:3], s[80:81], v[2:3]
	v_xor_b32_e32 v13, v13, v47
	v_cndmask_b32_e64 v2, 0, v12, s[0:1]
	v_cndmask_b32_e64 v3, v39, v13, s[0:1]
	v_cndmask_b32_e32 v5, v38, v5, vcc
	v_cndmask_b32_e64 v5, 0, v5, s[2:3]
	v_and_b32_e32 v12, 0xfffff, v5
	s_and_b64 vcc, s[2:3], vcc
	v_lshrrev_b32_e32 v13, 20, v5
	v_or_b32_e32 v5, 0x7fe00000, v12
	v_cndmask_b32_e32 v4, 0, v4, vcc
	v_mul_f64 v[10:11], v[4:5], v[10:11]
	v_mul_f64 v[2:3], v[4:5], v[2:3]
	v_add_u32_e32 v13, 0xffffff09, v13
	v_lshrrev_b16_e32 v4, 15, v13
	v_add_u16_e32 v4, v13, v4
	v_ashrrev_i16_e32 v4, 1, v4
	v_bfe_i32 v28, v4, 0, 16
	v_lshl_add_u32 v23, v28, 20, v37
	v_mul_f64 v[4:5], v[10:11], v[22:23]
	v_mul_f64 v[2:3], v[2:3], v[22:23]
	v_sub_u32_e32 v10, v13, v28
	v_mov_b32_e32 v12, v22
	v_lshl_add_u32 v13, v10, 20, v37
	v_mul_f64 v[10:11], v[4:5], v[12:13]
	v_mul_f64 v[12:13], v[2:3], v[12:13]
.LBB137_356:                            ;   in Loop: Header=BB137_201 Depth=1
	s_or_b64 exec, exec, s[90:91]
                                        ; implicit-def: $vgpr2_vgpr3
                                        ; implicit-def: $vgpr23
.LBB137_357:                            ;   in Loop: Header=BB137_201 Depth=1
	s_andn2_saveexec_b64 s[2:3], s[88:89]
	s_cbranch_execz .LBB137_363
; %bb.358:                              ;   in Loop: Header=BB137_201 Depth=1
	v_add_f64 v[12:13], v[4:5], -v[4:5]
	v_cmp_ne_u32_e32 vcc, 0, v2
	v_cmp_ne_u32_e64 s[0:1], s95, v23
	s_or_b64 s[0:1], vcc, s[0:1]
	s_and_saveexec_b64 s[88:89], s[0:1]
	s_xor_b64 s[0:1], exec, s[88:89]
; %bb.359:                              ;   in Loop: Header=BB137_201 Depth=1
                                        ; implicit-def: $vgpr2_vgpr3
; %bb.360:                              ;   in Loop: Header=BB137_201 Depth=1
	s_or_saveexec_b64 s[0:1], s[0:1]
	v_mov_b32_e32 v10, v12
	v_mov_b32_e32 v11, v13
	s_xor_b64 exec, exec, s[0:1]
; %bb.361:                              ;   in Loop: Header=BB137_201 Depth=1
	v_cmp_lt_i64_e32 vcc, -1, v[2:3]
	v_cndmask_b32_e32 v11, 0, v3, vcc
	v_cndmask_b32_e32 v10, 0, v2, vcc
	;; [unrolled: 1-line block ×4, first 2 shown]
; %bb.362:                              ;   in Loop: Header=BB137_201 Depth=1
	s_or_b64 exec, exec, s[0:1]
.LBB137_363:                            ;   in Loop: Header=BB137_201 Depth=1
	s_or_b64 exec, exec, s[2:3]
                                        ; implicit-def: $vgpr4_vgpr5
.LBB137_364:                            ;   in Loop: Header=BB137_201 Depth=1
	s_andn2_saveexec_b64 s[2:3], s[86:87]
	s_cbranch_execz .LBB137_374
; %bb.365:                              ;   in Loop: Header=BB137_201 Depth=1
	v_cmp_nlt_f64_e64 s[86:87], |v[4:5]|, s[8:9]
                                        ; implicit-def: $vgpr30
                                        ; implicit-def: $vgpr2_vgpr3
                                        ; implicit-def: $vgpr10_vgpr11
	s_and_saveexec_b64 s[0:1], s[86:87]
	s_xor_b64 s[88:89], exec, s[0:1]
	s_cbranch_execz .LBB137_367
; %bb.366:                              ;   in Loop: Header=BB137_201 Depth=1
	v_trig_preop_f64 v[2:3], |v[4:5]|, 0
	v_ldexp_f64 v[12:13], |v[4:5]|, s77
	v_cmp_ge_f64_e64 vcc, |v[4:5]|, s[10:11]
	v_trig_preop_f64 v[10:11], |v[4:5]|, 1
	v_and_b32_e32 v23, 0x7fffffff, v5
	v_trig_preop_f64 v[34:35], |v[4:5]|, 2
	s_mov_b32 s14, s16
	s_mov_b32 s21, s19
	v_cndmask_b32_e32 v13, v23, v13, vcc
	v_cndmask_b32_e32 v12, v4, v12, vcc
	v_mul_f64 v[28:29], v[2:3], v[12:13]
	v_mul_f64 v[30:31], v[10:11], v[12:13]
	;; [unrolled: 1-line block ×3, first 2 shown]
	v_fma_f64 v[2:3], v[2:3], v[12:13], -v[28:29]
	v_fma_f64 v[10:11], v[10:11], v[12:13], -v[30:31]
	;; [unrolled: 1-line block ×3, first 2 shown]
	v_add_f64 v[32:33], v[30:31], v[2:3]
	v_add_f64 v[40:41], v[32:33], -v[30:31]
	v_add_f64 v[46:47], v[28:29], v[32:33]
	v_add_f64 v[42:43], v[32:33], -v[40:41]
	v_add_f64 v[2:3], v[2:3], -v[40:41]
	v_add_f64 v[40:41], v[44:45], v[10:11]
	v_add_f64 v[28:29], v[46:47], -v[28:29]
	v_add_f64 v[30:31], v[30:31], -v[42:43]
	v_ldexp_f64 v[42:43], v[46:47], -2
	v_add_f64 v[48:49], v[40:41], -v[44:45]
	v_add_f64 v[28:29], v[32:33], -v[28:29]
	v_add_f64 v[2:3], v[2:3], v[30:31]
	v_fract_f64_e32 v[30:31], v[42:43]
	v_cmp_neq_f64_e64 vcc, |v[42:43]|, s[12:13]
	v_add_f64 v[10:11], v[10:11], -v[48:49]
	v_add_f64 v[32:33], v[40:41], v[2:3]
	v_ldexp_f64 v[30:31], v[30:31], 2
	v_add_f64 v[42:43], v[28:29], v[32:33]
	v_cndmask_b32_e32 v31, 0, v31, vcc
	v_cndmask_b32_e32 v30, 0, v30, vcc
	v_add_f64 v[50:51], v[32:33], -v[40:41]
	v_add_f64 v[46:47], v[42:43], v[30:31]
	v_add_f64 v[28:29], v[42:43], -v[28:29]
	v_add_f64 v[52:53], v[32:33], -v[50:51]
	v_add_f64 v[2:3], v[2:3], -v[50:51]
	v_cmp_gt_f64_e32 vcc, 0, v[46:47]
	v_add_f64 v[46:47], v[40:41], -v[48:49]
	v_add_f64 v[28:29], v[32:33], -v[28:29]
	;; [unrolled: 1-line block ×3, first 2 shown]
	v_cndmask_b32_e32 v23, 0, v36, vcc
	v_add_f64 v[30:31], v[30:31], v[22:23]
	v_add_f64 v[46:47], v[44:45], -v[46:47]
	v_add_f64 v[2:3], v[2:3], v[40:41]
	v_add_f64 v[54:55], v[42:43], v[30:31]
	;; [unrolled: 1-line block ×3, first 2 shown]
	v_cvt_i32_f64_e32 v23, v[54:55]
	v_add_f64 v[2:3], v[10:11], v[2:3]
	v_cvt_f64_i32_e32 v[48:49], v23
	v_add_f64 v[30:31], v[30:31], -v[48:49]
	v_add_f64 v[2:3], v[12:13], v[2:3]
	v_add_f64 v[10:11], v[42:43], v[30:31]
	;; [unrolled: 1-line block ×3, first 2 shown]
	v_add_f64 v[12:13], v[10:11], -v[30:31]
	v_cmp_le_f64_e32 vcc, 0.5, v[10:11]
	v_add_f64 v[12:13], v[42:43], -v[12:13]
	v_addc_co_u32_e64 v30, s[0:1], 0, v23, vcc
	v_cndmask_b32_e32 v23, 0, v37, vcc
	v_add_f64 v[10:11], v[10:11], -v[22:23]
	v_add_f64 v[2:3], v[2:3], v[12:13]
	v_add_f64 v[12:13], v[10:11], v[2:3]
	v_mul_f64 v[28:29], v[12:13], s[14:15]
	v_add_f64 v[10:11], v[12:13], -v[10:11]
	v_fma_f64 v[31:32], v[12:13], s[14:15], -v[28:29]
	v_add_f64 v[2:3], v[2:3], -v[10:11]
	v_fma_f64 v[10:11], v[12:13], s[20:21], v[31:32]
	v_fma_f64 v[10:11], v[2:3], s[14:15], v[10:11]
	v_add_f64 v[2:3], v[28:29], v[10:11]
	v_add_f64 v[12:13], v[2:3], -v[28:29]
	v_add_f64 v[10:11], v[10:11], -v[12:13]
	s_andn2_saveexec_b64 s[0:1], s[88:89]
	s_cbranch_execz .LBB137_369
	s_branch .LBB137_368
.LBB137_367:                            ;   in Loop: Header=BB137_201 Depth=1
	s_andn2_saveexec_b64 s[0:1], s[88:89]
	s_cbranch_execz .LBB137_369
.LBB137_368:                            ;   in Loop: Header=BB137_201 Depth=1
	v_mul_f64 v[2:3], |v[4:5]|, s[22:23]
	s_mov_b32 s18, s24
	v_rndne_f64_e32 v[12:13], v[2:3]
	v_fma_f64 v[2:3], v[12:13], s[16:17], |v[4:5]|
	v_mul_f64 v[10:11], v[12:13], s[24:25]
	v_fma_f64 v[32:33], v[12:13], s[24:25], v[2:3]
	v_add_f64 v[28:29], v[2:3], v[10:11]
	v_add_f64 v[30:31], v[2:3], -v[28:29]
	v_add_f64 v[28:29], v[28:29], -v[32:33]
	v_add_f64 v[2:3], v[30:31], v[10:11]
	v_fma_f64 v[10:11], v[12:13], s[18:19], v[10:11]
	v_cvt_i32_f64_e32 v30, v[12:13]
	v_add_f64 v[2:3], v[28:29], v[2:3]
	v_add_f64 v[2:3], v[2:3], -v[10:11]
	v_fma_f64 v[10:11], v[12:13], s[26:27], v[2:3]
	v_add_f64 v[2:3], v[32:33], v[10:11]
	v_add_f64 v[28:29], v[2:3], -v[32:33]
	v_add_f64 v[10:11], v[10:11], -v[28:29]
.LBB137_369:                            ;   in Loop: Header=BB137_201 Depth=1
	s_or_b64 exec, exec, s[0:1]
                                        ; implicit-def: $vgpr31
                                        ; implicit-def: $vgpr12_vgpr13
                                        ; implicit-def: $vgpr28_vgpr29
	s_and_saveexec_b64 s[0:1], s[86:87]
	s_xor_b64 s[86:87], exec, s[0:1]
	s_cbranch_execz .LBB137_371
; %bb.370:                              ;   in Loop: Header=BB137_201 Depth=1
	v_trig_preop_f64 v[12:13], |v[4:5]|, 0
	v_ldexp_f64 v[31:32], |v[4:5]|, s77
	v_cmp_ge_f64_e64 vcc, |v[4:5]|, s[10:11]
	v_trig_preop_f64 v[28:29], |v[4:5]|, 1
	v_and_b32_e32 v23, 0x7fffffff, v5
	v_trig_preop_f64 v[44:45], |v[4:5]|, 2
	s_mov_b32 s14, s16
	s_mov_b32 s21, s19
	v_cndmask_b32_e32 v32, v23, v32, vcc
	v_cndmask_b32_e32 v31, v4, v31, vcc
	v_mul_f64 v[33:34], v[12:13], v[31:32]
	v_mul_f64 v[40:41], v[28:29], v[31:32]
	;; [unrolled: 1-line block ×3, first 2 shown]
	v_fma_f64 v[12:13], v[12:13], v[31:32], -v[33:34]
	v_fma_f64 v[28:29], v[28:29], v[31:32], -v[40:41]
	;; [unrolled: 1-line block ×3, first 2 shown]
	v_add_f64 v[42:43], v[40:41], v[12:13]
	v_add_f64 v[46:47], v[42:43], -v[40:41]
	v_add_f64 v[52:53], v[33:34], v[42:43]
	v_add_f64 v[48:49], v[42:43], -v[46:47]
	v_add_f64 v[12:13], v[12:13], -v[46:47]
	v_add_f64 v[46:47], v[50:51], v[28:29]
	v_add_f64 v[33:34], v[52:53], -v[33:34]
	v_add_f64 v[40:41], v[40:41], -v[48:49]
	v_ldexp_f64 v[48:49], v[52:53], -2
	v_add_f64 v[54:55], v[46:47], -v[50:51]
	v_add_f64 v[33:34], v[42:43], -v[33:34]
	v_add_f64 v[12:13], v[12:13], v[40:41]
	v_fract_f64_e32 v[40:41], v[48:49]
	v_cmp_neq_f64_e64 vcc, |v[48:49]|, s[12:13]
	v_add_f64 v[28:29], v[28:29], -v[54:55]
	v_add_f64 v[42:43], v[46:47], v[12:13]
	v_ldexp_f64 v[40:41], v[40:41], 2
	v_add_f64 v[48:49], v[33:34], v[42:43]
	v_cndmask_b32_e32 v41, 0, v41, vcc
	v_cndmask_b32_e32 v40, 0, v40, vcc
	v_add_f64 v[56:57], v[42:43], -v[46:47]
	v_add_f64 v[52:53], v[48:49], v[40:41]
	v_add_f64 v[33:34], v[48:49], -v[33:34]
	v_add_f64 v[58:59], v[42:43], -v[56:57]
	;; [unrolled: 1-line block ×3, first 2 shown]
	v_cmp_gt_f64_e32 vcc, 0, v[52:53]
	v_add_f64 v[52:53], v[46:47], -v[54:55]
	v_add_f64 v[33:34], v[42:43], -v[33:34]
	;; [unrolled: 1-line block ×3, first 2 shown]
	v_cndmask_b32_e32 v23, 0, v36, vcc
	v_add_f64 v[40:41], v[40:41], v[22:23]
	v_add_f64 v[52:53], v[50:51], -v[52:53]
	v_add_f64 v[12:13], v[12:13], v[46:47]
	v_add_f64 v[60:61], v[48:49], v[40:41]
	;; [unrolled: 1-line block ×3, first 2 shown]
	v_cvt_i32_f64_e32 v23, v[60:61]
	v_add_f64 v[12:13], v[28:29], v[12:13]
	v_cvt_f64_i32_e32 v[54:55], v23
	v_add_f64 v[40:41], v[40:41], -v[54:55]
	v_add_f64 v[12:13], v[31:32], v[12:13]
	v_add_f64 v[28:29], v[48:49], v[40:41]
	;; [unrolled: 1-line block ×3, first 2 shown]
	v_add_f64 v[31:32], v[28:29], -v[40:41]
	v_cmp_le_f64_e32 vcc, 0.5, v[28:29]
	v_add_f64 v[32:33], v[48:49], -v[31:32]
	v_addc_co_u32_e64 v31, s[0:1], 0, v23, vcc
	v_cndmask_b32_e32 v23, 0, v37, vcc
	v_add_f64 v[28:29], v[28:29], -v[22:23]
	v_add_f64 v[12:13], v[12:13], v[32:33]
	v_add_f64 v[32:33], v[28:29], v[12:13]
	v_mul_f64 v[34:35], v[32:33], s[14:15]
	v_add_f64 v[28:29], v[32:33], -v[28:29]
	v_fma_f64 v[40:41], v[32:33], s[14:15], -v[34:35]
	v_add_f64 v[12:13], v[12:13], -v[28:29]
	v_fma_f64 v[28:29], v[32:33], s[20:21], v[40:41]
	v_fma_f64 v[28:29], v[12:13], s[14:15], v[28:29]
	v_add_f64 v[12:13], v[34:35], v[28:29]
	v_add_f64 v[32:33], v[12:13], -v[34:35]
	v_add_f64 v[28:29], v[28:29], -v[32:33]
	s_andn2_saveexec_b64 s[0:1], s[86:87]
	s_cbranch_execnz .LBB137_372
	s_branch .LBB137_373
.LBB137_371:                            ;   in Loop: Header=BB137_201 Depth=1
	s_andn2_saveexec_b64 s[0:1], s[86:87]
	s_cbranch_execz .LBB137_373
.LBB137_372:                            ;   in Loop: Header=BB137_201 Depth=1
	v_mul_f64 v[12:13], |v[4:5]|, s[22:23]
	s_mov_b32 s18, s24
	v_rndne_f64_e32 v[31:32], v[12:13]
	v_fma_f64 v[12:13], v[31:32], s[16:17], |v[4:5]|
	v_mul_f64 v[28:29], v[31:32], s[24:25]
	v_fma_f64 v[42:43], v[31:32], s[24:25], v[12:13]
	v_add_f64 v[33:34], v[12:13], v[28:29]
	v_add_f64 v[40:41], v[12:13], -v[33:34]
	v_add_f64 v[33:34], v[33:34], -v[42:43]
	v_add_f64 v[12:13], v[40:41], v[28:29]
	v_fma_f64 v[28:29], v[31:32], s[18:19], v[28:29]
	v_add_f64 v[12:13], v[33:34], v[12:13]
	v_add_f64 v[12:13], v[12:13], -v[28:29]
	v_fma_f64 v[28:29], v[31:32], s[26:27], v[12:13]
	v_cvt_i32_f64_e32 v31, v[31:32]
	v_add_f64 v[12:13], v[42:43], v[28:29]
	v_add_f64 v[33:34], v[12:13], -v[42:43]
	v_add_f64 v[28:29], v[28:29], -v[33:34]
.LBB137_373:                            ;   in Loop: Header=BB137_201 Depth=1
	s_or_b64 exec, exec, s[0:1]
	v_mul_f64 v[32:33], v[2:3], v[2:3]
	v_mov_b32_e32 v44, s58
	v_mov_b32_e32 v45, s59
	v_mul_f64 v[48:49], v[10:11], 0.5
	s_mov_b32 s82, s50
	v_mul_f64 v[34:35], v[32:33], 0.5
	v_fma_f64 v[46:47], v[32:33], s[60:61], v[44:45]
	v_add_f64 v[40:41], -v[34:35], 1.0
	v_fma_f64 v[46:47], v[32:33], v[46:47], s[62:63]
	v_add_f64 v[42:43], -v[40:41], 1.0
	v_fma_f64 v[46:47], v[32:33], v[46:47], s[64:65]
	v_add_f64 v[34:35], v[42:43], -v[34:35]
	v_fma_f64 v[46:47], v[32:33], v[46:47], s[66:67]
	v_mul_f64 v[42:43], v[32:33], v[32:33]
	v_fma_f64 v[34:35], v[2:3], -v[10:11], v[34:35]
	v_fma_f64 v[46:47], v[32:33], v[46:47], s[50:51]
	v_fma_f64 v[34:35], v[42:43], v[46:47], v[34:35]
	v_mul_f64 v[46:47], v[2:3], -v[32:33]
	v_add_f64 v[34:35], v[40:41], v[34:35]
	v_mov_b32_e32 v40, s68
	v_mov_b32_e32 v41, s69
	v_fma_f64 v[42:43], v[32:33], s[70:71], v[40:41]
	v_fma_f64 v[42:43], v[32:33], v[42:43], s[72:73]
	;; [unrolled: 1-line block ×5, first 2 shown]
	v_fma_f64 v[10:11], v[32:33], v[42:43], -v[10:11]
	v_fma_f64 v[10:11], v[46:47], s[82:83], v[10:11]
	v_add_f64 v[2:3], v[2:3], -v[10:11]
	v_and_b32_e32 v10, 1, v30
	v_cmp_eq_u32_e32 vcc, 0, v10
	v_lshlrev_b32_e32 v10, 30, v30
	v_and_b32_e32 v10, 0x80000000, v10
	v_xor_b32_e32 v3, 0x80000000, v3
	v_cndmask_b32_e32 v2, v2, v34, vcc
	v_cndmask_b32_e32 v3, v3, v35, vcc
	v_cmp_class_f64_e64 vcc, v[4:5], s76
	v_xor_b32_e32 v3, v3, v10
	v_and_b32_e32 v4, 1, v31
	v_cmp_eq_u32_e64 s[0:1], 0, v4
	v_lshlrev_b32_e32 v4, 30, v31
	v_xor_b32_e32 v4, v4, v5
	v_and_b32_e32 v4, 0x80000000, v4
	v_cndmask_b32_e32 v10, 0, v2, vcc
	v_cndmask_b32_e32 v11, v39, v3, vcc
	v_mul_f64 v[2:3], v[12:13], v[12:13]
	v_mul_f64 v[32:33], v[2:3], 0.5
	v_fma_f64 v[44:45], v[2:3], s[60:61], v[44:45]
	v_add_f64 v[34:35], -v[32:33], 1.0
	v_fma_f64 v[44:45], v[2:3], v[44:45], s[62:63]
	v_add_f64 v[42:43], -v[34:35], 1.0
	v_fma_f64 v[44:45], v[2:3], v[44:45], s[64:65]
	v_add_f64 v[32:33], v[42:43], -v[32:33]
	v_fma_f64 v[44:45], v[2:3], v[44:45], s[66:67]
	v_mul_f64 v[42:43], v[2:3], v[2:3]
	v_fma_f64 v[32:33], v[12:13], -v[28:29], v[32:33]
	v_fma_f64 v[44:45], v[2:3], v[44:45], s[50:51]
	v_fma_f64 v[32:33], v[42:43], v[44:45], v[32:33]
	v_mul_f64 v[42:43], v[28:29], 0.5
	v_add_f64 v[32:33], v[34:35], v[32:33]
	v_fma_f64 v[34:35], v[2:3], s[70:71], v[40:41]
	v_mul_f64 v[40:41], v[12:13], -v[2:3]
	v_fma_f64 v[34:35], v[2:3], v[34:35], s[72:73]
	v_fma_f64 v[34:35], v[2:3], v[34:35], s[74:75]
	;; [unrolled: 1-line block ×4, first 2 shown]
	v_fma_f64 v[2:3], v[2:3], v[34:35], -v[28:29]
	v_fma_f64 v[2:3], v[40:41], s[82:83], v[2:3]
	v_add_f64 v[2:3], v[12:13], -v[2:3]
	v_cndmask_b32_e64 v3, v33, v3, s[0:1]
	v_cndmask_b32_e64 v2, v32, v2, s[0:1]
	v_xor_b32_e32 v3, v3, v4
	v_cndmask_b32_e32 v12, 0, v2, vcc
	v_cndmask_b32_e32 v13, v39, v3, vcc
.LBB137_374:                            ;   in Loop: Header=BB137_201 Depth=1
	s_or_b64 exec, exec, s[2:3]
                                        ; implicit-def: $vgpr2_vgpr3
.LBB137_375:                            ;   in Loop: Header=BB137_201 Depth=1
	s_andn2_saveexec_b64 s[2:3], s[84:85]
	s_cbranch_execz .LBB137_200
; %bb.376:                              ;   in Loop: Header=BB137_201 Depth=1
	v_mul_f64 v[10:11], v[2:3], s[28:29]
	s_mov_b32 s49, s47
	s_mov_b32 s53, s51
	v_cmp_nlt_f64_e32 vcc, s[78:79], v[2:3]
	v_cmp_ngt_f64_e64 s[0:1], s[80:81], v[2:3]
	v_rndne_f64_e32 v[10:11], v[10:11]
	v_fma_f64 v[12:13], v[10:11], s[30:31], v[2:3]
	v_fma_f64 v[12:13], v[10:11], s[34:35], v[12:13]
	v_cvt_i32_f64_e32 v10, v[10:11]
	v_fma_f64 v[28:29], v[12:13], s[36:37], v[26:27]
	v_fma_f64 v[28:29], v[12:13], v[28:29], s[38:39]
	;; [unrolled: 1-line block ×9, first 2 shown]
	v_fma_f64 v[28:29], v[12:13], v[28:29], 1.0
	v_fma_f64 v[12:13], v[12:13], v[28:29], 1.0
	v_ldexp_f64 v[10:11], v[12:13], v10
	v_mov_b32_e32 v13, v5
	v_mov_b32_e32 v12, v4
	v_cndmask_b32_e32 v11, v38, v11, vcc
	s_and_b64 vcc, s[0:1], vcc
	v_cndmask_b32_e64 v11, 0, v11, s[0:1]
	v_cndmask_b32_e32 v10, 0, v10, vcc
	s_branch .LBB137_200
.LBB137_377:
	s_endpgm
	.section	.rodata,"a",@progbits
	.p2align	6, 0x0
	.amdhsa_kernel _ZN2at6native12_GLOBAL__N_125multi_tensor_apply_kernelINS1_18TensorListMetadataILi1EEENS1_14UnaryOpFunctorIN3c107complexIdEELi1ELi1ELi0EEEJNS0_3ExpIS8_EEEEEvT_T0_DpT1_
		.amdhsa_group_segment_fixed_size 0
		.amdhsa_private_segment_fixed_size 0
		.amdhsa_kernarg_size 3632
		.amdhsa_user_sgpr_count 6
		.amdhsa_user_sgpr_private_segment_buffer 1
		.amdhsa_user_sgpr_dispatch_ptr 0
		.amdhsa_user_sgpr_queue_ptr 0
		.amdhsa_user_sgpr_kernarg_segment_ptr 1
		.amdhsa_user_sgpr_dispatch_id 0
		.amdhsa_user_sgpr_flat_scratch_init 0
		.amdhsa_user_sgpr_private_segment_size 0
		.amdhsa_uses_dynamic_stack 0
		.amdhsa_system_sgpr_private_segment_wavefront_offset 0
		.amdhsa_system_sgpr_workgroup_id_x 1
		.amdhsa_system_sgpr_workgroup_id_y 0
		.amdhsa_system_sgpr_workgroup_id_z 0
		.amdhsa_system_sgpr_workgroup_info 0
		.amdhsa_system_vgpr_workitem_id 0
		.amdhsa_next_free_vgpr 78
		.amdhsa_next_free_sgpr 96
		.amdhsa_reserve_vcc 1
		.amdhsa_reserve_flat_scratch 0
		.amdhsa_float_round_mode_32 0
		.amdhsa_float_round_mode_16_64 0
		.amdhsa_float_denorm_mode_32 3
		.amdhsa_float_denorm_mode_16_64 3
		.amdhsa_dx10_clamp 1
		.amdhsa_ieee_mode 1
		.amdhsa_fp16_overflow 0
		.amdhsa_exception_fp_ieee_invalid_op 0
		.amdhsa_exception_fp_denorm_src 0
		.amdhsa_exception_fp_ieee_div_zero 0
		.amdhsa_exception_fp_ieee_overflow 0
		.amdhsa_exception_fp_ieee_underflow 0
		.amdhsa_exception_fp_ieee_inexact 0
		.amdhsa_exception_int_div_zero 0
	.end_amdhsa_kernel
	.section	.text._ZN2at6native12_GLOBAL__N_125multi_tensor_apply_kernelINS1_18TensorListMetadataILi1EEENS1_14UnaryOpFunctorIN3c107complexIdEELi1ELi1ELi0EEEJNS0_3ExpIS8_EEEEEvT_T0_DpT1_,"axG",@progbits,_ZN2at6native12_GLOBAL__N_125multi_tensor_apply_kernelINS1_18TensorListMetadataILi1EEENS1_14UnaryOpFunctorIN3c107complexIdEELi1ELi1ELi0EEEJNS0_3ExpIS8_EEEEEvT_T0_DpT1_,comdat
.Lfunc_end137:
	.size	_ZN2at6native12_GLOBAL__N_125multi_tensor_apply_kernelINS1_18TensorListMetadataILi1EEENS1_14UnaryOpFunctorIN3c107complexIdEELi1ELi1ELi0EEEJNS0_3ExpIS8_EEEEEvT_T0_DpT1_, .Lfunc_end137-_ZN2at6native12_GLOBAL__N_125multi_tensor_apply_kernelINS1_18TensorListMetadataILi1EEENS1_14UnaryOpFunctorIN3c107complexIdEELi1ELi1ELi0EEEJNS0_3ExpIS8_EEEEEvT_T0_DpT1_
                                        ; -- End function
	.set _ZN2at6native12_GLOBAL__N_125multi_tensor_apply_kernelINS1_18TensorListMetadataILi1EEENS1_14UnaryOpFunctorIN3c107complexIdEELi1ELi1ELi0EEEJNS0_3ExpIS8_EEEEEvT_T0_DpT1_.num_vgpr, 78
	.set _ZN2at6native12_GLOBAL__N_125multi_tensor_apply_kernelINS1_18TensorListMetadataILi1EEENS1_14UnaryOpFunctorIN3c107complexIdEELi1ELi1ELi0EEEJNS0_3ExpIS8_EEEEEvT_T0_DpT1_.num_agpr, 0
	.set _ZN2at6native12_GLOBAL__N_125multi_tensor_apply_kernelINS1_18TensorListMetadataILi1EEENS1_14UnaryOpFunctorIN3c107complexIdEELi1ELi1ELi0EEEJNS0_3ExpIS8_EEEEEvT_T0_DpT1_.numbered_sgpr, 96
	.set _ZN2at6native12_GLOBAL__N_125multi_tensor_apply_kernelINS1_18TensorListMetadataILi1EEENS1_14UnaryOpFunctorIN3c107complexIdEELi1ELi1ELi0EEEJNS0_3ExpIS8_EEEEEvT_T0_DpT1_.num_named_barrier, 0
	.set _ZN2at6native12_GLOBAL__N_125multi_tensor_apply_kernelINS1_18TensorListMetadataILi1EEENS1_14UnaryOpFunctorIN3c107complexIdEELi1ELi1ELi0EEEJNS0_3ExpIS8_EEEEEvT_T0_DpT1_.private_seg_size, 0
	.set _ZN2at6native12_GLOBAL__N_125multi_tensor_apply_kernelINS1_18TensorListMetadataILi1EEENS1_14UnaryOpFunctorIN3c107complexIdEELi1ELi1ELi0EEEJNS0_3ExpIS8_EEEEEvT_T0_DpT1_.uses_vcc, 1
	.set _ZN2at6native12_GLOBAL__N_125multi_tensor_apply_kernelINS1_18TensorListMetadataILi1EEENS1_14UnaryOpFunctorIN3c107complexIdEELi1ELi1ELi0EEEJNS0_3ExpIS8_EEEEEvT_T0_DpT1_.uses_flat_scratch, 0
	.set _ZN2at6native12_GLOBAL__N_125multi_tensor_apply_kernelINS1_18TensorListMetadataILi1EEENS1_14UnaryOpFunctorIN3c107complexIdEELi1ELi1ELi0EEEJNS0_3ExpIS8_EEEEEvT_T0_DpT1_.has_dyn_sized_stack, 0
	.set _ZN2at6native12_GLOBAL__N_125multi_tensor_apply_kernelINS1_18TensorListMetadataILi1EEENS1_14UnaryOpFunctorIN3c107complexIdEELi1ELi1ELi0EEEJNS0_3ExpIS8_EEEEEvT_T0_DpT1_.has_recursion, 0
	.set _ZN2at6native12_GLOBAL__N_125multi_tensor_apply_kernelINS1_18TensorListMetadataILi1EEENS1_14UnaryOpFunctorIN3c107complexIdEELi1ELi1ELi0EEEJNS0_3ExpIS8_EEEEEvT_T0_DpT1_.has_indirect_call, 0
	.section	.AMDGPU.csdata,"",@progbits
; Kernel info:
; codeLenInByte = 59084
; TotalNumSgprs: 100
; NumVgprs: 78
; ScratchSize: 0
; MemoryBound: 1
; FloatMode: 240
; IeeeMode: 1
; LDSByteSize: 0 bytes/workgroup (compile time only)
; SGPRBlocks: 12
; VGPRBlocks: 19
; NumSGPRsForWavesPerEU: 100
; NumVGPRsForWavesPerEU: 78
; Occupancy: 3
; WaveLimiterHint : 0
; COMPUTE_PGM_RSRC2:SCRATCH_EN: 0
; COMPUTE_PGM_RSRC2:USER_SGPR: 6
; COMPUTE_PGM_RSRC2:TRAP_HANDLER: 0
; COMPUTE_PGM_RSRC2:TGID_X_EN: 1
; COMPUTE_PGM_RSRC2:TGID_Y_EN: 0
; COMPUTE_PGM_RSRC2:TGID_Z_EN: 0
; COMPUTE_PGM_RSRC2:TIDIG_COMP_CNT: 0
	.section	.text._ZN2at6native12_GLOBAL__N_125multi_tensor_apply_kernelINS1_18TensorListMetadataILi1EEENS1_14UnaryOpFunctorIN3c107complexIfEELi1ELi1ELi0EEEJNS0_3ExpIS8_EEEEEvT_T0_DpT1_,"axG",@progbits,_ZN2at6native12_GLOBAL__N_125multi_tensor_apply_kernelINS1_18TensorListMetadataILi1EEENS1_14UnaryOpFunctorIN3c107complexIfEELi1ELi1ELi0EEEJNS0_3ExpIS8_EEEEEvT_T0_DpT1_,comdat
	.globl	_ZN2at6native12_GLOBAL__N_125multi_tensor_apply_kernelINS1_18TensorListMetadataILi1EEENS1_14UnaryOpFunctorIN3c107complexIfEELi1ELi1ELi0EEEJNS0_3ExpIS8_EEEEEvT_T0_DpT1_ ; -- Begin function _ZN2at6native12_GLOBAL__N_125multi_tensor_apply_kernelINS1_18TensorListMetadataILi1EEENS1_14UnaryOpFunctorIN3c107complexIfEELi1ELi1ELi0EEEJNS0_3ExpIS8_EEEEEvT_T0_DpT1_
	.p2align	8
	.type	_ZN2at6native12_GLOBAL__N_125multi_tensor_apply_kernelINS1_18TensorListMetadataILi1EEENS1_14UnaryOpFunctorIN3c107complexIfEELi1ELi1ELi0EEEJNS0_3ExpIS8_EEEEEvT_T0_DpT1_,@function
_ZN2at6native12_GLOBAL__N_125multi_tensor_apply_kernelINS1_18TensorListMetadataILi1EEENS1_14UnaryOpFunctorIN3c107complexIfEELi1ELi1ELi0EEEJNS0_3ExpIS8_EEEEEvT_T0_DpT1_: ; @_ZN2at6native12_GLOBAL__N_125multi_tensor_apply_kernelINS1_18TensorListMetadataILi1EEENS1_14UnaryOpFunctorIN3c107complexIfEELi1ELi1ELi0EEEJNS0_3ExpIS8_EEEEEvT_T0_DpT1_
; %bb.0:
	v_mov_b32_e32 v1, s6
	global_load_ubyte v1, v1, s[4:5] offset:1760
	s_add_u32 s0, s4, s6
	s_mul_hi_u32 s1, s6, 3
	s_mul_i32 s6, s6, 3
	s_addc_u32 s2, s5, 0
	s_add_u32 s0, s0, s6
	s_addc_u32 s1, s2, s1
	s_load_dword s0, s[0:1], 0x820
	s_mov_b32 s7, 0
	s_waitcnt vmcnt(0)
	v_readfirstlane_b32 s1, v1
	s_lshl_b32 s1, s1, 3
	s_load_dwordx2 s[16:17], s[4:5], s1 offset:0x0
	s_load_dwordx2 s[2:3], s[4:5], s1 offset:0x370
	s_waitcnt lgkmcnt(0)
	s_ashr_i32 s1, s0, 31
	s_lshl_b64 s[18:19], s[0:1], 19
	s_add_u32 s33, s16, s18
	s_addc_u32 s42, s17, s19
	s_lshl_b64 s[0:1], s[0:1], 16
	s_and_b32 s6, s33, 31
	s_sub_u32 s20, s2, s0
	s_subb_u32 s21, s3, s1
	s_and_b32 s0, s2, 3
	s_mov_b32 s1, s7
	s_or_b64 s[0:1], s[6:7], s[0:1]
	s_cmp_eq_u64 s[0:1], 0
	s_cbranch_scc1 .LBB138_197
; %bb.1:
	v_cmp_lt_i64_e64 s[0:1], s[20:21], 1
	s_and_b64 vcc, exec, s[0:1]
	s_cbranch_vccnz .LBB138_196
; %bb.2:
	v_mov_b32_e32 v3, 0x10000
	s_load_dword s2, s[4:5], 0xd3c
	v_mov_b32_e32 v4, 0
	v_cmp_lt_i64_e32 vcc, s[20:21], v[3:4]
	v_mov_b32_e32 v2, 0
	s_and_b64 s[0:1], vcc, exec
	v_cmp_lt_u64_e32 vcc, s[20:21], v[3:4]
	s_cselect_b32 s23, s21, 0
	s_cselect_b32 s22, s20, 0x10000
	s_waitcnt lgkmcnt(0)
	s_and_b32 s2, s2, 0xffff
	s_and_b64 s[0:1], vcc, exec
	s_mul_i32 s6, s2, 3
	v_add_co_u32_e32 v16, vcc, s2, v0
	v_lshlrev_b32_e32 v3, 3, v0
	v_mov_b32_e32 v4, v2
	v_addc_co_u32_e64 v17, s[0:1], 0, 0, vcc
	v_add_co_u32_e32 v18, vcc, s6, v0
	v_mad_u64_u32 v[4:5], s[0:1], s2, 24, v[3:4]
	v_addc_co_u32_e64 v19, s[0:1], 0, 0, vcc
	s_cselect_b32 s25, s21, 0
	s_cselect_b32 s24, s20, 0x10000
	s_lshl_b32 s0, s2, 4
	s_lshl_b32 s3, s2, 1
	v_add_co_u32_e32 v1, vcc, s0, v3
	v_addc_co_u32_e64 v21, s[0:1], 0, 0, vcc
	v_add_co_u32_e32 v23, vcc, s3, v0
	s_lshl_b32 s43, s2, 2
	s_lshl_b32 s44, s2, 5
	v_or_b32_e32 v4, 4, v4
	v_lshlrev_b32_e32 v20, 3, v16
	v_or_b32_e32 v22, 4, v1
	v_addc_co_u32_e64 v24, s[0:1], 0, 0, vcc
	s_mov_b64 s[26:27], 0
	s_mov_b32 s45, 0x7f800000
	s_mov_b32 s46, 0x8e8e5c
	s_brev_b32 s47, 18
	s_mov_b32 s48, 0xfe5163ab
	s_mov_b32 s49, 0x3c439041
	;; [unrolled: 1-line block ×13, first 2 shown]
	v_mov_b32_e32 v25, 0xbe2aaa9d
	v_mov_b32_e32 v26, 0x3d2aabf7
	v_mov_b32_e32 v27, 0xbf000004
	s_brev_b32 s61, 1
	s_movk_i32 s62, 0x1f8
	v_not_b32_e32 v28, 63
	v_not_b32_e32 v29, 31
	v_mov_b32_e32 v30, 0x7f800000
	v_mov_b32_e32 v31, 0x7fc00000
	s_branch .LBB138_4
.LBB138_3:                              ;   in Loop: Header=BB138_4 Depth=1
	s_or_b64 exec, exec, s[0:1]
	s_add_u32 s26, s26, s43
	v_mov_b32_e32 v6, s22
	s_addc_u32 s27, s27, 0
	v_mov_b32_e32 v7, s23
	v_cmp_ge_i64_e32 vcc, s[26:27], v[6:7]
	s_add_u32 s33, s33, s44
	s_addc_u32 s42, s42, 0
	s_cbranch_vccnz .LBB138_196
.LBB138_4:                              ; =>This Inner Loop Header: Depth=1
	v_mov_b32_e32 v1, s27
	v_add_co_u32_e32 v6, vcc, s26, v0
	v_addc_co_u32_e32 v7, vcc, 0, v1, vcc
	v_cmp_gt_u64_e32 vcc, s[24:25], v[6:7]
	v_mov_b32_e32 v13, 0
	v_mov_b32_e32 v12, 0
	s_and_saveexec_b64 s[2:3], vcc
	s_cbranch_execz .LBB138_6
; %bb.5:                                ;   in Loop: Header=BB138_4 Depth=1
	v_mov_b32_e32 v1, s42
	v_add_co_u32_e64 v6, s[0:1], s33, v3
	v_addc_co_u32_e64 v7, s[0:1], 0, v1, s[0:1]
	global_load_dwordx2 v[12:13], v[6:7], off
.LBB138_6:                              ;   in Loop: Header=BB138_4 Depth=1
	s_or_b64 exec, exec, s[2:3]
	v_mov_b32_e32 v1, s27
	v_add_co_u32_e64 v6, s[0:1], s26, v16
	v_addc_co_u32_e64 v7, s[0:1], v17, v1, s[0:1]
	v_cmp_gt_u64_e64 s[0:1], s[24:25], v[6:7]
	v_mov_b32_e32 v11, 0
	v_mov_b32_e32 v15, 0
	;; [unrolled: 1-line block ×3, first 2 shown]
	s_and_saveexec_b64 s[6:7], s[0:1]
	s_cbranch_execz .LBB138_8
; %bb.7:                                ;   in Loop: Header=BB138_4 Depth=1
	v_mov_b32_e32 v1, s42
	v_add_co_u32_e64 v6, s[2:3], s33, v20
	v_addc_co_u32_e64 v7, s[2:3], 0, v1, s[2:3]
	global_load_dwordx2 v[14:15], v[6:7], off
.LBB138_8:                              ;   in Loop: Header=BB138_4 Depth=1
	s_or_b64 exec, exec, s[6:7]
	v_mov_b32_e32 v1, s27
	v_add_co_u32_e64 v6, s[2:3], s26, v23
	v_addc_co_u32_e64 v7, s[2:3], v24, v1, s[2:3]
	v_cmp_gt_u64_e64 s[2:3], s[24:25], v[6:7]
	v_mov_b32_e32 v10, 0
	s_and_saveexec_b64 s[8:9], s[2:3]
	s_cbranch_execz .LBB138_10
; %bb.9:                                ;   in Loop: Header=BB138_4 Depth=1
	v_mov_b32_e32 v1, s42
	v_add_co_u32_e64 v6, s[6:7], s33, v22
	v_addc_co_u32_e64 v7, s[6:7], v1, v21, s[6:7]
	global_load_dwordx2 v[10:11], v[6:7], off offset:-4
.LBB138_10:                             ;   in Loop: Header=BB138_4 Depth=1
	s_or_b64 exec, exec, s[8:9]
	v_mov_b32_e32 v1, s27
	v_add_co_u32_e64 v6, s[6:7], s26, v18
	v_addc_co_u32_e64 v7, s[6:7], v19, v1, s[6:7]
	v_cmp_gt_u64_e64 s[6:7], s[24:25], v[6:7]
	v_mov_b32_e32 v7, 0
	v_mov_b32_e32 v6, 0
	s_and_saveexec_b64 s[10:11], s[6:7]
	s_cbranch_execz .LBB138_12
; %bb.11:                               ;   in Loop: Header=BB138_4 Depth=1
	v_mov_b32_e32 v1, s42
	v_add_co_u32_e64 v6, s[8:9], s33, v4
	v_addc_co_u32_e64 v7, s[8:9], v1, v5, s[8:9]
	global_load_dwordx2 v[6:7], v[6:7], off offset:-4
.LBB138_12:                             ;   in Loop: Header=BB138_4 Depth=1
	s_or_b64 exec, exec, s[10:11]
	s_waitcnt vmcnt(0)
	v_and_b32_e32 v32, 0x7fffffff, v13
	v_cmp_ne_u32_e64 s[8:9], 0, v32
                                        ; implicit-def: $vgpr9
	s_and_saveexec_b64 s[10:11], s[8:9]
	s_xor_b64 s[28:29], exec, s[10:11]
	s_cbranch_execz .LBB138_54
; %bb.13:                               ;   in Loop: Header=BB138_4 Depth=1
	v_and_b32_e32 v1, 0x7fffffff, v12
	v_cmp_ne_u32_e64 s[8:9], 0, v1
                                        ; implicit-def: $vgpr9
	s_and_saveexec_b64 s[10:11], s[8:9]
	s_xor_b64 s[30:31], exec, s[10:11]
	s_cbranch_execz .LBB138_43
; %bb.14:                               ;   in Loop: Header=BB138_4 Depth=1
	v_cmp_gt_u32_e64 s[8:9], s45, v32
                                        ; implicit-def: $vgpr9
	s_and_saveexec_b64 s[10:11], s[8:9]
	s_xor_b64 s[34:35], exec, s[10:11]
	s_cbranch_execz .LBB138_36
; %bb.15:                               ;   in Loop: Header=BB138_4 Depth=1
	v_add_u32_e32 v1, 0xbd4e8de8, v12
	v_cmp_lt_u32_e64 s[8:9], s46, v1
                                        ; implicit-def: $vgpr9
	s_and_saveexec_b64 s[10:11], s[8:9]
	s_xor_b64 s[36:37], exec, s[10:11]
	s_cbranch_execz .LBB138_25
; %bb.16:                               ;   in Loop: Header=BB138_4 Depth=1
	v_cmp_nlt_f32_e64 s[38:39], |v13|, s47
                                        ; implicit-def: $vgpr8
                                        ; implicit-def: $vgpr9
	s_and_saveexec_b64 s[8:9], s[38:39]
	s_xor_b64 s[40:41], exec, s[8:9]
	s_cbranch_execz .LBB138_18
; %bb.17:                               ;   in Loop: Header=BB138_4 Depth=1
	v_and_b32_e32 v1, 0x7fffff, v32
	v_or_b32_e32 v39, 0x800000, v1
	v_mad_u64_u32 v[8:9], s[8:9], v39, s48, 0
	v_mov_b32_e32 v1, v9
	v_mad_u64_u32 v[33:34], s[8:9], v39, s49, v[1:2]
	v_mov_b32_e32 v1, v34
	;; [unrolled: 2-line block ×3, first 2 shown]
	v_mad_u64_u32 v[35:36], s[8:9], v39, s51, v[1:2]
	v_lshrrev_b32_e32 v1, 23, v32
	v_add_u32_e32 v9, 0xffffff88, v1
	v_mov_b32_e32 v1, v36
	v_mad_u64_u32 v[36:37], s[8:9], v39, s52, v[1:2]
	v_cmp_lt_u32_e64 s[8:9], 63, v9
	v_cndmask_b32_e64 v1, 0, v28, s[8:9]
	v_add_u32_e32 v9, v1, v9
	v_mov_b32_e32 v1, v37
	v_mad_u64_u32 v[37:38], s[10:11], v39, s53, v[1:2]
	v_cmp_lt_u32_e64 s[10:11], 31, v9
	v_cndmask_b32_e64 v1, 0, v29, s[10:11]
	;; [unrolled: 5-line block ×3, first 2 shown]
	v_add_u32_e32 v1, v1, v9
	v_cndmask_b32_e64 v9, v37, v35, s[8:9]
	v_cndmask_b32_e64 v38, v38, v36, s[8:9]
	;; [unrolled: 1-line block ×10, first 2 shown]
	v_sub_u32_e32 v39, 32, v1
	v_cndmask_b32_e64 v35, v36, v33, s[10:11]
	v_alignbit_b32 v40, v37, v38, v39
	v_cmp_eq_u32_e64 s[14:15], 0, v1
	v_cndmask_b32_e64 v9, v9, v35, s[12:13]
	v_cndmask_b32_e64 v1, v40, v37, s[14:15]
	v_alignbit_b32 v36, v38, v9, v39
	v_cndmask_b32_e64 v8, v34, v8, s[8:9]
	v_cndmask_b32_e64 v36, v36, v38, s[14:15]
	v_bfe_u32 v40, v1, 29, 1
	v_cndmask_b32_e64 v8, v33, v8, s[10:11]
	v_alignbit_b32 v37, v1, v36, 30
	v_sub_u32_e32 v41, 0, v40
	v_cndmask_b32_e64 v8, v35, v8, s[12:13]
	v_xor_b32_e32 v37, v37, v41
	v_alignbit_b32 v33, v9, v8, v39
	v_cndmask_b32_e64 v9, v33, v9, s[14:15]
	v_ffbh_u32_e32 v34, v37
	v_alignbit_b32 v33, v36, v9, 30
	v_min_u32_e32 v34, 32, v34
	v_alignbit_b32 v8, v9, v8, 30
	v_xor_b32_e32 v33, v33, v41
	v_sub_u32_e32 v35, 31, v34
	v_xor_b32_e32 v8, v8, v41
	v_alignbit_b32 v36, v37, v33, v35
	v_alignbit_b32 v8, v33, v8, v35
	v_alignbit_b32 v9, v36, v8, 9
	v_ffbh_u32_e32 v33, v9
	v_min_u32_e32 v33, 32, v33
	v_lshrrev_b32_e32 v38, 29, v1
	v_not_b32_e32 v35, v33
	v_alignbit_b32 v8, v9, v8, v35
	v_lshlrev_b32_e32 v9, 31, v38
	v_or_b32_e32 v35, 0x33000000, v9
	v_add_lshl_u32 v33, v33, v34, 23
	v_lshrrev_b32_e32 v8, 9, v8
	v_sub_u32_e32 v33, v35, v33
	v_or_b32_e32 v9, 0.5, v9
	v_lshlrev_b32_e32 v34, 23, v34
	v_or_b32_e32 v8, v33, v8
	v_lshrrev_b32_e32 v33, 9, v36
	v_sub_u32_e32 v9, v9, v34
	v_or_b32_e32 v9, v33, v9
	v_mul_f32_e32 v33, 0x3fc90fda, v9
	v_fma_f32 v34, v9, s55, -v33
	v_fmac_f32_e32 v34, 0x33a22168, v9
	v_fmac_f32_e32 v34, 0x3fc90fda, v8
	v_lshrrev_b32_e32 v1, 30, v1
	v_add_f32_e32 v9, v33, v34
	v_add_u32_e32 v8, v40, v1
	s_andn2_saveexec_b64 s[8:9], s[40:41]
	s_branch .LBB138_19
.LBB138_18:                             ;   in Loop: Header=BB138_4 Depth=1
	s_andn2_saveexec_b64 s[8:9], s[40:41]
.LBB138_19:                             ;   in Loop: Header=BB138_4 Depth=1
	v_mul_f32_e64 v1, |v13|, s56
	v_rndne_f32_e32 v1, v1
	v_cvt_i32_f32_e32 v8, v1
	v_fma_f32 v9, v1, s57, |v13|
	v_fmac_f32_e32 v9, 0xb3a22168, v1
	v_fmac_f32_e32 v9, 0xa7c234c4, v1
; %bb.20:                               ;   in Loop: Header=BB138_4 Depth=1
	s_or_b64 exec, exec, s[8:9]
                                        ; implicit-def: $vgpr1
                                        ; implicit-def: $vgpr33
	s_and_saveexec_b64 s[8:9], s[38:39]
	s_xor_b64 s[38:39], exec, s[8:9]
	s_cbranch_execz .LBB138_22
; %bb.21:                               ;   in Loop: Header=BB138_4 Depth=1
	v_and_b32_e32 v1, 0x7fffff, v32
	v_or_b32_e32 v40, 0x800000, v1
	v_mad_u64_u32 v[33:34], s[8:9], v40, s48, 0
	v_mov_b32_e32 v1, v34
	v_mad_u64_u32 v[34:35], s[8:9], v40, s49, v[1:2]
	v_mov_b32_e32 v1, v35
	;; [unrolled: 2-line block ×3, first 2 shown]
	v_mad_u64_u32 v[36:37], s[8:9], v40, s51, v[1:2]
	v_lshrrev_b32_e32 v1, 23, v32
	v_add_u32_e32 v39, 0xffffff88, v1
	v_mov_b32_e32 v1, v37
	v_mad_u64_u32 v[37:38], s[8:9], v40, s52, v[1:2]
	v_cmp_lt_u32_e64 s[8:9], 63, v39
	v_cndmask_b32_e64 v1, 0, v28, s[8:9]
	v_add_u32_e32 v41, v1, v39
	v_mov_b32_e32 v1, v38
	v_mad_u64_u32 v[38:39], s[10:11], v40, s53, v[1:2]
	v_cmp_lt_u32_e64 s[10:11], 31, v41
	v_cndmask_b32_e64 v1, 0, v29, s[10:11]
	;; [unrolled: 5-line block ×3, first 2 shown]
	v_add_u32_e32 v1, v1, v41
	v_cndmask_b32_e64 v41, v38, v36, s[8:9]
	v_cndmask_b32_e64 v39, v39, v37, s[8:9]
	;; [unrolled: 1-line block ×10, first 2 shown]
	v_sub_u32_e32 v41, 32, v1
	v_cndmask_b32_e64 v36, v37, v34, s[10:11]
	v_alignbit_b32 v42, v38, v40, v41
	v_cmp_eq_u32_e64 s[14:15], 0, v1
	v_cndmask_b32_e64 v37, v39, v36, s[12:13]
	v_cndmask_b32_e64 v1, v42, v38, s[14:15]
	v_alignbit_b32 v38, v40, v37, v41
	v_cndmask_b32_e64 v33, v35, v33, s[8:9]
	v_cndmask_b32_e64 v38, v38, v40, s[14:15]
	v_bfe_u32 v42, v1, 29, 1
	v_cndmask_b32_e64 v33, v34, v33, s[10:11]
	v_alignbit_b32 v39, v1, v38, 30
	v_sub_u32_e32 v43, 0, v42
	v_cndmask_b32_e64 v33, v36, v33, s[12:13]
	v_xor_b32_e32 v39, v39, v43
	v_alignbit_b32 v34, v37, v33, v41
	v_cndmask_b32_e64 v34, v34, v37, s[14:15]
	v_ffbh_u32_e32 v36, v39
	v_alignbit_b32 v35, v38, v34, 30
	v_min_u32_e32 v36, 32, v36
	v_alignbit_b32 v33, v34, v33, 30
	v_xor_b32_e32 v35, v35, v43
	v_sub_u32_e32 v37, 31, v36
	v_xor_b32_e32 v33, v33, v43
	v_alignbit_b32 v38, v39, v35, v37
	v_alignbit_b32 v33, v35, v33, v37
	;; [unrolled: 1-line block ×3, first 2 shown]
	v_ffbh_u32_e32 v35, v34
	v_min_u32_e32 v35, 32, v35
	v_lshrrev_b32_e32 v40, 29, v1
	v_not_b32_e32 v37, v35
	v_alignbit_b32 v33, v34, v33, v37
	v_lshlrev_b32_e32 v34, 31, v40
	v_or_b32_e32 v37, 0x33000000, v34
	v_add_lshl_u32 v35, v35, v36, 23
	v_lshrrev_b32_e32 v33, 9, v33
	v_sub_u32_e32 v35, v37, v35
	v_or_b32_e32 v34, 0.5, v34
	v_lshlrev_b32_e32 v36, 23, v36
	v_or_b32_e32 v33, v35, v33
	v_lshrrev_b32_e32 v35, 9, v38
	v_sub_u32_e32 v34, v34, v36
	v_or_b32_e32 v34, v35, v34
	v_mul_f32_e32 v35, 0x3fc90fda, v34
	v_fma_f32 v36, v34, s55, -v35
	v_fmac_f32_e32 v36, 0x33a22168, v34
	v_fmac_f32_e32 v36, 0x3fc90fda, v33
	v_lshrrev_b32_e32 v1, 30, v1
	v_add_f32_e32 v33, v35, v36
	v_add_u32_e32 v1, v42, v1
	s_andn2_saveexec_b64 s[8:9], s[38:39]
	s_cbranch_execnz .LBB138_23
	s_branch .LBB138_24
.LBB138_22:                             ;   in Loop: Header=BB138_4 Depth=1
	s_andn2_saveexec_b64 s[8:9], s[38:39]
.LBB138_23:                             ;   in Loop: Header=BB138_4 Depth=1
	v_mul_f32_e64 v1, |v13|, s56
	v_rndne_f32_e32 v34, v1
	v_cvt_i32_f32_e32 v1, v34
	v_fma_f32 v33, v34, s57, |v13|
	v_fmac_f32_e32 v33, 0xb3a22168, v34
	v_fmac_f32_e32 v33, 0xa7c234c4, v34
.LBB138_24:                             ;   in Loop: Header=BB138_4 Depth=1
	s_or_b64 exec, exec, s[8:9]
	v_mul_f32_e32 v34, 0x3fb8aa3b, v12
	v_rndne_f32_e32 v35, v34
	v_sub_f32_e32 v36, v34, v35
	v_fma_f32 v34, v12, s58, -v34
	v_fmac_f32_e32 v34, 0x32a5705f, v12
	v_add_f32_e32 v34, v36, v34
	v_cvt_i32_f32_e32 v35, v35
	v_exp_f32_e32 v34, v34
	v_cmp_ngt_f32_e64 s[8:9], s59, v12
	v_ldexp_f32 v34, v34, v35
	v_cndmask_b32_e64 v34, 0, v34, s[8:9]
	v_cmp_nlt_f32_e64 s[8:9], s60, v12
	v_cndmask_b32_e64 v12, v30, v34, s[8:9]
	v_mul_f32_e32 v34, v9, v9
	v_mov_b32_e32 v35, 0x3c0881c4
	v_fmac_f32_e32 v35, 0xb94c1982, v34
	v_fma_f32 v35, v34, v35, v25
	v_mul_f32_e32 v35, v34, v35
	v_fmac_f32_e32 v9, v9, v35
	v_mov_b32_e32 v35, 0xbab64f3b
	v_fmac_f32_e32 v35, 0x37d75334, v34
	v_fma_f32 v35, v34, v35, v26
	v_fma_f32 v35, v34, v35, v27
	v_fma_f32 v34, v34, v35, 1.0
	v_and_b32_e32 v35, 1, v8
	v_cmp_eq_u32_e64 s[8:9], 0, v35
	v_lshlrev_b32_e32 v8, 30, v8
	v_cndmask_b32_e64 v9, -v9, v34, s[8:9]
	v_and_b32_e32 v8, 0x80000000, v8
	v_xor_b32_e32 v8, v8, v9
	v_mul_f32_e32 v9, v33, v33
	v_mov_b32_e32 v34, 0x3c0881c4
	v_fmac_f32_e32 v34, 0xb94c1982, v9
	v_fma_f32 v34, v9, v34, v25
	v_mul_f32_e32 v34, v9, v34
	v_fmac_f32_e32 v33, v33, v34
	v_mov_b32_e32 v34, 0xbab64f3b
	v_fmac_f32_e32 v34, 0x37d75334, v9
	v_fma_f32 v34, v9, v34, v26
	v_fma_f32 v34, v9, v34, v27
	v_fma_f32 v9, v9, v34, 1.0
	v_and_b32_e32 v34, 1, v1
	v_cmp_eq_u32_e64 s[10:11], 0, v34
	v_lshlrev_b32_e32 v1, 30, v1
	v_cndmask_b32_e64 v9, v9, v33, s[10:11]
	v_and_or_b32 v1, v1, s61, v32
	v_xor_b32_e32 v1, v1, v9
	v_cmp_class_f32_e64 s[8:9], v13, s62
	v_xor_b32_e32 v1, v1, v13
	v_cndmask_b32_e64 v8, v31, v8, s[8:9]
	v_cndmask_b32_e64 v1, v31, v1, s[8:9]
	v_mul_f32_e32 v8, v12, v8
	v_mul_f32_e32 v9, v12, v1
                                        ; implicit-def: $vgpr13
                                        ; implicit-def: $vgpr32
.LBB138_25:                             ;   in Loop: Header=BB138_4 Depth=1
	s_andn2_saveexec_b64 s[36:37], s[36:37]
	s_cbranch_execz .LBB138_28
; %bb.26:                               ;   in Loop: Header=BB138_4 Depth=1
	v_cmp_nlt_f32_e64 s[38:39], |v13|, s47
                                        ; implicit-def: $vgpr9
                                        ; implicit-def: $vgpr8
	s_and_saveexec_b64 s[8:9], s[38:39]
	s_xor_b64 s[40:41], exec, s[8:9]
	s_cbranch_execz .LBB138_29
; %bb.27:                               ;   in Loop: Header=BB138_4 Depth=1
	v_and_b32_e32 v1, 0x7fffff, v32
	v_or_b32_e32 v39, 0x800000, v1
	v_mad_u64_u32 v[8:9], s[8:9], v39, s48, 0
	v_mov_b32_e32 v1, v9
	v_mad_u64_u32 v[33:34], s[8:9], v39, s49, v[1:2]
	v_mov_b32_e32 v1, v34
	;; [unrolled: 2-line block ×3, first 2 shown]
	v_mad_u64_u32 v[35:36], s[8:9], v39, s51, v[1:2]
	v_lshrrev_b32_e32 v1, 23, v32
	v_add_u32_e32 v9, 0xffffff88, v1
	v_mov_b32_e32 v1, v36
	v_mad_u64_u32 v[36:37], s[8:9], v39, s52, v[1:2]
	v_cmp_lt_u32_e64 s[8:9], 63, v9
	v_cndmask_b32_e64 v1, 0, v28, s[8:9]
	v_add_u32_e32 v9, v1, v9
	v_mov_b32_e32 v1, v37
	v_mad_u64_u32 v[37:38], s[10:11], v39, s53, v[1:2]
	v_cmp_lt_u32_e64 s[10:11], 31, v9
	v_cndmask_b32_e64 v1, 0, v29, s[10:11]
	;; [unrolled: 5-line block ×3, first 2 shown]
	v_add_u32_e32 v1, v1, v9
	v_cndmask_b32_e64 v9, v37, v35, s[8:9]
	v_cndmask_b32_e64 v38, v38, v36, s[8:9]
	v_cndmask_b32_e64 v37, v39, v37, s[8:9]
	v_cndmask_b32_e64 v36, v36, v34, s[8:9]
	v_cndmask_b32_e64 v39, v38, v9, s[10:11]
	v_cndmask_b32_e64 v37, v37, v38, s[10:11]
	v_cndmask_b32_e64 v9, v9, v36, s[10:11]
	v_cndmask_b32_e64 v33, v35, v33, s[8:9]
	v_cndmask_b32_e64 v37, v37, v39, s[12:13]
	v_cndmask_b32_e64 v38, v39, v9, s[12:13]
	v_sub_u32_e32 v39, 32, v1
	v_cndmask_b32_e64 v35, v36, v33, s[10:11]
	v_alignbit_b32 v40, v37, v38, v39
	v_cmp_eq_u32_e64 s[14:15], 0, v1
	v_cndmask_b32_e64 v9, v9, v35, s[12:13]
	v_cndmask_b32_e64 v1, v40, v37, s[14:15]
	v_alignbit_b32 v36, v38, v9, v39
	v_cndmask_b32_e64 v8, v34, v8, s[8:9]
	v_cndmask_b32_e64 v36, v36, v38, s[14:15]
	v_bfe_u32 v40, v1, 29, 1
	v_cndmask_b32_e64 v8, v33, v8, s[10:11]
	v_alignbit_b32 v37, v1, v36, 30
	v_sub_u32_e32 v41, 0, v40
	v_cndmask_b32_e64 v8, v35, v8, s[12:13]
	v_xor_b32_e32 v37, v37, v41
	v_alignbit_b32 v33, v9, v8, v39
	v_cndmask_b32_e64 v9, v33, v9, s[14:15]
	v_ffbh_u32_e32 v34, v37
	v_alignbit_b32 v33, v36, v9, 30
	v_min_u32_e32 v34, 32, v34
	v_alignbit_b32 v8, v9, v8, 30
	v_xor_b32_e32 v33, v33, v41
	v_sub_u32_e32 v35, 31, v34
	v_xor_b32_e32 v8, v8, v41
	v_alignbit_b32 v36, v37, v33, v35
	v_alignbit_b32 v8, v33, v8, v35
	;; [unrolled: 1-line block ×3, first 2 shown]
	v_ffbh_u32_e32 v33, v9
	v_min_u32_e32 v33, 32, v33
	v_lshrrev_b32_e32 v38, 29, v1
	v_not_b32_e32 v35, v33
	v_alignbit_b32 v8, v9, v8, v35
	v_lshlrev_b32_e32 v9, 31, v38
	v_or_b32_e32 v35, 0x33000000, v9
	v_add_lshl_u32 v33, v33, v34, 23
	v_lshrrev_b32_e32 v8, 9, v8
	v_sub_u32_e32 v33, v35, v33
	v_or_b32_e32 v9, 0.5, v9
	v_lshlrev_b32_e32 v34, 23, v34
	v_or_b32_e32 v8, v33, v8
	v_lshrrev_b32_e32 v33, 9, v36
	v_sub_u32_e32 v9, v9, v34
	v_or_b32_e32 v9, v33, v9
	v_mul_f32_e32 v33, 0x3fc90fda, v9
	v_fma_f32 v34, v9, s55, -v33
	v_fmac_f32_e32 v34, 0x33a22168, v9
	v_fmac_f32_e32 v34, 0x3fc90fda, v8
	v_lshrrev_b32_e32 v1, 30, v1
	v_add_f32_e32 v8, v33, v34
	v_add_u32_e32 v9, v40, v1
	s_andn2_saveexec_b64 s[8:9], s[40:41]
	s_branch .LBB138_30
.LBB138_28:                             ;   in Loop: Header=BB138_4 Depth=1
	s_or_b64 exec, exec, s[36:37]
                                        ; implicit-def: $vgpr12
                                        ; implicit-def: $vgpr1
	s_andn2_saveexec_b64 s[10:11], s[34:35]
	s_cbranch_execnz .LBB138_37
	s_branch .LBB138_42
.LBB138_29:                             ;   in Loop: Header=BB138_4 Depth=1
	s_andn2_saveexec_b64 s[8:9], s[40:41]
.LBB138_30:                             ;   in Loop: Header=BB138_4 Depth=1
	v_mul_f32_e64 v1, |v13|, s56
	v_rndne_f32_e32 v1, v1
	v_cvt_i32_f32_e32 v9, v1
	v_fma_f32 v8, v1, s57, |v13|
	v_fmac_f32_e32 v8, 0xb3a22168, v1
	v_fmac_f32_e32 v8, 0xa7c234c4, v1
; %bb.31:                               ;   in Loop: Header=BB138_4 Depth=1
	s_or_b64 exec, exec, s[8:9]
                                        ; implicit-def: $vgpr1
                                        ; implicit-def: $vgpr33
	s_and_saveexec_b64 s[8:9], s[38:39]
	s_xor_b64 s[38:39], exec, s[8:9]
	s_cbranch_execz .LBB138_33
; %bb.32:                               ;   in Loop: Header=BB138_4 Depth=1
	v_and_b32_e32 v1, 0x7fffff, v32
	v_or_b32_e32 v40, 0x800000, v1
	v_mad_u64_u32 v[33:34], s[8:9], v40, s48, 0
	v_mov_b32_e32 v1, v34
	v_mad_u64_u32 v[34:35], s[8:9], v40, s49, v[1:2]
	v_mov_b32_e32 v1, v35
	;; [unrolled: 2-line block ×3, first 2 shown]
	v_mad_u64_u32 v[36:37], s[8:9], v40, s51, v[1:2]
	v_lshrrev_b32_e32 v1, 23, v32
	v_add_u32_e32 v39, 0xffffff88, v1
	v_mov_b32_e32 v1, v37
	v_mad_u64_u32 v[37:38], s[8:9], v40, s52, v[1:2]
	v_cmp_lt_u32_e64 s[8:9], 63, v39
	v_cndmask_b32_e64 v1, 0, v28, s[8:9]
	v_add_u32_e32 v41, v1, v39
	v_mov_b32_e32 v1, v38
	v_mad_u64_u32 v[38:39], s[10:11], v40, s53, v[1:2]
	v_cmp_lt_u32_e64 s[10:11], 31, v41
	v_cndmask_b32_e64 v1, 0, v29, s[10:11]
	;; [unrolled: 5-line block ×3, first 2 shown]
	v_add_u32_e32 v1, v1, v41
	v_cndmask_b32_e64 v41, v38, v36, s[8:9]
	v_cndmask_b32_e64 v39, v39, v37, s[8:9]
	;; [unrolled: 1-line block ×10, first 2 shown]
	v_sub_u32_e32 v41, 32, v1
	v_cndmask_b32_e64 v36, v37, v34, s[10:11]
	v_alignbit_b32 v42, v38, v40, v41
	v_cmp_eq_u32_e64 s[14:15], 0, v1
	v_cndmask_b32_e64 v37, v39, v36, s[12:13]
	v_cndmask_b32_e64 v1, v42, v38, s[14:15]
	v_alignbit_b32 v38, v40, v37, v41
	v_cndmask_b32_e64 v33, v35, v33, s[8:9]
	v_cndmask_b32_e64 v38, v38, v40, s[14:15]
	v_bfe_u32 v42, v1, 29, 1
	v_cndmask_b32_e64 v33, v34, v33, s[10:11]
	v_alignbit_b32 v39, v1, v38, 30
	v_sub_u32_e32 v43, 0, v42
	v_cndmask_b32_e64 v33, v36, v33, s[12:13]
	v_xor_b32_e32 v39, v39, v43
	v_alignbit_b32 v34, v37, v33, v41
	v_cndmask_b32_e64 v34, v34, v37, s[14:15]
	v_ffbh_u32_e32 v36, v39
	v_alignbit_b32 v35, v38, v34, 30
	v_min_u32_e32 v36, 32, v36
	v_alignbit_b32 v33, v34, v33, 30
	v_xor_b32_e32 v35, v35, v43
	v_sub_u32_e32 v37, 31, v36
	v_xor_b32_e32 v33, v33, v43
	v_alignbit_b32 v38, v39, v35, v37
	v_alignbit_b32 v33, v35, v33, v37
	;; [unrolled: 1-line block ×3, first 2 shown]
	v_ffbh_u32_e32 v35, v34
	v_min_u32_e32 v35, 32, v35
	v_lshrrev_b32_e32 v40, 29, v1
	v_not_b32_e32 v37, v35
	v_alignbit_b32 v33, v34, v33, v37
	v_lshlrev_b32_e32 v34, 31, v40
	v_or_b32_e32 v37, 0x33000000, v34
	v_add_lshl_u32 v35, v35, v36, 23
	v_lshrrev_b32_e32 v33, 9, v33
	v_sub_u32_e32 v35, v37, v35
	v_or_b32_e32 v34, 0.5, v34
	v_lshlrev_b32_e32 v36, 23, v36
	v_or_b32_e32 v33, v35, v33
	v_lshrrev_b32_e32 v35, 9, v38
	v_sub_u32_e32 v34, v34, v36
	v_or_b32_e32 v34, v35, v34
	v_mul_f32_e32 v35, 0x3fc90fda, v34
	v_fma_f32 v36, v34, s55, -v35
	v_fmac_f32_e32 v36, 0x33a22168, v34
	v_fmac_f32_e32 v36, 0x3fc90fda, v33
	v_lshrrev_b32_e32 v1, 30, v1
	v_add_f32_e32 v33, v35, v36
	v_add_u32_e32 v1, v42, v1
	s_andn2_saveexec_b64 s[8:9], s[38:39]
	s_cbranch_execnz .LBB138_34
	s_branch .LBB138_35
.LBB138_33:                             ;   in Loop: Header=BB138_4 Depth=1
	s_andn2_saveexec_b64 s[8:9], s[38:39]
.LBB138_34:                             ;   in Loop: Header=BB138_4 Depth=1
	v_mul_f32_e64 v1, |v13|, s56
	v_rndne_f32_e32 v34, v1
	v_cvt_i32_f32_e32 v1, v34
	v_fma_f32 v33, v34, s57, |v13|
	v_fmac_f32_e32 v33, 0xb3a22168, v34
	v_fmac_f32_e32 v33, 0xa7c234c4, v34
.LBB138_35:                             ;   in Loop: Header=BB138_4 Depth=1
	s_or_b64 exec, exec, s[8:9]
	v_mul_f32_e32 v35, v8, v8
	v_mov_b32_e32 v36, 0xbab64f3b
	v_fmac_f32_e32 v36, 0x37d75334, v35
	v_mov_b32_e32 v37, 0x3c0881c4
	v_fma_f32 v36, v35, v36, v26
	v_fmac_f32_e32 v37, 0xb94c1982, v35
	v_lshlrev_b32_e32 v34, 30, v9
	v_and_b32_e32 v9, 1, v9
	v_fma_f32 v36, v35, v36, v27
	v_fma_f32 v37, v35, v37, v25
	v_fma_f32 v36, v35, v36, 1.0
	v_mul_f32_e32 v35, v35, v37
	v_cmp_eq_u32_e64 s[8:9], 0, v9
	v_add_f32_e32 v9, 0xc322e3bc, v12
	v_fmac_f32_e32 v8, v8, v35
	v_mul_f32_e32 v12, 0x3fb8aa3b, v9
	v_cndmask_b32_e64 v8, -v8, v36, s[8:9]
	v_fma_f32 v35, v9, s58, -v12
	v_rndne_f32_e32 v36, v12
	v_fmac_f32_e32 v35, 0x32a5705f, v9
	v_sub_f32_e32 v12, v12, v36
	v_add_f32_e32 v12, v12, v35
	v_exp_f32_e32 v12, v12
	v_cvt_i32_f32_e32 v35, v36
	v_cmp_ngt_f32_e64 s[10:11], s59, v9
	v_and_b32_e32 v34, 0x80000000, v34
	v_xor_b32_e32 v8, v34, v8
	v_ldexp_f32 v12, v12, v35
	v_cndmask_b32_e64 v12, 0, v12, s[10:11]
	v_cmp_nlt_f32_e64 s[10:11], s60, v9
	v_cndmask_b32_e64 v9, v30, v12, s[10:11]
	v_and_b32_e32 v12, 0x7fffff, v9
	v_lshrrev_b32_e32 v9, 23, v9
	v_subrev_u32_e32 v9, 19, v9
	v_lshrrev_b16_e32 v34, 15, v9
	v_add_u16_e32 v34, v9, v34
	v_ashrrev_i16_e32 v34, 1, v34
	v_bfe_i32 v34, v34, 0, 16
	v_lshl_add_u32 v35, v34, 23, 1.0
	v_sub_u32_e32 v9, v9, v34
	v_mul_f32_e32 v34, v33, v33
	v_mov_b32_e32 v36, 0x3c0881c4
	v_fmac_f32_e32 v36, 0xb94c1982, v34
	v_fma_f32 v36, v34, v36, v25
	v_mul_f32_e32 v36, v34, v36
	v_fmac_f32_e32 v33, v33, v36
	v_mov_b32_e32 v36, 0xbab64f3b
	v_fmac_f32_e32 v36, 0x37d75334, v34
	v_fma_f32 v36, v34, v36, v26
	v_fma_f32 v36, v34, v36, v27
	v_fma_f32 v34, v34, v36, 1.0
	v_and_b32_e32 v36, 1, v1
	v_cmp_eq_u32_e64 s[10:11], 0, v36
	v_lshlrev_b32_e32 v1, 30, v1
	v_cndmask_b32_e64 v33, v34, v33, s[10:11]
	v_and_or_b32 v1, v1, s61, v32
	v_xor_b32_e32 v1, v1, v33
	v_cmp_class_f32_e64 s[8:9], v13, s62
	v_xor_b32_e32 v1, v1, v13
	v_cndmask_b32_e64 v8, v31, v8, s[8:9]
	v_or_b32_e32 v12, 0x7f000000, v12
	v_cndmask_b32_e64 v1, v31, v1, s[8:9]
	v_mul_f32_e32 v8, v8, v12
	v_mul_f32_e32 v1, v1, v12
	;; [unrolled: 1-line block ×3, first 2 shown]
	v_lshl_add_u32 v9, v9, 23, 1.0
	v_mul_f32_e32 v1, v1, v35
	v_mul_f32_e32 v8, v8, v9
	;; [unrolled: 1-line block ×3, first 2 shown]
	s_or_b64 exec, exec, s[36:37]
                                        ; implicit-def: $vgpr12
                                        ; implicit-def: $vgpr1
.LBB138_36:                             ;   in Loop: Header=BB138_4 Depth=1
	s_andn2_saveexec_b64 s[10:11], s[34:35]
	s_cbranch_execz .LBB138_42
.LBB138_37:                             ;   in Loop: Header=BB138_4 Depth=1
	v_cmp_ne_u32_e64 s[8:9], s45, v1
	v_sub_f32_e32 v9, v13, v13
	s_and_saveexec_b64 s[12:13], s[8:9]
	s_xor_b64 s[8:9], exec, s[12:13]
; %bb.38:                               ;   in Loop: Header=BB138_4 Depth=1
                                        ; implicit-def: $vgpr12
; %bb.39:                               ;   in Loop: Header=BB138_4 Depth=1
	s_or_saveexec_b64 s[12:13], s[8:9]
	v_mov_b32_e32 v8, v9
	s_xor_b64 exec, exec, s[12:13]
; %bb.40:                               ;   in Loop: Header=BB138_4 Depth=1
	v_cmp_lt_i32_e64 s[8:9], -1, v12
	v_cndmask_b32_e64 v8, 0, v12, s[8:9]
	v_cndmask_b32_e64 v9, 0, v9, s[8:9]
; %bb.41:                               ;   in Loop: Header=BB138_4 Depth=1
	s_or_b64 exec, exec, s[12:13]
.LBB138_42:                             ;   in Loop: Header=BB138_4 Depth=1
	s_or_b64 exec, exec, s[10:11]
                                        ; implicit-def: $vgpr13
                                        ; implicit-def: $vgpr32
.LBB138_43:                             ;   in Loop: Header=BB138_4 Depth=1
	s_andn2_saveexec_b64 s[30:31], s[30:31]
	s_cbranch_execz .LBB138_53
; %bb.44:                               ;   in Loop: Header=BB138_4 Depth=1
	v_lshrrev_b32_e32 v1, 23, v32
	v_and_b32_e32 v8, 0x7fffff, v32
	v_cmp_nlt_f32_e64 s[34:35], |v13|, s47
	v_add_u32_e32 v33, 0xffffff88, v1
	v_or_b32_e32 v12, 0x800000, v8
                                        ; implicit-def: $vgpr8
                                        ; implicit-def: $vgpr9
	s_and_saveexec_b64 s[8:9], s[34:35]
	s_xor_b64 s[36:37], exec, s[8:9]
	s_cbranch_execz .LBB138_46
; %bb.45:                               ;   in Loop: Header=BB138_4 Depth=1
	v_mad_u64_u32 v[8:9], s[8:9], v12, s48, 0
	v_mov_b32_e32 v1, v9
	v_mad_u64_u32 v[34:35], s[8:9], v12, s49, v[1:2]
	v_mov_b32_e32 v1, v35
	;; [unrolled: 2-line block ×3, first 2 shown]
	v_mad_u64_u32 v[36:37], s[8:9], v12, s51, v[1:2]
	v_cmp_lt_u32_e64 s[8:9], 63, v33
	v_cndmask_b32_e64 v1, 0, v28, s[8:9]
	v_add_u32_e32 v9, v1, v33
	v_mov_b32_e32 v1, v37
	v_mad_u64_u32 v[37:38], s[10:11], v12, s52, v[1:2]
	v_cmp_lt_u32_e64 s[10:11], 31, v9
	v_cndmask_b32_e64 v1, 0, v29, s[10:11]
	v_add_u32_e32 v9, v1, v9
	v_mov_b32_e32 v1, v38
	;; [unrolled: 5-line block ×3, first 2 shown]
	v_mad_u64_u32 v[39:40], s[14:15], v12, s54, v[1:2]
	v_cndmask_b32_e64 v1, v37, v35, s[8:9]
	v_cndmask_b32_e64 v41, v38, v36, s[8:9]
	;; [unrolled: 1-line block ×9, first 2 shown]
	v_sub_u32_e32 v39, 32, v9
	v_cmp_eq_u32_e64 s[14:15], 0, v9
	v_cndmask_b32_e64 v9, v36, v34, s[8:9]
	v_cndmask_b32_e64 v1, v1, v9, s[10:11]
	v_alignbit_b32 v40, v37, v38, v39
	v_cndmask_b32_e64 v34, v42, v1, s[12:13]
	v_cndmask_b32_e64 v37, v40, v37, s[14:15]
	v_alignbit_b32 v36, v38, v34, v39
	v_cndmask_b32_e64 v8, v35, v8, s[8:9]
	v_cndmask_b32_e64 v36, v36, v38, s[14:15]
	v_bfe_u32 v41, v37, 29, 1
	v_cndmask_b32_e64 v8, v9, v8, s[10:11]
	v_alignbit_b32 v38, v37, v36, 30
	v_sub_u32_e32 v42, 0, v41
	v_cndmask_b32_e64 v1, v1, v8, s[12:13]
	v_xor_b32_e32 v38, v38, v42
	v_alignbit_b32 v8, v34, v1, v39
	v_cndmask_b32_e64 v8, v8, v34, s[14:15]
	v_ffbh_u32_e32 v34, v38
	v_alignbit_b32 v9, v36, v8, 30
	v_min_u32_e32 v34, 32, v34
	v_alignbit_b32 v1, v8, v1, 30
	v_xor_b32_e32 v9, v9, v42
	v_sub_u32_e32 v35, 31, v34
	v_xor_b32_e32 v1, v1, v42
	v_alignbit_b32 v36, v38, v9, v35
	v_alignbit_b32 v1, v9, v1, v35
	;; [unrolled: 1-line block ×3, first 2 shown]
	v_ffbh_u32_e32 v9, v8
	v_min_u32_e32 v9, 32, v9
	v_lshrrev_b32_e32 v40, 29, v37
	v_not_b32_e32 v35, v9
	v_alignbit_b32 v1, v8, v1, v35
	v_lshlrev_b32_e32 v8, 31, v40
	v_or_b32_e32 v35, 0x33000000, v8
	v_add_lshl_u32 v9, v9, v34, 23
	v_lshrrev_b32_e32 v1, 9, v1
	v_sub_u32_e32 v9, v35, v9
	v_or_b32_e32 v8, 0.5, v8
	v_lshlrev_b32_e32 v34, 23, v34
	v_or_b32_e32 v1, v9, v1
	v_lshrrev_b32_e32 v9, 9, v36
	v_sub_u32_e32 v8, v8, v34
	v_or_b32_e32 v8, v9, v8
	v_mul_f32_e32 v9, 0x3fc90fda, v8
	v_fma_f32 v34, v8, s55, -v9
	v_fmac_f32_e32 v34, 0x33a22168, v8
	v_fmac_f32_e32 v34, 0x3fc90fda, v1
	v_lshrrev_b32_e32 v1, 30, v37
	v_add_f32_e32 v9, v9, v34
	v_add_u32_e32 v8, v41, v1
.LBB138_46:                             ;   in Loop: Header=BB138_4 Depth=1
	s_or_saveexec_b64 s[8:9], s[36:37]
	v_mul_f32_e64 v1, |v13|, s56
	v_rndne_f32_e32 v35, v1
	s_xor_b64 exec, exec, s[8:9]
; %bb.47:                               ;   in Loop: Header=BB138_4 Depth=1
	v_cvt_i32_f32_e32 v8, v35
	v_fma_f32 v9, v35, s57, |v13|
	v_fmac_f32_e32 v9, 0xb3a22168, v35
	v_fmac_f32_e32 v9, 0xa7c234c4, v35
; %bb.48:                               ;   in Loop: Header=BB138_4 Depth=1
	s_or_b64 exec, exec, s[8:9]
                                        ; implicit-def: $vgpr1
                                        ; implicit-def: $vgpr34
	s_and_saveexec_b64 s[8:9], s[34:35]
	s_xor_b64 s[34:35], exec, s[8:9]
	s_cbranch_execz .LBB138_50
; %bb.49:                               ;   in Loop: Header=BB138_4 Depth=1
	v_mad_u64_u32 v[34:35], s[8:9], v12, s48, 0
	v_mov_b32_e32 v1, v35
	v_mad_u64_u32 v[35:36], s[8:9], v12, s49, v[1:2]
	v_mov_b32_e32 v1, v36
	;; [unrolled: 2-line block ×3, first 2 shown]
	v_mad_u64_u32 v[37:38], s[8:9], v12, s51, v[1:2]
	v_cmp_lt_u32_e64 s[8:9], 63, v33
	v_cndmask_b32_e64 v1, 0, v28, s[8:9]
	v_add_u32_e32 v33, v1, v33
	v_mov_b32_e32 v1, v38
	v_mad_u64_u32 v[38:39], s[10:11], v12, s52, v[1:2]
	v_cmp_lt_u32_e64 s[10:11], 31, v33
	v_cndmask_b32_e64 v1, 0, v29, s[10:11]
	v_add_u32_e32 v33, v1, v33
	v_mov_b32_e32 v1, v39
	;; [unrolled: 5-line block ×3, first 2 shown]
	v_mad_u64_u32 v[40:41], s[14:15], v12, s54, v[1:2]
	v_cndmask_b32_e64 v1, v38, v36, s[8:9]
	v_cndmask_b32_e64 v12, v39, v37, s[8:9]
	;; [unrolled: 1-line block ×10, first 2 shown]
	v_sub_u32_e32 v39, 32, v33
	v_cndmask_b32_e64 v1, v1, v35, s[10:11]
	v_alignbit_b32 v40, v38, v12, v39
	v_cmp_eq_u32_e64 s[14:15], 0, v33
	v_cndmask_b32_e64 v37, v42, v1, s[12:13]
	v_cndmask_b32_e64 v33, v40, v38, s[14:15]
	v_alignbit_b32 v38, v12, v37, v39
	v_cndmask_b32_e64 v34, v36, v34, s[8:9]
	v_cndmask_b32_e64 v12, v38, v12, s[14:15]
	v_bfe_u32 v41, v33, 29, 1
	v_cndmask_b32_e64 v34, v35, v34, s[10:11]
	v_alignbit_b32 v38, v33, v12, 30
	v_sub_u32_e32 v42, 0, v41
	v_cndmask_b32_e64 v1, v1, v34, s[12:13]
	v_xor_b32_e32 v38, v38, v42
	v_alignbit_b32 v34, v37, v1, v39
	v_cndmask_b32_e64 v34, v34, v37, s[14:15]
	v_ffbh_u32_e32 v35, v38
	v_alignbit_b32 v12, v12, v34, 30
	v_min_u32_e32 v35, 32, v35
	v_alignbit_b32 v1, v34, v1, 30
	v_xor_b32_e32 v12, v12, v42
	v_sub_u32_e32 v36, 31, v35
	v_xor_b32_e32 v1, v1, v42
	v_alignbit_b32 v37, v38, v12, v36
	v_alignbit_b32 v1, v12, v1, v36
	;; [unrolled: 1-line block ×3, first 2 shown]
	v_ffbh_u32_e32 v34, v12
	v_min_u32_e32 v34, 32, v34
	v_lshrrev_b32_e32 v40, 29, v33
	v_not_b32_e32 v36, v34
	v_alignbit_b32 v1, v12, v1, v36
	v_lshlrev_b32_e32 v12, 31, v40
	v_or_b32_e32 v36, 0x33000000, v12
	v_add_lshl_u32 v34, v34, v35, 23
	v_lshrrev_b32_e32 v1, 9, v1
	v_sub_u32_e32 v34, v36, v34
	v_or_b32_e32 v12, 0.5, v12
	v_lshlrev_b32_e32 v35, 23, v35
	v_or_b32_e32 v1, v34, v1
	v_lshrrev_b32_e32 v34, 9, v37
	v_sub_u32_e32 v12, v12, v35
	v_or_b32_e32 v12, v34, v12
	v_mul_f32_e32 v34, 0x3fc90fda, v12
	v_fma_f32 v35, v12, s55, -v34
	v_fmac_f32_e32 v35, 0x33a22168, v12
	v_fmac_f32_e32 v35, 0x3fc90fda, v1
	v_lshrrev_b32_e32 v1, 30, v33
	v_add_f32_e32 v34, v34, v35
	v_add_u32_e32 v1, v41, v1
                                        ; implicit-def: $vgpr35
	s_andn2_saveexec_b64 s[8:9], s[34:35]
	s_cbranch_execnz .LBB138_51
	s_branch .LBB138_52
.LBB138_50:                             ;   in Loop: Header=BB138_4 Depth=1
	s_andn2_saveexec_b64 s[8:9], s[34:35]
.LBB138_51:                             ;   in Loop: Header=BB138_4 Depth=1
	v_cvt_i32_f32_e32 v1, v35
	v_fma_f32 v34, v35, s57, |v13|
	v_fmac_f32_e32 v34, 0xb3a22168, v35
	v_fmac_f32_e32 v34, 0xa7c234c4, v35
.LBB138_52:                             ;   in Loop: Header=BB138_4 Depth=1
	s_or_b64 exec, exec, s[8:9]
	v_mul_f32_e32 v12, v9, v9
	v_mov_b32_e32 v33, 0x3c0881c4
	v_fmac_f32_e32 v33, 0xb94c1982, v12
	v_fma_f32 v33, v12, v33, v25
	v_mul_f32_e32 v33, v12, v33
	v_fmac_f32_e32 v9, v9, v33
	v_mov_b32_e32 v33, 0xbab64f3b
	v_fmac_f32_e32 v33, 0x37d75334, v12
	v_fma_f32 v33, v12, v33, v26
	v_fma_f32 v33, v12, v33, v27
	v_fma_f32 v12, v12, v33, 1.0
	v_and_b32_e32 v33, 1, v8
	v_cmp_eq_u32_e64 s[8:9], 0, v33
	v_lshlrev_b32_e32 v8, 30, v8
	v_cndmask_b32_e64 v9, -v9, v12, s[8:9]
	v_and_b32_e32 v8, 0x80000000, v8
	v_xor_b32_e32 v8, v8, v9
	v_mul_f32_e32 v9, v34, v34
	v_mov_b32_e32 v12, 0x3c0881c4
	v_fmac_f32_e32 v12, 0xb94c1982, v9
	v_fma_f32 v12, v9, v12, v25
	v_mul_f32_e32 v12, v9, v12
	v_fmac_f32_e32 v34, v34, v12
	v_mov_b32_e32 v12, 0xbab64f3b
	v_fmac_f32_e32 v12, 0x37d75334, v9
	v_fma_f32 v12, v9, v12, v26
	v_fma_f32 v12, v9, v12, v27
	v_fma_f32 v9, v9, v12, 1.0
	v_and_b32_e32 v12, 1, v1
	v_cmp_eq_u32_e64 s[10:11], 0, v12
	v_lshlrev_b32_e32 v1, 30, v1
	v_cndmask_b32_e64 v9, v9, v34, s[10:11]
	v_and_or_b32 v1, v1, s61, v32
	v_xor_b32_e32 v1, v1, v9
	v_cmp_class_f32_e64 s[8:9], v13, s62
	v_xor_b32_e32 v1, v1, v13
	v_cndmask_b32_e64 v8, v31, v8, s[8:9]
	v_cndmask_b32_e64 v9, v31, v1, s[8:9]
.LBB138_53:                             ;   in Loop: Header=BB138_4 Depth=1
	s_or_b64 exec, exec, s[30:31]
                                        ; implicit-def: $vgpr12
.LBB138_54:                             ;   in Loop: Header=BB138_4 Depth=1
	s_andn2_saveexec_b64 s[10:11], s[28:29]
	s_cbranch_execz .LBB138_56
; %bb.55:                               ;   in Loop: Header=BB138_4 Depth=1
	v_mul_f32_e32 v1, 0x3fb8aa3b, v12
	v_rndne_f32_e32 v8, v1
	v_sub_f32_e32 v9, v1, v8
	v_fma_f32 v1, v12, s58, -v1
	v_fmac_f32_e32 v1, 0x32a5705f, v12
	v_add_f32_e32 v1, v9, v1
	v_cvt_i32_f32_e32 v8, v8
	v_exp_f32_e32 v1, v1
	v_cmp_ngt_f32_e64 s[8:9], s59, v12
	v_mov_b32_e32 v9, v13
	v_ldexp_f32 v1, v1, v8
	v_cndmask_b32_e64 v1, 0, v1, s[8:9]
	v_cmp_nlt_f32_e64 s[8:9], s60, v12
	v_cndmask_b32_e64 v8, v30, v1, s[8:9]
.LBB138_56:                             ;   in Loop: Header=BB138_4 Depth=1
	s_or_b64 exec, exec, s[10:11]
	v_and_b32_e32 v32, 0x7fffffff, v15
	v_cmp_ne_u32_e64 s[8:9], 0, v32
                                        ; implicit-def: $vgpr13
	s_and_saveexec_b64 s[10:11], s[8:9]
	s_xor_b64 s[28:29], exec, s[10:11]
	s_cbranch_execz .LBB138_98
; %bb.57:                               ;   in Loop: Header=BB138_4 Depth=1
	v_and_b32_e32 v1, 0x7fffffff, v14
	v_cmp_ne_u32_e64 s[8:9], 0, v1
                                        ; implicit-def: $vgpr13
	s_and_saveexec_b64 s[10:11], s[8:9]
	s_xor_b64 s[30:31], exec, s[10:11]
	s_cbranch_execz .LBB138_87
; %bb.58:                               ;   in Loop: Header=BB138_4 Depth=1
	v_cmp_gt_u32_e64 s[8:9], s45, v32
                                        ; implicit-def: $vgpr13
	s_and_saveexec_b64 s[10:11], s[8:9]
	s_xor_b64 s[34:35], exec, s[10:11]
	s_cbranch_execz .LBB138_80
; %bb.59:                               ;   in Loop: Header=BB138_4 Depth=1
	v_add_u32_e32 v1, 0xbd4e8de8, v14
	v_cmp_lt_u32_e64 s[8:9], s46, v1
                                        ; implicit-def: $vgpr13
	s_and_saveexec_b64 s[10:11], s[8:9]
	s_xor_b64 s[36:37], exec, s[10:11]
	s_cbranch_execz .LBB138_69
; %bb.60:                               ;   in Loop: Header=BB138_4 Depth=1
	v_cmp_nlt_f32_e64 s[38:39], |v15|, s47
                                        ; implicit-def: $vgpr12
                                        ; implicit-def: $vgpr13
	s_and_saveexec_b64 s[8:9], s[38:39]
	s_xor_b64 s[40:41], exec, s[8:9]
	s_cbranch_execz .LBB138_62
; %bb.61:                               ;   in Loop: Header=BB138_4 Depth=1
	v_and_b32_e32 v1, 0x7fffff, v32
	v_or_b32_e32 v39, 0x800000, v1
	v_mad_u64_u32 v[12:13], s[8:9], v39, s48, 0
	v_mov_b32_e32 v1, v13
	v_mad_u64_u32 v[33:34], s[8:9], v39, s49, v[1:2]
	v_mov_b32_e32 v1, v34
	;; [unrolled: 2-line block ×3, first 2 shown]
	v_mad_u64_u32 v[35:36], s[8:9], v39, s51, v[1:2]
	v_lshrrev_b32_e32 v1, 23, v32
	v_add_u32_e32 v13, 0xffffff88, v1
	v_mov_b32_e32 v1, v36
	v_mad_u64_u32 v[36:37], s[8:9], v39, s52, v[1:2]
	v_cmp_lt_u32_e64 s[8:9], 63, v13
	v_cndmask_b32_e64 v1, 0, v28, s[8:9]
	v_add_u32_e32 v13, v1, v13
	v_mov_b32_e32 v1, v37
	v_mad_u64_u32 v[37:38], s[10:11], v39, s53, v[1:2]
	v_cmp_lt_u32_e64 s[10:11], 31, v13
	v_cndmask_b32_e64 v1, 0, v29, s[10:11]
	;; [unrolled: 5-line block ×3, first 2 shown]
	v_add_u32_e32 v1, v1, v13
	v_cndmask_b32_e64 v13, v37, v35, s[8:9]
	v_cndmask_b32_e64 v38, v38, v36, s[8:9]
	;; [unrolled: 1-line block ×10, first 2 shown]
	v_sub_u32_e32 v39, 32, v1
	v_cndmask_b32_e64 v35, v36, v33, s[10:11]
	v_alignbit_b32 v40, v37, v38, v39
	v_cmp_eq_u32_e64 s[14:15], 0, v1
	v_cndmask_b32_e64 v13, v13, v35, s[12:13]
	v_cndmask_b32_e64 v1, v40, v37, s[14:15]
	v_alignbit_b32 v36, v38, v13, v39
	v_cndmask_b32_e64 v12, v34, v12, s[8:9]
	v_cndmask_b32_e64 v36, v36, v38, s[14:15]
	v_bfe_u32 v40, v1, 29, 1
	v_cndmask_b32_e64 v12, v33, v12, s[10:11]
	v_alignbit_b32 v37, v1, v36, 30
	v_sub_u32_e32 v41, 0, v40
	v_cndmask_b32_e64 v12, v35, v12, s[12:13]
	v_xor_b32_e32 v37, v37, v41
	v_alignbit_b32 v33, v13, v12, v39
	v_cndmask_b32_e64 v13, v33, v13, s[14:15]
	v_ffbh_u32_e32 v34, v37
	v_alignbit_b32 v33, v36, v13, 30
	v_min_u32_e32 v34, 32, v34
	v_alignbit_b32 v12, v13, v12, 30
	v_xor_b32_e32 v33, v33, v41
	v_sub_u32_e32 v35, 31, v34
	v_xor_b32_e32 v12, v12, v41
	v_alignbit_b32 v36, v37, v33, v35
	v_alignbit_b32 v12, v33, v12, v35
	;; [unrolled: 1-line block ×3, first 2 shown]
	v_ffbh_u32_e32 v33, v13
	v_min_u32_e32 v33, 32, v33
	v_lshrrev_b32_e32 v38, 29, v1
	v_not_b32_e32 v35, v33
	v_alignbit_b32 v12, v13, v12, v35
	v_lshlrev_b32_e32 v13, 31, v38
	v_or_b32_e32 v35, 0x33000000, v13
	v_add_lshl_u32 v33, v33, v34, 23
	v_lshrrev_b32_e32 v12, 9, v12
	v_sub_u32_e32 v33, v35, v33
	v_or_b32_e32 v13, 0.5, v13
	v_lshlrev_b32_e32 v34, 23, v34
	v_or_b32_e32 v12, v33, v12
	v_lshrrev_b32_e32 v33, 9, v36
	v_sub_u32_e32 v13, v13, v34
	v_or_b32_e32 v13, v33, v13
	v_mul_f32_e32 v33, 0x3fc90fda, v13
	v_fma_f32 v34, v13, s55, -v33
	v_fmac_f32_e32 v34, 0x33a22168, v13
	v_fmac_f32_e32 v34, 0x3fc90fda, v12
	v_lshrrev_b32_e32 v1, 30, v1
	v_add_f32_e32 v13, v33, v34
	v_add_u32_e32 v12, v40, v1
	s_andn2_saveexec_b64 s[8:9], s[40:41]
	s_branch .LBB138_63
.LBB138_62:                             ;   in Loop: Header=BB138_4 Depth=1
	s_andn2_saveexec_b64 s[8:9], s[40:41]
.LBB138_63:                             ;   in Loop: Header=BB138_4 Depth=1
	v_mul_f32_e64 v1, |v15|, s56
	v_rndne_f32_e32 v1, v1
	v_cvt_i32_f32_e32 v12, v1
	v_fma_f32 v13, v1, s57, |v15|
	v_fmac_f32_e32 v13, 0xb3a22168, v1
	v_fmac_f32_e32 v13, 0xa7c234c4, v1
; %bb.64:                               ;   in Loop: Header=BB138_4 Depth=1
	s_or_b64 exec, exec, s[8:9]
                                        ; implicit-def: $vgpr1
                                        ; implicit-def: $vgpr33
	s_and_saveexec_b64 s[8:9], s[38:39]
	s_xor_b64 s[38:39], exec, s[8:9]
	s_cbranch_execz .LBB138_66
; %bb.65:                               ;   in Loop: Header=BB138_4 Depth=1
	v_and_b32_e32 v1, 0x7fffff, v32
	v_or_b32_e32 v40, 0x800000, v1
	v_mad_u64_u32 v[33:34], s[8:9], v40, s48, 0
	v_mov_b32_e32 v1, v34
	v_mad_u64_u32 v[34:35], s[8:9], v40, s49, v[1:2]
	v_mov_b32_e32 v1, v35
	;; [unrolled: 2-line block ×3, first 2 shown]
	v_mad_u64_u32 v[36:37], s[8:9], v40, s51, v[1:2]
	v_lshrrev_b32_e32 v1, 23, v32
	v_add_u32_e32 v39, 0xffffff88, v1
	v_mov_b32_e32 v1, v37
	v_mad_u64_u32 v[37:38], s[8:9], v40, s52, v[1:2]
	v_cmp_lt_u32_e64 s[8:9], 63, v39
	v_cndmask_b32_e64 v1, 0, v28, s[8:9]
	v_add_u32_e32 v41, v1, v39
	v_mov_b32_e32 v1, v38
	v_mad_u64_u32 v[38:39], s[10:11], v40, s53, v[1:2]
	v_cmp_lt_u32_e64 s[10:11], 31, v41
	v_cndmask_b32_e64 v1, 0, v29, s[10:11]
	;; [unrolled: 5-line block ×3, first 2 shown]
	v_add_u32_e32 v1, v1, v41
	v_cndmask_b32_e64 v41, v38, v36, s[8:9]
	v_cndmask_b32_e64 v39, v39, v37, s[8:9]
	;; [unrolled: 1-line block ×10, first 2 shown]
	v_sub_u32_e32 v41, 32, v1
	v_cndmask_b32_e64 v36, v37, v34, s[10:11]
	v_alignbit_b32 v42, v38, v40, v41
	v_cmp_eq_u32_e64 s[14:15], 0, v1
	v_cndmask_b32_e64 v37, v39, v36, s[12:13]
	v_cndmask_b32_e64 v1, v42, v38, s[14:15]
	v_alignbit_b32 v38, v40, v37, v41
	v_cndmask_b32_e64 v33, v35, v33, s[8:9]
	v_cndmask_b32_e64 v38, v38, v40, s[14:15]
	v_bfe_u32 v42, v1, 29, 1
	v_cndmask_b32_e64 v33, v34, v33, s[10:11]
	v_alignbit_b32 v39, v1, v38, 30
	v_sub_u32_e32 v43, 0, v42
	v_cndmask_b32_e64 v33, v36, v33, s[12:13]
	v_xor_b32_e32 v39, v39, v43
	v_alignbit_b32 v34, v37, v33, v41
	v_cndmask_b32_e64 v34, v34, v37, s[14:15]
	v_ffbh_u32_e32 v36, v39
	v_alignbit_b32 v35, v38, v34, 30
	v_min_u32_e32 v36, 32, v36
	v_alignbit_b32 v33, v34, v33, 30
	v_xor_b32_e32 v35, v35, v43
	v_sub_u32_e32 v37, 31, v36
	v_xor_b32_e32 v33, v33, v43
	v_alignbit_b32 v38, v39, v35, v37
	v_alignbit_b32 v33, v35, v33, v37
	;; [unrolled: 1-line block ×3, first 2 shown]
	v_ffbh_u32_e32 v35, v34
	v_min_u32_e32 v35, 32, v35
	v_lshrrev_b32_e32 v40, 29, v1
	v_not_b32_e32 v37, v35
	v_alignbit_b32 v33, v34, v33, v37
	v_lshlrev_b32_e32 v34, 31, v40
	v_or_b32_e32 v37, 0x33000000, v34
	v_add_lshl_u32 v35, v35, v36, 23
	v_lshrrev_b32_e32 v33, 9, v33
	v_sub_u32_e32 v35, v37, v35
	v_or_b32_e32 v34, 0.5, v34
	v_lshlrev_b32_e32 v36, 23, v36
	v_or_b32_e32 v33, v35, v33
	v_lshrrev_b32_e32 v35, 9, v38
	v_sub_u32_e32 v34, v34, v36
	v_or_b32_e32 v34, v35, v34
	v_mul_f32_e32 v35, 0x3fc90fda, v34
	v_fma_f32 v36, v34, s55, -v35
	v_fmac_f32_e32 v36, 0x33a22168, v34
	v_fmac_f32_e32 v36, 0x3fc90fda, v33
	v_lshrrev_b32_e32 v1, 30, v1
	v_add_f32_e32 v33, v35, v36
	v_add_u32_e32 v1, v42, v1
	s_andn2_saveexec_b64 s[8:9], s[38:39]
	s_cbranch_execnz .LBB138_67
	s_branch .LBB138_68
.LBB138_66:                             ;   in Loop: Header=BB138_4 Depth=1
	s_andn2_saveexec_b64 s[8:9], s[38:39]
.LBB138_67:                             ;   in Loop: Header=BB138_4 Depth=1
	v_mul_f32_e64 v1, |v15|, s56
	v_rndne_f32_e32 v34, v1
	v_cvt_i32_f32_e32 v1, v34
	v_fma_f32 v33, v34, s57, |v15|
	v_fmac_f32_e32 v33, 0xb3a22168, v34
	v_fmac_f32_e32 v33, 0xa7c234c4, v34
.LBB138_68:                             ;   in Loop: Header=BB138_4 Depth=1
	s_or_b64 exec, exec, s[8:9]
	v_mul_f32_e32 v34, 0x3fb8aa3b, v14
	v_rndne_f32_e32 v35, v34
	v_sub_f32_e32 v36, v34, v35
	v_fma_f32 v34, v14, s58, -v34
	v_fmac_f32_e32 v34, 0x32a5705f, v14
	v_add_f32_e32 v34, v36, v34
	v_cvt_i32_f32_e32 v35, v35
	v_exp_f32_e32 v34, v34
	v_cmp_ngt_f32_e64 s[8:9], s59, v14
	v_ldexp_f32 v34, v34, v35
	v_cndmask_b32_e64 v34, 0, v34, s[8:9]
	v_cmp_nlt_f32_e64 s[8:9], s60, v14
	v_cndmask_b32_e64 v14, v30, v34, s[8:9]
	v_mul_f32_e32 v34, v13, v13
	v_mov_b32_e32 v35, 0x3c0881c4
	v_fmac_f32_e32 v35, 0xb94c1982, v34
	v_fma_f32 v35, v34, v35, v25
	v_mul_f32_e32 v35, v34, v35
	v_fmac_f32_e32 v13, v13, v35
	v_mov_b32_e32 v35, 0xbab64f3b
	v_fmac_f32_e32 v35, 0x37d75334, v34
	v_fma_f32 v35, v34, v35, v26
	v_fma_f32 v35, v34, v35, v27
	v_fma_f32 v34, v34, v35, 1.0
	v_and_b32_e32 v35, 1, v12
	v_cmp_eq_u32_e64 s[8:9], 0, v35
	v_lshlrev_b32_e32 v12, 30, v12
	v_cndmask_b32_e64 v13, -v13, v34, s[8:9]
	v_and_b32_e32 v12, 0x80000000, v12
	v_xor_b32_e32 v12, v12, v13
	v_mul_f32_e32 v13, v33, v33
	v_mov_b32_e32 v34, 0x3c0881c4
	v_fmac_f32_e32 v34, 0xb94c1982, v13
	v_fma_f32 v34, v13, v34, v25
	v_mul_f32_e32 v34, v13, v34
	v_fmac_f32_e32 v33, v33, v34
	v_mov_b32_e32 v34, 0xbab64f3b
	v_fmac_f32_e32 v34, 0x37d75334, v13
	v_fma_f32 v34, v13, v34, v26
	v_fma_f32 v34, v13, v34, v27
	v_fma_f32 v13, v13, v34, 1.0
	v_and_b32_e32 v34, 1, v1
	v_cmp_eq_u32_e64 s[10:11], 0, v34
	v_lshlrev_b32_e32 v1, 30, v1
	v_cndmask_b32_e64 v13, v13, v33, s[10:11]
	v_and_or_b32 v1, v1, s61, v32
	v_xor_b32_e32 v1, v1, v13
	v_cmp_class_f32_e64 s[8:9], v15, s62
	v_xor_b32_e32 v1, v1, v15
	v_cndmask_b32_e64 v12, v31, v12, s[8:9]
	v_cndmask_b32_e64 v1, v31, v1, s[8:9]
	v_mul_f32_e32 v12, v14, v12
	v_mul_f32_e32 v13, v14, v1
                                        ; implicit-def: $vgpr15
                                        ; implicit-def: $vgpr32
.LBB138_69:                             ;   in Loop: Header=BB138_4 Depth=1
	s_andn2_saveexec_b64 s[36:37], s[36:37]
	s_cbranch_execz .LBB138_79
; %bb.70:                               ;   in Loop: Header=BB138_4 Depth=1
	v_cmp_nlt_f32_e64 s[38:39], |v15|, s47
                                        ; implicit-def: $vgpr13
                                        ; implicit-def: $vgpr12
	s_and_saveexec_b64 s[8:9], s[38:39]
	s_xor_b64 s[40:41], exec, s[8:9]
	s_cbranch_execz .LBB138_72
; %bb.71:                               ;   in Loop: Header=BB138_4 Depth=1
	v_and_b32_e32 v1, 0x7fffff, v32
	v_or_b32_e32 v39, 0x800000, v1
	v_mad_u64_u32 v[12:13], s[8:9], v39, s48, 0
	v_mov_b32_e32 v1, v13
	v_mad_u64_u32 v[33:34], s[8:9], v39, s49, v[1:2]
	v_mov_b32_e32 v1, v34
	;; [unrolled: 2-line block ×3, first 2 shown]
	v_mad_u64_u32 v[35:36], s[8:9], v39, s51, v[1:2]
	v_lshrrev_b32_e32 v1, 23, v32
	v_add_u32_e32 v13, 0xffffff88, v1
	v_mov_b32_e32 v1, v36
	v_mad_u64_u32 v[36:37], s[8:9], v39, s52, v[1:2]
	v_cmp_lt_u32_e64 s[8:9], 63, v13
	v_cndmask_b32_e64 v1, 0, v28, s[8:9]
	v_add_u32_e32 v13, v1, v13
	v_mov_b32_e32 v1, v37
	v_mad_u64_u32 v[37:38], s[10:11], v39, s53, v[1:2]
	v_cmp_lt_u32_e64 s[10:11], 31, v13
	v_cndmask_b32_e64 v1, 0, v29, s[10:11]
	;; [unrolled: 5-line block ×3, first 2 shown]
	v_add_u32_e32 v1, v1, v13
	v_cndmask_b32_e64 v13, v37, v35, s[8:9]
	v_cndmask_b32_e64 v38, v38, v36, s[8:9]
	;; [unrolled: 1-line block ×10, first 2 shown]
	v_sub_u32_e32 v39, 32, v1
	v_cndmask_b32_e64 v35, v36, v33, s[10:11]
	v_alignbit_b32 v40, v37, v38, v39
	v_cmp_eq_u32_e64 s[14:15], 0, v1
	v_cndmask_b32_e64 v13, v13, v35, s[12:13]
	v_cndmask_b32_e64 v1, v40, v37, s[14:15]
	v_alignbit_b32 v36, v38, v13, v39
	v_cndmask_b32_e64 v12, v34, v12, s[8:9]
	v_cndmask_b32_e64 v36, v36, v38, s[14:15]
	v_bfe_u32 v40, v1, 29, 1
	v_cndmask_b32_e64 v12, v33, v12, s[10:11]
	v_alignbit_b32 v37, v1, v36, 30
	v_sub_u32_e32 v41, 0, v40
	v_cndmask_b32_e64 v12, v35, v12, s[12:13]
	v_xor_b32_e32 v37, v37, v41
	v_alignbit_b32 v33, v13, v12, v39
	v_cndmask_b32_e64 v13, v33, v13, s[14:15]
	v_ffbh_u32_e32 v34, v37
	v_alignbit_b32 v33, v36, v13, 30
	v_min_u32_e32 v34, 32, v34
	v_alignbit_b32 v12, v13, v12, 30
	v_xor_b32_e32 v33, v33, v41
	v_sub_u32_e32 v35, 31, v34
	v_xor_b32_e32 v12, v12, v41
	v_alignbit_b32 v36, v37, v33, v35
	v_alignbit_b32 v12, v33, v12, v35
	;; [unrolled: 1-line block ×3, first 2 shown]
	v_ffbh_u32_e32 v33, v13
	v_min_u32_e32 v33, 32, v33
	v_lshrrev_b32_e32 v38, 29, v1
	v_not_b32_e32 v35, v33
	v_alignbit_b32 v12, v13, v12, v35
	v_lshlrev_b32_e32 v13, 31, v38
	v_or_b32_e32 v35, 0x33000000, v13
	v_add_lshl_u32 v33, v33, v34, 23
	v_lshrrev_b32_e32 v12, 9, v12
	v_sub_u32_e32 v33, v35, v33
	v_or_b32_e32 v13, 0.5, v13
	v_lshlrev_b32_e32 v34, 23, v34
	v_or_b32_e32 v12, v33, v12
	v_lshrrev_b32_e32 v33, 9, v36
	v_sub_u32_e32 v13, v13, v34
	v_or_b32_e32 v13, v33, v13
	v_mul_f32_e32 v33, 0x3fc90fda, v13
	v_fma_f32 v34, v13, s55, -v33
	v_fmac_f32_e32 v34, 0x33a22168, v13
	v_fmac_f32_e32 v34, 0x3fc90fda, v12
	v_lshrrev_b32_e32 v1, 30, v1
	v_add_f32_e32 v12, v33, v34
	v_add_u32_e32 v13, v40, v1
	s_andn2_saveexec_b64 s[8:9], s[40:41]
	s_branch .LBB138_73
.LBB138_72:                             ;   in Loop: Header=BB138_4 Depth=1
	s_andn2_saveexec_b64 s[8:9], s[40:41]
.LBB138_73:                             ;   in Loop: Header=BB138_4 Depth=1
	v_mul_f32_e64 v1, |v15|, s56
	v_rndne_f32_e32 v1, v1
	v_cvt_i32_f32_e32 v13, v1
	v_fma_f32 v12, v1, s57, |v15|
	v_fmac_f32_e32 v12, 0xb3a22168, v1
	v_fmac_f32_e32 v12, 0xa7c234c4, v1
; %bb.74:                               ;   in Loop: Header=BB138_4 Depth=1
	s_or_b64 exec, exec, s[8:9]
                                        ; implicit-def: $vgpr1
                                        ; implicit-def: $vgpr33
	s_and_saveexec_b64 s[8:9], s[38:39]
	s_xor_b64 s[38:39], exec, s[8:9]
	s_cbranch_execz .LBB138_76
; %bb.75:                               ;   in Loop: Header=BB138_4 Depth=1
	v_and_b32_e32 v1, 0x7fffff, v32
	v_or_b32_e32 v40, 0x800000, v1
	v_mad_u64_u32 v[33:34], s[8:9], v40, s48, 0
	v_mov_b32_e32 v1, v34
	v_mad_u64_u32 v[34:35], s[8:9], v40, s49, v[1:2]
	v_mov_b32_e32 v1, v35
	;; [unrolled: 2-line block ×3, first 2 shown]
	v_mad_u64_u32 v[36:37], s[8:9], v40, s51, v[1:2]
	v_lshrrev_b32_e32 v1, 23, v32
	v_add_u32_e32 v39, 0xffffff88, v1
	v_mov_b32_e32 v1, v37
	v_mad_u64_u32 v[37:38], s[8:9], v40, s52, v[1:2]
	v_cmp_lt_u32_e64 s[8:9], 63, v39
	v_cndmask_b32_e64 v1, 0, v28, s[8:9]
	v_add_u32_e32 v41, v1, v39
	v_mov_b32_e32 v1, v38
	v_mad_u64_u32 v[38:39], s[10:11], v40, s53, v[1:2]
	v_cmp_lt_u32_e64 s[10:11], 31, v41
	v_cndmask_b32_e64 v1, 0, v29, s[10:11]
	;; [unrolled: 5-line block ×3, first 2 shown]
	v_add_u32_e32 v1, v1, v41
	v_cndmask_b32_e64 v41, v38, v36, s[8:9]
	v_cndmask_b32_e64 v39, v39, v37, s[8:9]
	;; [unrolled: 1-line block ×10, first 2 shown]
	v_sub_u32_e32 v41, 32, v1
	v_cndmask_b32_e64 v36, v37, v34, s[10:11]
	v_alignbit_b32 v42, v38, v40, v41
	v_cmp_eq_u32_e64 s[14:15], 0, v1
	v_cndmask_b32_e64 v37, v39, v36, s[12:13]
	v_cndmask_b32_e64 v1, v42, v38, s[14:15]
	v_alignbit_b32 v38, v40, v37, v41
	v_cndmask_b32_e64 v33, v35, v33, s[8:9]
	v_cndmask_b32_e64 v38, v38, v40, s[14:15]
	v_bfe_u32 v42, v1, 29, 1
	v_cndmask_b32_e64 v33, v34, v33, s[10:11]
	v_alignbit_b32 v39, v1, v38, 30
	v_sub_u32_e32 v43, 0, v42
	v_cndmask_b32_e64 v33, v36, v33, s[12:13]
	v_xor_b32_e32 v39, v39, v43
	v_alignbit_b32 v34, v37, v33, v41
	v_cndmask_b32_e64 v34, v34, v37, s[14:15]
	v_ffbh_u32_e32 v36, v39
	v_alignbit_b32 v35, v38, v34, 30
	v_min_u32_e32 v36, 32, v36
	v_alignbit_b32 v33, v34, v33, 30
	v_xor_b32_e32 v35, v35, v43
	v_sub_u32_e32 v37, 31, v36
	v_xor_b32_e32 v33, v33, v43
	v_alignbit_b32 v38, v39, v35, v37
	v_alignbit_b32 v33, v35, v33, v37
	v_alignbit_b32 v34, v38, v33, 9
	v_ffbh_u32_e32 v35, v34
	v_min_u32_e32 v35, 32, v35
	v_lshrrev_b32_e32 v40, 29, v1
	v_not_b32_e32 v37, v35
	v_alignbit_b32 v33, v34, v33, v37
	v_lshlrev_b32_e32 v34, 31, v40
	v_or_b32_e32 v37, 0x33000000, v34
	v_add_lshl_u32 v35, v35, v36, 23
	v_lshrrev_b32_e32 v33, 9, v33
	v_sub_u32_e32 v35, v37, v35
	v_or_b32_e32 v34, 0.5, v34
	v_lshlrev_b32_e32 v36, 23, v36
	v_or_b32_e32 v33, v35, v33
	v_lshrrev_b32_e32 v35, 9, v38
	v_sub_u32_e32 v34, v34, v36
	v_or_b32_e32 v34, v35, v34
	v_mul_f32_e32 v35, 0x3fc90fda, v34
	v_fma_f32 v36, v34, s55, -v35
	v_fmac_f32_e32 v36, 0x33a22168, v34
	v_fmac_f32_e32 v36, 0x3fc90fda, v33
	v_lshrrev_b32_e32 v1, 30, v1
	v_add_f32_e32 v33, v35, v36
	v_add_u32_e32 v1, v42, v1
	s_andn2_saveexec_b64 s[8:9], s[38:39]
	s_cbranch_execnz .LBB138_77
	s_branch .LBB138_78
.LBB138_76:                             ;   in Loop: Header=BB138_4 Depth=1
	s_andn2_saveexec_b64 s[8:9], s[38:39]
.LBB138_77:                             ;   in Loop: Header=BB138_4 Depth=1
	v_mul_f32_e64 v1, |v15|, s56
	v_rndne_f32_e32 v34, v1
	v_cvt_i32_f32_e32 v1, v34
	v_fma_f32 v33, v34, s57, |v15|
	v_fmac_f32_e32 v33, 0xb3a22168, v34
	v_fmac_f32_e32 v33, 0xa7c234c4, v34
.LBB138_78:                             ;   in Loop: Header=BB138_4 Depth=1
	s_or_b64 exec, exec, s[8:9]
	v_mul_f32_e32 v35, v12, v12
	v_mov_b32_e32 v36, 0xbab64f3b
	v_fmac_f32_e32 v36, 0x37d75334, v35
	v_mov_b32_e32 v37, 0x3c0881c4
	v_fma_f32 v36, v35, v36, v26
	v_fmac_f32_e32 v37, 0xb94c1982, v35
	v_lshlrev_b32_e32 v34, 30, v13
	v_and_b32_e32 v13, 1, v13
	v_fma_f32 v36, v35, v36, v27
	v_fma_f32 v37, v35, v37, v25
	v_fma_f32 v36, v35, v36, 1.0
	v_mul_f32_e32 v35, v35, v37
	v_cmp_eq_u32_e64 s[8:9], 0, v13
	v_add_f32_e32 v13, 0xc322e3bc, v14
	v_fmac_f32_e32 v12, v12, v35
	v_mul_f32_e32 v14, 0x3fb8aa3b, v13
	v_cndmask_b32_e64 v12, -v12, v36, s[8:9]
	v_fma_f32 v35, v13, s58, -v14
	v_rndne_f32_e32 v36, v14
	v_fmac_f32_e32 v35, 0x32a5705f, v13
	v_sub_f32_e32 v14, v14, v36
	v_add_f32_e32 v14, v14, v35
	v_exp_f32_e32 v14, v14
	v_cvt_i32_f32_e32 v35, v36
	v_cmp_ngt_f32_e64 s[10:11], s59, v13
	v_and_b32_e32 v34, 0x80000000, v34
	v_xor_b32_e32 v12, v34, v12
	v_ldexp_f32 v14, v14, v35
	v_cndmask_b32_e64 v14, 0, v14, s[10:11]
	v_cmp_nlt_f32_e64 s[10:11], s60, v13
	v_cndmask_b32_e64 v13, v30, v14, s[10:11]
	v_and_b32_e32 v14, 0x7fffff, v13
	v_lshrrev_b32_e32 v13, 23, v13
	v_subrev_u32_e32 v13, 19, v13
	v_lshrrev_b16_e32 v34, 15, v13
	v_add_u16_e32 v34, v13, v34
	v_ashrrev_i16_e32 v34, 1, v34
	v_bfe_i32 v34, v34, 0, 16
	v_lshl_add_u32 v35, v34, 23, 1.0
	v_sub_u32_e32 v13, v13, v34
	v_mul_f32_e32 v34, v33, v33
	v_mov_b32_e32 v36, 0x3c0881c4
	v_fmac_f32_e32 v36, 0xb94c1982, v34
	v_fma_f32 v36, v34, v36, v25
	v_mul_f32_e32 v36, v34, v36
	v_fmac_f32_e32 v33, v33, v36
	v_mov_b32_e32 v36, 0xbab64f3b
	v_fmac_f32_e32 v36, 0x37d75334, v34
	v_fma_f32 v36, v34, v36, v26
	v_fma_f32 v36, v34, v36, v27
	v_fma_f32 v34, v34, v36, 1.0
	v_and_b32_e32 v36, 1, v1
	v_cmp_eq_u32_e64 s[10:11], 0, v36
	v_lshlrev_b32_e32 v1, 30, v1
	v_cndmask_b32_e64 v33, v34, v33, s[10:11]
	v_and_or_b32 v1, v1, s61, v32
	v_xor_b32_e32 v1, v1, v33
	v_cmp_class_f32_e64 s[8:9], v15, s62
	v_xor_b32_e32 v1, v1, v15
	v_cndmask_b32_e64 v12, v31, v12, s[8:9]
	v_or_b32_e32 v14, 0x7f000000, v14
	v_cndmask_b32_e64 v1, v31, v1, s[8:9]
	v_mul_f32_e32 v12, v12, v14
	v_mul_f32_e32 v1, v1, v14
	;; [unrolled: 1-line block ×3, first 2 shown]
	v_lshl_add_u32 v13, v13, 23, 1.0
	v_mul_f32_e32 v1, v1, v35
	v_mul_f32_e32 v12, v12, v13
	;; [unrolled: 1-line block ×3, first 2 shown]
.LBB138_79:                             ;   in Loop: Header=BB138_4 Depth=1
	s_or_b64 exec, exec, s[36:37]
                                        ; implicit-def: $vgpr14
                                        ; implicit-def: $vgpr1
.LBB138_80:                             ;   in Loop: Header=BB138_4 Depth=1
	s_andn2_saveexec_b64 s[10:11], s[34:35]
	s_cbranch_execz .LBB138_86
; %bb.81:                               ;   in Loop: Header=BB138_4 Depth=1
	v_cmp_ne_u32_e64 s[8:9], s45, v1
	v_sub_f32_e32 v13, v15, v15
	s_and_saveexec_b64 s[12:13], s[8:9]
	s_xor_b64 s[8:9], exec, s[12:13]
; %bb.82:                               ;   in Loop: Header=BB138_4 Depth=1
                                        ; implicit-def: $vgpr14
; %bb.83:                               ;   in Loop: Header=BB138_4 Depth=1
	s_or_saveexec_b64 s[12:13], s[8:9]
	v_mov_b32_e32 v12, v13
	s_xor_b64 exec, exec, s[12:13]
; %bb.84:                               ;   in Loop: Header=BB138_4 Depth=1
	v_cmp_lt_i32_e64 s[8:9], -1, v14
	v_cndmask_b32_e64 v12, 0, v14, s[8:9]
	v_cndmask_b32_e64 v13, 0, v13, s[8:9]
; %bb.85:                               ;   in Loop: Header=BB138_4 Depth=1
	s_or_b64 exec, exec, s[12:13]
.LBB138_86:                             ;   in Loop: Header=BB138_4 Depth=1
	s_or_b64 exec, exec, s[10:11]
                                        ; implicit-def: $vgpr15
                                        ; implicit-def: $vgpr32
.LBB138_87:                             ;   in Loop: Header=BB138_4 Depth=1
	s_andn2_saveexec_b64 s[30:31], s[30:31]
	s_cbranch_execz .LBB138_97
; %bb.88:                               ;   in Loop: Header=BB138_4 Depth=1
	v_lshrrev_b32_e32 v1, 23, v32
	v_and_b32_e32 v12, 0x7fffff, v32
	v_cmp_nlt_f32_e64 s[34:35], |v15|, s47
	v_add_u32_e32 v33, 0xffffff88, v1
	v_or_b32_e32 v12, 0x800000, v12
                                        ; implicit-def: $vgpr13
                                        ; implicit-def: $vgpr14
	s_and_saveexec_b64 s[8:9], s[34:35]
	s_xor_b64 s[36:37], exec, s[8:9]
	s_cbranch_execz .LBB138_90
; %bb.89:                               ;   in Loop: Header=BB138_4 Depth=1
	v_mad_u64_u32 v[13:14], s[8:9], v12, s48, 0
	v_mov_b32_e32 v1, v14
	v_mad_u64_u32 v[34:35], s[8:9], v12, s49, v[1:2]
	v_mov_b32_e32 v1, v35
	;; [unrolled: 2-line block ×3, first 2 shown]
	v_mad_u64_u32 v[36:37], s[8:9], v12, s51, v[1:2]
	v_cmp_lt_u32_e64 s[8:9], 63, v33
	v_cndmask_b32_e64 v1, 0, v28, s[8:9]
	v_add_u32_e32 v14, v1, v33
	v_mov_b32_e32 v1, v37
	v_mad_u64_u32 v[37:38], s[10:11], v12, s52, v[1:2]
	v_cmp_lt_u32_e64 s[10:11], 31, v14
	v_cndmask_b32_e64 v1, 0, v29, s[10:11]
	v_add_u32_e32 v14, v1, v14
	v_mov_b32_e32 v1, v38
	v_mad_u64_u32 v[38:39], s[12:13], v12, s53, v[1:2]
	v_cmp_lt_u32_e64 s[12:13], 31, v14
	v_cndmask_b32_e64 v1, 0, v29, s[12:13]
	v_add_u32_e32 v14, v1, v14
	v_mov_b32_e32 v1, v39
	v_mad_u64_u32 v[39:40], s[14:15], v12, s54, v[1:2]
	v_cndmask_b32_e64 v1, v37, v35, s[8:9]
	v_cndmask_b32_e64 v41, v38, v36, s[8:9]
	;; [unrolled: 1-line block ×9, first 2 shown]
	v_sub_u32_e32 v39, 32, v14
	v_cmp_eq_u32_e64 s[14:15], 0, v14
	v_cndmask_b32_e64 v14, v36, v34, s[8:9]
	v_cndmask_b32_e64 v1, v1, v14, s[10:11]
	v_alignbit_b32 v40, v37, v38, v39
	v_cndmask_b32_e64 v34, v42, v1, s[12:13]
	v_cndmask_b32_e64 v37, v40, v37, s[14:15]
	v_alignbit_b32 v36, v38, v34, v39
	v_cndmask_b32_e64 v13, v35, v13, s[8:9]
	v_cndmask_b32_e64 v36, v36, v38, s[14:15]
	v_bfe_u32 v41, v37, 29, 1
	v_cndmask_b32_e64 v13, v14, v13, s[10:11]
	v_alignbit_b32 v38, v37, v36, 30
	v_sub_u32_e32 v42, 0, v41
	v_cndmask_b32_e64 v1, v1, v13, s[12:13]
	v_xor_b32_e32 v38, v38, v42
	v_alignbit_b32 v13, v34, v1, v39
	v_cndmask_b32_e64 v13, v13, v34, s[14:15]
	v_ffbh_u32_e32 v34, v38
	v_alignbit_b32 v14, v36, v13, 30
	v_min_u32_e32 v34, 32, v34
	v_alignbit_b32 v1, v13, v1, 30
	v_xor_b32_e32 v14, v14, v42
	v_sub_u32_e32 v35, 31, v34
	v_xor_b32_e32 v1, v1, v42
	v_alignbit_b32 v36, v38, v14, v35
	v_alignbit_b32 v1, v14, v1, v35
	;; [unrolled: 1-line block ×3, first 2 shown]
	v_ffbh_u32_e32 v14, v13
	v_min_u32_e32 v14, 32, v14
	v_lshrrev_b32_e32 v40, 29, v37
	v_not_b32_e32 v35, v14
	v_alignbit_b32 v1, v13, v1, v35
	v_lshlrev_b32_e32 v13, 31, v40
	v_or_b32_e32 v35, 0x33000000, v13
	v_add_lshl_u32 v14, v14, v34, 23
	v_lshrrev_b32_e32 v1, 9, v1
	v_sub_u32_e32 v14, v35, v14
	v_or_b32_e32 v13, 0.5, v13
	v_lshlrev_b32_e32 v34, 23, v34
	v_or_b32_e32 v1, v14, v1
	v_lshrrev_b32_e32 v14, 9, v36
	v_sub_u32_e32 v13, v13, v34
	v_or_b32_e32 v13, v14, v13
	v_mul_f32_e32 v14, 0x3fc90fda, v13
	v_fma_f32 v34, v13, s55, -v14
	v_fmac_f32_e32 v34, 0x33a22168, v13
	v_fmac_f32_e32 v34, 0x3fc90fda, v1
	v_lshrrev_b32_e32 v1, 30, v37
	v_add_f32_e32 v14, v14, v34
	v_add_u32_e32 v13, v41, v1
.LBB138_90:                             ;   in Loop: Header=BB138_4 Depth=1
	s_or_saveexec_b64 s[8:9], s[36:37]
	v_mul_f32_e64 v1, |v15|, s56
	v_rndne_f32_e32 v35, v1
	s_xor_b64 exec, exec, s[8:9]
; %bb.91:                               ;   in Loop: Header=BB138_4 Depth=1
	v_cvt_i32_f32_e32 v13, v35
	v_fma_f32 v14, v35, s57, |v15|
	v_fmac_f32_e32 v14, 0xb3a22168, v35
	v_fmac_f32_e32 v14, 0xa7c234c4, v35
; %bb.92:                               ;   in Loop: Header=BB138_4 Depth=1
	s_or_b64 exec, exec, s[8:9]
                                        ; implicit-def: $vgpr1
                                        ; implicit-def: $vgpr34
	s_and_saveexec_b64 s[8:9], s[34:35]
	s_xor_b64 s[34:35], exec, s[8:9]
	s_cbranch_execz .LBB138_94
; %bb.93:                               ;   in Loop: Header=BB138_4 Depth=1
	v_mad_u64_u32 v[34:35], s[8:9], v12, s48, 0
	v_mov_b32_e32 v1, v35
	v_mad_u64_u32 v[35:36], s[8:9], v12, s49, v[1:2]
	v_mov_b32_e32 v1, v36
	v_mad_u64_u32 v[36:37], s[8:9], v12, s50, v[1:2]
	v_mov_b32_e32 v1, v37
	v_mad_u64_u32 v[37:38], s[8:9], v12, s51, v[1:2]
	v_cmp_lt_u32_e64 s[8:9], 63, v33
	v_cndmask_b32_e64 v1, 0, v28, s[8:9]
	v_add_u32_e32 v33, v1, v33
	v_mov_b32_e32 v1, v38
	v_mad_u64_u32 v[38:39], s[10:11], v12, s52, v[1:2]
	v_cmp_lt_u32_e64 s[10:11], 31, v33
	v_cndmask_b32_e64 v1, 0, v29, s[10:11]
	v_add_u32_e32 v33, v1, v33
	v_mov_b32_e32 v1, v39
	;; [unrolled: 5-line block ×3, first 2 shown]
	v_mad_u64_u32 v[40:41], s[14:15], v12, s54, v[1:2]
	v_cndmask_b32_e64 v1, v38, v36, s[8:9]
	v_cndmask_b32_e64 v12, v39, v37, s[8:9]
	;; [unrolled: 1-line block ×10, first 2 shown]
	v_sub_u32_e32 v39, 32, v33
	v_cndmask_b32_e64 v1, v1, v35, s[10:11]
	v_alignbit_b32 v40, v38, v12, v39
	v_cmp_eq_u32_e64 s[14:15], 0, v33
	v_cndmask_b32_e64 v37, v42, v1, s[12:13]
	v_cndmask_b32_e64 v33, v40, v38, s[14:15]
	v_alignbit_b32 v38, v12, v37, v39
	v_cndmask_b32_e64 v34, v36, v34, s[8:9]
	v_cndmask_b32_e64 v12, v38, v12, s[14:15]
	v_bfe_u32 v41, v33, 29, 1
	v_cndmask_b32_e64 v34, v35, v34, s[10:11]
	v_alignbit_b32 v38, v33, v12, 30
	v_sub_u32_e32 v42, 0, v41
	v_cndmask_b32_e64 v1, v1, v34, s[12:13]
	v_xor_b32_e32 v38, v38, v42
	v_alignbit_b32 v34, v37, v1, v39
	v_cndmask_b32_e64 v34, v34, v37, s[14:15]
	v_ffbh_u32_e32 v35, v38
	v_alignbit_b32 v12, v12, v34, 30
	v_min_u32_e32 v35, 32, v35
	v_alignbit_b32 v1, v34, v1, 30
	v_xor_b32_e32 v12, v12, v42
	v_sub_u32_e32 v36, 31, v35
	v_xor_b32_e32 v1, v1, v42
	v_alignbit_b32 v37, v38, v12, v36
	v_alignbit_b32 v1, v12, v1, v36
	;; [unrolled: 1-line block ×3, first 2 shown]
	v_ffbh_u32_e32 v34, v12
	v_min_u32_e32 v34, 32, v34
	v_lshrrev_b32_e32 v40, 29, v33
	v_not_b32_e32 v36, v34
	v_alignbit_b32 v1, v12, v1, v36
	v_lshlrev_b32_e32 v12, 31, v40
	v_or_b32_e32 v36, 0x33000000, v12
	v_add_lshl_u32 v34, v34, v35, 23
	v_lshrrev_b32_e32 v1, 9, v1
	v_sub_u32_e32 v34, v36, v34
	v_or_b32_e32 v12, 0.5, v12
	v_lshlrev_b32_e32 v35, 23, v35
	v_or_b32_e32 v1, v34, v1
	v_lshrrev_b32_e32 v34, 9, v37
	v_sub_u32_e32 v12, v12, v35
	v_or_b32_e32 v12, v34, v12
	v_mul_f32_e32 v34, 0x3fc90fda, v12
	v_fma_f32 v35, v12, s55, -v34
	v_fmac_f32_e32 v35, 0x33a22168, v12
	v_fmac_f32_e32 v35, 0x3fc90fda, v1
	v_lshrrev_b32_e32 v1, 30, v33
	v_add_f32_e32 v34, v34, v35
	v_add_u32_e32 v1, v41, v1
                                        ; implicit-def: $vgpr35
	s_andn2_saveexec_b64 s[8:9], s[34:35]
	s_cbranch_execnz .LBB138_95
	s_branch .LBB138_96
.LBB138_94:                             ;   in Loop: Header=BB138_4 Depth=1
	s_andn2_saveexec_b64 s[8:9], s[34:35]
.LBB138_95:                             ;   in Loop: Header=BB138_4 Depth=1
	v_cvt_i32_f32_e32 v1, v35
	v_fma_f32 v34, v35, s57, |v15|
	v_fmac_f32_e32 v34, 0xb3a22168, v35
	v_fmac_f32_e32 v34, 0xa7c234c4, v35
.LBB138_96:                             ;   in Loop: Header=BB138_4 Depth=1
	s_or_b64 exec, exec, s[8:9]
	v_mul_f32_e32 v12, v14, v14
	v_mov_b32_e32 v33, 0x3c0881c4
	v_fmac_f32_e32 v33, 0xb94c1982, v12
	v_fma_f32 v33, v12, v33, v25
	v_mul_f32_e32 v33, v12, v33
	v_fmac_f32_e32 v14, v14, v33
	v_mov_b32_e32 v33, 0xbab64f3b
	v_fmac_f32_e32 v33, 0x37d75334, v12
	v_fma_f32 v33, v12, v33, v26
	v_fma_f32 v33, v12, v33, v27
	v_fma_f32 v12, v12, v33, 1.0
	v_and_b32_e32 v33, 1, v13
	v_cmp_eq_u32_e64 s[8:9], 0, v33
	v_lshlrev_b32_e32 v13, 30, v13
	v_cndmask_b32_e64 v12, -v14, v12, s[8:9]
	v_and_b32_e32 v13, 0x80000000, v13
	v_xor_b32_e32 v12, v13, v12
	v_mul_f32_e32 v13, v34, v34
	v_mov_b32_e32 v14, 0x3c0881c4
	v_fmac_f32_e32 v14, 0xb94c1982, v13
	v_fma_f32 v14, v13, v14, v25
	v_mul_f32_e32 v14, v13, v14
	v_fmac_f32_e32 v34, v34, v14
	v_mov_b32_e32 v14, 0xbab64f3b
	v_fmac_f32_e32 v14, 0x37d75334, v13
	v_fma_f32 v14, v13, v14, v26
	v_fma_f32 v14, v13, v14, v27
	v_fma_f32 v13, v13, v14, 1.0
	v_and_b32_e32 v14, 1, v1
	v_cmp_eq_u32_e64 s[10:11], 0, v14
	v_lshlrev_b32_e32 v1, 30, v1
	v_cndmask_b32_e64 v13, v13, v34, s[10:11]
	v_and_or_b32 v1, v1, s61, v32
	v_xor_b32_e32 v1, v1, v13
	v_cmp_class_f32_e64 s[8:9], v15, s62
	v_xor_b32_e32 v1, v1, v15
	v_cndmask_b32_e64 v12, v31, v12, s[8:9]
	v_cndmask_b32_e64 v13, v31, v1, s[8:9]
.LBB138_97:                             ;   in Loop: Header=BB138_4 Depth=1
	s_or_b64 exec, exec, s[30:31]
                                        ; implicit-def: $vgpr14
.LBB138_98:                             ;   in Loop: Header=BB138_4 Depth=1
	s_andn2_saveexec_b64 s[10:11], s[28:29]
	s_cbranch_execz .LBB138_100
; %bb.99:                               ;   in Loop: Header=BB138_4 Depth=1
	v_mul_f32_e32 v1, 0x3fb8aa3b, v14
	v_rndne_f32_e32 v12, v1
	v_sub_f32_e32 v13, v1, v12
	v_fma_f32 v1, v14, s58, -v1
	v_fmac_f32_e32 v1, 0x32a5705f, v14
	v_add_f32_e32 v1, v13, v1
	v_cvt_i32_f32_e32 v12, v12
	v_exp_f32_e32 v1, v1
	v_cmp_ngt_f32_e64 s[8:9], s59, v14
	v_mov_b32_e32 v13, v15
	v_ldexp_f32 v1, v1, v12
	v_cndmask_b32_e64 v1, 0, v1, s[8:9]
	v_cmp_nlt_f32_e64 s[8:9], s60, v14
	v_cndmask_b32_e64 v12, v30, v1, s[8:9]
.LBB138_100:                            ;   in Loop: Header=BB138_4 Depth=1
	s_or_b64 exec, exec, s[10:11]
	v_and_b32_e32 v32, 0x7fffffff, v11
	v_cmp_ne_u32_e64 s[8:9], 0, v32
                                        ; implicit-def: $vgpr15
	s_and_saveexec_b64 s[10:11], s[8:9]
	s_xor_b64 s[28:29], exec, s[10:11]
	s_cbranch_execz .LBB138_142
; %bb.101:                              ;   in Loop: Header=BB138_4 Depth=1
	v_and_b32_e32 v1, 0x7fffffff, v10
	v_cmp_ne_u32_e64 s[8:9], 0, v1
                                        ; implicit-def: $vgpr15
	s_and_saveexec_b64 s[10:11], s[8:9]
	s_xor_b64 s[30:31], exec, s[10:11]
	s_cbranch_execz .LBB138_131
; %bb.102:                              ;   in Loop: Header=BB138_4 Depth=1
	v_cmp_gt_u32_e64 s[8:9], s45, v32
                                        ; implicit-def: $vgpr15
	s_and_saveexec_b64 s[10:11], s[8:9]
	s_xor_b64 s[34:35], exec, s[10:11]
	s_cbranch_execz .LBB138_124
; %bb.103:                              ;   in Loop: Header=BB138_4 Depth=1
	v_add_u32_e32 v1, 0xbd4e8de8, v10
	v_cmp_lt_u32_e64 s[8:9], s46, v1
                                        ; implicit-def: $vgpr15
	s_and_saveexec_b64 s[10:11], s[8:9]
	s_xor_b64 s[36:37], exec, s[10:11]
	s_cbranch_execz .LBB138_113
; %bb.104:                              ;   in Loop: Header=BB138_4 Depth=1
	v_cmp_nlt_f32_e64 s[38:39], |v11|, s47
                                        ; implicit-def: $vgpr14
                                        ; implicit-def: $vgpr15
	s_and_saveexec_b64 s[8:9], s[38:39]
	s_xor_b64 s[40:41], exec, s[8:9]
	s_cbranch_execz .LBB138_106
; %bb.105:                              ;   in Loop: Header=BB138_4 Depth=1
	v_and_b32_e32 v1, 0x7fffff, v32
	v_or_b32_e32 v39, 0x800000, v1
	v_mad_u64_u32 v[14:15], s[8:9], v39, s48, 0
	v_mov_b32_e32 v1, v15
	v_mad_u64_u32 v[33:34], s[8:9], v39, s49, v[1:2]
	v_mov_b32_e32 v1, v34
	v_mad_u64_u32 v[34:35], s[8:9], v39, s50, v[1:2]
	v_mov_b32_e32 v1, v35
	v_mad_u64_u32 v[35:36], s[8:9], v39, s51, v[1:2]
	v_lshrrev_b32_e32 v1, 23, v32
	v_add_u32_e32 v15, 0xffffff88, v1
	v_mov_b32_e32 v1, v36
	v_mad_u64_u32 v[36:37], s[8:9], v39, s52, v[1:2]
	v_cmp_lt_u32_e64 s[8:9], 63, v15
	v_cndmask_b32_e64 v1, 0, v28, s[8:9]
	v_add_u32_e32 v15, v1, v15
	v_mov_b32_e32 v1, v37
	v_mad_u64_u32 v[37:38], s[10:11], v39, s53, v[1:2]
	v_cmp_lt_u32_e64 s[10:11], 31, v15
	v_cndmask_b32_e64 v1, 0, v29, s[10:11]
	;; [unrolled: 5-line block ×3, first 2 shown]
	v_add_u32_e32 v1, v1, v15
	v_cndmask_b32_e64 v15, v37, v35, s[8:9]
	v_cndmask_b32_e64 v38, v38, v36, s[8:9]
	;; [unrolled: 1-line block ×10, first 2 shown]
	v_sub_u32_e32 v39, 32, v1
	v_cndmask_b32_e64 v35, v36, v33, s[10:11]
	v_alignbit_b32 v40, v37, v38, v39
	v_cmp_eq_u32_e64 s[14:15], 0, v1
	v_cndmask_b32_e64 v15, v15, v35, s[12:13]
	v_cndmask_b32_e64 v1, v40, v37, s[14:15]
	v_alignbit_b32 v36, v38, v15, v39
	v_cndmask_b32_e64 v14, v34, v14, s[8:9]
	v_cndmask_b32_e64 v36, v36, v38, s[14:15]
	v_bfe_u32 v40, v1, 29, 1
	v_cndmask_b32_e64 v14, v33, v14, s[10:11]
	v_alignbit_b32 v37, v1, v36, 30
	v_sub_u32_e32 v41, 0, v40
	v_cndmask_b32_e64 v14, v35, v14, s[12:13]
	v_xor_b32_e32 v37, v37, v41
	v_alignbit_b32 v33, v15, v14, v39
	v_cndmask_b32_e64 v15, v33, v15, s[14:15]
	v_ffbh_u32_e32 v34, v37
	v_alignbit_b32 v33, v36, v15, 30
	v_min_u32_e32 v34, 32, v34
	v_alignbit_b32 v14, v15, v14, 30
	v_xor_b32_e32 v33, v33, v41
	v_sub_u32_e32 v35, 31, v34
	v_xor_b32_e32 v14, v14, v41
	v_alignbit_b32 v36, v37, v33, v35
	v_alignbit_b32 v14, v33, v14, v35
	;; [unrolled: 1-line block ×3, first 2 shown]
	v_ffbh_u32_e32 v33, v15
	v_min_u32_e32 v33, 32, v33
	v_lshrrev_b32_e32 v38, 29, v1
	v_not_b32_e32 v35, v33
	v_alignbit_b32 v14, v15, v14, v35
	v_lshlrev_b32_e32 v15, 31, v38
	v_or_b32_e32 v35, 0x33000000, v15
	v_add_lshl_u32 v33, v33, v34, 23
	v_lshrrev_b32_e32 v14, 9, v14
	v_sub_u32_e32 v33, v35, v33
	v_or_b32_e32 v15, 0.5, v15
	v_lshlrev_b32_e32 v34, 23, v34
	v_or_b32_e32 v14, v33, v14
	v_lshrrev_b32_e32 v33, 9, v36
	v_sub_u32_e32 v15, v15, v34
	v_or_b32_e32 v15, v33, v15
	v_mul_f32_e32 v33, 0x3fc90fda, v15
	v_fma_f32 v34, v15, s55, -v33
	v_fmac_f32_e32 v34, 0x33a22168, v15
	v_fmac_f32_e32 v34, 0x3fc90fda, v14
	v_lshrrev_b32_e32 v1, 30, v1
	v_add_f32_e32 v15, v33, v34
	v_add_u32_e32 v14, v40, v1
	s_andn2_saveexec_b64 s[8:9], s[40:41]
	s_branch .LBB138_107
.LBB138_106:                            ;   in Loop: Header=BB138_4 Depth=1
	s_andn2_saveexec_b64 s[8:9], s[40:41]
.LBB138_107:                            ;   in Loop: Header=BB138_4 Depth=1
	v_mul_f32_e64 v1, |v11|, s56
	v_rndne_f32_e32 v1, v1
	v_cvt_i32_f32_e32 v14, v1
	v_fma_f32 v15, v1, s57, |v11|
	v_fmac_f32_e32 v15, 0xb3a22168, v1
	v_fmac_f32_e32 v15, 0xa7c234c4, v1
; %bb.108:                              ;   in Loop: Header=BB138_4 Depth=1
	s_or_b64 exec, exec, s[8:9]
                                        ; implicit-def: $vgpr1
                                        ; implicit-def: $vgpr33
	s_and_saveexec_b64 s[8:9], s[38:39]
	s_xor_b64 s[38:39], exec, s[8:9]
	s_cbranch_execz .LBB138_110
; %bb.109:                              ;   in Loop: Header=BB138_4 Depth=1
	v_and_b32_e32 v1, 0x7fffff, v32
	v_or_b32_e32 v40, 0x800000, v1
	v_mad_u64_u32 v[33:34], s[8:9], v40, s48, 0
	v_mov_b32_e32 v1, v34
	v_mad_u64_u32 v[34:35], s[8:9], v40, s49, v[1:2]
	v_mov_b32_e32 v1, v35
	;; [unrolled: 2-line block ×3, first 2 shown]
	v_mad_u64_u32 v[36:37], s[8:9], v40, s51, v[1:2]
	v_lshrrev_b32_e32 v1, 23, v32
	v_add_u32_e32 v39, 0xffffff88, v1
	v_mov_b32_e32 v1, v37
	v_mad_u64_u32 v[37:38], s[8:9], v40, s52, v[1:2]
	v_cmp_lt_u32_e64 s[8:9], 63, v39
	v_cndmask_b32_e64 v1, 0, v28, s[8:9]
	v_add_u32_e32 v41, v1, v39
	v_mov_b32_e32 v1, v38
	v_mad_u64_u32 v[38:39], s[10:11], v40, s53, v[1:2]
	v_cmp_lt_u32_e64 s[10:11], 31, v41
	v_cndmask_b32_e64 v1, 0, v29, s[10:11]
	;; [unrolled: 5-line block ×3, first 2 shown]
	v_add_u32_e32 v1, v1, v41
	v_cndmask_b32_e64 v41, v38, v36, s[8:9]
	v_cndmask_b32_e64 v39, v39, v37, s[8:9]
	;; [unrolled: 1-line block ×10, first 2 shown]
	v_sub_u32_e32 v41, 32, v1
	v_cndmask_b32_e64 v36, v37, v34, s[10:11]
	v_alignbit_b32 v42, v38, v40, v41
	v_cmp_eq_u32_e64 s[14:15], 0, v1
	v_cndmask_b32_e64 v37, v39, v36, s[12:13]
	v_cndmask_b32_e64 v1, v42, v38, s[14:15]
	v_alignbit_b32 v38, v40, v37, v41
	v_cndmask_b32_e64 v33, v35, v33, s[8:9]
	v_cndmask_b32_e64 v38, v38, v40, s[14:15]
	v_bfe_u32 v42, v1, 29, 1
	v_cndmask_b32_e64 v33, v34, v33, s[10:11]
	v_alignbit_b32 v39, v1, v38, 30
	v_sub_u32_e32 v43, 0, v42
	v_cndmask_b32_e64 v33, v36, v33, s[12:13]
	v_xor_b32_e32 v39, v39, v43
	v_alignbit_b32 v34, v37, v33, v41
	v_cndmask_b32_e64 v34, v34, v37, s[14:15]
	v_ffbh_u32_e32 v36, v39
	v_alignbit_b32 v35, v38, v34, 30
	v_min_u32_e32 v36, 32, v36
	v_alignbit_b32 v33, v34, v33, 30
	v_xor_b32_e32 v35, v35, v43
	v_sub_u32_e32 v37, 31, v36
	v_xor_b32_e32 v33, v33, v43
	v_alignbit_b32 v38, v39, v35, v37
	v_alignbit_b32 v33, v35, v33, v37
	;; [unrolled: 1-line block ×3, first 2 shown]
	v_ffbh_u32_e32 v35, v34
	v_min_u32_e32 v35, 32, v35
	v_lshrrev_b32_e32 v40, 29, v1
	v_not_b32_e32 v37, v35
	v_alignbit_b32 v33, v34, v33, v37
	v_lshlrev_b32_e32 v34, 31, v40
	v_or_b32_e32 v37, 0x33000000, v34
	v_add_lshl_u32 v35, v35, v36, 23
	v_lshrrev_b32_e32 v33, 9, v33
	v_sub_u32_e32 v35, v37, v35
	v_or_b32_e32 v34, 0.5, v34
	v_lshlrev_b32_e32 v36, 23, v36
	v_or_b32_e32 v33, v35, v33
	v_lshrrev_b32_e32 v35, 9, v38
	v_sub_u32_e32 v34, v34, v36
	v_or_b32_e32 v34, v35, v34
	v_mul_f32_e32 v35, 0x3fc90fda, v34
	v_fma_f32 v36, v34, s55, -v35
	v_fmac_f32_e32 v36, 0x33a22168, v34
	v_fmac_f32_e32 v36, 0x3fc90fda, v33
	v_lshrrev_b32_e32 v1, 30, v1
	v_add_f32_e32 v33, v35, v36
	v_add_u32_e32 v1, v42, v1
	s_andn2_saveexec_b64 s[8:9], s[38:39]
	s_cbranch_execnz .LBB138_111
	s_branch .LBB138_112
.LBB138_110:                            ;   in Loop: Header=BB138_4 Depth=1
	s_andn2_saveexec_b64 s[8:9], s[38:39]
.LBB138_111:                            ;   in Loop: Header=BB138_4 Depth=1
	v_mul_f32_e64 v1, |v11|, s56
	v_rndne_f32_e32 v34, v1
	v_cvt_i32_f32_e32 v1, v34
	v_fma_f32 v33, v34, s57, |v11|
	v_fmac_f32_e32 v33, 0xb3a22168, v34
	v_fmac_f32_e32 v33, 0xa7c234c4, v34
.LBB138_112:                            ;   in Loop: Header=BB138_4 Depth=1
	s_or_b64 exec, exec, s[8:9]
	v_mul_f32_e32 v34, 0x3fb8aa3b, v10
	v_rndne_f32_e32 v35, v34
	v_sub_f32_e32 v36, v34, v35
	v_fma_f32 v34, v10, s58, -v34
	v_fmac_f32_e32 v34, 0x32a5705f, v10
	v_add_f32_e32 v34, v36, v34
	v_cvt_i32_f32_e32 v35, v35
	v_exp_f32_e32 v34, v34
	v_cmp_ngt_f32_e64 s[8:9], s59, v10
	v_ldexp_f32 v34, v34, v35
	v_cndmask_b32_e64 v34, 0, v34, s[8:9]
	v_cmp_nlt_f32_e64 s[8:9], s60, v10
	v_cndmask_b32_e64 v10, v30, v34, s[8:9]
	v_mul_f32_e32 v34, v15, v15
	v_mov_b32_e32 v35, 0x3c0881c4
	v_fmac_f32_e32 v35, 0xb94c1982, v34
	v_fma_f32 v35, v34, v35, v25
	v_mul_f32_e32 v35, v34, v35
	v_fmac_f32_e32 v15, v15, v35
	v_mov_b32_e32 v35, 0xbab64f3b
	v_fmac_f32_e32 v35, 0x37d75334, v34
	v_fma_f32 v35, v34, v35, v26
	v_fma_f32 v35, v34, v35, v27
	v_fma_f32 v34, v34, v35, 1.0
	v_and_b32_e32 v35, 1, v14
	v_cmp_eq_u32_e64 s[8:9], 0, v35
	v_lshlrev_b32_e32 v14, 30, v14
	v_cndmask_b32_e64 v15, -v15, v34, s[8:9]
	v_and_b32_e32 v14, 0x80000000, v14
	v_xor_b32_e32 v14, v14, v15
	v_mul_f32_e32 v15, v33, v33
	v_mov_b32_e32 v34, 0x3c0881c4
	v_fmac_f32_e32 v34, 0xb94c1982, v15
	v_fma_f32 v34, v15, v34, v25
	v_mul_f32_e32 v34, v15, v34
	v_fmac_f32_e32 v33, v33, v34
	v_mov_b32_e32 v34, 0xbab64f3b
	v_fmac_f32_e32 v34, 0x37d75334, v15
	v_fma_f32 v34, v15, v34, v26
	v_fma_f32 v34, v15, v34, v27
	v_fma_f32 v15, v15, v34, 1.0
	v_and_b32_e32 v34, 1, v1
	v_cmp_eq_u32_e64 s[10:11], 0, v34
	v_lshlrev_b32_e32 v1, 30, v1
	v_cndmask_b32_e64 v15, v15, v33, s[10:11]
	v_and_or_b32 v1, v1, s61, v32
	v_xor_b32_e32 v1, v1, v15
	v_cmp_class_f32_e64 s[8:9], v11, s62
	v_xor_b32_e32 v1, v1, v11
	v_cndmask_b32_e64 v14, v31, v14, s[8:9]
	v_cndmask_b32_e64 v1, v31, v1, s[8:9]
	v_mul_f32_e32 v14, v10, v14
	v_mul_f32_e32 v15, v10, v1
                                        ; implicit-def: $vgpr11
                                        ; implicit-def: $vgpr32
.LBB138_113:                            ;   in Loop: Header=BB138_4 Depth=1
	s_andn2_saveexec_b64 s[36:37], s[36:37]
	s_cbranch_execz .LBB138_123
; %bb.114:                              ;   in Loop: Header=BB138_4 Depth=1
	v_cmp_nlt_f32_e64 s[38:39], |v11|, s47
                                        ; implicit-def: $vgpr15
                                        ; implicit-def: $vgpr14
	s_and_saveexec_b64 s[8:9], s[38:39]
	s_xor_b64 s[40:41], exec, s[8:9]
	s_cbranch_execz .LBB138_116
; %bb.115:                              ;   in Loop: Header=BB138_4 Depth=1
	v_and_b32_e32 v1, 0x7fffff, v32
	v_or_b32_e32 v39, 0x800000, v1
	v_mad_u64_u32 v[14:15], s[8:9], v39, s48, 0
	v_mov_b32_e32 v1, v15
	v_mad_u64_u32 v[33:34], s[8:9], v39, s49, v[1:2]
	v_mov_b32_e32 v1, v34
	;; [unrolled: 2-line block ×3, first 2 shown]
	v_mad_u64_u32 v[35:36], s[8:9], v39, s51, v[1:2]
	v_lshrrev_b32_e32 v1, 23, v32
	v_add_u32_e32 v15, 0xffffff88, v1
	v_mov_b32_e32 v1, v36
	v_mad_u64_u32 v[36:37], s[8:9], v39, s52, v[1:2]
	v_cmp_lt_u32_e64 s[8:9], 63, v15
	v_cndmask_b32_e64 v1, 0, v28, s[8:9]
	v_add_u32_e32 v15, v1, v15
	v_mov_b32_e32 v1, v37
	v_mad_u64_u32 v[37:38], s[10:11], v39, s53, v[1:2]
	v_cmp_lt_u32_e64 s[10:11], 31, v15
	v_cndmask_b32_e64 v1, 0, v29, s[10:11]
	;; [unrolled: 5-line block ×3, first 2 shown]
	v_add_u32_e32 v1, v1, v15
	v_cndmask_b32_e64 v15, v37, v35, s[8:9]
	v_cndmask_b32_e64 v38, v38, v36, s[8:9]
	;; [unrolled: 1-line block ×10, first 2 shown]
	v_sub_u32_e32 v39, 32, v1
	v_cndmask_b32_e64 v35, v36, v33, s[10:11]
	v_alignbit_b32 v40, v37, v38, v39
	v_cmp_eq_u32_e64 s[14:15], 0, v1
	v_cndmask_b32_e64 v15, v15, v35, s[12:13]
	v_cndmask_b32_e64 v1, v40, v37, s[14:15]
	v_alignbit_b32 v36, v38, v15, v39
	v_cndmask_b32_e64 v14, v34, v14, s[8:9]
	v_cndmask_b32_e64 v36, v36, v38, s[14:15]
	v_bfe_u32 v40, v1, 29, 1
	v_cndmask_b32_e64 v14, v33, v14, s[10:11]
	v_alignbit_b32 v37, v1, v36, 30
	v_sub_u32_e32 v41, 0, v40
	v_cndmask_b32_e64 v14, v35, v14, s[12:13]
	v_xor_b32_e32 v37, v37, v41
	v_alignbit_b32 v33, v15, v14, v39
	v_cndmask_b32_e64 v15, v33, v15, s[14:15]
	v_ffbh_u32_e32 v34, v37
	v_alignbit_b32 v33, v36, v15, 30
	v_min_u32_e32 v34, 32, v34
	v_alignbit_b32 v14, v15, v14, 30
	v_xor_b32_e32 v33, v33, v41
	v_sub_u32_e32 v35, 31, v34
	v_xor_b32_e32 v14, v14, v41
	v_alignbit_b32 v36, v37, v33, v35
	v_alignbit_b32 v14, v33, v14, v35
	v_alignbit_b32 v15, v36, v14, 9
	v_ffbh_u32_e32 v33, v15
	v_min_u32_e32 v33, 32, v33
	v_lshrrev_b32_e32 v38, 29, v1
	v_not_b32_e32 v35, v33
	v_alignbit_b32 v14, v15, v14, v35
	v_lshlrev_b32_e32 v15, 31, v38
	v_or_b32_e32 v35, 0x33000000, v15
	v_add_lshl_u32 v33, v33, v34, 23
	v_lshrrev_b32_e32 v14, 9, v14
	v_sub_u32_e32 v33, v35, v33
	v_or_b32_e32 v15, 0.5, v15
	v_lshlrev_b32_e32 v34, 23, v34
	v_or_b32_e32 v14, v33, v14
	v_lshrrev_b32_e32 v33, 9, v36
	v_sub_u32_e32 v15, v15, v34
	v_or_b32_e32 v15, v33, v15
	v_mul_f32_e32 v33, 0x3fc90fda, v15
	v_fma_f32 v34, v15, s55, -v33
	v_fmac_f32_e32 v34, 0x33a22168, v15
	v_fmac_f32_e32 v34, 0x3fc90fda, v14
	v_lshrrev_b32_e32 v1, 30, v1
	v_add_f32_e32 v14, v33, v34
	v_add_u32_e32 v15, v40, v1
	s_andn2_saveexec_b64 s[8:9], s[40:41]
	s_branch .LBB138_117
.LBB138_116:                            ;   in Loop: Header=BB138_4 Depth=1
	s_andn2_saveexec_b64 s[8:9], s[40:41]
.LBB138_117:                            ;   in Loop: Header=BB138_4 Depth=1
	v_mul_f32_e64 v1, |v11|, s56
	v_rndne_f32_e32 v1, v1
	v_cvt_i32_f32_e32 v15, v1
	v_fma_f32 v14, v1, s57, |v11|
	v_fmac_f32_e32 v14, 0xb3a22168, v1
	v_fmac_f32_e32 v14, 0xa7c234c4, v1
; %bb.118:                              ;   in Loop: Header=BB138_4 Depth=1
	s_or_b64 exec, exec, s[8:9]
                                        ; implicit-def: $vgpr1
                                        ; implicit-def: $vgpr33
	s_and_saveexec_b64 s[8:9], s[38:39]
	s_xor_b64 s[38:39], exec, s[8:9]
	s_cbranch_execz .LBB138_120
; %bb.119:                              ;   in Loop: Header=BB138_4 Depth=1
	v_and_b32_e32 v1, 0x7fffff, v32
	v_or_b32_e32 v40, 0x800000, v1
	v_mad_u64_u32 v[33:34], s[8:9], v40, s48, 0
	v_mov_b32_e32 v1, v34
	v_mad_u64_u32 v[34:35], s[8:9], v40, s49, v[1:2]
	v_mov_b32_e32 v1, v35
	;; [unrolled: 2-line block ×3, first 2 shown]
	v_mad_u64_u32 v[36:37], s[8:9], v40, s51, v[1:2]
	v_lshrrev_b32_e32 v1, 23, v32
	v_add_u32_e32 v39, 0xffffff88, v1
	v_mov_b32_e32 v1, v37
	v_mad_u64_u32 v[37:38], s[8:9], v40, s52, v[1:2]
	v_cmp_lt_u32_e64 s[8:9], 63, v39
	v_cndmask_b32_e64 v1, 0, v28, s[8:9]
	v_add_u32_e32 v41, v1, v39
	v_mov_b32_e32 v1, v38
	v_mad_u64_u32 v[38:39], s[10:11], v40, s53, v[1:2]
	v_cmp_lt_u32_e64 s[10:11], 31, v41
	v_cndmask_b32_e64 v1, 0, v29, s[10:11]
	;; [unrolled: 5-line block ×3, first 2 shown]
	v_add_u32_e32 v1, v1, v41
	v_cndmask_b32_e64 v41, v38, v36, s[8:9]
	v_cndmask_b32_e64 v39, v39, v37, s[8:9]
	;; [unrolled: 1-line block ×10, first 2 shown]
	v_sub_u32_e32 v41, 32, v1
	v_cndmask_b32_e64 v36, v37, v34, s[10:11]
	v_alignbit_b32 v42, v38, v40, v41
	v_cmp_eq_u32_e64 s[14:15], 0, v1
	v_cndmask_b32_e64 v37, v39, v36, s[12:13]
	v_cndmask_b32_e64 v1, v42, v38, s[14:15]
	v_alignbit_b32 v38, v40, v37, v41
	v_cndmask_b32_e64 v33, v35, v33, s[8:9]
	v_cndmask_b32_e64 v38, v38, v40, s[14:15]
	v_bfe_u32 v42, v1, 29, 1
	v_cndmask_b32_e64 v33, v34, v33, s[10:11]
	v_alignbit_b32 v39, v1, v38, 30
	v_sub_u32_e32 v43, 0, v42
	v_cndmask_b32_e64 v33, v36, v33, s[12:13]
	v_xor_b32_e32 v39, v39, v43
	v_alignbit_b32 v34, v37, v33, v41
	v_cndmask_b32_e64 v34, v34, v37, s[14:15]
	v_ffbh_u32_e32 v36, v39
	v_alignbit_b32 v35, v38, v34, 30
	v_min_u32_e32 v36, 32, v36
	v_alignbit_b32 v33, v34, v33, 30
	v_xor_b32_e32 v35, v35, v43
	v_sub_u32_e32 v37, 31, v36
	v_xor_b32_e32 v33, v33, v43
	v_alignbit_b32 v38, v39, v35, v37
	v_alignbit_b32 v33, v35, v33, v37
	v_alignbit_b32 v34, v38, v33, 9
	v_ffbh_u32_e32 v35, v34
	v_min_u32_e32 v35, 32, v35
	v_lshrrev_b32_e32 v40, 29, v1
	v_not_b32_e32 v37, v35
	v_alignbit_b32 v33, v34, v33, v37
	v_lshlrev_b32_e32 v34, 31, v40
	v_or_b32_e32 v37, 0x33000000, v34
	v_add_lshl_u32 v35, v35, v36, 23
	v_lshrrev_b32_e32 v33, 9, v33
	v_sub_u32_e32 v35, v37, v35
	v_or_b32_e32 v34, 0.5, v34
	v_lshlrev_b32_e32 v36, 23, v36
	v_or_b32_e32 v33, v35, v33
	v_lshrrev_b32_e32 v35, 9, v38
	v_sub_u32_e32 v34, v34, v36
	v_or_b32_e32 v34, v35, v34
	v_mul_f32_e32 v35, 0x3fc90fda, v34
	v_fma_f32 v36, v34, s55, -v35
	v_fmac_f32_e32 v36, 0x33a22168, v34
	v_fmac_f32_e32 v36, 0x3fc90fda, v33
	v_lshrrev_b32_e32 v1, 30, v1
	v_add_f32_e32 v33, v35, v36
	v_add_u32_e32 v1, v42, v1
	s_andn2_saveexec_b64 s[8:9], s[38:39]
	s_cbranch_execnz .LBB138_121
	s_branch .LBB138_122
.LBB138_120:                            ;   in Loop: Header=BB138_4 Depth=1
	s_andn2_saveexec_b64 s[8:9], s[38:39]
.LBB138_121:                            ;   in Loop: Header=BB138_4 Depth=1
	v_mul_f32_e64 v1, |v11|, s56
	v_rndne_f32_e32 v34, v1
	v_cvt_i32_f32_e32 v1, v34
	v_fma_f32 v33, v34, s57, |v11|
	v_fmac_f32_e32 v33, 0xb3a22168, v34
	v_fmac_f32_e32 v33, 0xa7c234c4, v34
.LBB138_122:                            ;   in Loop: Header=BB138_4 Depth=1
	s_or_b64 exec, exec, s[8:9]
	v_mul_f32_e32 v35, v14, v14
	v_mov_b32_e32 v36, 0xbab64f3b
	v_fmac_f32_e32 v36, 0x37d75334, v35
	v_mov_b32_e32 v37, 0x3c0881c4
	v_fma_f32 v36, v35, v36, v26
	v_fmac_f32_e32 v37, 0xb94c1982, v35
	v_fma_f32 v36, v35, v36, v27
	v_fma_f32 v37, v35, v37, v25
	v_lshlrev_b32_e32 v34, 30, v15
	v_and_b32_e32 v15, 1, v15
	v_fma_f32 v36, v35, v36, 1.0
	v_mul_f32_e32 v35, v35, v37
	v_add_f32_e32 v10, 0xc322e3bc, v10
	v_fmac_f32_e32 v14, v14, v35
	v_cmp_eq_u32_e64 s[8:9], 0, v15
	v_mul_f32_e32 v15, 0x3fb8aa3b, v10
	v_cndmask_b32_e64 v14, -v14, v36, s[8:9]
	v_fma_f32 v35, v10, s58, -v15
	v_rndne_f32_e32 v36, v15
	v_fmac_f32_e32 v35, 0x32a5705f, v10
	v_sub_f32_e32 v15, v15, v36
	v_add_f32_e32 v15, v15, v35
	v_exp_f32_e32 v15, v15
	v_cvt_i32_f32_e32 v35, v36
	v_cmp_ngt_f32_e64 s[10:11], s59, v10
	v_and_b32_e32 v34, 0x80000000, v34
	v_xor_b32_e32 v14, v34, v14
	v_ldexp_f32 v15, v15, v35
	v_cndmask_b32_e64 v15, 0, v15, s[10:11]
	v_cmp_nlt_f32_e64 s[10:11], s60, v10
	v_cndmask_b32_e64 v10, v30, v15, s[10:11]
	v_and_b32_e32 v15, 0x7fffff, v10
	v_lshrrev_b32_e32 v10, 23, v10
	v_subrev_u32_e32 v10, 19, v10
	v_lshrrev_b16_e32 v34, 15, v10
	v_add_u16_e32 v34, v10, v34
	v_ashrrev_i16_e32 v34, 1, v34
	v_bfe_i32 v34, v34, 0, 16
	v_lshl_add_u32 v35, v34, 23, 1.0
	v_sub_u32_e32 v10, v10, v34
	v_mul_f32_e32 v34, v33, v33
	v_mov_b32_e32 v36, 0x3c0881c4
	v_fmac_f32_e32 v36, 0xb94c1982, v34
	v_fma_f32 v36, v34, v36, v25
	v_mul_f32_e32 v36, v34, v36
	v_fmac_f32_e32 v33, v33, v36
	v_mov_b32_e32 v36, 0xbab64f3b
	v_fmac_f32_e32 v36, 0x37d75334, v34
	v_fma_f32 v36, v34, v36, v26
	v_fma_f32 v36, v34, v36, v27
	v_fma_f32 v34, v34, v36, 1.0
	v_and_b32_e32 v36, 1, v1
	v_cmp_eq_u32_e64 s[10:11], 0, v36
	v_lshlrev_b32_e32 v1, 30, v1
	v_cndmask_b32_e64 v33, v34, v33, s[10:11]
	v_and_or_b32 v1, v1, s61, v32
	v_xor_b32_e32 v1, v1, v33
	v_cmp_class_f32_e64 s[8:9], v11, s62
	v_xor_b32_e32 v1, v1, v11
	v_cndmask_b32_e64 v14, v31, v14, s[8:9]
	v_or_b32_e32 v15, 0x7f000000, v15
	v_cndmask_b32_e64 v1, v31, v1, s[8:9]
	v_mul_f32_e32 v14, v14, v15
	v_mul_f32_e32 v1, v1, v15
	;; [unrolled: 1-line block ×3, first 2 shown]
	v_lshl_add_u32 v10, v10, 23, 1.0
	v_mul_f32_e32 v1, v1, v35
	v_mul_f32_e32 v14, v14, v10
	;; [unrolled: 1-line block ×3, first 2 shown]
.LBB138_123:                            ;   in Loop: Header=BB138_4 Depth=1
	s_or_b64 exec, exec, s[36:37]
                                        ; implicit-def: $vgpr10
                                        ; implicit-def: $vgpr1
.LBB138_124:                            ;   in Loop: Header=BB138_4 Depth=1
	s_andn2_saveexec_b64 s[10:11], s[34:35]
	s_cbranch_execz .LBB138_130
; %bb.125:                              ;   in Loop: Header=BB138_4 Depth=1
	v_cmp_ne_u32_e64 s[8:9], s45, v1
	v_sub_f32_e32 v15, v11, v11
	s_and_saveexec_b64 s[12:13], s[8:9]
	s_xor_b64 s[8:9], exec, s[12:13]
; %bb.126:                              ;   in Loop: Header=BB138_4 Depth=1
                                        ; implicit-def: $vgpr10
; %bb.127:                              ;   in Loop: Header=BB138_4 Depth=1
	s_or_saveexec_b64 s[12:13], s[8:9]
	v_mov_b32_e32 v14, v15
	s_xor_b64 exec, exec, s[12:13]
; %bb.128:                              ;   in Loop: Header=BB138_4 Depth=1
	v_cmp_lt_i32_e64 s[8:9], -1, v10
	v_cndmask_b32_e64 v14, 0, v10, s[8:9]
	v_cndmask_b32_e64 v15, 0, v15, s[8:9]
; %bb.129:                              ;   in Loop: Header=BB138_4 Depth=1
	s_or_b64 exec, exec, s[12:13]
.LBB138_130:                            ;   in Loop: Header=BB138_4 Depth=1
	s_or_b64 exec, exec, s[10:11]
                                        ; implicit-def: $vgpr11
                                        ; implicit-def: $vgpr32
.LBB138_131:                            ;   in Loop: Header=BB138_4 Depth=1
	s_andn2_saveexec_b64 s[30:31], s[30:31]
	s_cbranch_execz .LBB138_141
; %bb.132:                              ;   in Loop: Header=BB138_4 Depth=1
	v_lshrrev_b32_e32 v1, 23, v32
	v_and_b32_e32 v10, 0x7fffff, v32
	v_cmp_nlt_f32_e64 s[34:35], |v11|, s47
	v_add_u32_e32 v33, 0xffffff88, v1
	v_or_b32_e32 v10, 0x800000, v10
                                        ; implicit-def: $vgpr14
                                        ; implicit-def: $vgpr15
	s_and_saveexec_b64 s[8:9], s[34:35]
	s_xor_b64 s[36:37], exec, s[8:9]
	s_cbranch_execz .LBB138_134
; %bb.133:                              ;   in Loop: Header=BB138_4 Depth=1
	v_mad_u64_u32 v[14:15], s[8:9], v10, s48, 0
	v_mov_b32_e32 v1, v15
	v_mad_u64_u32 v[34:35], s[8:9], v10, s49, v[1:2]
	v_mov_b32_e32 v1, v35
	;; [unrolled: 2-line block ×3, first 2 shown]
	v_mad_u64_u32 v[36:37], s[8:9], v10, s51, v[1:2]
	v_cmp_lt_u32_e64 s[8:9], 63, v33
	v_cndmask_b32_e64 v1, 0, v28, s[8:9]
	v_add_u32_e32 v15, v1, v33
	v_mov_b32_e32 v1, v37
	v_mad_u64_u32 v[37:38], s[10:11], v10, s52, v[1:2]
	v_cmp_lt_u32_e64 s[10:11], 31, v15
	v_cndmask_b32_e64 v1, 0, v29, s[10:11]
	v_add_u32_e32 v15, v1, v15
	v_mov_b32_e32 v1, v38
	;; [unrolled: 5-line block ×3, first 2 shown]
	v_mad_u64_u32 v[39:40], s[14:15], v10, s54, v[1:2]
	v_cndmask_b32_e64 v1, v37, v35, s[8:9]
	v_cndmask_b32_e64 v41, v38, v36, s[8:9]
	;; [unrolled: 1-line block ×9, first 2 shown]
	v_sub_u32_e32 v39, 32, v15
	v_cmp_eq_u32_e64 s[14:15], 0, v15
	v_cndmask_b32_e64 v15, v36, v34, s[8:9]
	v_cndmask_b32_e64 v1, v1, v15, s[10:11]
	v_alignbit_b32 v40, v37, v38, v39
	v_cndmask_b32_e64 v34, v42, v1, s[12:13]
	v_cndmask_b32_e64 v37, v40, v37, s[14:15]
	v_alignbit_b32 v36, v38, v34, v39
	v_cndmask_b32_e64 v14, v35, v14, s[8:9]
	v_cndmask_b32_e64 v36, v36, v38, s[14:15]
	v_bfe_u32 v41, v37, 29, 1
	v_cndmask_b32_e64 v14, v15, v14, s[10:11]
	v_alignbit_b32 v38, v37, v36, 30
	v_sub_u32_e32 v42, 0, v41
	v_cndmask_b32_e64 v1, v1, v14, s[12:13]
	v_xor_b32_e32 v38, v38, v42
	v_alignbit_b32 v14, v34, v1, v39
	v_cndmask_b32_e64 v14, v14, v34, s[14:15]
	v_ffbh_u32_e32 v34, v38
	v_alignbit_b32 v15, v36, v14, 30
	v_min_u32_e32 v34, 32, v34
	v_alignbit_b32 v1, v14, v1, 30
	v_xor_b32_e32 v15, v15, v42
	v_sub_u32_e32 v35, 31, v34
	v_xor_b32_e32 v1, v1, v42
	v_alignbit_b32 v36, v38, v15, v35
	v_alignbit_b32 v1, v15, v1, v35
	;; [unrolled: 1-line block ×3, first 2 shown]
	v_ffbh_u32_e32 v15, v14
	v_min_u32_e32 v15, 32, v15
	v_lshrrev_b32_e32 v40, 29, v37
	v_not_b32_e32 v35, v15
	v_alignbit_b32 v1, v14, v1, v35
	v_lshlrev_b32_e32 v14, 31, v40
	v_or_b32_e32 v35, 0x33000000, v14
	v_add_lshl_u32 v15, v15, v34, 23
	v_lshrrev_b32_e32 v1, 9, v1
	v_sub_u32_e32 v15, v35, v15
	v_or_b32_e32 v14, 0.5, v14
	v_lshlrev_b32_e32 v34, 23, v34
	v_or_b32_e32 v1, v15, v1
	v_lshrrev_b32_e32 v15, 9, v36
	v_sub_u32_e32 v14, v14, v34
	v_or_b32_e32 v14, v15, v14
	v_mul_f32_e32 v15, 0x3fc90fda, v14
	v_fma_f32 v34, v14, s55, -v15
	v_fmac_f32_e32 v34, 0x33a22168, v14
	v_fmac_f32_e32 v34, 0x3fc90fda, v1
	v_lshrrev_b32_e32 v1, 30, v37
	v_add_f32_e32 v15, v15, v34
	v_add_u32_e32 v14, v41, v1
.LBB138_134:                            ;   in Loop: Header=BB138_4 Depth=1
	s_or_saveexec_b64 s[8:9], s[36:37]
	v_mul_f32_e64 v1, |v11|, s56
	v_rndne_f32_e32 v35, v1
	s_xor_b64 exec, exec, s[8:9]
; %bb.135:                              ;   in Loop: Header=BB138_4 Depth=1
	v_cvt_i32_f32_e32 v14, v35
	v_fma_f32 v15, v35, s57, |v11|
	v_fmac_f32_e32 v15, 0xb3a22168, v35
	v_fmac_f32_e32 v15, 0xa7c234c4, v35
; %bb.136:                              ;   in Loop: Header=BB138_4 Depth=1
	s_or_b64 exec, exec, s[8:9]
                                        ; implicit-def: $vgpr1
                                        ; implicit-def: $vgpr34
	s_and_saveexec_b64 s[8:9], s[34:35]
	s_xor_b64 s[34:35], exec, s[8:9]
	s_cbranch_execz .LBB138_138
; %bb.137:                              ;   in Loop: Header=BB138_4 Depth=1
	v_mad_u64_u32 v[34:35], s[8:9], v10, s48, 0
	v_mov_b32_e32 v1, v35
	v_mad_u64_u32 v[35:36], s[8:9], v10, s49, v[1:2]
	v_mov_b32_e32 v1, v36
	;; [unrolled: 2-line block ×3, first 2 shown]
	v_mad_u64_u32 v[37:38], s[8:9], v10, s51, v[1:2]
	v_cmp_lt_u32_e64 s[8:9], 63, v33
	v_cndmask_b32_e64 v1, 0, v28, s[8:9]
	v_add_u32_e32 v33, v1, v33
	v_mov_b32_e32 v1, v38
	v_mad_u64_u32 v[38:39], s[10:11], v10, s52, v[1:2]
	v_cmp_lt_u32_e64 s[10:11], 31, v33
	v_cndmask_b32_e64 v1, 0, v29, s[10:11]
	v_add_u32_e32 v33, v1, v33
	v_mov_b32_e32 v1, v39
	;; [unrolled: 5-line block ×3, first 2 shown]
	v_mad_u64_u32 v[40:41], s[14:15], v10, s54, v[1:2]
	v_cndmask_b32_e64 v1, v38, v36, s[8:9]
	v_cndmask_b32_e64 v10, v39, v37, s[8:9]
	;; [unrolled: 1-line block ×10, first 2 shown]
	v_sub_u32_e32 v39, 32, v33
	v_cndmask_b32_e64 v1, v1, v35, s[10:11]
	v_alignbit_b32 v40, v38, v10, v39
	v_cmp_eq_u32_e64 s[14:15], 0, v33
	v_cndmask_b32_e64 v37, v42, v1, s[12:13]
	v_cndmask_b32_e64 v33, v40, v38, s[14:15]
	v_alignbit_b32 v38, v10, v37, v39
	v_cndmask_b32_e64 v34, v36, v34, s[8:9]
	v_cndmask_b32_e64 v10, v38, v10, s[14:15]
	v_bfe_u32 v41, v33, 29, 1
	v_cndmask_b32_e64 v34, v35, v34, s[10:11]
	v_alignbit_b32 v38, v33, v10, 30
	v_sub_u32_e32 v42, 0, v41
	v_cndmask_b32_e64 v1, v1, v34, s[12:13]
	v_xor_b32_e32 v38, v38, v42
	v_alignbit_b32 v34, v37, v1, v39
	v_cndmask_b32_e64 v34, v34, v37, s[14:15]
	v_ffbh_u32_e32 v35, v38
	v_alignbit_b32 v10, v10, v34, 30
	v_min_u32_e32 v35, 32, v35
	v_alignbit_b32 v1, v34, v1, 30
	v_xor_b32_e32 v10, v10, v42
	v_sub_u32_e32 v36, 31, v35
	v_xor_b32_e32 v1, v1, v42
	v_alignbit_b32 v37, v38, v10, v36
	v_alignbit_b32 v1, v10, v1, v36
	;; [unrolled: 1-line block ×3, first 2 shown]
	v_ffbh_u32_e32 v34, v10
	v_min_u32_e32 v34, 32, v34
	v_lshrrev_b32_e32 v40, 29, v33
	v_not_b32_e32 v36, v34
	v_alignbit_b32 v1, v10, v1, v36
	v_lshlrev_b32_e32 v10, 31, v40
	v_or_b32_e32 v36, 0x33000000, v10
	v_add_lshl_u32 v34, v34, v35, 23
	v_lshrrev_b32_e32 v1, 9, v1
	v_sub_u32_e32 v34, v36, v34
	v_or_b32_e32 v10, 0.5, v10
	v_lshlrev_b32_e32 v35, 23, v35
	v_or_b32_e32 v1, v34, v1
	v_lshrrev_b32_e32 v34, 9, v37
	v_sub_u32_e32 v10, v10, v35
	v_or_b32_e32 v10, v34, v10
	v_mul_f32_e32 v34, 0x3fc90fda, v10
	v_fma_f32 v35, v10, s55, -v34
	v_fmac_f32_e32 v35, 0x33a22168, v10
	v_fmac_f32_e32 v35, 0x3fc90fda, v1
	v_lshrrev_b32_e32 v1, 30, v33
	v_add_f32_e32 v34, v34, v35
	v_add_u32_e32 v1, v41, v1
                                        ; implicit-def: $vgpr35
	s_andn2_saveexec_b64 s[8:9], s[34:35]
	s_cbranch_execnz .LBB138_139
	s_branch .LBB138_140
.LBB138_138:                            ;   in Loop: Header=BB138_4 Depth=1
	s_andn2_saveexec_b64 s[8:9], s[34:35]
.LBB138_139:                            ;   in Loop: Header=BB138_4 Depth=1
	v_cvt_i32_f32_e32 v1, v35
	v_fma_f32 v34, v35, s57, |v11|
	v_fmac_f32_e32 v34, 0xb3a22168, v35
	v_fmac_f32_e32 v34, 0xa7c234c4, v35
.LBB138_140:                            ;   in Loop: Header=BB138_4 Depth=1
	s_or_b64 exec, exec, s[8:9]
	v_mul_f32_e32 v10, v15, v15
	v_mov_b32_e32 v33, 0x3c0881c4
	v_fmac_f32_e32 v33, 0xb94c1982, v10
	v_fma_f32 v33, v10, v33, v25
	v_mul_f32_e32 v33, v10, v33
	v_fmac_f32_e32 v15, v15, v33
	v_mov_b32_e32 v33, 0xbab64f3b
	v_fmac_f32_e32 v33, 0x37d75334, v10
	v_fma_f32 v33, v10, v33, v26
	v_fma_f32 v33, v10, v33, v27
	v_fma_f32 v10, v10, v33, 1.0
	v_and_b32_e32 v33, 1, v14
	v_cmp_eq_u32_e64 s[8:9], 0, v33
	v_lshlrev_b32_e32 v14, 30, v14
	v_cndmask_b32_e64 v10, -v15, v10, s[8:9]
	v_and_b32_e32 v14, 0x80000000, v14
	v_xor_b32_e32 v10, v14, v10
	v_cmp_class_f32_e64 s[8:9], v11, s62
	v_cndmask_b32_e64 v14, v31, v10, s[8:9]
	v_mul_f32_e32 v10, v34, v34
	v_mov_b32_e32 v15, 0x3c0881c4
	v_fmac_f32_e32 v15, 0xb94c1982, v10
	v_fma_f32 v15, v10, v15, v25
	v_mul_f32_e32 v15, v10, v15
	v_fmac_f32_e32 v34, v34, v15
	v_mov_b32_e32 v15, 0xbab64f3b
	v_fmac_f32_e32 v15, 0x37d75334, v10
	v_fma_f32 v15, v10, v15, v26
	v_fma_f32 v15, v10, v15, v27
	v_fma_f32 v10, v10, v15, 1.0
	v_and_b32_e32 v15, 1, v1
	v_cmp_eq_u32_e64 s[10:11], 0, v15
	v_lshlrev_b32_e32 v1, 30, v1
	v_cndmask_b32_e64 v10, v10, v34, s[10:11]
	v_and_or_b32 v1, v1, s61, v32
	v_xor_b32_e32 v1, v1, v10
	v_xor_b32_e32 v1, v1, v11
	v_cndmask_b32_e64 v15, v31, v1, s[8:9]
.LBB138_141:                            ;   in Loop: Header=BB138_4 Depth=1
	s_or_b64 exec, exec, s[30:31]
                                        ; implicit-def: $vgpr10
.LBB138_142:                            ;   in Loop: Header=BB138_4 Depth=1
	s_andn2_saveexec_b64 s[10:11], s[28:29]
	s_cbranch_execz .LBB138_144
; %bb.143:                              ;   in Loop: Header=BB138_4 Depth=1
	v_mul_f32_e32 v1, 0x3fb8aa3b, v10
	v_rndne_f32_e32 v14, v1
	v_sub_f32_e32 v15, v1, v14
	v_fma_f32 v1, v10, s58, -v1
	v_fmac_f32_e32 v1, 0x32a5705f, v10
	v_add_f32_e32 v1, v15, v1
	v_cvt_i32_f32_e32 v14, v14
	v_exp_f32_e32 v1, v1
	v_cmp_ngt_f32_e64 s[8:9], s59, v10
	v_mov_b32_e32 v15, v11
	v_ldexp_f32 v1, v1, v14
	v_cndmask_b32_e64 v1, 0, v1, s[8:9]
	v_cmp_nlt_f32_e64 s[8:9], s60, v10
	v_cndmask_b32_e64 v14, v30, v1, s[8:9]
.LBB138_144:                            ;   in Loop: Header=BB138_4 Depth=1
	s_or_b64 exec, exec, s[10:11]
	v_and_b32_e32 v32, 0x7fffffff, v7
	v_cmp_ne_u32_e64 s[8:9], 0, v32
                                        ; implicit-def: $vgpr11
	s_and_saveexec_b64 s[10:11], s[8:9]
	s_xor_b64 s[28:29], exec, s[10:11]
	s_cbranch_execz .LBB138_150
; %bb.145:                              ;   in Loop: Header=BB138_4 Depth=1
	v_and_b32_e32 v1, 0x7fffffff, v6
	v_cmp_ne_u32_e64 s[8:9], 0, v1
                                        ; implicit-def: $vgpr11
	s_and_saveexec_b64 s[10:11], s[8:9]
	s_xor_b64 s[30:31], exec, s[10:11]
	s_cbranch_execz .LBB138_180
; %bb.146:                              ;   in Loop: Header=BB138_4 Depth=1
	v_cmp_gt_u32_e64 s[8:9], s45, v32
                                        ; implicit-def: $vgpr11
	s_and_saveexec_b64 s[10:11], s[8:9]
	s_xor_b64 s[34:35], exec, s[10:11]
	s_cbranch_execz .LBB138_173
; %bb.147:                              ;   in Loop: Header=BB138_4 Depth=1
	v_add_u32_e32 v1, 0xbd4e8de8, v6
	v_cmp_lt_u32_e64 s[8:9], s46, v1
                                        ; implicit-def: $vgpr11
	s_and_saveexec_b64 s[10:11], s[8:9]
	s_xor_b64 s[36:37], exec, s[10:11]
	s_cbranch_execz .LBB138_162
; %bb.148:                              ;   in Loop: Header=BB138_4 Depth=1
	v_cmp_nlt_f32_e64 s[38:39], |v7|, s47
                                        ; implicit-def: $vgpr10
                                        ; implicit-def: $vgpr11
	s_and_saveexec_b64 s[8:9], s[38:39]
	s_xor_b64 s[40:41], exec, s[8:9]
	s_cbranch_execz .LBB138_155
; %bb.149:                              ;   in Loop: Header=BB138_4 Depth=1
	v_and_b32_e32 v1, 0x7fffff, v32
	v_or_b32_e32 v39, 0x800000, v1
	v_mad_u64_u32 v[10:11], s[8:9], v39, s48, 0
	v_mov_b32_e32 v1, v11
	v_mad_u64_u32 v[33:34], s[8:9], v39, s49, v[1:2]
	v_mov_b32_e32 v1, v34
	;; [unrolled: 2-line block ×3, first 2 shown]
	v_mad_u64_u32 v[35:36], s[8:9], v39, s51, v[1:2]
	v_lshrrev_b32_e32 v1, 23, v32
	v_add_u32_e32 v11, 0xffffff88, v1
	v_mov_b32_e32 v1, v36
	v_mad_u64_u32 v[36:37], s[8:9], v39, s52, v[1:2]
	v_cmp_lt_u32_e64 s[8:9], 63, v11
	v_cndmask_b32_e64 v1, 0, v28, s[8:9]
	v_add_u32_e32 v11, v1, v11
	v_mov_b32_e32 v1, v37
	v_mad_u64_u32 v[37:38], s[10:11], v39, s53, v[1:2]
	v_cmp_lt_u32_e64 s[10:11], 31, v11
	v_cndmask_b32_e64 v1, 0, v29, s[10:11]
	;; [unrolled: 5-line block ×3, first 2 shown]
	v_add_u32_e32 v1, v1, v11
	v_cndmask_b32_e64 v11, v37, v35, s[8:9]
	v_cndmask_b32_e64 v38, v38, v36, s[8:9]
	;; [unrolled: 1-line block ×10, first 2 shown]
	v_sub_u32_e32 v39, 32, v1
	v_cndmask_b32_e64 v35, v36, v33, s[10:11]
	v_alignbit_b32 v40, v37, v38, v39
	v_cmp_eq_u32_e64 s[14:15], 0, v1
	v_cndmask_b32_e64 v11, v11, v35, s[12:13]
	v_cndmask_b32_e64 v1, v40, v37, s[14:15]
	v_alignbit_b32 v36, v38, v11, v39
	v_cndmask_b32_e64 v10, v34, v10, s[8:9]
	v_cndmask_b32_e64 v36, v36, v38, s[14:15]
	v_bfe_u32 v40, v1, 29, 1
	v_cndmask_b32_e64 v10, v33, v10, s[10:11]
	v_alignbit_b32 v37, v1, v36, 30
	v_sub_u32_e32 v41, 0, v40
	v_cndmask_b32_e64 v10, v35, v10, s[12:13]
	v_xor_b32_e32 v37, v37, v41
	v_alignbit_b32 v33, v11, v10, v39
	v_cndmask_b32_e64 v11, v33, v11, s[14:15]
	v_ffbh_u32_e32 v34, v37
	v_alignbit_b32 v33, v36, v11, 30
	v_min_u32_e32 v34, 32, v34
	v_alignbit_b32 v10, v11, v10, 30
	v_xor_b32_e32 v33, v33, v41
	v_sub_u32_e32 v35, 31, v34
	v_xor_b32_e32 v10, v10, v41
	v_alignbit_b32 v36, v37, v33, v35
	v_alignbit_b32 v10, v33, v10, v35
	;; [unrolled: 1-line block ×3, first 2 shown]
	v_ffbh_u32_e32 v33, v11
	v_min_u32_e32 v33, 32, v33
	v_lshrrev_b32_e32 v38, 29, v1
	v_not_b32_e32 v35, v33
	v_alignbit_b32 v10, v11, v10, v35
	v_lshlrev_b32_e32 v11, 31, v38
	v_or_b32_e32 v35, 0x33000000, v11
	v_add_lshl_u32 v33, v33, v34, 23
	v_lshrrev_b32_e32 v10, 9, v10
	v_sub_u32_e32 v33, v35, v33
	v_or_b32_e32 v11, 0.5, v11
	v_lshlrev_b32_e32 v34, 23, v34
	v_or_b32_e32 v10, v33, v10
	v_lshrrev_b32_e32 v33, 9, v36
	v_sub_u32_e32 v11, v11, v34
	v_or_b32_e32 v11, v33, v11
	v_mul_f32_e32 v33, 0x3fc90fda, v11
	v_fma_f32 v34, v11, s55, -v33
	v_fmac_f32_e32 v34, 0x33a22168, v11
	v_fmac_f32_e32 v34, 0x3fc90fda, v10
	v_lshrrev_b32_e32 v1, 30, v1
	v_add_f32_e32 v11, v33, v34
	v_add_u32_e32 v10, v40, v1
	s_andn2_saveexec_b64 s[8:9], s[40:41]
	s_branch .LBB138_156
.LBB138_150:                            ;   in Loop: Header=BB138_4 Depth=1
	s_andn2_saveexec_b64 s[10:11], s[28:29]
	s_cbranch_execz .LBB138_191
.LBB138_151:                            ;   in Loop: Header=BB138_4 Depth=1
	v_mul_f32_e32 v1, 0x3fb8aa3b, v6
	v_rndne_f32_e32 v10, v1
	v_sub_f32_e32 v11, v1, v10
	v_fma_f32 v1, v6, s58, -v1
	v_fmac_f32_e32 v1, 0x32a5705f, v6
	v_add_f32_e32 v1, v11, v1
	v_cvt_i32_f32_e32 v10, v10
	v_exp_f32_e32 v1, v1
	v_cmp_ngt_f32_e64 s[8:9], s59, v6
	v_mov_b32_e32 v11, v7
	v_ldexp_f32 v1, v1, v10
	v_cndmask_b32_e64 v1, 0, v1, s[8:9]
	v_cmp_nlt_f32_e64 s[8:9], s60, v6
	v_cndmask_b32_e64 v10, v30, v1, s[8:9]
	s_or_b64 exec, exec, s[10:11]
	s_and_saveexec_b64 s[8:9], vcc
	s_xor_b64 s[8:9], exec, s[8:9]
	s_cbranch_execnz .LBB138_192
.LBB138_152:                            ;   in Loop: Header=BB138_4 Depth=1
	s_or_b64 exec, exec, s[8:9]
	s_and_saveexec_b64 s[8:9], s[0:1]
	s_cbranch_execz .LBB138_193
.LBB138_153:                            ;   in Loop: Header=BB138_4 Depth=1
	v_mov_b32_e32 v1, s42
	v_add_co_u32_e32 v6, vcc, s33, v20
	v_addc_co_u32_e32 v7, vcc, 0, v1, vcc
	global_store_dwordx2 v[6:7], v[12:13], off
	s_or_b64 exec, exec, s[8:9]
	s_and_saveexec_b64 s[0:1], s[2:3]
	s_cbranch_execnz .LBB138_194
.LBB138_154:                            ;   in Loop: Header=BB138_4 Depth=1
	s_or_b64 exec, exec, s[0:1]
	s_and_saveexec_b64 s[0:1], s[6:7]
	s_cbranch_execz .LBB138_3
	s_branch .LBB138_195
.LBB138_155:                            ;   in Loop: Header=BB138_4 Depth=1
	s_andn2_saveexec_b64 s[8:9], s[40:41]
.LBB138_156:                            ;   in Loop: Header=BB138_4 Depth=1
	v_mul_f32_e64 v1, |v7|, s56
	v_rndne_f32_e32 v1, v1
	v_cvt_i32_f32_e32 v10, v1
	v_fma_f32 v11, v1, s57, |v7|
	v_fmac_f32_e32 v11, 0xb3a22168, v1
	v_fmac_f32_e32 v11, 0xa7c234c4, v1
; %bb.157:                              ;   in Loop: Header=BB138_4 Depth=1
	s_or_b64 exec, exec, s[8:9]
                                        ; implicit-def: $vgpr1
                                        ; implicit-def: $vgpr33
	s_and_saveexec_b64 s[8:9], s[38:39]
	s_xor_b64 s[38:39], exec, s[8:9]
	s_cbranch_execz .LBB138_159
; %bb.158:                              ;   in Loop: Header=BB138_4 Depth=1
	v_and_b32_e32 v1, 0x7fffff, v32
	v_or_b32_e32 v40, 0x800000, v1
	v_mad_u64_u32 v[33:34], s[8:9], v40, s48, 0
	v_mov_b32_e32 v1, v34
	v_mad_u64_u32 v[34:35], s[8:9], v40, s49, v[1:2]
	v_mov_b32_e32 v1, v35
	v_mad_u64_u32 v[35:36], s[8:9], v40, s50, v[1:2]
	v_mov_b32_e32 v1, v36
	v_mad_u64_u32 v[36:37], s[8:9], v40, s51, v[1:2]
	v_lshrrev_b32_e32 v1, 23, v32
	v_add_u32_e32 v39, 0xffffff88, v1
	v_mov_b32_e32 v1, v37
	v_mad_u64_u32 v[37:38], s[8:9], v40, s52, v[1:2]
	v_cmp_lt_u32_e64 s[8:9], 63, v39
	v_cndmask_b32_e64 v1, 0, v28, s[8:9]
	v_add_u32_e32 v41, v1, v39
	v_mov_b32_e32 v1, v38
	v_mad_u64_u32 v[38:39], s[10:11], v40, s53, v[1:2]
	v_cmp_lt_u32_e64 s[10:11], 31, v41
	v_cndmask_b32_e64 v1, 0, v29, s[10:11]
	v_add_u32_e32 v41, v1, v41
	v_mov_b32_e32 v1, v39
	v_mad_u64_u32 v[39:40], s[12:13], v40, s54, v[1:2]
	v_cmp_lt_u32_e64 s[12:13], 31, v41
	v_cndmask_b32_e64 v1, 0, v29, s[12:13]
	v_add_u32_e32 v1, v1, v41
	v_cndmask_b32_e64 v41, v38, v36, s[8:9]
	v_cndmask_b32_e64 v39, v39, v37, s[8:9]
	;; [unrolled: 1-line block ×10, first 2 shown]
	v_sub_u32_e32 v41, 32, v1
	v_cndmask_b32_e64 v36, v37, v34, s[10:11]
	v_alignbit_b32 v42, v38, v40, v41
	v_cmp_eq_u32_e64 s[14:15], 0, v1
	v_cndmask_b32_e64 v37, v39, v36, s[12:13]
	v_cndmask_b32_e64 v1, v42, v38, s[14:15]
	v_alignbit_b32 v38, v40, v37, v41
	v_cndmask_b32_e64 v33, v35, v33, s[8:9]
	v_cndmask_b32_e64 v38, v38, v40, s[14:15]
	v_bfe_u32 v42, v1, 29, 1
	v_cndmask_b32_e64 v33, v34, v33, s[10:11]
	v_alignbit_b32 v39, v1, v38, 30
	v_sub_u32_e32 v43, 0, v42
	v_cndmask_b32_e64 v33, v36, v33, s[12:13]
	v_xor_b32_e32 v39, v39, v43
	v_alignbit_b32 v34, v37, v33, v41
	v_cndmask_b32_e64 v34, v34, v37, s[14:15]
	v_ffbh_u32_e32 v36, v39
	v_alignbit_b32 v35, v38, v34, 30
	v_min_u32_e32 v36, 32, v36
	v_alignbit_b32 v33, v34, v33, 30
	v_xor_b32_e32 v35, v35, v43
	v_sub_u32_e32 v37, 31, v36
	v_xor_b32_e32 v33, v33, v43
	v_alignbit_b32 v38, v39, v35, v37
	v_alignbit_b32 v33, v35, v33, v37
	;; [unrolled: 1-line block ×3, first 2 shown]
	v_ffbh_u32_e32 v35, v34
	v_min_u32_e32 v35, 32, v35
	v_lshrrev_b32_e32 v40, 29, v1
	v_not_b32_e32 v37, v35
	v_alignbit_b32 v33, v34, v33, v37
	v_lshlrev_b32_e32 v34, 31, v40
	v_or_b32_e32 v37, 0x33000000, v34
	v_add_lshl_u32 v35, v35, v36, 23
	v_lshrrev_b32_e32 v33, 9, v33
	v_sub_u32_e32 v35, v37, v35
	v_or_b32_e32 v34, 0.5, v34
	v_lshlrev_b32_e32 v36, 23, v36
	v_or_b32_e32 v33, v35, v33
	v_lshrrev_b32_e32 v35, 9, v38
	v_sub_u32_e32 v34, v34, v36
	v_or_b32_e32 v34, v35, v34
	v_mul_f32_e32 v35, 0x3fc90fda, v34
	v_fma_f32 v36, v34, s55, -v35
	v_fmac_f32_e32 v36, 0x33a22168, v34
	v_fmac_f32_e32 v36, 0x3fc90fda, v33
	v_lshrrev_b32_e32 v1, 30, v1
	v_add_f32_e32 v33, v35, v36
	v_add_u32_e32 v1, v42, v1
	s_andn2_saveexec_b64 s[8:9], s[38:39]
	s_cbranch_execnz .LBB138_160
	s_branch .LBB138_161
.LBB138_159:                            ;   in Loop: Header=BB138_4 Depth=1
	s_andn2_saveexec_b64 s[8:9], s[38:39]
.LBB138_160:                            ;   in Loop: Header=BB138_4 Depth=1
	v_mul_f32_e64 v1, |v7|, s56
	v_rndne_f32_e32 v34, v1
	v_cvt_i32_f32_e32 v1, v34
	v_fma_f32 v33, v34, s57, |v7|
	v_fmac_f32_e32 v33, 0xb3a22168, v34
	v_fmac_f32_e32 v33, 0xa7c234c4, v34
.LBB138_161:                            ;   in Loop: Header=BB138_4 Depth=1
	s_or_b64 exec, exec, s[8:9]
	v_mul_f32_e32 v34, 0x3fb8aa3b, v6
	v_rndne_f32_e32 v35, v34
	v_sub_f32_e32 v36, v34, v35
	v_fma_f32 v34, v6, s58, -v34
	v_fmac_f32_e32 v34, 0x32a5705f, v6
	v_add_f32_e32 v34, v36, v34
	v_cvt_i32_f32_e32 v35, v35
	v_exp_f32_e32 v34, v34
	v_cmp_ngt_f32_e64 s[8:9], s59, v6
	v_ldexp_f32 v34, v34, v35
	v_cndmask_b32_e64 v34, 0, v34, s[8:9]
	v_cmp_nlt_f32_e64 s[8:9], s60, v6
	v_cndmask_b32_e64 v6, v30, v34, s[8:9]
	v_mul_f32_e32 v34, v11, v11
	v_mov_b32_e32 v35, 0x3c0881c4
	v_fmac_f32_e32 v35, 0xb94c1982, v34
	v_fma_f32 v35, v34, v35, v25
	v_mul_f32_e32 v35, v34, v35
	v_fmac_f32_e32 v11, v11, v35
	v_mov_b32_e32 v35, 0xbab64f3b
	v_fmac_f32_e32 v35, 0x37d75334, v34
	v_fma_f32 v35, v34, v35, v26
	v_fma_f32 v35, v34, v35, v27
	v_fma_f32 v34, v34, v35, 1.0
	v_and_b32_e32 v35, 1, v10
	v_cmp_eq_u32_e64 s[8:9], 0, v35
	v_lshlrev_b32_e32 v10, 30, v10
	v_cndmask_b32_e64 v11, -v11, v34, s[8:9]
	v_and_b32_e32 v10, 0x80000000, v10
	v_xor_b32_e32 v10, v10, v11
	v_mul_f32_e32 v11, v33, v33
	v_mov_b32_e32 v34, 0x3c0881c4
	v_fmac_f32_e32 v34, 0xb94c1982, v11
	v_fma_f32 v34, v11, v34, v25
	v_mul_f32_e32 v34, v11, v34
	v_fmac_f32_e32 v33, v33, v34
	v_mov_b32_e32 v34, 0xbab64f3b
	v_fmac_f32_e32 v34, 0x37d75334, v11
	v_fma_f32 v34, v11, v34, v26
	v_fma_f32 v34, v11, v34, v27
	v_fma_f32 v11, v11, v34, 1.0
	v_and_b32_e32 v34, 1, v1
	v_cmp_eq_u32_e64 s[10:11], 0, v34
	v_lshlrev_b32_e32 v1, 30, v1
	v_cndmask_b32_e64 v11, v11, v33, s[10:11]
	v_and_or_b32 v1, v1, s61, v32
	v_xor_b32_e32 v1, v1, v11
	v_cmp_class_f32_e64 s[8:9], v7, s62
	v_xor_b32_e32 v1, v1, v7
	v_cndmask_b32_e64 v10, v31, v10, s[8:9]
	v_cndmask_b32_e64 v1, v31, v1, s[8:9]
	v_mul_f32_e32 v10, v6, v10
	v_mul_f32_e32 v11, v6, v1
                                        ; implicit-def: $vgpr7
                                        ; implicit-def: $vgpr32
.LBB138_162:                            ;   in Loop: Header=BB138_4 Depth=1
	s_andn2_saveexec_b64 s[36:37], s[36:37]
	s_cbranch_execz .LBB138_172
; %bb.163:                              ;   in Loop: Header=BB138_4 Depth=1
	v_cmp_nlt_f32_e64 s[38:39], |v7|, s47
                                        ; implicit-def: $vgpr11
                                        ; implicit-def: $vgpr10
	s_and_saveexec_b64 s[8:9], s[38:39]
	s_xor_b64 s[40:41], exec, s[8:9]
	s_cbranch_execz .LBB138_165
; %bb.164:                              ;   in Loop: Header=BB138_4 Depth=1
	v_and_b32_e32 v1, 0x7fffff, v32
	v_or_b32_e32 v39, 0x800000, v1
	v_mad_u64_u32 v[10:11], s[8:9], v39, s48, 0
	v_mov_b32_e32 v1, v11
	v_mad_u64_u32 v[33:34], s[8:9], v39, s49, v[1:2]
	v_mov_b32_e32 v1, v34
	;; [unrolled: 2-line block ×3, first 2 shown]
	v_mad_u64_u32 v[35:36], s[8:9], v39, s51, v[1:2]
	v_lshrrev_b32_e32 v1, 23, v32
	v_add_u32_e32 v11, 0xffffff88, v1
	v_mov_b32_e32 v1, v36
	v_mad_u64_u32 v[36:37], s[8:9], v39, s52, v[1:2]
	v_cmp_lt_u32_e64 s[8:9], 63, v11
	v_cndmask_b32_e64 v1, 0, v28, s[8:9]
	v_add_u32_e32 v11, v1, v11
	v_mov_b32_e32 v1, v37
	v_mad_u64_u32 v[37:38], s[10:11], v39, s53, v[1:2]
	v_cmp_lt_u32_e64 s[10:11], 31, v11
	v_cndmask_b32_e64 v1, 0, v29, s[10:11]
	;; [unrolled: 5-line block ×3, first 2 shown]
	v_add_u32_e32 v1, v1, v11
	v_cndmask_b32_e64 v11, v37, v35, s[8:9]
	v_cndmask_b32_e64 v38, v38, v36, s[8:9]
	;; [unrolled: 1-line block ×10, first 2 shown]
	v_sub_u32_e32 v39, 32, v1
	v_cndmask_b32_e64 v35, v36, v33, s[10:11]
	v_alignbit_b32 v40, v37, v38, v39
	v_cmp_eq_u32_e64 s[14:15], 0, v1
	v_cndmask_b32_e64 v11, v11, v35, s[12:13]
	v_cndmask_b32_e64 v1, v40, v37, s[14:15]
	v_alignbit_b32 v36, v38, v11, v39
	v_cndmask_b32_e64 v10, v34, v10, s[8:9]
	v_cndmask_b32_e64 v36, v36, v38, s[14:15]
	v_bfe_u32 v40, v1, 29, 1
	v_cndmask_b32_e64 v10, v33, v10, s[10:11]
	v_alignbit_b32 v37, v1, v36, 30
	v_sub_u32_e32 v41, 0, v40
	v_cndmask_b32_e64 v10, v35, v10, s[12:13]
	v_xor_b32_e32 v37, v37, v41
	v_alignbit_b32 v33, v11, v10, v39
	v_cndmask_b32_e64 v11, v33, v11, s[14:15]
	v_ffbh_u32_e32 v34, v37
	v_alignbit_b32 v33, v36, v11, 30
	v_min_u32_e32 v34, 32, v34
	v_alignbit_b32 v10, v11, v10, 30
	v_xor_b32_e32 v33, v33, v41
	v_sub_u32_e32 v35, 31, v34
	v_xor_b32_e32 v10, v10, v41
	v_alignbit_b32 v36, v37, v33, v35
	v_alignbit_b32 v10, v33, v10, v35
	;; [unrolled: 1-line block ×3, first 2 shown]
	v_ffbh_u32_e32 v33, v11
	v_min_u32_e32 v33, 32, v33
	v_lshrrev_b32_e32 v38, 29, v1
	v_not_b32_e32 v35, v33
	v_alignbit_b32 v10, v11, v10, v35
	v_lshlrev_b32_e32 v11, 31, v38
	v_or_b32_e32 v35, 0x33000000, v11
	v_add_lshl_u32 v33, v33, v34, 23
	v_lshrrev_b32_e32 v10, 9, v10
	v_sub_u32_e32 v33, v35, v33
	v_or_b32_e32 v11, 0.5, v11
	v_lshlrev_b32_e32 v34, 23, v34
	v_or_b32_e32 v10, v33, v10
	v_lshrrev_b32_e32 v33, 9, v36
	v_sub_u32_e32 v11, v11, v34
	v_or_b32_e32 v11, v33, v11
	v_mul_f32_e32 v33, 0x3fc90fda, v11
	v_fma_f32 v34, v11, s55, -v33
	v_fmac_f32_e32 v34, 0x33a22168, v11
	v_fmac_f32_e32 v34, 0x3fc90fda, v10
	v_lshrrev_b32_e32 v1, 30, v1
	v_add_f32_e32 v10, v33, v34
	v_add_u32_e32 v11, v40, v1
	s_andn2_saveexec_b64 s[8:9], s[40:41]
	s_branch .LBB138_166
.LBB138_165:                            ;   in Loop: Header=BB138_4 Depth=1
	s_andn2_saveexec_b64 s[8:9], s[40:41]
.LBB138_166:                            ;   in Loop: Header=BB138_4 Depth=1
	v_mul_f32_e64 v1, |v7|, s56
	v_rndne_f32_e32 v1, v1
	v_cvt_i32_f32_e32 v11, v1
	v_fma_f32 v10, v1, s57, |v7|
	v_fmac_f32_e32 v10, 0xb3a22168, v1
	v_fmac_f32_e32 v10, 0xa7c234c4, v1
; %bb.167:                              ;   in Loop: Header=BB138_4 Depth=1
	s_or_b64 exec, exec, s[8:9]
                                        ; implicit-def: $vgpr1
                                        ; implicit-def: $vgpr33
	s_and_saveexec_b64 s[8:9], s[38:39]
	s_xor_b64 s[38:39], exec, s[8:9]
	s_cbranch_execz .LBB138_169
; %bb.168:                              ;   in Loop: Header=BB138_4 Depth=1
	v_and_b32_e32 v1, 0x7fffff, v32
	v_or_b32_e32 v40, 0x800000, v1
	v_mad_u64_u32 v[33:34], s[8:9], v40, s48, 0
	v_mov_b32_e32 v1, v34
	v_mad_u64_u32 v[34:35], s[8:9], v40, s49, v[1:2]
	v_mov_b32_e32 v1, v35
	;; [unrolled: 2-line block ×3, first 2 shown]
	v_mad_u64_u32 v[36:37], s[8:9], v40, s51, v[1:2]
	v_lshrrev_b32_e32 v1, 23, v32
	v_add_u32_e32 v39, 0xffffff88, v1
	v_mov_b32_e32 v1, v37
	v_mad_u64_u32 v[37:38], s[8:9], v40, s52, v[1:2]
	v_cmp_lt_u32_e64 s[8:9], 63, v39
	v_cndmask_b32_e64 v1, 0, v28, s[8:9]
	v_add_u32_e32 v41, v1, v39
	v_mov_b32_e32 v1, v38
	v_mad_u64_u32 v[38:39], s[10:11], v40, s53, v[1:2]
	v_cmp_lt_u32_e64 s[10:11], 31, v41
	v_cndmask_b32_e64 v1, 0, v29, s[10:11]
	;; [unrolled: 5-line block ×3, first 2 shown]
	v_add_u32_e32 v1, v1, v41
	v_cndmask_b32_e64 v41, v38, v36, s[8:9]
	v_cndmask_b32_e64 v39, v39, v37, s[8:9]
	;; [unrolled: 1-line block ×10, first 2 shown]
	v_sub_u32_e32 v41, 32, v1
	v_cndmask_b32_e64 v36, v37, v34, s[10:11]
	v_alignbit_b32 v42, v38, v40, v41
	v_cmp_eq_u32_e64 s[14:15], 0, v1
	v_cndmask_b32_e64 v37, v39, v36, s[12:13]
	v_cndmask_b32_e64 v1, v42, v38, s[14:15]
	v_alignbit_b32 v38, v40, v37, v41
	v_cndmask_b32_e64 v33, v35, v33, s[8:9]
	v_cndmask_b32_e64 v38, v38, v40, s[14:15]
	v_bfe_u32 v42, v1, 29, 1
	v_cndmask_b32_e64 v33, v34, v33, s[10:11]
	v_alignbit_b32 v39, v1, v38, 30
	v_sub_u32_e32 v43, 0, v42
	v_cndmask_b32_e64 v33, v36, v33, s[12:13]
	v_xor_b32_e32 v39, v39, v43
	v_alignbit_b32 v34, v37, v33, v41
	v_cndmask_b32_e64 v34, v34, v37, s[14:15]
	v_ffbh_u32_e32 v36, v39
	v_alignbit_b32 v35, v38, v34, 30
	v_min_u32_e32 v36, 32, v36
	v_alignbit_b32 v33, v34, v33, 30
	v_xor_b32_e32 v35, v35, v43
	v_sub_u32_e32 v37, 31, v36
	v_xor_b32_e32 v33, v33, v43
	v_alignbit_b32 v38, v39, v35, v37
	v_alignbit_b32 v33, v35, v33, v37
	;; [unrolled: 1-line block ×3, first 2 shown]
	v_ffbh_u32_e32 v35, v34
	v_min_u32_e32 v35, 32, v35
	v_lshrrev_b32_e32 v40, 29, v1
	v_not_b32_e32 v37, v35
	v_alignbit_b32 v33, v34, v33, v37
	v_lshlrev_b32_e32 v34, 31, v40
	v_or_b32_e32 v37, 0x33000000, v34
	v_add_lshl_u32 v35, v35, v36, 23
	v_lshrrev_b32_e32 v33, 9, v33
	v_sub_u32_e32 v35, v37, v35
	v_or_b32_e32 v34, 0.5, v34
	v_lshlrev_b32_e32 v36, 23, v36
	v_or_b32_e32 v33, v35, v33
	v_lshrrev_b32_e32 v35, 9, v38
	v_sub_u32_e32 v34, v34, v36
	v_or_b32_e32 v34, v35, v34
	v_mul_f32_e32 v35, 0x3fc90fda, v34
	v_fma_f32 v36, v34, s55, -v35
	v_fmac_f32_e32 v36, 0x33a22168, v34
	v_fmac_f32_e32 v36, 0x3fc90fda, v33
	v_lshrrev_b32_e32 v1, 30, v1
	v_add_f32_e32 v33, v35, v36
	v_add_u32_e32 v1, v42, v1
	s_andn2_saveexec_b64 s[8:9], s[38:39]
	s_cbranch_execnz .LBB138_170
	s_branch .LBB138_171
.LBB138_169:                            ;   in Loop: Header=BB138_4 Depth=1
	s_andn2_saveexec_b64 s[8:9], s[38:39]
.LBB138_170:                            ;   in Loop: Header=BB138_4 Depth=1
	v_mul_f32_e64 v1, |v7|, s56
	v_rndne_f32_e32 v34, v1
	v_cvt_i32_f32_e32 v1, v34
	v_fma_f32 v33, v34, s57, |v7|
	v_fmac_f32_e32 v33, 0xb3a22168, v34
	v_fmac_f32_e32 v33, 0xa7c234c4, v34
.LBB138_171:                            ;   in Loop: Header=BB138_4 Depth=1
	s_or_b64 exec, exec, s[8:9]
	v_mul_f32_e32 v35, v10, v10
	v_mov_b32_e32 v36, 0xbab64f3b
	v_fmac_f32_e32 v36, 0x37d75334, v35
	v_mov_b32_e32 v37, 0x3c0881c4
	v_fma_f32 v36, v35, v36, v26
	v_fmac_f32_e32 v37, 0xb94c1982, v35
	v_fma_f32 v36, v35, v36, v27
	v_fma_f32 v37, v35, v37, v25
	v_lshlrev_b32_e32 v34, 30, v11
	v_and_b32_e32 v11, 1, v11
	v_fma_f32 v36, v35, v36, 1.0
	v_mul_f32_e32 v35, v35, v37
	v_add_f32_e32 v6, 0xc322e3bc, v6
	v_fmac_f32_e32 v10, v10, v35
	v_cmp_eq_u32_e64 s[8:9], 0, v11
	v_mul_f32_e32 v11, 0x3fb8aa3b, v6
	v_cndmask_b32_e64 v10, -v10, v36, s[8:9]
	v_fma_f32 v35, v6, s58, -v11
	v_rndne_f32_e32 v36, v11
	v_fmac_f32_e32 v35, 0x32a5705f, v6
	v_sub_f32_e32 v11, v11, v36
	v_add_f32_e32 v11, v11, v35
	v_exp_f32_e32 v11, v11
	v_cvt_i32_f32_e32 v35, v36
	v_cmp_ngt_f32_e64 s[10:11], s59, v6
	v_and_b32_e32 v34, 0x80000000, v34
	v_xor_b32_e32 v10, v34, v10
	v_ldexp_f32 v11, v11, v35
	v_cndmask_b32_e64 v11, 0, v11, s[10:11]
	v_cmp_nlt_f32_e64 s[10:11], s60, v6
	v_cndmask_b32_e64 v6, v30, v11, s[10:11]
	v_and_b32_e32 v11, 0x7fffff, v6
	v_lshrrev_b32_e32 v6, 23, v6
	v_subrev_u32_e32 v6, 19, v6
	v_lshrrev_b16_e32 v34, 15, v6
	v_add_u16_e32 v34, v6, v34
	v_ashrrev_i16_e32 v34, 1, v34
	v_bfe_i32 v34, v34, 0, 16
	v_lshl_add_u32 v35, v34, 23, 1.0
	v_sub_u32_e32 v6, v6, v34
	v_mul_f32_e32 v34, v33, v33
	v_mov_b32_e32 v36, 0x3c0881c4
	v_fmac_f32_e32 v36, 0xb94c1982, v34
	v_fma_f32 v36, v34, v36, v25
	v_mul_f32_e32 v36, v34, v36
	v_fmac_f32_e32 v33, v33, v36
	v_mov_b32_e32 v36, 0xbab64f3b
	v_fmac_f32_e32 v36, 0x37d75334, v34
	v_fma_f32 v36, v34, v36, v26
	v_fma_f32 v36, v34, v36, v27
	v_fma_f32 v34, v34, v36, 1.0
	v_and_b32_e32 v36, 1, v1
	v_cmp_eq_u32_e64 s[10:11], 0, v36
	v_lshlrev_b32_e32 v1, 30, v1
	v_cndmask_b32_e64 v33, v34, v33, s[10:11]
	v_and_or_b32 v1, v1, s61, v32
	v_xor_b32_e32 v1, v1, v33
	v_cmp_class_f32_e64 s[8:9], v7, s62
	v_xor_b32_e32 v1, v1, v7
	v_cndmask_b32_e64 v10, v31, v10, s[8:9]
	v_or_b32_e32 v11, 0x7f000000, v11
	v_cndmask_b32_e64 v1, v31, v1, s[8:9]
	v_mul_f32_e32 v10, v10, v11
	v_mul_f32_e32 v1, v1, v11
	v_mul_f32_e32 v10, v10, v35
	v_lshl_add_u32 v6, v6, 23, 1.0
	v_mul_f32_e32 v1, v1, v35
	v_mul_f32_e32 v10, v10, v6
	;; [unrolled: 1-line block ×3, first 2 shown]
.LBB138_172:                            ;   in Loop: Header=BB138_4 Depth=1
	s_or_b64 exec, exec, s[36:37]
                                        ; implicit-def: $vgpr6
                                        ; implicit-def: $vgpr1
.LBB138_173:                            ;   in Loop: Header=BB138_4 Depth=1
	s_andn2_saveexec_b64 s[10:11], s[34:35]
	s_cbranch_execz .LBB138_179
; %bb.174:                              ;   in Loop: Header=BB138_4 Depth=1
	v_cmp_ne_u32_e64 s[8:9], s45, v1
	v_sub_f32_e32 v11, v7, v7
	s_and_saveexec_b64 s[12:13], s[8:9]
	s_xor_b64 s[8:9], exec, s[12:13]
; %bb.175:                              ;   in Loop: Header=BB138_4 Depth=1
                                        ; implicit-def: $vgpr6
; %bb.176:                              ;   in Loop: Header=BB138_4 Depth=1
	s_or_saveexec_b64 s[12:13], s[8:9]
	v_mov_b32_e32 v10, v11
	s_xor_b64 exec, exec, s[12:13]
; %bb.177:                              ;   in Loop: Header=BB138_4 Depth=1
	v_cmp_lt_i32_e64 s[8:9], -1, v6
	v_cndmask_b32_e64 v10, 0, v6, s[8:9]
	v_cndmask_b32_e64 v11, 0, v11, s[8:9]
; %bb.178:                              ;   in Loop: Header=BB138_4 Depth=1
	s_or_b64 exec, exec, s[12:13]
.LBB138_179:                            ;   in Loop: Header=BB138_4 Depth=1
	s_or_b64 exec, exec, s[10:11]
                                        ; implicit-def: $vgpr7
                                        ; implicit-def: $vgpr32
.LBB138_180:                            ;   in Loop: Header=BB138_4 Depth=1
	s_andn2_saveexec_b64 s[30:31], s[30:31]
	s_cbranch_execz .LBB138_190
; %bb.181:                              ;   in Loop: Header=BB138_4 Depth=1
	v_lshrrev_b32_e32 v1, 23, v32
	v_and_b32_e32 v6, 0x7fffff, v32
	v_cmp_nlt_f32_e64 s[34:35], |v7|, s47
	v_add_u32_e32 v33, 0xffffff88, v1
	v_or_b32_e32 v6, 0x800000, v6
                                        ; implicit-def: $vgpr10
                                        ; implicit-def: $vgpr11
	s_and_saveexec_b64 s[8:9], s[34:35]
	s_xor_b64 s[36:37], exec, s[8:9]
	s_cbranch_execz .LBB138_183
; %bb.182:                              ;   in Loop: Header=BB138_4 Depth=1
	v_mad_u64_u32 v[10:11], s[8:9], v6, s48, 0
	v_mov_b32_e32 v1, v11
	v_mad_u64_u32 v[34:35], s[8:9], v6, s49, v[1:2]
	v_mov_b32_e32 v1, v35
	;; [unrolled: 2-line block ×3, first 2 shown]
	v_mad_u64_u32 v[36:37], s[8:9], v6, s51, v[1:2]
	v_cmp_lt_u32_e64 s[8:9], 63, v33
	v_cndmask_b32_e64 v1, 0, v28, s[8:9]
	v_add_u32_e32 v11, v1, v33
	v_mov_b32_e32 v1, v37
	v_mad_u64_u32 v[37:38], s[10:11], v6, s52, v[1:2]
	v_cmp_lt_u32_e64 s[10:11], 31, v11
	v_cndmask_b32_e64 v1, 0, v29, s[10:11]
	v_add_u32_e32 v11, v1, v11
	v_mov_b32_e32 v1, v38
	;; [unrolled: 5-line block ×3, first 2 shown]
	v_mad_u64_u32 v[39:40], s[14:15], v6, s54, v[1:2]
	v_cndmask_b32_e64 v1, v37, v35, s[8:9]
	v_cndmask_b32_e64 v41, v38, v36, s[8:9]
	;; [unrolled: 1-line block ×9, first 2 shown]
	v_sub_u32_e32 v39, 32, v11
	v_cmp_eq_u32_e64 s[14:15], 0, v11
	v_cndmask_b32_e64 v11, v36, v34, s[8:9]
	v_cndmask_b32_e64 v1, v1, v11, s[10:11]
	v_alignbit_b32 v40, v37, v38, v39
	v_cndmask_b32_e64 v34, v42, v1, s[12:13]
	v_cndmask_b32_e64 v37, v40, v37, s[14:15]
	v_alignbit_b32 v36, v38, v34, v39
	v_cndmask_b32_e64 v10, v35, v10, s[8:9]
	v_cndmask_b32_e64 v36, v36, v38, s[14:15]
	v_bfe_u32 v41, v37, 29, 1
	v_cndmask_b32_e64 v10, v11, v10, s[10:11]
	v_alignbit_b32 v38, v37, v36, 30
	v_sub_u32_e32 v42, 0, v41
	v_cndmask_b32_e64 v1, v1, v10, s[12:13]
	v_xor_b32_e32 v38, v38, v42
	v_alignbit_b32 v10, v34, v1, v39
	v_cndmask_b32_e64 v10, v10, v34, s[14:15]
	v_ffbh_u32_e32 v34, v38
	v_alignbit_b32 v11, v36, v10, 30
	v_min_u32_e32 v34, 32, v34
	v_alignbit_b32 v1, v10, v1, 30
	v_xor_b32_e32 v11, v11, v42
	v_sub_u32_e32 v35, 31, v34
	v_xor_b32_e32 v1, v1, v42
	v_alignbit_b32 v36, v38, v11, v35
	v_alignbit_b32 v1, v11, v1, v35
	;; [unrolled: 1-line block ×3, first 2 shown]
	v_ffbh_u32_e32 v11, v10
	v_min_u32_e32 v11, 32, v11
	v_lshrrev_b32_e32 v40, 29, v37
	v_not_b32_e32 v35, v11
	v_alignbit_b32 v1, v10, v1, v35
	v_lshlrev_b32_e32 v10, 31, v40
	v_or_b32_e32 v35, 0x33000000, v10
	v_add_lshl_u32 v11, v11, v34, 23
	v_lshrrev_b32_e32 v1, 9, v1
	v_sub_u32_e32 v11, v35, v11
	v_or_b32_e32 v10, 0.5, v10
	v_lshlrev_b32_e32 v34, 23, v34
	v_or_b32_e32 v1, v11, v1
	v_lshrrev_b32_e32 v11, 9, v36
	v_sub_u32_e32 v10, v10, v34
	v_or_b32_e32 v10, v11, v10
	v_mul_f32_e32 v11, 0x3fc90fda, v10
	v_fma_f32 v34, v10, s55, -v11
	v_fmac_f32_e32 v34, 0x33a22168, v10
	v_fmac_f32_e32 v34, 0x3fc90fda, v1
	v_lshrrev_b32_e32 v1, 30, v37
	v_add_f32_e32 v11, v11, v34
	v_add_u32_e32 v10, v41, v1
.LBB138_183:                            ;   in Loop: Header=BB138_4 Depth=1
	s_or_saveexec_b64 s[8:9], s[36:37]
	v_mul_f32_e64 v1, |v7|, s56
	v_rndne_f32_e32 v35, v1
	s_xor_b64 exec, exec, s[8:9]
; %bb.184:                              ;   in Loop: Header=BB138_4 Depth=1
	v_cvt_i32_f32_e32 v10, v35
	v_fma_f32 v11, v35, s57, |v7|
	v_fmac_f32_e32 v11, 0xb3a22168, v35
	v_fmac_f32_e32 v11, 0xa7c234c4, v35
; %bb.185:                              ;   in Loop: Header=BB138_4 Depth=1
	s_or_b64 exec, exec, s[8:9]
                                        ; implicit-def: $vgpr1
                                        ; implicit-def: $vgpr34
	s_and_saveexec_b64 s[8:9], s[34:35]
	s_xor_b64 s[34:35], exec, s[8:9]
	s_cbranch_execz .LBB138_187
; %bb.186:                              ;   in Loop: Header=BB138_4 Depth=1
	v_mad_u64_u32 v[34:35], s[8:9], v6, s48, 0
	v_mov_b32_e32 v1, v35
	v_mad_u64_u32 v[35:36], s[8:9], v6, s49, v[1:2]
	v_mov_b32_e32 v1, v36
	;; [unrolled: 2-line block ×3, first 2 shown]
	v_mad_u64_u32 v[37:38], s[8:9], v6, s51, v[1:2]
	v_cmp_lt_u32_e64 s[8:9], 63, v33
	v_cndmask_b32_e64 v1, 0, v28, s[8:9]
	v_add_u32_e32 v33, v1, v33
	v_mov_b32_e32 v1, v38
	v_mad_u64_u32 v[38:39], s[10:11], v6, s52, v[1:2]
	v_cmp_lt_u32_e64 s[10:11], 31, v33
	v_cndmask_b32_e64 v1, 0, v29, s[10:11]
	v_add_u32_e32 v33, v1, v33
	v_mov_b32_e32 v1, v39
	;; [unrolled: 5-line block ×3, first 2 shown]
	v_mad_u64_u32 v[40:41], s[14:15], v6, s54, v[1:2]
	v_cndmask_b32_e64 v1, v38, v36, s[8:9]
	v_cndmask_b32_e64 v6, v39, v37, s[8:9]
	;; [unrolled: 1-line block ×10, first 2 shown]
	v_sub_u32_e32 v39, 32, v33
	v_cndmask_b32_e64 v1, v1, v35, s[10:11]
	v_alignbit_b32 v40, v38, v6, v39
	v_cmp_eq_u32_e64 s[14:15], 0, v33
	v_cndmask_b32_e64 v37, v42, v1, s[12:13]
	v_cndmask_b32_e64 v33, v40, v38, s[14:15]
	v_alignbit_b32 v38, v6, v37, v39
	v_cndmask_b32_e64 v34, v36, v34, s[8:9]
	v_cndmask_b32_e64 v6, v38, v6, s[14:15]
	v_bfe_u32 v41, v33, 29, 1
	v_cndmask_b32_e64 v34, v35, v34, s[10:11]
	v_alignbit_b32 v38, v33, v6, 30
	v_sub_u32_e32 v42, 0, v41
	v_cndmask_b32_e64 v1, v1, v34, s[12:13]
	v_xor_b32_e32 v38, v38, v42
	v_alignbit_b32 v34, v37, v1, v39
	v_cndmask_b32_e64 v34, v34, v37, s[14:15]
	v_ffbh_u32_e32 v35, v38
	v_alignbit_b32 v6, v6, v34, 30
	v_min_u32_e32 v35, 32, v35
	v_alignbit_b32 v1, v34, v1, 30
	v_xor_b32_e32 v6, v6, v42
	v_sub_u32_e32 v36, 31, v35
	v_xor_b32_e32 v1, v1, v42
	v_alignbit_b32 v37, v38, v6, v36
	v_alignbit_b32 v1, v6, v1, v36
	;; [unrolled: 1-line block ×3, first 2 shown]
	v_ffbh_u32_e32 v34, v6
	v_min_u32_e32 v34, 32, v34
	v_lshrrev_b32_e32 v40, 29, v33
	v_not_b32_e32 v36, v34
	v_alignbit_b32 v1, v6, v1, v36
	v_lshlrev_b32_e32 v6, 31, v40
	v_or_b32_e32 v36, 0x33000000, v6
	v_add_lshl_u32 v34, v34, v35, 23
	v_lshrrev_b32_e32 v1, 9, v1
	v_sub_u32_e32 v34, v36, v34
	v_or_b32_e32 v6, 0.5, v6
	v_lshlrev_b32_e32 v35, 23, v35
	v_or_b32_e32 v1, v34, v1
	v_lshrrev_b32_e32 v34, 9, v37
	v_sub_u32_e32 v6, v6, v35
	v_or_b32_e32 v6, v34, v6
	v_mul_f32_e32 v34, 0x3fc90fda, v6
	v_fma_f32 v35, v6, s55, -v34
	v_fmac_f32_e32 v35, 0x33a22168, v6
	v_fmac_f32_e32 v35, 0x3fc90fda, v1
	v_lshrrev_b32_e32 v1, 30, v33
	v_add_f32_e32 v34, v34, v35
	v_add_u32_e32 v1, v41, v1
                                        ; implicit-def: $vgpr35
	s_andn2_saveexec_b64 s[8:9], s[34:35]
	s_cbranch_execnz .LBB138_188
	s_branch .LBB138_189
.LBB138_187:                            ;   in Loop: Header=BB138_4 Depth=1
	s_andn2_saveexec_b64 s[8:9], s[34:35]
.LBB138_188:                            ;   in Loop: Header=BB138_4 Depth=1
	v_cvt_i32_f32_e32 v1, v35
	v_fma_f32 v34, v35, s57, |v7|
	v_fmac_f32_e32 v34, 0xb3a22168, v35
	v_fmac_f32_e32 v34, 0xa7c234c4, v35
.LBB138_189:                            ;   in Loop: Header=BB138_4 Depth=1
	s_or_b64 exec, exec, s[8:9]
	v_mul_f32_e32 v6, v11, v11
	v_mov_b32_e32 v33, 0x3c0881c4
	v_fmac_f32_e32 v33, 0xb94c1982, v6
	v_fma_f32 v33, v6, v33, v25
	v_mul_f32_e32 v33, v6, v33
	v_fmac_f32_e32 v11, v11, v33
	v_mov_b32_e32 v33, 0xbab64f3b
	v_fmac_f32_e32 v33, 0x37d75334, v6
	v_fma_f32 v33, v6, v33, v26
	v_fma_f32 v33, v6, v33, v27
	v_fma_f32 v6, v6, v33, 1.0
	v_and_b32_e32 v33, 1, v10
	v_cmp_eq_u32_e64 s[8:9], 0, v33
	v_lshlrev_b32_e32 v10, 30, v10
	v_cndmask_b32_e64 v6, -v11, v6, s[8:9]
	v_and_b32_e32 v10, 0x80000000, v10
	v_xor_b32_e32 v6, v10, v6
	v_cmp_class_f32_e64 s[8:9], v7, s62
	v_cndmask_b32_e64 v10, v31, v6, s[8:9]
	v_mul_f32_e32 v6, v34, v34
	v_mov_b32_e32 v11, 0x3c0881c4
	v_fmac_f32_e32 v11, 0xb94c1982, v6
	v_fma_f32 v11, v6, v11, v25
	v_mul_f32_e32 v11, v6, v11
	v_fmac_f32_e32 v34, v34, v11
	v_mov_b32_e32 v11, 0xbab64f3b
	v_fmac_f32_e32 v11, 0x37d75334, v6
	v_fma_f32 v11, v6, v11, v26
	v_fma_f32 v11, v6, v11, v27
	v_fma_f32 v6, v6, v11, 1.0
	v_and_b32_e32 v11, 1, v1
	v_cmp_eq_u32_e64 s[10:11], 0, v11
	v_lshlrev_b32_e32 v1, 30, v1
	v_cndmask_b32_e64 v6, v6, v34, s[10:11]
	v_and_or_b32 v1, v1, s61, v32
	v_xor_b32_e32 v1, v1, v6
	v_xor_b32_e32 v1, v1, v7
	v_cndmask_b32_e64 v11, v31, v1, s[8:9]
.LBB138_190:                            ;   in Loop: Header=BB138_4 Depth=1
	s_or_b64 exec, exec, s[30:31]
                                        ; implicit-def: $vgpr6
	s_andn2_saveexec_b64 s[10:11], s[28:29]
	s_cbranch_execnz .LBB138_151
.LBB138_191:                            ;   in Loop: Header=BB138_4 Depth=1
	s_or_b64 exec, exec, s[10:11]
	s_and_saveexec_b64 s[8:9], vcc
	s_xor_b64 s[8:9], exec, s[8:9]
	s_cbranch_execz .LBB138_152
.LBB138_192:                            ;   in Loop: Header=BB138_4 Depth=1
	v_mov_b32_e32 v1, s42
	v_add_co_u32_e32 v6, vcc, s33, v3
	v_addc_co_u32_e32 v7, vcc, 0, v1, vcc
	global_store_dwordx2 v[6:7], v[8:9], off
	s_or_b64 exec, exec, s[8:9]
	s_and_saveexec_b64 s[8:9], s[0:1]
	s_cbranch_execnz .LBB138_153
.LBB138_193:                            ;   in Loop: Header=BB138_4 Depth=1
	s_or_b64 exec, exec, s[8:9]
	s_and_saveexec_b64 s[0:1], s[2:3]
	s_cbranch_execz .LBB138_154
.LBB138_194:                            ;   in Loop: Header=BB138_4 Depth=1
	v_mov_b32_e32 v1, s42
	v_add_co_u32_e32 v6, vcc, s33, v22
	v_addc_co_u32_e32 v7, vcc, v1, v21, vcc
	global_store_dwordx2 v[6:7], v[14:15], off offset:-4
	s_or_b64 exec, exec, s[0:1]
	s_and_saveexec_b64 s[0:1], s[6:7]
	s_cbranch_execz .LBB138_3
.LBB138_195:                            ;   in Loop: Header=BB138_4 Depth=1
	v_mov_b32_e32 v1, s42
	v_add_co_u32_e32 v6, vcc, s33, v4
	v_addc_co_u32_e32 v7, vcc, v1, v5, vcc
	global_store_dwordx2 v[6:7], v[10:11], off offset:-4
	s_branch .LBB138_3
.LBB138_196:
	s_cbranch_execz .LBB138_198
	s_branch .LBB138_373
.LBB138_197:
.LBB138_198:
	v_mov_b32_e32 v1, 0x10000
	v_mov_b32_e32 v2, 0
	v_cmp_lt_i64_e32 vcc, s[20:21], v[1:2]
	v_mov_b32_e32 v15, 0
	s_and_b64 s[0:1], vcc, exec
	s_cselect_b32 s7, s21, 0
	s_cselect_b32 s6, s20, 0x10000
	v_lshlrev_b32_e32 v14, 2, v0
	v_cmp_gt_i64_e32 vcc, s[6:7], v[14:15]
	s_and_saveexec_b64 s[0:1], vcc
	s_cbranch_execz .LBB138_373
; %bb.199:
	s_load_dword s0, s[4:5], 0xd3c
	v_lshlrev_b32_e32 v2, 5, v0
	v_mov_b32_e32 v1, v15
	s_mov_b64 s[8:9], 0
	s_mov_b32 s24, 0x7f800000
	s_waitcnt lgkmcnt(0)
	s_and_b32 s22, s0, 0xffff
	s_add_u32 s0, s16, s18
	s_addc_u32 s1, s17, s19
	v_mov_b32_e32 v3, s1
	v_add_co_u32_e32 v16, vcc, s0, v2
	v_addc_co_u32_e32 v17, vcc, 0, v3, vcc
	s_lshl_b32 s23, s22, 5
	s_mov_b32 s25, 0x8e8e5c
	s_brev_b32 s26, 18
	s_mov_b32 s27, 0xfe5163ab
	s_mov_b32 s28, 0x3c439041
	;; [unrolled: 1-line block ×13, first 2 shown]
	v_mov_b32_e32 v18, 0xbe2aaa9d
	v_mov_b32_e32 v19, 0x3d2aabf7
	;; [unrolled: 1-line block ×3, first 2 shown]
	s_brev_b32 s41, 1
	s_movk_i32 s42, 0x1f8
	v_not_b32_e32 v21, 63
	v_not_b32_e32 v22, 31
	v_mov_b32_e32 v23, 0x7f800000
	v_mov_b32_e32 v24, 0x7fc00000
	s_branch .LBB138_201
.LBB138_200:                            ;   in Loop: Header=BB138_201 Depth=1
	s_or_b64 exec, exec, s[0:1]
	v_add_co_u32_e32 v0, vcc, s22, v0
	v_addc_co_u32_e32 v1, vcc, 0, v1, vcc
	v_lshlrev_b64 v[2:3], 2, v[0:1]
	global_store_dwordx4 v[16:17], v[6:9], off
	v_cmp_le_i64_e32 vcc, s[6:7], v[2:3]
	global_store_dwordx4 v[16:17], v[10:13], off offset:16
	s_or_b64 s[8:9], vcc, s[8:9]
	v_add_co_u32_e32 v16, vcc, s23, v16
	v_addc_co_u32_e32 v17, vcc, 0, v17, vcc
	s_andn2_b64 exec, exec, s[8:9]
	s_cbranch_execz .LBB138_373
.LBB138_201:                            ; =>This Inner Loop Header: Depth=1
	global_load_dwordx4 v[10:13], v[16:17], off
	global_load_dwordx4 v[2:5], v[16:17], off offset:16
                                        ; implicit-def: $vgpr7
	s_waitcnt vmcnt(1)
	v_and_b32_e32 v8, 0x7fffffff, v11
	v_cmp_ne_u32_e32 vcc, 0, v8
	s_and_saveexec_b64 s[0:1], vcc
	s_xor_b64 s[10:11], exec, s[0:1]
	s_cbranch_execz .LBB138_241
; %bb.202:                              ;   in Loop: Header=BB138_201 Depth=1
	v_and_b32_e32 v9, 0x7fffffff, v10
	v_cmp_ne_u32_e32 vcc, 0, v9
                                        ; implicit-def: $vgpr7
	s_and_saveexec_b64 s[0:1], vcc
	s_xor_b64 s[12:13], exec, s[0:1]
	s_cbranch_execz .LBB138_230
; %bb.203:                              ;   in Loop: Header=BB138_201 Depth=1
	v_cmp_gt_u32_e32 vcc, s24, v8
                                        ; implicit-def: $vgpr7
	s_and_saveexec_b64 s[0:1], vcc
	s_xor_b64 s[14:15], exec, s[0:1]
	s_cbranch_execz .LBB138_225
; %bb.204:                              ;   in Loop: Header=BB138_201 Depth=1
	v_add_u32_e32 v6, 0xbd4e8de8, v10
	v_cmp_lt_u32_e32 vcc, s25, v6
                                        ; implicit-def: $vgpr7
	s_and_saveexec_b64 s[0:1], vcc
	s_xor_b64 s[16:17], exec, s[0:1]
	s_cbranch_execz .LBB138_214
; %bb.205:                              ;   in Loop: Header=BB138_201 Depth=1
	v_cmp_nlt_f32_e64 s[18:19], |v11|, s26
                                        ; implicit-def: $vgpr6
                                        ; implicit-def: $vgpr7
	s_and_saveexec_b64 s[0:1], s[18:19]
	s_xor_b64 s[20:21], exec, s[0:1]
	s_cbranch_execz .LBB138_207
; %bb.206:                              ;   in Loop: Header=BB138_201 Depth=1
	v_and_b32_e32 v6, 0x7fffff, v8
	v_or_b32_e32 v9, 0x800000, v6
	v_mad_u64_u32 v[6:7], s[0:1], v9, s27, 0
	v_mov_b32_e32 v14, v7
	v_mad_u64_u32 v[25:26], s[0:1], v9, s28, v[14:15]
	v_lshrrev_b32_e32 v7, 23, v8
	v_add_u32_e32 v7, 0xffffff88, v7
	v_mov_b32_e32 v14, v26
	v_mad_u64_u32 v[26:27], s[0:1], v9, s29, v[14:15]
	v_cmp_lt_u32_e32 vcc, 63, v7
	v_mov_b32_e32 v14, v27
	v_mad_u64_u32 v[27:28], s[0:1], v9, s30, v[14:15]
	v_cndmask_b32_e32 v6, v26, v6, vcc
	v_mov_b32_e32 v14, v28
	v_mad_u64_u32 v[28:29], s[0:1], v9, s31, v[14:15]
	v_cndmask_b32_e32 v14, 0, v21, vcc
	v_add_u32_e32 v7, v14, v7
	v_mov_b32_e32 v14, v29
	v_mad_u64_u32 v[29:30], s[0:1], v9, s33, v[14:15]
	v_cmp_lt_u32_e64 s[0:1], 31, v7
	v_cndmask_b32_e64 v14, 0, v22, s[0:1]
	v_add_u32_e32 v7, v14, v7
	v_mov_b32_e32 v14, v30
	v_mad_u64_u32 v[30:31], s[2:3], v9, s34, v[14:15]
	v_cmp_lt_u32_e64 s[2:3], 31, v7
	v_cndmask_b32_e64 v9, 0, v22, s[2:3]
	v_add_u32_e32 v7, v9, v7
	v_cndmask_b32_e32 v9, v29, v27, vcc
	v_cndmask_b32_e32 v14, v30, v28, vcc
	;; [unrolled: 1-line block ×4, first 2 shown]
	v_cndmask_b32_e64 v30, v14, v9, s[0:1]
	v_cndmask_b32_e64 v14, v29, v14, s[0:1]
	;; [unrolled: 1-line block ×5, first 2 shown]
	v_sub_u32_e32 v30, 32, v7
	v_cmp_eq_u32_e64 s[4:5], 0, v7
	v_cndmask_b32_e32 v7, v27, v25, vcc
	v_cndmask_b32_e64 v25, v28, v7, s[0:1]
	v_alignbit_b32 v31, v14, v29, v30
	v_cndmask_b32_e64 v9, v9, v25, s[2:3]
	v_cndmask_b32_e64 v14, v31, v14, s[4:5]
	v_alignbit_b32 v27, v29, v9, v30
	v_cndmask_b32_e64 v27, v27, v29, s[4:5]
	v_bfe_u32 v31, v14, 29, 1
	v_cndmask_b32_e64 v6, v7, v6, s[0:1]
	v_alignbit_b32 v28, v14, v27, 30
	v_sub_u32_e32 v32, 0, v31
	v_cndmask_b32_e64 v6, v25, v6, s[2:3]
	v_xor_b32_e32 v28, v28, v32
	v_alignbit_b32 v7, v9, v6, v30
	v_cndmask_b32_e64 v7, v7, v9, s[4:5]
	v_ffbh_u32_e32 v25, v28
	v_alignbit_b32 v9, v27, v7, 30
	v_min_u32_e32 v25, 32, v25
	v_alignbit_b32 v6, v7, v6, 30
	v_xor_b32_e32 v9, v9, v32
	v_sub_u32_e32 v26, 31, v25
	v_xor_b32_e32 v6, v6, v32
	v_alignbit_b32 v27, v28, v9, v26
	v_alignbit_b32 v6, v9, v6, v26
	;; [unrolled: 1-line block ×3, first 2 shown]
	v_ffbh_u32_e32 v9, v7
	v_min_u32_e32 v9, 32, v9
	v_lshrrev_b32_e32 v29, 29, v14
	v_not_b32_e32 v26, v9
	v_alignbit_b32 v6, v7, v6, v26
	v_lshlrev_b32_e32 v7, 31, v29
	v_or_b32_e32 v26, 0x33000000, v7
	v_add_lshl_u32 v9, v9, v25, 23
	v_lshrrev_b32_e32 v6, 9, v6
	v_sub_u32_e32 v9, v26, v9
	v_or_b32_e32 v7, 0.5, v7
	v_lshlrev_b32_e32 v25, 23, v25
	v_or_b32_e32 v6, v9, v6
	v_lshrrev_b32_e32 v9, 9, v27
	v_sub_u32_e32 v7, v7, v25
	v_or_b32_e32 v7, v9, v7
	v_mul_f32_e32 v9, 0x3fc90fda, v7
	v_fma_f32 v25, v7, s35, -v9
	v_fmac_f32_e32 v25, 0x33a22168, v7
	v_fmac_f32_e32 v25, 0x3fc90fda, v6
	v_lshrrev_b32_e32 v6, 30, v14
	v_add_f32_e32 v7, v9, v25
	v_add_u32_e32 v6, v31, v6
	s_andn2_saveexec_b64 s[0:1], s[20:21]
	s_branch .LBB138_208
.LBB138_207:                            ;   in Loop: Header=BB138_201 Depth=1
	s_andn2_saveexec_b64 s[0:1], s[20:21]
.LBB138_208:                            ;   in Loop: Header=BB138_201 Depth=1
	v_mul_f32_e64 v6, |v11|, s36
	v_rndne_f32_e32 v9, v6
	v_cvt_i32_f32_e32 v6, v9
	v_fma_f32 v7, v9, s37, |v11|
	v_fmac_f32_e32 v7, 0xb3a22168, v9
	v_fmac_f32_e32 v7, 0xa7c234c4, v9
; %bb.209:                              ;   in Loop: Header=BB138_201 Depth=1
	s_or_b64 exec, exec, s[0:1]
                                        ; implicit-def: $vgpr9
                                        ; implicit-def: $vgpr14
	s_and_saveexec_b64 s[0:1], s[18:19]
	s_xor_b64 s[18:19], exec, s[0:1]
	s_cbranch_execz .LBB138_211
; %bb.210:                              ;   in Loop: Header=BB138_201 Depth=1
	v_and_b32_e32 v9, 0x7fffff, v8
	v_or_b32_e32 v9, 0x800000, v9
	v_mad_u64_u32 v[25:26], s[0:1], v9, s27, 0
	v_mov_b32_e32 v14, v26
	v_mad_u64_u32 v[26:27], s[0:1], v9, s28, v[14:15]
	v_mov_b32_e32 v14, v27
	;; [unrolled: 2-line block ×3, first 2 shown]
	v_mad_u64_u32 v[28:29], s[0:1], v9, s30, v[14:15]
	v_lshrrev_b32_e32 v14, 23, v8
	v_add_u32_e32 v31, 0xffffff88, v14
	v_mov_b32_e32 v14, v29
	v_mad_u64_u32 v[29:30], s[0:1], v9, s31, v[14:15]
	v_cmp_lt_u32_e32 vcc, 63, v31
	v_cndmask_b32_e32 v14, 0, v21, vcc
	v_add_u32_e32 v32, v14, v31
	v_mov_b32_e32 v14, v30
	v_mad_u64_u32 v[30:31], s[0:1], v9, s33, v[14:15]
	v_cmp_lt_u32_e64 s[0:1], 31, v32
	v_cndmask_b32_e64 v14, 0, v22, s[0:1]
	v_add_u32_e32 v33, v14, v32
	v_mov_b32_e32 v14, v31
	v_mad_u64_u32 v[31:32], s[2:3], v9, s34, v[14:15]
	v_cmp_lt_u32_e64 s[2:3], 31, v33
	v_cndmask_b32_e64 v9, 0, v22, s[2:3]
	v_cndmask_b32_e32 v14, v30, v28, vcc
	v_cndmask_b32_e32 v31, v31, v29, vcc
	;; [unrolled: 1-line block ×4, first 2 shown]
	v_add_u32_e32 v9, v9, v33
	v_cndmask_b32_e64 v32, v31, v14, s[0:1]
	v_cndmask_b32_e64 v30, v30, v31, s[0:1]
	;; [unrolled: 1-line block ×3, first 2 shown]
	v_cndmask_b32_e32 v26, v28, v26, vcc
	v_cndmask_b32_e64 v30, v30, v32, s[2:3]
	v_cndmask_b32_e64 v31, v32, v14, s[2:3]
	v_sub_u32_e32 v32, 32, v9
	v_cndmask_b32_e64 v28, v29, v26, s[0:1]
	v_alignbit_b32 v33, v30, v31, v32
	v_cmp_eq_u32_e64 s[4:5], 0, v9
	v_cndmask_b32_e64 v14, v14, v28, s[2:3]
	v_cndmask_b32_e64 v9, v33, v30, s[4:5]
	v_alignbit_b32 v29, v31, v14, v32
	v_cndmask_b32_e32 v25, v27, v25, vcc
	v_cndmask_b32_e64 v29, v29, v31, s[4:5]
	v_bfe_u32 v33, v9, 29, 1
	v_cndmask_b32_e64 v25, v26, v25, s[0:1]
	v_alignbit_b32 v30, v9, v29, 30
	v_sub_u32_e32 v34, 0, v33
	v_cndmask_b32_e64 v25, v28, v25, s[2:3]
	v_xor_b32_e32 v30, v30, v34
	v_alignbit_b32 v26, v14, v25, v32
	v_cndmask_b32_e64 v14, v26, v14, s[4:5]
	v_ffbh_u32_e32 v27, v30
	v_alignbit_b32 v26, v29, v14, 30
	v_min_u32_e32 v27, 32, v27
	v_alignbit_b32 v14, v14, v25, 30
	v_xor_b32_e32 v26, v26, v34
	v_sub_u32_e32 v28, 31, v27
	v_xor_b32_e32 v14, v14, v34
	v_alignbit_b32 v29, v30, v26, v28
	v_alignbit_b32 v14, v26, v14, v28
	;; [unrolled: 1-line block ×3, first 2 shown]
	v_ffbh_u32_e32 v26, v25
	v_min_u32_e32 v26, 32, v26
	v_lshrrev_b32_e32 v31, 29, v9
	v_not_b32_e32 v28, v26
	v_alignbit_b32 v14, v25, v14, v28
	v_lshlrev_b32_e32 v25, 31, v31
	v_or_b32_e32 v28, 0x33000000, v25
	v_add_lshl_u32 v26, v26, v27, 23
	v_lshrrev_b32_e32 v14, 9, v14
	v_sub_u32_e32 v26, v28, v26
	v_or_b32_e32 v25, 0.5, v25
	v_lshlrev_b32_e32 v27, 23, v27
	v_or_b32_e32 v14, v26, v14
	v_lshrrev_b32_e32 v26, 9, v29
	v_sub_u32_e32 v25, v25, v27
	v_or_b32_e32 v25, v26, v25
	v_mul_f32_e32 v26, 0x3fc90fda, v25
	v_fma_f32 v27, v25, s35, -v26
	v_fmac_f32_e32 v27, 0x33a22168, v25
	v_fmac_f32_e32 v27, 0x3fc90fda, v14
	v_lshrrev_b32_e32 v9, 30, v9
	v_add_f32_e32 v14, v26, v27
	v_add_u32_e32 v9, v33, v9
	s_andn2_saveexec_b64 s[0:1], s[18:19]
	s_cbranch_execnz .LBB138_212
	s_branch .LBB138_213
.LBB138_211:                            ;   in Loop: Header=BB138_201 Depth=1
	s_andn2_saveexec_b64 s[0:1], s[18:19]
.LBB138_212:                            ;   in Loop: Header=BB138_201 Depth=1
	v_mul_f32_e64 v9, |v11|, s36
	v_rndne_f32_e32 v25, v9
	v_cvt_i32_f32_e32 v9, v25
	v_fma_f32 v14, v25, s37, |v11|
	v_fmac_f32_e32 v14, 0xb3a22168, v25
	v_fmac_f32_e32 v14, 0xa7c234c4, v25
.LBB138_213:                            ;   in Loop: Header=BB138_201 Depth=1
	s_or_b64 exec, exec, s[0:1]
	v_mul_f32_e32 v25, 0x3fb8aa3b, v10
	v_rndne_f32_e32 v26, v25
	v_sub_f32_e32 v27, v25, v26
	v_fma_f32 v25, v10, s38, -v25
	v_fmac_f32_e32 v25, 0x32a5705f, v10
	v_add_f32_e32 v25, v27, v25
	v_cvt_i32_f32_e32 v26, v26
	v_exp_f32_e32 v25, v25
	v_mov_b32_e32 v27, 0x3c0881c4
	v_cmp_ngt_f32_e32 vcc, s39, v10
	v_ldexp_f32 v25, v25, v26
	v_mul_f32_e32 v26, v7, v7
	v_fmac_f32_e32 v27, 0xb94c1982, v26
	v_fma_f32 v27, v26, v27, v18
	v_mul_f32_e32 v27, v26, v27
	v_fmac_f32_e32 v7, v7, v27
	v_mov_b32_e32 v27, 0xbab64f3b
	v_fmac_f32_e32 v27, 0x37d75334, v26
	v_fma_f32 v27, v26, v27, v19
	v_fma_f32 v27, v26, v27, v20
	v_cndmask_b32_e32 v25, 0, v25, vcc
	v_cmp_nlt_f32_e32 vcc, s40, v10
	v_fma_f32 v26, v26, v27, 1.0
	v_and_b32_e32 v27, 1, v6
	v_cndmask_b32_e32 v25, v23, v25, vcc
	v_cmp_eq_u32_e32 vcc, 0, v27
	v_lshlrev_b32_e32 v6, 30, v6
	v_cndmask_b32_e64 v7, -v7, v26, vcc
	v_and_b32_e32 v6, 0x80000000, v6
	v_xor_b32_e32 v6, v6, v7
	v_mul_f32_e32 v7, v14, v14
	v_mov_b32_e32 v26, 0x3c0881c4
	v_fmac_f32_e32 v26, 0xb94c1982, v7
	v_fma_f32 v26, v7, v26, v18
	v_mul_f32_e32 v26, v7, v26
	v_fmac_f32_e32 v14, v14, v26
	v_mov_b32_e32 v26, 0xbab64f3b
	v_fmac_f32_e32 v26, 0x37d75334, v7
	v_fma_f32 v26, v7, v26, v19
	v_fma_f32 v26, v7, v26, v20
	v_fma_f32 v7, v7, v26, 1.0
	v_and_b32_e32 v26, 1, v9
	v_cmp_eq_u32_e64 s[0:1], 0, v26
	v_lshlrev_b32_e32 v9, 30, v9
	v_cndmask_b32_e64 v7, v7, v14, s[0:1]
	v_and_or_b32 v8, v9, s41, v8
	v_xor_b32_e32 v7, v8, v7
	v_cmp_class_f32_e64 vcc, v11, s42
	v_xor_b32_e32 v7, v7, v11
	v_cndmask_b32_e32 v6, v24, v6, vcc
	v_cndmask_b32_e32 v7, v24, v7, vcc
	v_mul_f32_e32 v6, v25, v6
	v_mul_f32_e32 v7, v25, v7
                                        ; implicit-def: $vgpr8
.LBB138_214:                            ;   in Loop: Header=BB138_201 Depth=1
	s_andn2_saveexec_b64 s[16:17], s[16:17]
	s_cbranch_execz .LBB138_217
; %bb.215:                              ;   in Loop: Header=BB138_201 Depth=1
	v_cmp_nlt_f32_e64 s[18:19], |v11|, s26
                                        ; implicit-def: $vgpr7
                                        ; implicit-def: $vgpr6
	s_and_saveexec_b64 s[0:1], s[18:19]
	s_xor_b64 s[20:21], exec, s[0:1]
	s_cbranch_execz .LBB138_218
; %bb.216:                              ;   in Loop: Header=BB138_201 Depth=1
	v_and_b32_e32 v6, 0x7fffff, v8
	v_or_b32_e32 v9, 0x800000, v6
	v_mad_u64_u32 v[6:7], s[0:1], v9, s27, 0
	v_mov_b32_e32 v14, v7
	v_mad_u64_u32 v[25:26], s[0:1], v9, s28, v[14:15]
	v_lshrrev_b32_e32 v7, 23, v8
	v_add_u32_e32 v7, 0xffffff88, v7
	v_mov_b32_e32 v14, v26
	v_mad_u64_u32 v[26:27], s[0:1], v9, s29, v[14:15]
	v_cmp_lt_u32_e32 vcc, 63, v7
	v_mov_b32_e32 v14, v27
	v_mad_u64_u32 v[27:28], s[0:1], v9, s30, v[14:15]
	v_cndmask_b32_e32 v6, v26, v6, vcc
	v_mov_b32_e32 v14, v28
	v_mad_u64_u32 v[28:29], s[0:1], v9, s31, v[14:15]
	v_cndmask_b32_e32 v14, 0, v21, vcc
	v_add_u32_e32 v7, v14, v7
	v_mov_b32_e32 v14, v29
	v_mad_u64_u32 v[29:30], s[0:1], v9, s33, v[14:15]
	v_cmp_lt_u32_e64 s[0:1], 31, v7
	v_cndmask_b32_e64 v14, 0, v22, s[0:1]
	v_add_u32_e32 v7, v14, v7
	v_mov_b32_e32 v14, v30
	v_mad_u64_u32 v[30:31], s[2:3], v9, s34, v[14:15]
	v_cmp_lt_u32_e64 s[2:3], 31, v7
	v_cndmask_b32_e64 v9, 0, v22, s[2:3]
	v_add_u32_e32 v7, v9, v7
	v_cndmask_b32_e32 v9, v29, v27, vcc
	v_cndmask_b32_e32 v14, v30, v28, vcc
	;; [unrolled: 1-line block ×4, first 2 shown]
	v_cndmask_b32_e64 v30, v14, v9, s[0:1]
	v_cndmask_b32_e64 v14, v29, v14, s[0:1]
	;; [unrolled: 1-line block ×5, first 2 shown]
	v_sub_u32_e32 v30, 32, v7
	v_alignbit_b32 v31, v14, v29, v30
	v_cmp_eq_u32_e64 s[4:5], 0, v7
	v_cndmask_b32_e64 v7, v31, v14, s[4:5]
	v_cndmask_b32_e32 v14, v27, v25, vcc
	v_cndmask_b32_e64 v25, v28, v14, s[0:1]
	v_cndmask_b32_e64 v9, v9, v25, s[2:3]
	v_alignbit_b32 v27, v29, v9, v30
	v_cndmask_b32_e64 v27, v27, v29, s[4:5]
	v_bfe_u32 v31, v7, 29, 1
	v_cndmask_b32_e64 v6, v14, v6, s[0:1]
	v_alignbit_b32 v28, v7, v27, 30
	v_sub_u32_e32 v32, 0, v31
	v_cndmask_b32_e64 v6, v25, v6, s[2:3]
	v_xor_b32_e32 v28, v28, v32
	v_alignbit_b32 v14, v9, v6, v30
	v_cndmask_b32_e64 v9, v14, v9, s[4:5]
	v_ffbh_u32_e32 v25, v28
	v_alignbit_b32 v14, v27, v9, 30
	v_min_u32_e32 v25, 32, v25
	v_alignbit_b32 v6, v9, v6, 30
	v_xor_b32_e32 v14, v14, v32
	v_sub_u32_e32 v26, 31, v25
	v_xor_b32_e32 v6, v6, v32
	v_alignbit_b32 v27, v28, v14, v26
	v_alignbit_b32 v6, v14, v6, v26
	;; [unrolled: 1-line block ×3, first 2 shown]
	v_ffbh_u32_e32 v14, v9
	v_min_u32_e32 v14, 32, v14
	v_lshrrev_b32_e32 v29, 29, v7
	v_not_b32_e32 v26, v14
	v_alignbit_b32 v6, v9, v6, v26
	v_lshlrev_b32_e32 v9, 31, v29
	v_or_b32_e32 v26, 0x33000000, v9
	v_add_lshl_u32 v14, v14, v25, 23
	v_lshrrev_b32_e32 v6, 9, v6
	v_sub_u32_e32 v14, v26, v14
	v_or_b32_e32 v9, 0.5, v9
	v_lshlrev_b32_e32 v25, 23, v25
	v_or_b32_e32 v6, v14, v6
	v_lshrrev_b32_e32 v14, 9, v27
	v_sub_u32_e32 v9, v9, v25
	v_or_b32_e32 v9, v14, v9
	v_mul_f32_e32 v14, 0x3fc90fda, v9
	v_fma_f32 v25, v9, s35, -v14
	v_fmac_f32_e32 v25, 0x33a22168, v9
	v_fmac_f32_e32 v25, 0x3fc90fda, v6
	v_lshrrev_b32_e32 v7, 30, v7
	v_add_f32_e32 v6, v14, v25
	v_add_u32_e32 v7, v31, v7
	s_andn2_saveexec_b64 s[0:1], s[20:21]
	s_branch .LBB138_219
.LBB138_217:                            ;   in Loop: Header=BB138_201 Depth=1
	s_or_b64 exec, exec, s[16:17]
                                        ; implicit-def: $vgpr9
	s_andn2_saveexec_b64 s[0:1], s[14:15]
	s_cbranch_execnz .LBB138_226
	s_branch .LBB138_229
.LBB138_218:                            ;   in Loop: Header=BB138_201 Depth=1
	s_andn2_saveexec_b64 s[0:1], s[20:21]
.LBB138_219:                            ;   in Loop: Header=BB138_201 Depth=1
	v_mul_f32_e64 v6, |v11|, s36
	v_rndne_f32_e32 v9, v6
	v_cvt_i32_f32_e32 v7, v9
	v_fma_f32 v6, v9, s37, |v11|
	v_fmac_f32_e32 v6, 0xb3a22168, v9
	v_fmac_f32_e32 v6, 0xa7c234c4, v9
; %bb.220:                              ;   in Loop: Header=BB138_201 Depth=1
	s_or_b64 exec, exec, s[0:1]
                                        ; implicit-def: $vgpr9
                                        ; implicit-def: $vgpr14
	s_and_saveexec_b64 s[0:1], s[18:19]
	s_xor_b64 s[18:19], exec, s[0:1]
	s_cbranch_execz .LBB138_222
; %bb.221:                              ;   in Loop: Header=BB138_201 Depth=1
	v_and_b32_e32 v9, 0x7fffff, v8
	v_or_b32_e32 v9, 0x800000, v9
	v_mad_u64_u32 v[25:26], s[0:1], v9, s27, 0
	v_mov_b32_e32 v14, v26
	v_mad_u64_u32 v[26:27], s[0:1], v9, s28, v[14:15]
	v_mov_b32_e32 v14, v27
	v_mad_u64_u32 v[27:28], s[0:1], v9, s29, v[14:15]
	v_mov_b32_e32 v14, v28
	v_mad_u64_u32 v[28:29], s[0:1], v9, s30, v[14:15]
	v_lshrrev_b32_e32 v14, 23, v8
	v_add_u32_e32 v31, 0xffffff88, v14
	v_mov_b32_e32 v14, v29
	v_mad_u64_u32 v[29:30], s[0:1], v9, s31, v[14:15]
	v_cmp_lt_u32_e32 vcc, 63, v31
	v_cndmask_b32_e32 v14, 0, v21, vcc
	v_add_u32_e32 v32, v14, v31
	v_mov_b32_e32 v14, v30
	v_mad_u64_u32 v[30:31], s[0:1], v9, s33, v[14:15]
	v_cmp_lt_u32_e64 s[0:1], 31, v32
	v_cndmask_b32_e64 v14, 0, v22, s[0:1]
	v_add_u32_e32 v33, v14, v32
	v_mov_b32_e32 v14, v31
	v_mad_u64_u32 v[31:32], s[2:3], v9, s34, v[14:15]
	v_cmp_lt_u32_e64 s[2:3], 31, v33
	v_cndmask_b32_e64 v9, 0, v22, s[2:3]
	v_cndmask_b32_e32 v14, v30, v28, vcc
	v_cndmask_b32_e32 v31, v31, v29, vcc
	;; [unrolled: 1-line block ×4, first 2 shown]
	v_add_u32_e32 v9, v9, v33
	v_cndmask_b32_e64 v32, v31, v14, s[0:1]
	v_cndmask_b32_e64 v30, v30, v31, s[0:1]
	;; [unrolled: 1-line block ×3, first 2 shown]
	v_cndmask_b32_e32 v26, v28, v26, vcc
	v_cndmask_b32_e64 v30, v30, v32, s[2:3]
	v_cndmask_b32_e64 v31, v32, v14, s[2:3]
	v_sub_u32_e32 v32, 32, v9
	v_cndmask_b32_e64 v28, v29, v26, s[0:1]
	v_alignbit_b32 v33, v30, v31, v32
	v_cmp_eq_u32_e64 s[4:5], 0, v9
	v_cndmask_b32_e64 v14, v14, v28, s[2:3]
	v_cndmask_b32_e64 v9, v33, v30, s[4:5]
	v_alignbit_b32 v29, v31, v14, v32
	v_cndmask_b32_e32 v25, v27, v25, vcc
	v_cndmask_b32_e64 v29, v29, v31, s[4:5]
	v_bfe_u32 v33, v9, 29, 1
	v_cndmask_b32_e64 v25, v26, v25, s[0:1]
	v_alignbit_b32 v30, v9, v29, 30
	v_sub_u32_e32 v34, 0, v33
	v_cndmask_b32_e64 v25, v28, v25, s[2:3]
	v_xor_b32_e32 v30, v30, v34
	v_alignbit_b32 v26, v14, v25, v32
	v_cndmask_b32_e64 v14, v26, v14, s[4:5]
	v_ffbh_u32_e32 v27, v30
	v_alignbit_b32 v26, v29, v14, 30
	v_min_u32_e32 v27, 32, v27
	v_alignbit_b32 v14, v14, v25, 30
	v_xor_b32_e32 v26, v26, v34
	v_sub_u32_e32 v28, 31, v27
	v_xor_b32_e32 v14, v14, v34
	v_alignbit_b32 v29, v30, v26, v28
	v_alignbit_b32 v14, v26, v14, v28
	;; [unrolled: 1-line block ×3, first 2 shown]
	v_ffbh_u32_e32 v26, v25
	v_min_u32_e32 v26, 32, v26
	v_lshrrev_b32_e32 v31, 29, v9
	v_not_b32_e32 v28, v26
	v_alignbit_b32 v14, v25, v14, v28
	v_lshlrev_b32_e32 v25, 31, v31
	v_or_b32_e32 v28, 0x33000000, v25
	v_add_lshl_u32 v26, v26, v27, 23
	v_lshrrev_b32_e32 v14, 9, v14
	v_sub_u32_e32 v26, v28, v26
	v_or_b32_e32 v25, 0.5, v25
	v_lshlrev_b32_e32 v27, 23, v27
	v_or_b32_e32 v14, v26, v14
	v_lshrrev_b32_e32 v26, 9, v29
	v_sub_u32_e32 v25, v25, v27
	v_or_b32_e32 v25, v26, v25
	v_mul_f32_e32 v26, 0x3fc90fda, v25
	v_fma_f32 v27, v25, s35, -v26
	v_fmac_f32_e32 v27, 0x33a22168, v25
	v_fmac_f32_e32 v27, 0x3fc90fda, v14
	v_lshrrev_b32_e32 v9, 30, v9
	v_add_f32_e32 v14, v26, v27
	v_add_u32_e32 v9, v33, v9
	s_andn2_saveexec_b64 s[0:1], s[18:19]
	s_cbranch_execnz .LBB138_223
	s_branch .LBB138_224
.LBB138_222:                            ;   in Loop: Header=BB138_201 Depth=1
	s_andn2_saveexec_b64 s[0:1], s[18:19]
.LBB138_223:                            ;   in Loop: Header=BB138_201 Depth=1
	v_mul_f32_e64 v9, |v11|, s36
	v_rndne_f32_e32 v25, v9
	v_cvt_i32_f32_e32 v9, v25
	v_fma_f32 v14, v25, s37, |v11|
	v_fmac_f32_e32 v14, 0xb3a22168, v25
	v_fmac_f32_e32 v14, 0xa7c234c4, v25
.LBB138_224:                            ;   in Loop: Header=BB138_201 Depth=1
	s_or_b64 exec, exec, s[0:1]
	v_mul_f32_e32 v26, v6, v6
	v_mov_b32_e32 v27, 0xbab64f3b
	v_fmac_f32_e32 v27, 0x37d75334, v26
	v_mov_b32_e32 v28, 0x3c0881c4
	v_fma_f32 v27, v26, v27, v19
	v_fmac_f32_e32 v28, 0xb94c1982, v26
	v_lshlrev_b32_e32 v25, 30, v7
	v_and_b32_e32 v7, 1, v7
	v_fma_f32 v27, v26, v27, v20
	v_fma_f32 v28, v26, v28, v18
	v_fma_f32 v27, v26, v27, 1.0
	v_mul_f32_e32 v26, v26, v28
	v_cmp_eq_u32_e32 vcc, 0, v7
	v_add_f32_e32 v7, 0xc322e3bc, v10
	v_fmac_f32_e32 v6, v6, v26
	v_mul_f32_e32 v26, 0x3fb8aa3b, v7
	v_cndmask_b32_e64 v6, -v6, v27, vcc
	v_fma_f32 v27, v7, s38, -v26
	v_rndne_f32_e32 v28, v26
	v_fmac_f32_e32 v27, 0x32a5705f, v7
	v_sub_f32_e32 v26, v26, v28
	v_add_f32_e32 v26, v26, v27
	v_exp_f32_e32 v26, v26
	v_cvt_i32_f32_e32 v27, v28
	v_and_b32_e32 v25, 0x80000000, v25
	v_xor_b32_e32 v6, v25, v6
	v_cmp_ngt_f32_e64 s[0:1], s39, v7
	v_ldexp_f32 v25, v26, v27
	v_cndmask_b32_e64 v25, 0, v25, s[0:1]
	v_cmp_nlt_f32_e64 s[0:1], s40, v7
	v_cndmask_b32_e64 v7, v23, v25, s[0:1]
	v_and_b32_e32 v25, 0x7fffff, v7
	v_lshrrev_b32_e32 v7, 23, v7
	v_subrev_u32_e32 v7, 19, v7
	v_lshrrev_b16_e32 v26, 15, v7
	v_add_u16_e32 v26, v7, v26
	v_ashrrev_i16_e32 v26, 1, v26
	v_bfe_i32 v26, v26, 0, 16
	v_lshl_add_u32 v27, v26, 23, 1.0
	v_sub_u32_e32 v7, v7, v26
	v_mul_f32_e32 v26, v14, v14
	v_mov_b32_e32 v28, 0x3c0881c4
	v_fmac_f32_e32 v28, 0xb94c1982, v26
	v_fma_f32 v28, v26, v28, v18
	v_mul_f32_e32 v28, v26, v28
	v_fmac_f32_e32 v14, v14, v28
	v_mov_b32_e32 v28, 0xbab64f3b
	v_fmac_f32_e32 v28, 0x37d75334, v26
	v_fma_f32 v28, v26, v28, v19
	v_fma_f32 v28, v26, v28, v20
	v_fma_f32 v26, v26, v28, 1.0
	v_and_b32_e32 v28, 1, v9
	v_cmp_eq_u32_e64 s[0:1], 0, v28
	v_lshlrev_b32_e32 v9, 30, v9
	v_cndmask_b32_e64 v14, v26, v14, s[0:1]
	v_and_or_b32 v8, v9, s41, v8
	v_xor_b32_e32 v8, v8, v14
	v_cmp_class_f32_e64 vcc, v11, s42
	v_xor_b32_e32 v8, v8, v11
	v_cndmask_b32_e32 v6, v24, v6, vcc
	v_or_b32_e32 v25, 0x7f000000, v25
	v_cndmask_b32_e32 v8, v24, v8, vcc
	v_mul_f32_e32 v6, v6, v25
	v_mul_f32_e32 v8, v8, v25
	;; [unrolled: 1-line block ×3, first 2 shown]
	v_lshl_add_u32 v7, v7, 23, 1.0
	v_mul_f32_e32 v8, v8, v27
	v_mul_f32_e32 v6, v6, v7
	;; [unrolled: 1-line block ×3, first 2 shown]
	s_or_b64 exec, exec, s[16:17]
                                        ; implicit-def: $vgpr9
.LBB138_225:                            ;   in Loop: Header=BB138_201 Depth=1
	s_andn2_saveexec_b64 s[0:1], s[14:15]
	s_cbranch_execz .LBB138_229
.LBB138_226:                            ;   in Loop: Header=BB138_201 Depth=1
	v_cmp_ne_u32_e32 vcc, s24, v9
	v_sub_f32_e32 v7, v11, v11
	s_and_saveexec_b64 s[2:3], vcc
	s_xor_b64 s[2:3], exec, s[2:3]
	s_or_saveexec_b64 s[2:3], s[2:3]
	v_mov_b32_e32 v6, v7
	s_xor_b64 exec, exec, s[2:3]
; %bb.227:                              ;   in Loop: Header=BB138_201 Depth=1
	v_cmp_lt_i32_e32 vcc, -1, v10
	v_cndmask_b32_e32 v6, 0, v10, vcc
	v_cndmask_b32_e32 v7, 0, v7, vcc
; %bb.228:                              ;   in Loop: Header=BB138_201 Depth=1
	s_or_b64 exec, exec, s[2:3]
.LBB138_229:                            ;   in Loop: Header=BB138_201 Depth=1
	s_or_b64 exec, exec, s[0:1]
                                        ; implicit-def: $vgpr8
.LBB138_230:                            ;   in Loop: Header=BB138_201 Depth=1
	s_andn2_saveexec_b64 s[12:13], s[12:13]
	s_cbranch_execz .LBB138_240
; %bb.231:                              ;   in Loop: Header=BB138_201 Depth=1
	v_cmp_nlt_f32_e64 s[14:15], |v11|, s26
                                        ; implicit-def: $vgpr6
                                        ; implicit-def: $vgpr7
	s_and_saveexec_b64 s[0:1], s[14:15]
	s_xor_b64 s[16:17], exec, s[0:1]
	s_cbranch_execz .LBB138_233
; %bb.232:                              ;   in Loop: Header=BB138_201 Depth=1
	v_and_b32_e32 v6, 0x7fffff, v8
	v_or_b32_e32 v9, 0x800000, v6
	v_mad_u64_u32 v[6:7], s[0:1], v9, s27, 0
	v_mov_b32_e32 v14, v7
	v_mad_u64_u32 v[25:26], s[0:1], v9, s28, v[14:15]
	v_lshrrev_b32_e32 v7, 23, v8
	v_add_u32_e32 v7, 0xffffff88, v7
	v_mov_b32_e32 v14, v26
	v_mad_u64_u32 v[26:27], s[0:1], v9, s29, v[14:15]
	v_cmp_lt_u32_e32 vcc, 63, v7
	v_mov_b32_e32 v14, v27
	v_mad_u64_u32 v[27:28], s[0:1], v9, s30, v[14:15]
	v_cndmask_b32_e32 v6, v26, v6, vcc
	v_mov_b32_e32 v14, v28
	v_mad_u64_u32 v[28:29], s[0:1], v9, s31, v[14:15]
	v_cndmask_b32_e32 v14, 0, v21, vcc
	v_add_u32_e32 v7, v14, v7
	v_mov_b32_e32 v14, v29
	v_mad_u64_u32 v[29:30], s[0:1], v9, s33, v[14:15]
	v_cmp_lt_u32_e64 s[0:1], 31, v7
	v_cndmask_b32_e64 v14, 0, v22, s[0:1]
	v_add_u32_e32 v7, v14, v7
	v_mov_b32_e32 v14, v30
	v_mad_u64_u32 v[30:31], s[2:3], v9, s34, v[14:15]
	v_cmp_lt_u32_e64 s[2:3], 31, v7
	v_cndmask_b32_e64 v9, 0, v22, s[2:3]
	v_add_u32_e32 v7, v9, v7
	v_cndmask_b32_e32 v9, v29, v27, vcc
	v_cndmask_b32_e32 v14, v31, v29, vcc
	;; [unrolled: 1-line block ×4, first 2 shown]
	v_cndmask_b32_e64 v30, v29, v9, s[0:1]
	v_cndmask_b32_e64 v14, v14, v29, s[0:1]
	;; [unrolled: 1-line block ×5, first 2 shown]
	v_sub_u32_e32 v30, 32, v7
	v_cmp_eq_u32_e64 s[4:5], 0, v7
	v_cndmask_b32_e32 v7, v27, v25, vcc
	v_cndmask_b32_e64 v25, v28, v7, s[0:1]
	v_alignbit_b32 v31, v14, v29, v30
	v_cndmask_b32_e64 v9, v9, v25, s[2:3]
	v_cndmask_b32_e64 v14, v31, v14, s[4:5]
	v_alignbit_b32 v27, v29, v9, v30
	v_cndmask_b32_e64 v27, v27, v29, s[4:5]
	v_bfe_u32 v31, v14, 29, 1
	v_cndmask_b32_e64 v6, v7, v6, s[0:1]
	v_alignbit_b32 v28, v14, v27, 30
	v_sub_u32_e32 v32, 0, v31
	v_cndmask_b32_e64 v6, v25, v6, s[2:3]
	v_xor_b32_e32 v28, v28, v32
	v_alignbit_b32 v7, v9, v6, v30
	v_cndmask_b32_e64 v7, v7, v9, s[4:5]
	v_ffbh_u32_e32 v25, v28
	v_alignbit_b32 v9, v27, v7, 30
	v_min_u32_e32 v25, 32, v25
	v_alignbit_b32 v6, v7, v6, 30
	v_xor_b32_e32 v9, v9, v32
	v_sub_u32_e32 v26, 31, v25
	v_xor_b32_e32 v6, v6, v32
	v_alignbit_b32 v27, v28, v9, v26
	v_alignbit_b32 v6, v9, v6, v26
	;; [unrolled: 1-line block ×3, first 2 shown]
	v_ffbh_u32_e32 v9, v7
	v_min_u32_e32 v9, 32, v9
	v_lshrrev_b32_e32 v29, 29, v14
	v_not_b32_e32 v26, v9
	v_alignbit_b32 v6, v7, v6, v26
	v_lshlrev_b32_e32 v7, 31, v29
	v_or_b32_e32 v26, 0x33000000, v7
	v_add_lshl_u32 v9, v9, v25, 23
	v_lshrrev_b32_e32 v6, 9, v6
	v_sub_u32_e32 v9, v26, v9
	v_or_b32_e32 v7, 0.5, v7
	v_lshlrev_b32_e32 v25, 23, v25
	v_or_b32_e32 v6, v9, v6
	v_lshrrev_b32_e32 v9, 9, v27
	v_sub_u32_e32 v7, v7, v25
	v_or_b32_e32 v7, v9, v7
	v_mul_f32_e32 v9, 0x3fc90fda, v7
	v_fma_f32 v25, v7, s35, -v9
	v_fmac_f32_e32 v25, 0x33a22168, v7
	v_fmac_f32_e32 v25, 0x3fc90fda, v6
	v_lshrrev_b32_e32 v6, 30, v14
	v_add_f32_e32 v7, v9, v25
	v_add_u32_e32 v6, v31, v6
	s_andn2_saveexec_b64 s[0:1], s[16:17]
	s_branch .LBB138_234
.LBB138_233:                            ;   in Loop: Header=BB138_201 Depth=1
	s_andn2_saveexec_b64 s[0:1], s[16:17]
.LBB138_234:                            ;   in Loop: Header=BB138_201 Depth=1
	v_mul_f32_e64 v6, |v11|, s36
	v_rndne_f32_e32 v9, v6
	v_cvt_i32_f32_e32 v6, v9
	v_fma_f32 v7, v9, s37, |v11|
	v_fmac_f32_e32 v7, 0xb3a22168, v9
	v_fmac_f32_e32 v7, 0xa7c234c4, v9
; %bb.235:                              ;   in Loop: Header=BB138_201 Depth=1
	s_or_b64 exec, exec, s[0:1]
                                        ; implicit-def: $vgpr9
                                        ; implicit-def: $vgpr14
	s_and_saveexec_b64 s[0:1], s[14:15]
	s_xor_b64 s[14:15], exec, s[0:1]
	s_cbranch_execz .LBB138_237
; %bb.236:                              ;   in Loop: Header=BB138_201 Depth=1
	v_and_b32_e32 v9, 0x7fffff, v8
	v_or_b32_e32 v9, 0x800000, v9
	v_mad_u64_u32 v[25:26], s[0:1], v9, s27, 0
	v_mov_b32_e32 v14, v26
	v_mad_u64_u32 v[26:27], s[0:1], v9, s28, v[14:15]
	v_mov_b32_e32 v14, v27
	;; [unrolled: 2-line block ×3, first 2 shown]
	v_mad_u64_u32 v[28:29], s[0:1], v9, s30, v[14:15]
	v_lshrrev_b32_e32 v14, 23, v8
	v_add_u32_e32 v31, 0xffffff88, v14
	v_mov_b32_e32 v14, v29
	v_mad_u64_u32 v[29:30], s[0:1], v9, s31, v[14:15]
	v_cmp_lt_u32_e32 vcc, 63, v31
	v_cndmask_b32_e32 v14, 0, v21, vcc
	v_add_u32_e32 v32, v14, v31
	v_mov_b32_e32 v14, v30
	v_mad_u64_u32 v[30:31], s[0:1], v9, s33, v[14:15]
	v_cmp_lt_u32_e64 s[0:1], 31, v32
	v_cndmask_b32_e64 v14, 0, v22, s[0:1]
	v_add_u32_e32 v33, v14, v32
	v_mov_b32_e32 v14, v31
	v_mad_u64_u32 v[31:32], s[2:3], v9, s34, v[14:15]
	v_cmp_lt_u32_e64 s[2:3], 31, v33
	v_cndmask_b32_e64 v9, 0, v22, s[2:3]
	v_cndmask_b32_e32 v14, v30, v28, vcc
	v_cndmask_b32_e32 v31, v31, v29, vcc
	;; [unrolled: 1-line block ×4, first 2 shown]
	v_add_u32_e32 v9, v9, v33
	v_cndmask_b32_e64 v32, v31, v14, s[0:1]
	v_cndmask_b32_e64 v30, v30, v31, s[0:1]
	;; [unrolled: 1-line block ×3, first 2 shown]
	v_cndmask_b32_e32 v26, v28, v26, vcc
	v_cndmask_b32_e64 v30, v30, v32, s[2:3]
	v_cndmask_b32_e64 v31, v32, v14, s[2:3]
	v_sub_u32_e32 v32, 32, v9
	v_cndmask_b32_e64 v28, v29, v26, s[0:1]
	v_alignbit_b32 v33, v30, v31, v32
	v_cmp_eq_u32_e64 s[4:5], 0, v9
	v_cndmask_b32_e64 v14, v14, v28, s[2:3]
	v_cndmask_b32_e64 v9, v33, v30, s[4:5]
	v_alignbit_b32 v29, v31, v14, v32
	v_cndmask_b32_e32 v25, v27, v25, vcc
	v_cndmask_b32_e64 v29, v29, v31, s[4:5]
	v_bfe_u32 v33, v9, 29, 1
	v_cndmask_b32_e64 v25, v26, v25, s[0:1]
	v_alignbit_b32 v30, v9, v29, 30
	v_sub_u32_e32 v34, 0, v33
	v_cndmask_b32_e64 v25, v28, v25, s[2:3]
	v_xor_b32_e32 v30, v30, v34
	v_alignbit_b32 v26, v14, v25, v32
	v_cndmask_b32_e64 v14, v26, v14, s[4:5]
	v_ffbh_u32_e32 v27, v30
	v_alignbit_b32 v26, v29, v14, 30
	v_min_u32_e32 v27, 32, v27
	v_alignbit_b32 v14, v14, v25, 30
	v_xor_b32_e32 v26, v26, v34
	v_sub_u32_e32 v28, 31, v27
	v_xor_b32_e32 v14, v14, v34
	v_alignbit_b32 v29, v30, v26, v28
	v_alignbit_b32 v14, v26, v14, v28
	v_alignbit_b32 v25, v29, v14, 9
	v_ffbh_u32_e32 v26, v25
	v_min_u32_e32 v26, 32, v26
	v_lshrrev_b32_e32 v31, 29, v9
	v_not_b32_e32 v28, v26
	v_alignbit_b32 v14, v25, v14, v28
	v_lshlrev_b32_e32 v25, 31, v31
	v_or_b32_e32 v28, 0x33000000, v25
	v_add_lshl_u32 v26, v26, v27, 23
	v_lshrrev_b32_e32 v14, 9, v14
	v_sub_u32_e32 v26, v28, v26
	v_or_b32_e32 v25, 0.5, v25
	v_lshlrev_b32_e32 v27, 23, v27
	v_or_b32_e32 v14, v26, v14
	v_lshrrev_b32_e32 v26, 9, v29
	v_sub_u32_e32 v25, v25, v27
	v_or_b32_e32 v25, v26, v25
	v_mul_f32_e32 v26, 0x3fc90fda, v25
	v_fma_f32 v27, v25, s35, -v26
	v_fmac_f32_e32 v27, 0x33a22168, v25
	v_fmac_f32_e32 v27, 0x3fc90fda, v14
	v_lshrrev_b32_e32 v9, 30, v9
	v_add_f32_e32 v14, v26, v27
	v_add_u32_e32 v9, v33, v9
	s_andn2_saveexec_b64 s[0:1], s[14:15]
	s_cbranch_execnz .LBB138_238
	s_branch .LBB138_239
.LBB138_237:                            ;   in Loop: Header=BB138_201 Depth=1
	s_andn2_saveexec_b64 s[0:1], s[14:15]
.LBB138_238:                            ;   in Loop: Header=BB138_201 Depth=1
	v_mul_f32_e64 v9, |v11|, s36
	v_rndne_f32_e32 v25, v9
	v_cvt_i32_f32_e32 v9, v25
	v_fma_f32 v14, v25, s37, |v11|
	v_fmac_f32_e32 v14, 0xb3a22168, v25
	v_fmac_f32_e32 v14, 0xa7c234c4, v25
.LBB138_239:                            ;   in Loop: Header=BB138_201 Depth=1
	s_or_b64 exec, exec, s[0:1]
	v_mul_f32_e32 v25, v7, v7
	v_mov_b32_e32 v26, 0x3c0881c4
	v_fmac_f32_e32 v26, 0xb94c1982, v25
	v_fma_f32 v26, v25, v26, v18
	v_mul_f32_e32 v26, v25, v26
	v_fmac_f32_e32 v7, v7, v26
	v_mov_b32_e32 v26, 0xbab64f3b
	v_fmac_f32_e32 v26, 0x37d75334, v25
	v_fma_f32 v26, v25, v26, v19
	v_fma_f32 v26, v25, v26, v20
	v_fma_f32 v25, v25, v26, 1.0
	v_and_b32_e32 v26, 1, v6
	v_cmp_eq_u32_e32 vcc, 0, v26
	v_lshlrev_b32_e32 v6, 30, v6
	v_cndmask_b32_e64 v7, -v7, v25, vcc
	v_and_b32_e32 v6, 0x80000000, v6
	v_xor_b32_e32 v6, v6, v7
	v_mul_f32_e32 v7, v14, v14
	v_mov_b32_e32 v25, 0x3c0881c4
	v_fmac_f32_e32 v25, 0xb94c1982, v7
	v_fma_f32 v25, v7, v25, v18
	v_mul_f32_e32 v25, v7, v25
	v_fmac_f32_e32 v14, v14, v25
	v_mov_b32_e32 v25, 0xbab64f3b
	v_fmac_f32_e32 v25, 0x37d75334, v7
	v_fma_f32 v25, v7, v25, v19
	v_fma_f32 v25, v7, v25, v20
	v_fma_f32 v7, v7, v25, 1.0
	v_and_b32_e32 v25, 1, v9
	v_cmp_eq_u32_e64 s[0:1], 0, v25
	v_lshlrev_b32_e32 v9, 30, v9
	v_cndmask_b32_e64 v7, v7, v14, s[0:1]
	v_and_or_b32 v8, v9, s41, v8
	v_xor_b32_e32 v7, v8, v7
	v_cmp_class_f32_e64 vcc, v11, s42
	v_xor_b32_e32 v7, v7, v11
	v_cndmask_b32_e32 v6, v24, v6, vcc
	v_cndmask_b32_e32 v7, v24, v7, vcc
.LBB138_240:                            ;   in Loop: Header=BB138_201 Depth=1
	s_or_b64 exec, exec, s[12:13]
.LBB138_241:                            ;   in Loop: Header=BB138_201 Depth=1
	s_andn2_saveexec_b64 s[0:1], s[10:11]
	s_cbranch_execz .LBB138_243
; %bb.242:                              ;   in Loop: Header=BB138_201 Depth=1
	v_mul_f32_e32 v6, 0x3fb8aa3b, v10
	v_rndne_f32_e32 v7, v6
	v_sub_f32_e32 v8, v6, v7
	v_fma_f32 v6, v10, s38, -v6
	v_fmac_f32_e32 v6, 0x32a5705f, v10
	v_add_f32_e32 v6, v8, v6
	v_cvt_i32_f32_e32 v7, v7
	v_exp_f32_e32 v6, v6
	v_cmp_ngt_f32_e32 vcc, s39, v10
	v_ldexp_f32 v6, v6, v7
	v_cndmask_b32_e32 v6, 0, v6, vcc
	v_cmp_nlt_f32_e32 vcc, s40, v10
	v_cndmask_b32_e32 v6, v23, v6, vcc
	v_mov_b32_e32 v7, v11
.LBB138_243:                            ;   in Loop: Header=BB138_201 Depth=1
	s_or_b64 exec, exec, s[0:1]
	v_and_b32_e32 v10, 0x7fffffff, v13
	v_cmp_ne_u32_e32 vcc, 0, v10
	s_and_saveexec_b64 s[0:1], vcc
	s_xor_b64 s[10:11], exec, s[0:1]
	s_cbranch_execz .LBB138_285
; %bb.244:                              ;   in Loop: Header=BB138_201 Depth=1
	v_and_b32_e32 v11, 0x7fffffff, v12
	v_cmp_ne_u32_e32 vcc, 0, v11
	s_and_saveexec_b64 s[0:1], vcc
	s_xor_b64 s[12:13], exec, s[0:1]
	s_cbranch_execz .LBB138_274
; %bb.245:                              ;   in Loop: Header=BB138_201 Depth=1
	v_cmp_gt_u32_e32 vcc, s24, v10
	s_and_saveexec_b64 s[0:1], vcc
	s_xor_b64 s[14:15], exec, s[0:1]
	s_cbranch_execz .LBB138_267
; %bb.246:                              ;   in Loop: Header=BB138_201 Depth=1
	v_add_u32_e32 v8, 0xbd4e8de8, v12
	v_cmp_lt_u32_e32 vcc, s25, v8
	s_and_saveexec_b64 s[0:1], vcc
	s_xor_b64 s[16:17], exec, s[0:1]
	s_cbranch_execz .LBB138_256
; %bb.247:                              ;   in Loop: Header=BB138_201 Depth=1
	v_cmp_nlt_f32_e64 s[18:19], |v13|, s26
                                        ; implicit-def: $vgpr8
                                        ; implicit-def: $vgpr9
	s_and_saveexec_b64 s[0:1], s[18:19]
	s_xor_b64 s[20:21], exec, s[0:1]
	s_cbranch_execz .LBB138_249
; %bb.248:                              ;   in Loop: Header=BB138_201 Depth=1
	v_and_b32_e32 v8, 0x7fffff, v10
	v_or_b32_e32 v11, 0x800000, v8
	v_mad_u64_u32 v[8:9], s[0:1], v11, s27, 0
	v_mov_b32_e32 v14, v9
	v_mad_u64_u32 v[25:26], s[0:1], v11, s28, v[14:15]
	v_lshrrev_b32_e32 v9, 23, v10
	v_add_u32_e32 v9, 0xffffff88, v9
	v_mov_b32_e32 v14, v26
	v_mad_u64_u32 v[26:27], s[0:1], v11, s29, v[14:15]
	v_cmp_lt_u32_e32 vcc, 63, v9
	v_mov_b32_e32 v14, v27
	v_mad_u64_u32 v[27:28], s[0:1], v11, s30, v[14:15]
	v_cndmask_b32_e32 v8, v26, v8, vcc
	v_mov_b32_e32 v14, v28
	v_mad_u64_u32 v[28:29], s[0:1], v11, s31, v[14:15]
	v_cndmask_b32_e32 v14, 0, v21, vcc
	v_add_u32_e32 v9, v14, v9
	v_mov_b32_e32 v14, v29
	v_mad_u64_u32 v[29:30], s[0:1], v11, s33, v[14:15]
	v_cmp_lt_u32_e64 s[0:1], 31, v9
	v_cndmask_b32_e64 v14, 0, v22, s[0:1]
	v_add_u32_e32 v9, v14, v9
	v_mov_b32_e32 v14, v30
	v_mad_u64_u32 v[30:31], s[2:3], v11, s34, v[14:15]
	v_cmp_lt_u32_e64 s[2:3], 31, v9
	v_cndmask_b32_e64 v11, 0, v22, s[2:3]
	v_add_u32_e32 v9, v11, v9
	v_cndmask_b32_e32 v11, v29, v27, vcc
	v_cndmask_b32_e32 v14, v30, v28, vcc
	;; [unrolled: 1-line block ×4, first 2 shown]
	v_cndmask_b32_e64 v30, v14, v11, s[0:1]
	v_cndmask_b32_e64 v14, v29, v14, s[0:1]
	;; [unrolled: 1-line block ×5, first 2 shown]
	v_sub_u32_e32 v30, 32, v9
	v_cmp_eq_u32_e64 s[4:5], 0, v9
	v_cndmask_b32_e32 v9, v27, v25, vcc
	v_cndmask_b32_e64 v25, v28, v9, s[0:1]
	v_alignbit_b32 v31, v14, v29, v30
	v_cndmask_b32_e64 v11, v11, v25, s[2:3]
	v_cndmask_b32_e64 v14, v31, v14, s[4:5]
	v_alignbit_b32 v27, v29, v11, v30
	v_cndmask_b32_e64 v27, v27, v29, s[4:5]
	v_bfe_u32 v31, v14, 29, 1
	v_cndmask_b32_e64 v8, v9, v8, s[0:1]
	v_alignbit_b32 v28, v14, v27, 30
	v_sub_u32_e32 v32, 0, v31
	v_cndmask_b32_e64 v8, v25, v8, s[2:3]
	v_xor_b32_e32 v28, v28, v32
	v_alignbit_b32 v9, v11, v8, v30
	v_cndmask_b32_e64 v9, v9, v11, s[4:5]
	v_ffbh_u32_e32 v25, v28
	v_alignbit_b32 v11, v27, v9, 30
	v_min_u32_e32 v25, 32, v25
	v_alignbit_b32 v8, v9, v8, 30
	v_xor_b32_e32 v11, v11, v32
	v_sub_u32_e32 v26, 31, v25
	v_xor_b32_e32 v8, v8, v32
	v_alignbit_b32 v27, v28, v11, v26
	v_alignbit_b32 v8, v11, v8, v26
	;; [unrolled: 1-line block ×3, first 2 shown]
	v_ffbh_u32_e32 v11, v9
	v_min_u32_e32 v11, 32, v11
	v_lshrrev_b32_e32 v29, 29, v14
	v_not_b32_e32 v26, v11
	v_alignbit_b32 v8, v9, v8, v26
	v_lshlrev_b32_e32 v9, 31, v29
	v_or_b32_e32 v26, 0x33000000, v9
	v_add_lshl_u32 v11, v11, v25, 23
	v_lshrrev_b32_e32 v8, 9, v8
	v_sub_u32_e32 v11, v26, v11
	v_or_b32_e32 v9, 0.5, v9
	v_lshlrev_b32_e32 v25, 23, v25
	v_or_b32_e32 v8, v11, v8
	v_lshrrev_b32_e32 v11, 9, v27
	v_sub_u32_e32 v9, v9, v25
	v_or_b32_e32 v9, v11, v9
	v_mul_f32_e32 v11, 0x3fc90fda, v9
	v_fma_f32 v25, v9, s35, -v11
	v_fmac_f32_e32 v25, 0x33a22168, v9
	v_fmac_f32_e32 v25, 0x3fc90fda, v8
	v_lshrrev_b32_e32 v8, 30, v14
	v_add_f32_e32 v9, v11, v25
	v_add_u32_e32 v8, v31, v8
	s_andn2_saveexec_b64 s[0:1], s[20:21]
	s_branch .LBB138_250
.LBB138_249:                            ;   in Loop: Header=BB138_201 Depth=1
	s_andn2_saveexec_b64 s[0:1], s[20:21]
.LBB138_250:                            ;   in Loop: Header=BB138_201 Depth=1
	v_mul_f32_e64 v8, |v13|, s36
	v_rndne_f32_e32 v11, v8
	v_cvt_i32_f32_e32 v8, v11
	v_fma_f32 v9, v11, s37, |v13|
	v_fmac_f32_e32 v9, 0xb3a22168, v11
	v_fmac_f32_e32 v9, 0xa7c234c4, v11
; %bb.251:                              ;   in Loop: Header=BB138_201 Depth=1
	s_or_b64 exec, exec, s[0:1]
                                        ; implicit-def: $vgpr11
                                        ; implicit-def: $vgpr14
	s_and_saveexec_b64 s[0:1], s[18:19]
	s_xor_b64 s[18:19], exec, s[0:1]
	s_cbranch_execz .LBB138_253
; %bb.252:                              ;   in Loop: Header=BB138_201 Depth=1
	v_and_b32_e32 v11, 0x7fffff, v10
	v_or_b32_e32 v11, 0x800000, v11
	v_mad_u64_u32 v[25:26], s[0:1], v11, s27, 0
	v_mov_b32_e32 v14, v26
	v_mad_u64_u32 v[26:27], s[0:1], v11, s28, v[14:15]
	v_mov_b32_e32 v14, v27
	;; [unrolled: 2-line block ×3, first 2 shown]
	v_mad_u64_u32 v[28:29], s[0:1], v11, s30, v[14:15]
	v_lshrrev_b32_e32 v14, 23, v10
	v_add_u32_e32 v31, 0xffffff88, v14
	v_mov_b32_e32 v14, v29
	v_mad_u64_u32 v[29:30], s[0:1], v11, s31, v[14:15]
	v_cmp_lt_u32_e32 vcc, 63, v31
	v_cndmask_b32_e32 v14, 0, v21, vcc
	v_add_u32_e32 v32, v14, v31
	v_mov_b32_e32 v14, v30
	v_mad_u64_u32 v[30:31], s[0:1], v11, s33, v[14:15]
	v_cmp_lt_u32_e64 s[0:1], 31, v32
	v_cndmask_b32_e64 v14, 0, v22, s[0:1]
	v_add_u32_e32 v33, v14, v32
	v_mov_b32_e32 v14, v31
	v_mad_u64_u32 v[31:32], s[2:3], v11, s34, v[14:15]
	v_cmp_lt_u32_e64 s[2:3], 31, v33
	v_cndmask_b32_e64 v11, 0, v22, s[2:3]
	v_cndmask_b32_e32 v14, v30, v28, vcc
	v_cndmask_b32_e32 v31, v31, v29, vcc
	;; [unrolled: 1-line block ×4, first 2 shown]
	v_add_u32_e32 v11, v11, v33
	v_cndmask_b32_e64 v32, v31, v14, s[0:1]
	v_cndmask_b32_e64 v30, v30, v31, s[0:1]
	;; [unrolled: 1-line block ×3, first 2 shown]
	v_cndmask_b32_e32 v26, v28, v26, vcc
	v_cndmask_b32_e64 v30, v30, v32, s[2:3]
	v_cndmask_b32_e64 v31, v32, v14, s[2:3]
	v_sub_u32_e32 v32, 32, v11
	v_cndmask_b32_e64 v28, v29, v26, s[0:1]
	v_alignbit_b32 v33, v30, v31, v32
	v_cmp_eq_u32_e64 s[4:5], 0, v11
	v_cndmask_b32_e64 v14, v14, v28, s[2:3]
	v_cndmask_b32_e64 v11, v33, v30, s[4:5]
	v_alignbit_b32 v29, v31, v14, v32
	v_cndmask_b32_e32 v25, v27, v25, vcc
	v_cndmask_b32_e64 v29, v29, v31, s[4:5]
	v_bfe_u32 v33, v11, 29, 1
	v_cndmask_b32_e64 v25, v26, v25, s[0:1]
	v_alignbit_b32 v30, v11, v29, 30
	v_sub_u32_e32 v34, 0, v33
	v_cndmask_b32_e64 v25, v28, v25, s[2:3]
	v_xor_b32_e32 v30, v30, v34
	v_alignbit_b32 v26, v14, v25, v32
	v_cndmask_b32_e64 v14, v26, v14, s[4:5]
	v_ffbh_u32_e32 v27, v30
	v_alignbit_b32 v26, v29, v14, 30
	v_min_u32_e32 v27, 32, v27
	v_alignbit_b32 v14, v14, v25, 30
	v_xor_b32_e32 v26, v26, v34
	v_sub_u32_e32 v28, 31, v27
	v_xor_b32_e32 v14, v14, v34
	v_alignbit_b32 v29, v30, v26, v28
	v_alignbit_b32 v14, v26, v14, v28
	v_alignbit_b32 v25, v29, v14, 9
	v_ffbh_u32_e32 v26, v25
	v_min_u32_e32 v26, 32, v26
	v_lshrrev_b32_e32 v31, 29, v11
	v_not_b32_e32 v28, v26
	v_alignbit_b32 v14, v25, v14, v28
	v_lshlrev_b32_e32 v25, 31, v31
	v_or_b32_e32 v28, 0x33000000, v25
	v_add_lshl_u32 v26, v26, v27, 23
	v_lshrrev_b32_e32 v14, 9, v14
	v_sub_u32_e32 v26, v28, v26
	v_or_b32_e32 v25, 0.5, v25
	v_lshlrev_b32_e32 v27, 23, v27
	v_or_b32_e32 v14, v26, v14
	v_lshrrev_b32_e32 v26, 9, v29
	v_sub_u32_e32 v25, v25, v27
	v_or_b32_e32 v25, v26, v25
	v_mul_f32_e32 v26, 0x3fc90fda, v25
	v_fma_f32 v27, v25, s35, -v26
	v_fmac_f32_e32 v27, 0x33a22168, v25
	v_fmac_f32_e32 v27, 0x3fc90fda, v14
	v_lshrrev_b32_e32 v11, 30, v11
	v_add_f32_e32 v14, v26, v27
	v_add_u32_e32 v11, v33, v11
	s_andn2_saveexec_b64 s[0:1], s[18:19]
	s_cbranch_execnz .LBB138_254
	s_branch .LBB138_255
.LBB138_253:                            ;   in Loop: Header=BB138_201 Depth=1
	s_andn2_saveexec_b64 s[0:1], s[18:19]
.LBB138_254:                            ;   in Loop: Header=BB138_201 Depth=1
	v_mul_f32_e64 v11, |v13|, s36
	v_rndne_f32_e32 v25, v11
	v_cvt_i32_f32_e32 v11, v25
	v_fma_f32 v14, v25, s37, |v13|
	v_fmac_f32_e32 v14, 0xb3a22168, v25
	v_fmac_f32_e32 v14, 0xa7c234c4, v25
.LBB138_255:                            ;   in Loop: Header=BB138_201 Depth=1
	s_or_b64 exec, exec, s[0:1]
	v_mul_f32_e32 v25, 0x3fb8aa3b, v12
	v_rndne_f32_e32 v26, v25
	v_sub_f32_e32 v27, v25, v26
	v_fma_f32 v25, v12, s38, -v25
	v_fmac_f32_e32 v25, 0x32a5705f, v12
	v_add_f32_e32 v25, v27, v25
	v_cvt_i32_f32_e32 v26, v26
	v_exp_f32_e32 v25, v25
	v_cmp_ngt_f32_e32 vcc, s39, v12
	v_ldexp_f32 v25, v25, v26
	v_cndmask_b32_e32 v25, 0, v25, vcc
	v_cmp_nlt_f32_e32 vcc, s40, v12
	v_cndmask_b32_e32 v12, v23, v25, vcc
	v_mul_f32_e32 v25, v9, v9
	v_mov_b32_e32 v26, 0x3c0881c4
	v_fmac_f32_e32 v26, 0xb94c1982, v25
	v_fma_f32 v26, v25, v26, v18
	v_mul_f32_e32 v26, v25, v26
	v_fmac_f32_e32 v9, v9, v26
	v_mov_b32_e32 v26, 0xbab64f3b
	v_fmac_f32_e32 v26, 0x37d75334, v25
	v_fma_f32 v26, v25, v26, v19
	v_fma_f32 v26, v25, v26, v20
	v_fma_f32 v25, v25, v26, 1.0
	v_and_b32_e32 v26, 1, v8
	v_cmp_eq_u32_e32 vcc, 0, v26
	v_lshlrev_b32_e32 v8, 30, v8
	v_cndmask_b32_e64 v9, -v9, v25, vcc
	v_and_b32_e32 v8, 0x80000000, v8
	v_xor_b32_e32 v8, v8, v9
	v_mul_f32_e32 v9, v14, v14
	v_mov_b32_e32 v25, 0x3c0881c4
	v_fmac_f32_e32 v25, 0xb94c1982, v9
	v_fma_f32 v25, v9, v25, v18
	v_mul_f32_e32 v25, v9, v25
	v_fmac_f32_e32 v14, v14, v25
	v_mov_b32_e32 v25, 0xbab64f3b
	v_fmac_f32_e32 v25, 0x37d75334, v9
	v_fma_f32 v25, v9, v25, v19
	v_fma_f32 v25, v9, v25, v20
	v_fma_f32 v9, v9, v25, 1.0
	v_and_b32_e32 v25, 1, v11
	v_cmp_eq_u32_e64 s[0:1], 0, v25
	v_lshlrev_b32_e32 v11, 30, v11
	v_cndmask_b32_e64 v9, v9, v14, s[0:1]
	v_and_or_b32 v10, v11, s41, v10
	v_xor_b32_e32 v9, v10, v9
	v_cmp_class_f32_e64 vcc, v13, s42
	v_xor_b32_e32 v9, v9, v13
	v_cndmask_b32_e32 v8, v24, v8, vcc
	v_cndmask_b32_e32 v9, v24, v9, vcc
	v_mul_f32_e32 v8, v12, v8
	v_mul_f32_e32 v9, v12, v9
                                        ; implicit-def: $vgpr10_vgpr11_vgpr12_vgpr13
                                        ; implicit-def: $vgpr10
.LBB138_256:                            ;   in Loop: Header=BB138_201 Depth=1
	s_andn2_saveexec_b64 s[16:17], s[16:17]
	s_cbranch_execz .LBB138_266
; %bb.257:                              ;   in Loop: Header=BB138_201 Depth=1
	v_cmp_nlt_f32_e64 s[18:19], |v13|, s26
                                        ; implicit-def: $vgpr9
                                        ; implicit-def: $vgpr8
	s_and_saveexec_b64 s[0:1], s[18:19]
	s_xor_b64 s[20:21], exec, s[0:1]
	s_cbranch_execz .LBB138_259
; %bb.258:                              ;   in Loop: Header=BB138_201 Depth=1
	v_and_b32_e32 v8, 0x7fffff, v10
	v_or_b32_e32 v11, 0x800000, v8
	v_mad_u64_u32 v[8:9], s[0:1], v11, s27, 0
	v_mov_b32_e32 v14, v9
	v_mad_u64_u32 v[25:26], s[0:1], v11, s28, v[14:15]
	v_lshrrev_b32_e32 v9, 23, v10
	v_add_u32_e32 v9, 0xffffff88, v9
	v_mov_b32_e32 v14, v26
	v_mad_u64_u32 v[26:27], s[0:1], v11, s29, v[14:15]
	v_cmp_lt_u32_e32 vcc, 63, v9
	v_mov_b32_e32 v14, v27
	v_mad_u64_u32 v[27:28], s[0:1], v11, s30, v[14:15]
	v_cndmask_b32_e32 v8, v26, v8, vcc
	v_mov_b32_e32 v14, v28
	v_mad_u64_u32 v[28:29], s[0:1], v11, s31, v[14:15]
	v_cndmask_b32_e32 v14, 0, v21, vcc
	v_add_u32_e32 v9, v14, v9
	v_mov_b32_e32 v14, v29
	v_mad_u64_u32 v[29:30], s[0:1], v11, s33, v[14:15]
	v_cmp_lt_u32_e64 s[0:1], 31, v9
	v_cndmask_b32_e64 v14, 0, v22, s[0:1]
	v_add_u32_e32 v9, v14, v9
	v_mov_b32_e32 v14, v30
	v_mad_u64_u32 v[30:31], s[2:3], v11, s34, v[14:15]
	v_cmp_lt_u32_e64 s[2:3], 31, v9
	v_cndmask_b32_e64 v11, 0, v22, s[2:3]
	v_add_u32_e32 v9, v11, v9
	v_cndmask_b32_e32 v11, v29, v27, vcc
	v_cndmask_b32_e32 v14, v30, v28, vcc
	;; [unrolled: 1-line block ×4, first 2 shown]
	v_cndmask_b32_e64 v30, v14, v11, s[0:1]
	v_cndmask_b32_e64 v14, v29, v14, s[0:1]
	;; [unrolled: 1-line block ×5, first 2 shown]
	v_sub_u32_e32 v30, 32, v9
	v_alignbit_b32 v31, v14, v29, v30
	v_cmp_eq_u32_e64 s[4:5], 0, v9
	v_cndmask_b32_e64 v9, v31, v14, s[4:5]
	v_cndmask_b32_e32 v14, v27, v25, vcc
	v_cndmask_b32_e64 v25, v28, v14, s[0:1]
	v_cndmask_b32_e64 v11, v11, v25, s[2:3]
	v_alignbit_b32 v27, v29, v11, v30
	v_cndmask_b32_e64 v27, v27, v29, s[4:5]
	v_bfe_u32 v31, v9, 29, 1
	v_cndmask_b32_e64 v8, v14, v8, s[0:1]
	v_alignbit_b32 v28, v9, v27, 30
	v_sub_u32_e32 v32, 0, v31
	v_cndmask_b32_e64 v8, v25, v8, s[2:3]
	v_xor_b32_e32 v28, v28, v32
	v_alignbit_b32 v14, v11, v8, v30
	v_cndmask_b32_e64 v11, v14, v11, s[4:5]
	v_ffbh_u32_e32 v25, v28
	v_alignbit_b32 v14, v27, v11, 30
	v_min_u32_e32 v25, 32, v25
	v_alignbit_b32 v8, v11, v8, 30
	v_xor_b32_e32 v14, v14, v32
	v_sub_u32_e32 v26, 31, v25
	v_xor_b32_e32 v8, v8, v32
	v_alignbit_b32 v27, v28, v14, v26
	v_alignbit_b32 v8, v14, v8, v26
	;; [unrolled: 1-line block ×3, first 2 shown]
	v_ffbh_u32_e32 v14, v11
	v_min_u32_e32 v14, 32, v14
	v_lshrrev_b32_e32 v29, 29, v9
	v_not_b32_e32 v26, v14
	v_alignbit_b32 v8, v11, v8, v26
	v_lshlrev_b32_e32 v11, 31, v29
	v_or_b32_e32 v26, 0x33000000, v11
	v_add_lshl_u32 v14, v14, v25, 23
	v_lshrrev_b32_e32 v8, 9, v8
	v_sub_u32_e32 v14, v26, v14
	v_or_b32_e32 v11, 0.5, v11
	v_lshlrev_b32_e32 v25, 23, v25
	v_or_b32_e32 v8, v14, v8
	v_lshrrev_b32_e32 v14, 9, v27
	v_sub_u32_e32 v11, v11, v25
	v_or_b32_e32 v11, v14, v11
	v_mul_f32_e32 v14, 0x3fc90fda, v11
	v_fma_f32 v25, v11, s35, -v14
	v_fmac_f32_e32 v25, 0x33a22168, v11
	v_fmac_f32_e32 v25, 0x3fc90fda, v8
	v_lshrrev_b32_e32 v9, 30, v9
	v_add_f32_e32 v8, v14, v25
	v_add_u32_e32 v9, v31, v9
	s_andn2_saveexec_b64 s[0:1], s[20:21]
	s_branch .LBB138_260
.LBB138_259:                            ;   in Loop: Header=BB138_201 Depth=1
	s_andn2_saveexec_b64 s[0:1], s[20:21]
.LBB138_260:                            ;   in Loop: Header=BB138_201 Depth=1
	v_mul_f32_e64 v8, |v13|, s36
	v_rndne_f32_e32 v11, v8
	v_cvt_i32_f32_e32 v9, v11
	v_fma_f32 v8, v11, s37, |v13|
	v_fmac_f32_e32 v8, 0xb3a22168, v11
	v_fmac_f32_e32 v8, 0xa7c234c4, v11
; %bb.261:                              ;   in Loop: Header=BB138_201 Depth=1
	s_or_b64 exec, exec, s[0:1]
                                        ; implicit-def: $vgpr11
                                        ; implicit-def: $vgpr14
	s_and_saveexec_b64 s[0:1], s[18:19]
	s_xor_b64 s[18:19], exec, s[0:1]
	s_cbranch_execz .LBB138_263
; %bb.262:                              ;   in Loop: Header=BB138_201 Depth=1
	v_and_b32_e32 v11, 0x7fffff, v10
	v_or_b32_e32 v11, 0x800000, v11
	v_mad_u64_u32 v[25:26], s[0:1], v11, s27, 0
	v_mov_b32_e32 v14, v26
	v_mad_u64_u32 v[26:27], s[0:1], v11, s28, v[14:15]
	v_mov_b32_e32 v14, v27
	v_mad_u64_u32 v[27:28], s[0:1], v11, s29, v[14:15]
	v_mov_b32_e32 v14, v28
	v_mad_u64_u32 v[28:29], s[0:1], v11, s30, v[14:15]
	v_lshrrev_b32_e32 v14, 23, v10
	v_add_u32_e32 v31, 0xffffff88, v14
	v_mov_b32_e32 v14, v29
	v_mad_u64_u32 v[29:30], s[0:1], v11, s31, v[14:15]
	v_cmp_lt_u32_e32 vcc, 63, v31
	v_cndmask_b32_e32 v14, 0, v21, vcc
	v_add_u32_e32 v32, v14, v31
	v_mov_b32_e32 v14, v30
	v_mad_u64_u32 v[30:31], s[0:1], v11, s33, v[14:15]
	v_cmp_lt_u32_e64 s[0:1], 31, v32
	v_cndmask_b32_e64 v14, 0, v22, s[0:1]
	v_add_u32_e32 v33, v14, v32
	v_mov_b32_e32 v14, v31
	v_mad_u64_u32 v[31:32], s[2:3], v11, s34, v[14:15]
	v_cmp_lt_u32_e64 s[2:3], 31, v33
	v_cndmask_b32_e64 v11, 0, v22, s[2:3]
	v_cndmask_b32_e32 v14, v30, v28, vcc
	v_cndmask_b32_e32 v31, v31, v29, vcc
	;; [unrolled: 1-line block ×4, first 2 shown]
	v_add_u32_e32 v11, v11, v33
	v_cndmask_b32_e64 v32, v31, v14, s[0:1]
	v_cndmask_b32_e64 v30, v30, v31, s[0:1]
	;; [unrolled: 1-line block ×3, first 2 shown]
	v_cndmask_b32_e32 v26, v28, v26, vcc
	v_cndmask_b32_e64 v30, v30, v32, s[2:3]
	v_cndmask_b32_e64 v31, v32, v14, s[2:3]
	v_sub_u32_e32 v32, 32, v11
	v_cndmask_b32_e64 v28, v29, v26, s[0:1]
	v_alignbit_b32 v33, v30, v31, v32
	v_cmp_eq_u32_e64 s[4:5], 0, v11
	v_cndmask_b32_e64 v14, v14, v28, s[2:3]
	v_cndmask_b32_e64 v11, v33, v30, s[4:5]
	v_alignbit_b32 v29, v31, v14, v32
	v_cndmask_b32_e32 v25, v27, v25, vcc
	v_cndmask_b32_e64 v29, v29, v31, s[4:5]
	v_bfe_u32 v33, v11, 29, 1
	v_cndmask_b32_e64 v25, v26, v25, s[0:1]
	v_alignbit_b32 v30, v11, v29, 30
	v_sub_u32_e32 v34, 0, v33
	v_cndmask_b32_e64 v25, v28, v25, s[2:3]
	v_xor_b32_e32 v30, v30, v34
	v_alignbit_b32 v26, v14, v25, v32
	v_cndmask_b32_e64 v14, v26, v14, s[4:5]
	v_ffbh_u32_e32 v27, v30
	v_alignbit_b32 v26, v29, v14, 30
	v_min_u32_e32 v27, 32, v27
	v_alignbit_b32 v14, v14, v25, 30
	v_xor_b32_e32 v26, v26, v34
	v_sub_u32_e32 v28, 31, v27
	v_xor_b32_e32 v14, v14, v34
	v_alignbit_b32 v29, v30, v26, v28
	v_alignbit_b32 v14, v26, v14, v28
	;; [unrolled: 1-line block ×3, first 2 shown]
	v_ffbh_u32_e32 v26, v25
	v_min_u32_e32 v26, 32, v26
	v_lshrrev_b32_e32 v31, 29, v11
	v_not_b32_e32 v28, v26
	v_alignbit_b32 v14, v25, v14, v28
	v_lshlrev_b32_e32 v25, 31, v31
	v_or_b32_e32 v28, 0x33000000, v25
	v_add_lshl_u32 v26, v26, v27, 23
	v_lshrrev_b32_e32 v14, 9, v14
	v_sub_u32_e32 v26, v28, v26
	v_or_b32_e32 v25, 0.5, v25
	v_lshlrev_b32_e32 v27, 23, v27
	v_or_b32_e32 v14, v26, v14
	v_lshrrev_b32_e32 v26, 9, v29
	v_sub_u32_e32 v25, v25, v27
	v_or_b32_e32 v25, v26, v25
	v_mul_f32_e32 v26, 0x3fc90fda, v25
	v_fma_f32 v27, v25, s35, -v26
	v_fmac_f32_e32 v27, 0x33a22168, v25
	v_fmac_f32_e32 v27, 0x3fc90fda, v14
	v_lshrrev_b32_e32 v11, 30, v11
	v_add_f32_e32 v14, v26, v27
	v_add_u32_e32 v11, v33, v11
	s_andn2_saveexec_b64 s[0:1], s[18:19]
	s_cbranch_execnz .LBB138_264
	s_branch .LBB138_265
.LBB138_263:                            ;   in Loop: Header=BB138_201 Depth=1
	s_andn2_saveexec_b64 s[0:1], s[18:19]
.LBB138_264:                            ;   in Loop: Header=BB138_201 Depth=1
	v_mul_f32_e64 v11, |v13|, s36
	v_rndne_f32_e32 v25, v11
	v_cvt_i32_f32_e32 v11, v25
	v_fma_f32 v14, v25, s37, |v13|
	v_fmac_f32_e32 v14, 0xb3a22168, v25
	v_fmac_f32_e32 v14, 0xa7c234c4, v25
.LBB138_265:                            ;   in Loop: Header=BB138_201 Depth=1
	s_or_b64 exec, exec, s[0:1]
	v_mul_f32_e32 v26, v8, v8
	v_mov_b32_e32 v27, 0xbab64f3b
	v_fmac_f32_e32 v27, 0x37d75334, v26
	v_mov_b32_e32 v28, 0x3c0881c4
	v_fma_f32 v27, v26, v27, v19
	v_fmac_f32_e32 v28, 0xb94c1982, v26
	v_lshlrev_b32_e32 v25, 30, v9
	v_and_b32_e32 v9, 1, v9
	v_fma_f32 v27, v26, v27, v20
	v_fma_f32 v28, v26, v28, v18
	v_fma_f32 v27, v26, v27, 1.0
	v_mul_f32_e32 v26, v26, v28
	v_cmp_eq_u32_e32 vcc, 0, v9
	v_add_f32_e32 v9, 0xc322e3bc, v12
	v_fmac_f32_e32 v8, v8, v26
	v_mul_f32_e32 v12, 0x3fb8aa3b, v9
	v_cndmask_b32_e64 v8, -v8, v27, vcc
	v_fma_f32 v26, v9, s38, -v12
	v_rndne_f32_e32 v27, v12
	v_fmac_f32_e32 v26, 0x32a5705f, v9
	v_sub_f32_e32 v12, v12, v27
	v_add_f32_e32 v12, v12, v26
	v_exp_f32_e32 v12, v12
	v_cvt_i32_f32_e32 v26, v27
	v_cmp_ngt_f32_e64 s[0:1], s39, v9
	v_and_b32_e32 v25, 0x80000000, v25
	v_xor_b32_e32 v8, v25, v8
	v_ldexp_f32 v12, v12, v26
	v_cndmask_b32_e64 v12, 0, v12, s[0:1]
	v_cmp_nlt_f32_e64 s[0:1], s40, v9
	v_cndmask_b32_e64 v9, v23, v12, s[0:1]
	v_and_b32_e32 v12, 0x7fffff, v9
	v_lshrrev_b32_e32 v9, 23, v9
	v_subrev_u32_e32 v9, 19, v9
	v_lshrrev_b16_e32 v25, 15, v9
	v_add_u16_e32 v25, v9, v25
	v_ashrrev_i16_e32 v25, 1, v25
	v_bfe_i32 v25, v25, 0, 16
	v_lshl_add_u32 v26, v25, 23, 1.0
	v_sub_u32_e32 v9, v9, v25
	v_mul_f32_e32 v25, v14, v14
	v_mov_b32_e32 v27, 0x3c0881c4
	v_fmac_f32_e32 v27, 0xb94c1982, v25
	v_fma_f32 v27, v25, v27, v18
	v_mul_f32_e32 v27, v25, v27
	v_fmac_f32_e32 v14, v14, v27
	v_mov_b32_e32 v27, 0xbab64f3b
	v_fmac_f32_e32 v27, 0x37d75334, v25
	v_fma_f32 v27, v25, v27, v19
	v_fma_f32 v27, v25, v27, v20
	v_fma_f32 v25, v25, v27, 1.0
	v_and_b32_e32 v27, 1, v11
	v_cmp_eq_u32_e64 s[0:1], 0, v27
	v_lshlrev_b32_e32 v11, 30, v11
	v_cndmask_b32_e64 v14, v25, v14, s[0:1]
	v_and_or_b32 v10, v11, s41, v10
	v_xor_b32_e32 v10, v10, v14
	v_cmp_class_f32_e64 vcc, v13, s42
	v_xor_b32_e32 v10, v10, v13
	v_cndmask_b32_e32 v8, v24, v8, vcc
	v_or_b32_e32 v12, 0x7f000000, v12
	v_cndmask_b32_e32 v10, v24, v10, vcc
	v_mul_f32_e32 v8, v8, v12
	v_mul_f32_e32 v10, v10, v12
	;; [unrolled: 1-line block ×3, first 2 shown]
	v_lshl_add_u32 v9, v9, 23, 1.0
	v_mul_f32_e32 v10, v10, v26
	v_mul_f32_e32 v8, v8, v9
	;; [unrolled: 1-line block ×3, first 2 shown]
.LBB138_266:                            ;   in Loop: Header=BB138_201 Depth=1
	s_or_b64 exec, exec, s[16:17]
                                        ; implicit-def: $vgpr10_vgpr11_vgpr12_vgpr13
                                        ; implicit-def: $vgpr11
.LBB138_267:                            ;   in Loop: Header=BB138_201 Depth=1
	s_andn2_saveexec_b64 s[0:1], s[14:15]
	s_cbranch_execz .LBB138_273
; %bb.268:                              ;   in Loop: Header=BB138_201 Depth=1
	v_cmp_ne_u32_e32 vcc, s24, v11
	v_sub_f32_e32 v9, v13, v13
	s_and_saveexec_b64 s[2:3], vcc
	s_xor_b64 s[2:3], exec, s[2:3]
; %bb.269:                              ;   in Loop: Header=BB138_201 Depth=1
                                        ; implicit-def: $vgpr10_vgpr11_vgpr12_vgpr13
; %bb.270:                              ;   in Loop: Header=BB138_201 Depth=1
	s_or_saveexec_b64 s[2:3], s[2:3]
	v_mov_b32_e32 v8, v9
	s_xor_b64 exec, exec, s[2:3]
; %bb.271:                              ;   in Loop: Header=BB138_201 Depth=1
	v_cmp_lt_i32_e32 vcc, -1, v12
	v_cndmask_b32_e32 v8, 0, v12, vcc
	v_cndmask_b32_e32 v9, 0, v9, vcc
; %bb.272:                              ;   in Loop: Header=BB138_201 Depth=1
	s_or_b64 exec, exec, s[2:3]
.LBB138_273:                            ;   in Loop: Header=BB138_201 Depth=1
	s_or_b64 exec, exec, s[0:1]
                                        ; implicit-def: $vgpr10_vgpr11_vgpr12_vgpr13
                                        ; implicit-def: $vgpr10
.LBB138_274:                            ;   in Loop: Header=BB138_201 Depth=1
	s_andn2_saveexec_b64 s[12:13], s[12:13]
	s_cbranch_execz .LBB138_284
; %bb.275:                              ;   in Loop: Header=BB138_201 Depth=1
	v_cmp_nlt_f32_e64 s[14:15], |v13|, s26
                                        ; implicit-def: $vgpr8
                                        ; implicit-def: $vgpr9
	s_and_saveexec_b64 s[0:1], s[14:15]
	s_xor_b64 s[16:17], exec, s[0:1]
	s_cbranch_execz .LBB138_277
; %bb.276:                              ;   in Loop: Header=BB138_201 Depth=1
	v_and_b32_e32 v8, 0x7fffff, v10
	v_or_b32_e32 v30, 0x800000, v8
	v_mad_u64_u32 v[8:9], s[0:1], v30, s27, 0
	v_mov_b32_e32 v14, v9
	v_mad_u64_u32 v[11:12], s[0:1], v30, s28, v[14:15]
	v_lshrrev_b32_e32 v9, 23, v10
	v_add_u32_e32 v9, 0xffffff88, v9
	v_mov_b32_e32 v14, v12
	v_mad_u64_u32 v[25:26], s[0:1], v30, s29, v[14:15]
	v_cmp_lt_u32_e32 vcc, 63, v9
	v_cndmask_b32_e32 v12, 0, v21, vcc
	v_mov_b32_e32 v14, v26
	v_mad_u64_u32 v[26:27], s[0:1], v30, s30, v[14:15]
	v_add_u32_e32 v9, v12, v9
	v_cndmask_b32_e32 v8, v25, v8, vcc
	v_mov_b32_e32 v14, v27
	v_mad_u64_u32 v[27:28], s[0:1], v30, s31, v[14:15]
	v_mov_b32_e32 v14, v28
	v_mad_u64_u32 v[28:29], s[0:1], v30, s33, v[14:15]
	v_cmp_lt_u32_e64 s[0:1], 31, v9
	v_cndmask_b32_e64 v12, 0, v22, s[0:1]
	v_mov_b32_e32 v14, v29
	v_mad_u64_u32 v[29:30], s[2:3], v30, s34, v[14:15]
	v_add_u32_e32 v9, v12, v9
	v_cmp_lt_u32_e64 s[2:3], 31, v9
	v_cndmask_b32_e64 v12, 0, v22, s[2:3]
	v_add_u32_e32 v9, v12, v9
	v_cndmask_b32_e32 v12, v28, v26, vcc
	v_cndmask_b32_e32 v14, v29, v27, vcc
	;; [unrolled: 1-line block ×4, first 2 shown]
	v_cndmask_b32_e64 v29, v14, v12, s[0:1]
	v_cndmask_b32_e64 v14, v28, v14, s[0:1]
	;; [unrolled: 1-line block ×5, first 2 shown]
	v_sub_u32_e32 v29, 32, v9
	v_cmp_eq_u32_e64 s[4:5], 0, v9
	v_cndmask_b32_e32 v9, v26, v11, vcc
	v_cndmask_b32_e64 v11, v27, v9, s[0:1]
	v_alignbit_b32 v30, v14, v28, v29
	v_cndmask_b32_e64 v12, v12, v11, s[2:3]
	v_cndmask_b32_e64 v14, v30, v14, s[4:5]
	v_alignbit_b32 v26, v28, v12, v29
	v_cndmask_b32_e64 v26, v26, v28, s[4:5]
	v_bfe_u32 v30, v14, 29, 1
	v_cndmask_b32_e64 v8, v9, v8, s[0:1]
	v_alignbit_b32 v27, v14, v26, 30
	v_sub_u32_e32 v31, 0, v30
	v_cndmask_b32_e64 v8, v11, v8, s[2:3]
	v_xor_b32_e32 v27, v27, v31
	v_alignbit_b32 v9, v12, v8, v29
	v_cndmask_b32_e64 v9, v9, v12, s[4:5]
	v_ffbh_u32_e32 v12, v27
	v_alignbit_b32 v11, v26, v9, 30
	v_min_u32_e32 v12, 32, v12
	v_alignbit_b32 v8, v9, v8, 30
	v_xor_b32_e32 v11, v11, v31
	v_sub_u32_e32 v25, 31, v12
	v_xor_b32_e32 v8, v8, v31
	v_alignbit_b32 v26, v27, v11, v25
	v_alignbit_b32 v8, v11, v8, v25
	;; [unrolled: 1-line block ×3, first 2 shown]
	v_ffbh_u32_e32 v11, v9
	v_min_u32_e32 v11, 32, v11
	v_lshrrev_b32_e32 v28, 29, v14
	v_not_b32_e32 v25, v11
	v_alignbit_b32 v8, v9, v8, v25
	v_lshlrev_b32_e32 v9, 31, v28
	v_or_b32_e32 v25, 0x33000000, v9
	v_add_lshl_u32 v11, v11, v12, 23
	v_lshrrev_b32_e32 v8, 9, v8
	v_sub_u32_e32 v11, v25, v11
	v_or_b32_e32 v9, 0.5, v9
	v_lshlrev_b32_e32 v12, 23, v12
	v_or_b32_e32 v8, v11, v8
	v_lshrrev_b32_e32 v11, 9, v26
	v_sub_u32_e32 v9, v9, v12
	v_or_b32_e32 v9, v11, v9
	v_mul_f32_e32 v11, 0x3fc90fda, v9
	v_fma_f32 v12, v9, s35, -v11
	v_fmac_f32_e32 v12, 0x33a22168, v9
	v_fmac_f32_e32 v12, 0x3fc90fda, v8
	v_lshrrev_b32_e32 v8, 30, v14
	v_add_f32_e32 v9, v11, v12
	v_add_u32_e32 v8, v30, v8
	s_andn2_saveexec_b64 s[0:1], s[16:17]
	s_branch .LBB138_278
.LBB138_277:                            ;   in Loop: Header=BB138_201 Depth=1
	s_andn2_saveexec_b64 s[0:1], s[16:17]
.LBB138_278:                            ;   in Loop: Header=BB138_201 Depth=1
	v_mul_f32_e64 v8, |v13|, s36
	v_rndne_f32_e32 v11, v8
	v_cvt_i32_f32_e32 v8, v11
	v_fma_f32 v9, v11, s37, |v13|
	v_fmac_f32_e32 v9, 0xb3a22168, v11
	v_fmac_f32_e32 v9, 0xa7c234c4, v11
; %bb.279:                              ;   in Loop: Header=BB138_201 Depth=1
	s_or_b64 exec, exec, s[0:1]
                                        ; implicit-def: $vgpr11
                                        ; implicit-def: $vgpr12
	s_and_saveexec_b64 s[0:1], s[14:15]
	s_xor_b64 s[14:15], exec, s[0:1]
	s_cbranch_execz .LBB138_281
; %bb.280:                              ;   in Loop: Header=BB138_201 Depth=1
	v_and_b32_e32 v11, 0x7fffff, v10
	v_or_b32_e32 v31, 0x800000, v11
	v_mad_u64_u32 v[11:12], s[0:1], v31, s27, 0
	v_mov_b32_e32 v14, v12
	v_mad_u64_u32 v[25:26], s[0:1], v31, s28, v[14:15]
	v_lshrrev_b32_e32 v12, 23, v10
	v_add_u32_e32 v12, 0xffffff88, v12
	v_mov_b32_e32 v14, v26
	v_mad_u64_u32 v[26:27], s[0:1], v31, s29, v[14:15]
	v_cmp_lt_u32_e32 vcc, 63, v12
	v_mov_b32_e32 v14, v27
	v_mad_u64_u32 v[27:28], s[0:1], v31, s30, v[14:15]
	v_cndmask_b32_e32 v11, v26, v11, vcc
	v_mov_b32_e32 v14, v28
	v_mad_u64_u32 v[28:29], s[0:1], v31, s31, v[14:15]
	v_cndmask_b32_e32 v14, 0, v21, vcc
	v_add_u32_e32 v12, v14, v12
	v_mov_b32_e32 v14, v29
	v_mad_u64_u32 v[29:30], s[0:1], v31, s33, v[14:15]
	v_cmp_lt_u32_e64 s[0:1], 31, v12
	v_cndmask_b32_e64 v14, 0, v22, s[0:1]
	v_add_u32_e32 v12, v14, v12
	v_mov_b32_e32 v14, v30
	v_mad_u64_u32 v[30:31], s[2:3], v31, s34, v[14:15]
	v_cmp_lt_u32_e64 s[2:3], 31, v12
	v_cndmask_b32_e64 v14, 0, v22, s[2:3]
	v_add_u32_e32 v12, v14, v12
	v_cndmask_b32_e32 v14, v29, v27, vcc
	v_cndmask_b32_e32 v30, v30, v28, vcc
	;; [unrolled: 1-line block ×4, first 2 shown]
	v_cndmask_b32_e64 v31, v30, v14, s[0:1]
	v_cndmask_b32_e64 v29, v29, v30, s[0:1]
	;; [unrolled: 1-line block ×5, first 2 shown]
	v_sub_u32_e32 v31, 32, v12
	v_cmp_eq_u32_e64 s[4:5], 0, v12
	v_cndmask_b32_e32 v12, v27, v25, vcc
	v_cndmask_b32_e64 v25, v28, v12, s[0:1]
	v_alignbit_b32 v32, v29, v30, v31
	v_cndmask_b32_e64 v14, v14, v25, s[2:3]
	v_cndmask_b32_e64 v29, v32, v29, s[4:5]
	v_alignbit_b32 v27, v30, v14, v31
	v_cndmask_b32_e64 v27, v27, v30, s[4:5]
	v_bfe_u32 v32, v29, 29, 1
	v_cndmask_b32_e64 v11, v12, v11, s[0:1]
	v_alignbit_b32 v28, v29, v27, 30
	v_sub_u32_e32 v33, 0, v32
	v_cndmask_b32_e64 v11, v25, v11, s[2:3]
	v_xor_b32_e32 v28, v28, v33
	v_alignbit_b32 v12, v14, v11, v31
	v_cndmask_b32_e64 v12, v12, v14, s[4:5]
	v_ffbh_u32_e32 v25, v28
	v_alignbit_b32 v14, v27, v12, 30
	v_min_u32_e32 v25, 32, v25
	v_alignbit_b32 v11, v12, v11, 30
	v_xor_b32_e32 v14, v14, v33
	v_sub_u32_e32 v26, 31, v25
	v_xor_b32_e32 v11, v11, v33
	v_alignbit_b32 v27, v28, v14, v26
	v_alignbit_b32 v11, v14, v11, v26
	;; [unrolled: 1-line block ×3, first 2 shown]
	v_ffbh_u32_e32 v14, v12
	v_min_u32_e32 v14, 32, v14
	v_lshrrev_b32_e32 v30, 29, v29
	v_not_b32_e32 v26, v14
	v_alignbit_b32 v11, v12, v11, v26
	v_lshlrev_b32_e32 v12, 31, v30
	v_or_b32_e32 v26, 0x33000000, v12
	v_add_lshl_u32 v14, v14, v25, 23
	v_lshrrev_b32_e32 v11, 9, v11
	v_sub_u32_e32 v14, v26, v14
	v_or_b32_e32 v12, 0.5, v12
	v_lshlrev_b32_e32 v25, 23, v25
	v_or_b32_e32 v11, v14, v11
	v_lshrrev_b32_e32 v14, 9, v27
	v_sub_u32_e32 v12, v12, v25
	v_or_b32_e32 v12, v14, v12
	v_mul_f32_e32 v14, 0x3fc90fda, v12
	v_fma_f32 v25, v12, s35, -v14
	v_fmac_f32_e32 v25, 0x33a22168, v12
	v_fmac_f32_e32 v25, 0x3fc90fda, v11
	v_lshrrev_b32_e32 v11, 30, v29
	v_add_f32_e32 v12, v14, v25
	v_add_u32_e32 v11, v32, v11
	s_andn2_saveexec_b64 s[0:1], s[14:15]
	s_cbranch_execnz .LBB138_282
	s_branch .LBB138_283
.LBB138_281:                            ;   in Loop: Header=BB138_201 Depth=1
	s_andn2_saveexec_b64 s[0:1], s[14:15]
.LBB138_282:                            ;   in Loop: Header=BB138_201 Depth=1
	v_mul_f32_e64 v11, |v13|, s36
	v_rndne_f32_e32 v14, v11
	v_cvt_i32_f32_e32 v11, v14
	v_fma_f32 v12, v14, s37, |v13|
	v_fmac_f32_e32 v12, 0xb3a22168, v14
	v_fmac_f32_e32 v12, 0xa7c234c4, v14
.LBB138_283:                            ;   in Loop: Header=BB138_201 Depth=1
	s_or_b64 exec, exec, s[0:1]
	v_mul_f32_e32 v14, v9, v9
	v_mov_b32_e32 v25, 0x3c0881c4
	v_fmac_f32_e32 v25, 0xb94c1982, v14
	v_fma_f32 v25, v14, v25, v18
	v_mul_f32_e32 v25, v14, v25
	v_fmac_f32_e32 v9, v9, v25
	v_mov_b32_e32 v25, 0xbab64f3b
	v_fmac_f32_e32 v25, 0x37d75334, v14
	v_fma_f32 v25, v14, v25, v19
	v_fma_f32 v25, v14, v25, v20
	v_fma_f32 v14, v14, v25, 1.0
	v_and_b32_e32 v25, 1, v8
	v_cmp_eq_u32_e32 vcc, 0, v25
	v_lshlrev_b32_e32 v8, 30, v8
	v_cndmask_b32_e64 v9, -v9, v14, vcc
	v_and_b32_e32 v8, 0x80000000, v8
	v_xor_b32_e32 v8, v8, v9
	v_mul_f32_e32 v9, v12, v12
	v_mov_b32_e32 v14, 0x3c0881c4
	v_fmac_f32_e32 v14, 0xb94c1982, v9
	v_fma_f32 v14, v9, v14, v18
	v_mul_f32_e32 v14, v9, v14
	v_fmac_f32_e32 v12, v12, v14
	v_mov_b32_e32 v14, 0xbab64f3b
	v_fmac_f32_e32 v14, 0x37d75334, v9
	v_fma_f32 v14, v9, v14, v19
	v_fma_f32 v14, v9, v14, v20
	v_fma_f32 v9, v9, v14, 1.0
	v_and_b32_e32 v14, 1, v11
	v_cmp_eq_u32_e64 s[0:1], 0, v14
	v_lshlrev_b32_e32 v11, 30, v11
	v_cndmask_b32_e64 v9, v9, v12, s[0:1]
	v_and_or_b32 v10, v11, s41, v10
	v_xor_b32_e32 v9, v10, v9
	v_cmp_class_f32_e64 vcc, v13, s42
	v_xor_b32_e32 v9, v9, v13
	v_cndmask_b32_e32 v8, v24, v8, vcc
	v_cndmask_b32_e32 v9, v24, v9, vcc
.LBB138_284:                            ;   in Loop: Header=BB138_201 Depth=1
	s_or_b64 exec, exec, s[12:13]
                                        ; implicit-def: $vgpr10_vgpr11_vgpr12_vgpr13
.LBB138_285:                            ;   in Loop: Header=BB138_201 Depth=1
	s_andn2_saveexec_b64 s[0:1], s[10:11]
	s_cbranch_execz .LBB138_287
; %bb.286:                              ;   in Loop: Header=BB138_201 Depth=1
	v_mul_f32_e32 v8, 0x3fb8aa3b, v12
	v_rndne_f32_e32 v9, v8
	v_sub_f32_e32 v10, v8, v9
	v_fma_f32 v8, v12, s38, -v8
	v_fmac_f32_e32 v8, 0x32a5705f, v12
	v_add_f32_e32 v8, v10, v8
	v_cvt_i32_f32_e32 v9, v9
	v_exp_f32_e32 v8, v8
	v_cmp_ngt_f32_e32 vcc, s39, v12
	v_ldexp_f32 v8, v8, v9
	v_cndmask_b32_e32 v8, 0, v8, vcc
	v_cmp_nlt_f32_e32 vcc, s40, v12
	v_cndmask_b32_e32 v8, v23, v8, vcc
	v_mov_b32_e32 v9, v13
.LBB138_287:                            ;   in Loop: Header=BB138_201 Depth=1
	s_or_b64 exec, exec, s[0:1]
	s_waitcnt vmcnt(0)
	v_and_b32_e32 v12, 0x7fffffff, v3
	v_cmp_ne_u32_e32 vcc, 0, v12
                                        ; implicit-def: $vgpr11
	s_and_saveexec_b64 s[0:1], vcc
	s_xor_b64 s[10:11], exec, s[0:1]
	s_cbranch_execz .LBB138_327
; %bb.288:                              ;   in Loop: Header=BB138_201 Depth=1
	v_and_b32_e32 v13, 0x7fffffff, v2
	v_cmp_ne_u32_e32 vcc, 0, v13
                                        ; implicit-def: $vgpr11
	s_and_saveexec_b64 s[0:1], vcc
	s_xor_b64 s[12:13], exec, s[0:1]
	s_cbranch_execz .LBB138_316
; %bb.289:                              ;   in Loop: Header=BB138_201 Depth=1
	v_cmp_gt_u32_e32 vcc, s24, v12
                                        ; implicit-def: $vgpr11
	s_and_saveexec_b64 s[0:1], vcc
	s_xor_b64 s[14:15], exec, s[0:1]
	s_cbranch_execz .LBB138_311
; %bb.290:                              ;   in Loop: Header=BB138_201 Depth=1
	v_add_u32_e32 v10, 0xbd4e8de8, v2
	v_cmp_lt_u32_e32 vcc, s25, v10
                                        ; implicit-def: $vgpr11
	s_and_saveexec_b64 s[0:1], vcc
	s_xor_b64 s[16:17], exec, s[0:1]
	s_cbranch_execz .LBB138_300
; %bb.291:                              ;   in Loop: Header=BB138_201 Depth=1
	v_cmp_nlt_f32_e64 s[18:19], |v3|, s26
                                        ; implicit-def: $vgpr10
                                        ; implicit-def: $vgpr11
	s_and_saveexec_b64 s[0:1], s[18:19]
	s_xor_b64 s[20:21], exec, s[0:1]
	s_cbranch_execz .LBB138_293
; %bb.292:                              ;   in Loop: Header=BB138_201 Depth=1
	v_and_b32_e32 v10, 0x7fffff, v12
	v_or_b32_e32 v30, 0x800000, v10
	v_mad_u64_u32 v[10:11], s[0:1], v30, s27, 0
	v_mov_b32_e32 v14, v11
	v_mad_u64_u32 v[13:14], s[0:1], v30, s28, v[14:15]
	v_lshrrev_b32_e32 v11, 23, v12
	v_add_u32_e32 v11, 0xffffff88, v11
	v_mad_u64_u32 v[25:26], s[0:1], v30, s29, v[14:15]
	v_cmp_lt_u32_e32 vcc, 63, v11
	v_mov_b32_e32 v14, v26
	v_mad_u64_u32 v[26:27], s[0:1], v30, s30, v[14:15]
	v_cndmask_b32_e32 v10, v25, v10, vcc
	v_mov_b32_e32 v14, v27
	v_mad_u64_u32 v[27:28], s[0:1], v30, s31, v[14:15]
	v_cndmask_b32_e32 v14, 0, v21, vcc
	v_add_u32_e32 v11, v14, v11
	v_mov_b32_e32 v14, v28
	v_mad_u64_u32 v[28:29], s[0:1], v30, s33, v[14:15]
	v_cmp_lt_u32_e64 s[0:1], 31, v11
	v_cndmask_b32_e64 v14, 0, v22, s[0:1]
	v_add_u32_e32 v11, v14, v11
	v_mov_b32_e32 v14, v29
	v_mad_u64_u32 v[29:30], s[2:3], v30, s34, v[14:15]
	v_cmp_lt_u32_e64 s[2:3], 31, v11
	v_cndmask_b32_e64 v14, 0, v22, s[2:3]
	v_add_u32_e32 v11, v14, v11
	v_cndmask_b32_e32 v14, v28, v26, vcc
	v_cndmask_b32_e32 v29, v29, v27, vcc
	;; [unrolled: 1-line block ×4, first 2 shown]
	v_cndmask_b32_e64 v30, v29, v14, s[0:1]
	v_cndmask_b32_e64 v28, v28, v29, s[0:1]
	;; [unrolled: 1-line block ×5, first 2 shown]
	v_sub_u32_e32 v30, 32, v11
	v_cmp_eq_u32_e64 s[4:5], 0, v11
	v_cndmask_b32_e32 v11, v26, v13, vcc
	v_cndmask_b32_e64 v13, v27, v11, s[0:1]
	v_alignbit_b32 v31, v28, v29, v30
	v_cndmask_b32_e64 v14, v14, v13, s[2:3]
	v_cndmask_b32_e64 v28, v31, v28, s[4:5]
	v_alignbit_b32 v26, v29, v14, v30
	v_cndmask_b32_e64 v26, v26, v29, s[4:5]
	v_bfe_u32 v31, v28, 29, 1
	v_cndmask_b32_e64 v10, v11, v10, s[0:1]
	v_alignbit_b32 v27, v28, v26, 30
	v_sub_u32_e32 v32, 0, v31
	v_cndmask_b32_e64 v10, v13, v10, s[2:3]
	v_xor_b32_e32 v27, v27, v32
	v_alignbit_b32 v11, v14, v10, v30
	v_cndmask_b32_e64 v11, v11, v14, s[4:5]
	v_ffbh_u32_e32 v14, v27
	v_alignbit_b32 v13, v26, v11, 30
	v_min_u32_e32 v14, 32, v14
	v_alignbit_b32 v10, v11, v10, 30
	v_xor_b32_e32 v13, v13, v32
	v_sub_u32_e32 v25, 31, v14
	v_xor_b32_e32 v10, v10, v32
	v_alignbit_b32 v26, v27, v13, v25
	v_alignbit_b32 v10, v13, v10, v25
	;; [unrolled: 1-line block ×3, first 2 shown]
	v_ffbh_u32_e32 v13, v11
	v_min_u32_e32 v13, 32, v13
	v_lshrrev_b32_e32 v29, 29, v28
	v_not_b32_e32 v25, v13
	v_alignbit_b32 v10, v11, v10, v25
	v_lshlrev_b32_e32 v11, 31, v29
	v_or_b32_e32 v25, 0x33000000, v11
	v_add_lshl_u32 v13, v13, v14, 23
	v_lshrrev_b32_e32 v10, 9, v10
	v_sub_u32_e32 v13, v25, v13
	v_or_b32_e32 v11, 0.5, v11
	v_lshlrev_b32_e32 v14, 23, v14
	v_or_b32_e32 v10, v13, v10
	v_lshrrev_b32_e32 v13, 9, v26
	v_sub_u32_e32 v11, v11, v14
	v_or_b32_e32 v11, v13, v11
	v_mul_f32_e32 v13, 0x3fc90fda, v11
	v_fma_f32 v14, v11, s35, -v13
	v_fmac_f32_e32 v14, 0x33a22168, v11
	v_fmac_f32_e32 v14, 0x3fc90fda, v10
	v_lshrrev_b32_e32 v10, 30, v28
	v_add_f32_e32 v11, v13, v14
	v_add_u32_e32 v10, v31, v10
	s_andn2_saveexec_b64 s[0:1], s[20:21]
	s_branch .LBB138_294
.LBB138_293:                            ;   in Loop: Header=BB138_201 Depth=1
	s_andn2_saveexec_b64 s[0:1], s[20:21]
.LBB138_294:                            ;   in Loop: Header=BB138_201 Depth=1
	v_mul_f32_e64 v10, |v3|, s36
	v_rndne_f32_e32 v13, v10
	v_cvt_i32_f32_e32 v10, v13
	v_fma_f32 v11, v13, s37, |v3|
	v_fmac_f32_e32 v11, 0xb3a22168, v13
	v_fmac_f32_e32 v11, 0xa7c234c4, v13
; %bb.295:                              ;   in Loop: Header=BB138_201 Depth=1
	s_or_b64 exec, exec, s[0:1]
                                        ; implicit-def: $vgpr13
                                        ; implicit-def: $vgpr14
	s_and_saveexec_b64 s[0:1], s[18:19]
	s_xor_b64 s[18:19], exec, s[0:1]
	s_cbranch_execz .LBB138_297
; %bb.296:                              ;   in Loop: Header=BB138_201 Depth=1
	v_and_b32_e32 v13, 0x7fffff, v12
	v_or_b32_e32 v31, 0x800000, v13
	v_mad_u64_u32 v[13:14], s[0:1], v31, s27, 0
	v_mad_u64_u32 v[25:26], s[0:1], v31, s28, v[14:15]
	v_mov_b32_e32 v14, v26
	v_mad_u64_u32 v[26:27], s[0:1], v31, s29, v[14:15]
	v_mov_b32_e32 v14, v27
	v_mad_u64_u32 v[27:28], s[0:1], v31, s30, v[14:15]
	v_lshrrev_b32_e32 v14, 23, v12
	v_add_u32_e32 v30, 0xffffff88, v14
	v_mov_b32_e32 v14, v28
	v_mad_u64_u32 v[28:29], s[0:1], v31, s31, v[14:15]
	v_cmp_lt_u32_e32 vcc, 63, v30
	v_cndmask_b32_e32 v14, 0, v21, vcc
	v_add_u32_e32 v32, v14, v30
	v_mov_b32_e32 v14, v29
	v_mad_u64_u32 v[29:30], s[0:1], v31, s33, v[14:15]
	v_cmp_lt_u32_e64 s[0:1], 31, v32
	v_cndmask_b32_e64 v14, 0, v22, s[0:1]
	v_add_u32_e32 v32, v14, v32
	v_mov_b32_e32 v14, v30
	v_mad_u64_u32 v[30:31], s[2:3], v31, s34, v[14:15]
	v_cmp_lt_u32_e64 s[2:3], 31, v32
	v_cndmask_b32_e64 v14, 0, v22, s[2:3]
	v_add_u32_e32 v14, v14, v32
	v_cndmask_b32_e32 v32, v29, v27, vcc
	v_cndmask_b32_e32 v30, v30, v28, vcc
	v_cndmask_b32_e32 v29, v31, v29, vcc
	v_cndmask_b32_e32 v28, v28, v26, vcc
	v_cndmask_b32_e64 v31, v30, v32, s[0:1]
	v_cndmask_b32_e64 v29, v29, v30, s[0:1]
	;; [unrolled: 1-line block ×3, first 2 shown]
	v_sub_u32_e32 v32, 32, v14
	v_cmp_eq_u32_e64 s[4:5], 0, v14
	v_cndmask_b32_e32 v14, v27, v25, vcc
	v_cndmask_b32_e64 v29, v29, v31, s[2:3]
	v_cndmask_b32_e64 v31, v31, v30, s[2:3]
	;; [unrolled: 1-line block ×3, first 2 shown]
	v_alignbit_b32 v33, v29, v31, v32
	v_cndmask_b32_e64 v27, v30, v25, s[2:3]
	v_cndmask_b32_e64 v29, v33, v29, s[4:5]
	v_alignbit_b32 v28, v31, v27, v32
	v_cndmask_b32_e32 v13, v26, v13, vcc
	v_cndmask_b32_e64 v28, v28, v31, s[4:5]
	v_bfe_u32 v33, v29, 29, 1
	v_cndmask_b32_e64 v13, v14, v13, s[0:1]
	v_alignbit_b32 v30, v29, v28, 30
	v_sub_u32_e32 v34, 0, v33
	v_cndmask_b32_e64 v13, v25, v13, s[2:3]
	v_xor_b32_e32 v30, v30, v34
	v_alignbit_b32 v14, v27, v13, v32
	v_cndmask_b32_e64 v14, v14, v27, s[4:5]
	v_ffbh_u32_e32 v26, v30
	v_alignbit_b32 v25, v28, v14, 30
	v_min_u32_e32 v26, 32, v26
	v_alignbit_b32 v13, v14, v13, 30
	v_xor_b32_e32 v25, v25, v34
	v_sub_u32_e32 v27, 31, v26
	v_xor_b32_e32 v13, v13, v34
	v_alignbit_b32 v28, v30, v25, v27
	v_alignbit_b32 v13, v25, v13, v27
	;; [unrolled: 1-line block ×3, first 2 shown]
	v_ffbh_u32_e32 v25, v14
	v_min_u32_e32 v25, 32, v25
	v_lshrrev_b32_e32 v31, 29, v29
	v_not_b32_e32 v27, v25
	v_alignbit_b32 v13, v14, v13, v27
	v_lshlrev_b32_e32 v14, 31, v31
	v_or_b32_e32 v27, 0x33000000, v14
	v_add_lshl_u32 v25, v25, v26, 23
	v_lshrrev_b32_e32 v13, 9, v13
	v_sub_u32_e32 v25, v27, v25
	v_or_b32_e32 v14, 0.5, v14
	v_lshlrev_b32_e32 v26, 23, v26
	v_or_b32_e32 v13, v25, v13
	v_lshrrev_b32_e32 v25, 9, v28
	v_sub_u32_e32 v14, v14, v26
	v_or_b32_e32 v14, v25, v14
	v_mul_f32_e32 v25, 0x3fc90fda, v14
	v_fma_f32 v26, v14, s35, -v25
	v_fmac_f32_e32 v26, 0x33a22168, v14
	v_fmac_f32_e32 v26, 0x3fc90fda, v13
	v_lshrrev_b32_e32 v13, 30, v29
	v_add_f32_e32 v14, v25, v26
	v_add_u32_e32 v13, v33, v13
	s_andn2_saveexec_b64 s[0:1], s[18:19]
	s_cbranch_execnz .LBB138_298
	s_branch .LBB138_299
.LBB138_297:                            ;   in Loop: Header=BB138_201 Depth=1
	s_andn2_saveexec_b64 s[0:1], s[18:19]
.LBB138_298:                            ;   in Loop: Header=BB138_201 Depth=1
	v_mul_f32_e64 v13, |v3|, s36
	v_rndne_f32_e32 v25, v13
	v_cvt_i32_f32_e32 v13, v25
	v_fma_f32 v14, v25, s37, |v3|
	v_fmac_f32_e32 v14, 0xb3a22168, v25
	v_fmac_f32_e32 v14, 0xa7c234c4, v25
.LBB138_299:                            ;   in Loop: Header=BB138_201 Depth=1
	s_or_b64 exec, exec, s[0:1]
	v_mul_f32_e32 v25, 0x3fb8aa3b, v2
	v_rndne_f32_e32 v26, v25
	v_sub_f32_e32 v27, v25, v26
	v_fma_f32 v25, v2, s38, -v25
	v_fmac_f32_e32 v25, 0x32a5705f, v2
	v_add_f32_e32 v25, v27, v25
	v_cvt_i32_f32_e32 v26, v26
	v_exp_f32_e32 v25, v25
	v_mov_b32_e32 v27, 0x3c0881c4
	v_cmp_ngt_f32_e32 vcc, s39, v2
	v_ldexp_f32 v25, v25, v26
	v_mul_f32_e32 v26, v11, v11
	v_fmac_f32_e32 v27, 0xb94c1982, v26
	v_fma_f32 v27, v26, v27, v18
	v_mul_f32_e32 v27, v26, v27
	v_fmac_f32_e32 v11, v11, v27
	v_mov_b32_e32 v27, 0xbab64f3b
	v_fmac_f32_e32 v27, 0x37d75334, v26
	v_fma_f32 v27, v26, v27, v19
	v_fma_f32 v27, v26, v27, v20
	v_cndmask_b32_e32 v25, 0, v25, vcc
	v_cmp_nlt_f32_e32 vcc, s40, v2
	v_fma_f32 v26, v26, v27, 1.0
	v_and_b32_e32 v27, 1, v10
	v_cndmask_b32_e32 v25, v23, v25, vcc
	v_cmp_eq_u32_e32 vcc, 0, v27
	v_lshlrev_b32_e32 v10, 30, v10
	v_cndmask_b32_e64 v11, -v11, v26, vcc
	v_and_b32_e32 v10, 0x80000000, v10
	v_xor_b32_e32 v10, v10, v11
	v_mul_f32_e32 v11, v14, v14
	v_mov_b32_e32 v26, 0x3c0881c4
	v_fmac_f32_e32 v26, 0xb94c1982, v11
	v_fma_f32 v26, v11, v26, v18
	v_mul_f32_e32 v26, v11, v26
	v_fmac_f32_e32 v14, v14, v26
	v_mov_b32_e32 v26, 0xbab64f3b
	v_fmac_f32_e32 v26, 0x37d75334, v11
	v_fma_f32 v26, v11, v26, v19
	v_fma_f32 v26, v11, v26, v20
	v_fma_f32 v11, v11, v26, 1.0
	v_and_b32_e32 v26, 1, v13
	v_cmp_eq_u32_e64 s[0:1], 0, v26
	v_lshlrev_b32_e32 v13, 30, v13
	v_cndmask_b32_e64 v11, v11, v14, s[0:1]
	v_and_or_b32 v12, v13, s41, v12
	v_xor_b32_e32 v11, v12, v11
	v_cmp_class_f32_e64 vcc, v3, s42
	v_xor_b32_e32 v11, v11, v3
	v_cndmask_b32_e32 v10, v24, v10, vcc
	v_cndmask_b32_e32 v11, v24, v11, vcc
	v_mul_f32_e32 v10, v25, v10
	v_mul_f32_e32 v11, v25, v11
                                        ; implicit-def: $vgpr12
.LBB138_300:                            ;   in Loop: Header=BB138_201 Depth=1
	s_andn2_saveexec_b64 s[16:17], s[16:17]
	s_cbranch_execz .LBB138_310
; %bb.301:                              ;   in Loop: Header=BB138_201 Depth=1
	v_cmp_nlt_f32_e64 s[18:19], |v3|, s26
                                        ; implicit-def: $vgpr11
                                        ; implicit-def: $vgpr10
	s_and_saveexec_b64 s[0:1], s[18:19]
	s_xor_b64 s[20:21], exec, s[0:1]
	s_cbranch_execz .LBB138_303
; %bb.302:                              ;   in Loop: Header=BB138_201 Depth=1
	v_and_b32_e32 v10, 0x7fffff, v12
	v_or_b32_e32 v30, 0x800000, v10
	v_mad_u64_u32 v[10:11], s[0:1], v30, s27, 0
	v_mov_b32_e32 v14, v11
	v_mad_u64_u32 v[13:14], s[0:1], v30, s28, v[14:15]
	v_lshrrev_b32_e32 v11, 23, v12
	v_add_u32_e32 v11, 0xffffff88, v11
	v_mad_u64_u32 v[25:26], s[0:1], v30, s29, v[14:15]
	v_cmp_lt_u32_e32 vcc, 63, v11
	v_mov_b32_e32 v14, v26
	v_mad_u64_u32 v[26:27], s[0:1], v30, s30, v[14:15]
	v_cndmask_b32_e32 v10, v25, v10, vcc
	v_mov_b32_e32 v14, v27
	v_mad_u64_u32 v[27:28], s[0:1], v30, s31, v[14:15]
	v_cndmask_b32_e32 v14, 0, v21, vcc
	v_add_u32_e32 v11, v14, v11
	v_mov_b32_e32 v14, v28
	v_mad_u64_u32 v[28:29], s[0:1], v30, s33, v[14:15]
	v_cmp_lt_u32_e64 s[0:1], 31, v11
	v_cndmask_b32_e64 v14, 0, v22, s[0:1]
	v_add_u32_e32 v11, v14, v11
	v_mov_b32_e32 v14, v29
	v_mad_u64_u32 v[29:30], s[2:3], v30, s34, v[14:15]
	v_cmp_lt_u32_e64 s[2:3], 31, v11
	v_cndmask_b32_e64 v14, 0, v22, s[2:3]
	v_add_u32_e32 v11, v14, v11
	v_cndmask_b32_e32 v14, v28, v26, vcc
	v_cndmask_b32_e32 v29, v29, v27, vcc
	;; [unrolled: 1-line block ×4, first 2 shown]
	v_cndmask_b32_e64 v30, v29, v14, s[0:1]
	v_cndmask_b32_e64 v28, v28, v29, s[0:1]
	;; [unrolled: 1-line block ×3, first 2 shown]
	v_cndmask_b32_e32 v13, v26, v13, vcc
	v_cndmask_b32_e64 v28, v28, v30, s[2:3]
	v_cndmask_b32_e64 v29, v30, v14, s[2:3]
	v_sub_u32_e32 v30, 32, v11
	v_cndmask_b32_e64 v26, v27, v13, s[0:1]
	v_alignbit_b32 v31, v28, v29, v30
	v_cmp_eq_u32_e64 s[4:5], 0, v11
	v_cndmask_b32_e64 v14, v14, v26, s[2:3]
	v_cndmask_b32_e64 v11, v31, v28, s[4:5]
	v_alignbit_b32 v27, v29, v14, v30
	v_cndmask_b32_e64 v27, v27, v29, s[4:5]
	v_bfe_u32 v31, v11, 29, 1
	v_cndmask_b32_e64 v10, v13, v10, s[0:1]
	v_alignbit_b32 v28, v11, v27, 30
	v_sub_u32_e32 v32, 0, v31
	v_cndmask_b32_e64 v10, v26, v10, s[2:3]
	v_xor_b32_e32 v28, v28, v32
	v_alignbit_b32 v13, v14, v10, v30
	v_cndmask_b32_e64 v13, v13, v14, s[4:5]
	v_ffbh_u32_e32 v25, v28
	v_alignbit_b32 v14, v27, v13, 30
	v_min_u32_e32 v25, 32, v25
	v_alignbit_b32 v10, v13, v10, 30
	v_xor_b32_e32 v14, v14, v32
	v_sub_u32_e32 v26, 31, v25
	v_xor_b32_e32 v10, v10, v32
	v_alignbit_b32 v27, v28, v14, v26
	v_alignbit_b32 v10, v14, v10, v26
	;; [unrolled: 1-line block ×3, first 2 shown]
	v_ffbh_u32_e32 v14, v13
	v_min_u32_e32 v14, 32, v14
	v_lshrrev_b32_e32 v29, 29, v11
	v_not_b32_e32 v26, v14
	v_alignbit_b32 v10, v13, v10, v26
	v_lshlrev_b32_e32 v13, 31, v29
	v_or_b32_e32 v26, 0x33000000, v13
	v_add_lshl_u32 v14, v14, v25, 23
	v_lshrrev_b32_e32 v10, 9, v10
	v_sub_u32_e32 v14, v26, v14
	v_or_b32_e32 v13, 0.5, v13
	v_lshlrev_b32_e32 v25, 23, v25
	v_or_b32_e32 v10, v14, v10
	v_lshrrev_b32_e32 v14, 9, v27
	v_sub_u32_e32 v13, v13, v25
	v_or_b32_e32 v13, v14, v13
	v_mul_f32_e32 v14, 0x3fc90fda, v13
	v_fma_f32 v25, v13, s35, -v14
	v_fmac_f32_e32 v25, 0x33a22168, v13
	v_fmac_f32_e32 v25, 0x3fc90fda, v10
	v_lshrrev_b32_e32 v11, 30, v11
	v_add_f32_e32 v10, v14, v25
	v_add_u32_e32 v11, v31, v11
	s_andn2_saveexec_b64 s[0:1], s[20:21]
	s_branch .LBB138_304
.LBB138_303:                            ;   in Loop: Header=BB138_201 Depth=1
	s_andn2_saveexec_b64 s[0:1], s[20:21]
.LBB138_304:                            ;   in Loop: Header=BB138_201 Depth=1
	v_mul_f32_e64 v10, |v3|, s36
	v_rndne_f32_e32 v13, v10
	v_cvt_i32_f32_e32 v11, v13
	v_fma_f32 v10, v13, s37, |v3|
	v_fmac_f32_e32 v10, 0xb3a22168, v13
	v_fmac_f32_e32 v10, 0xa7c234c4, v13
; %bb.305:                              ;   in Loop: Header=BB138_201 Depth=1
	s_or_b64 exec, exec, s[0:1]
                                        ; implicit-def: $vgpr13
                                        ; implicit-def: $vgpr14
	s_and_saveexec_b64 s[0:1], s[18:19]
	s_xor_b64 s[18:19], exec, s[0:1]
	s_cbranch_execz .LBB138_307
; %bb.306:                              ;   in Loop: Header=BB138_201 Depth=1
	v_and_b32_e32 v13, 0x7fffff, v12
	v_or_b32_e32 v31, 0x800000, v13
	v_mad_u64_u32 v[13:14], s[0:1], v31, s27, 0
	v_mad_u64_u32 v[25:26], s[0:1], v31, s28, v[14:15]
	v_mov_b32_e32 v14, v26
	v_mad_u64_u32 v[26:27], s[0:1], v31, s29, v[14:15]
	v_mov_b32_e32 v14, v27
	v_mad_u64_u32 v[27:28], s[0:1], v31, s30, v[14:15]
	v_lshrrev_b32_e32 v14, 23, v12
	v_add_u32_e32 v30, 0xffffff88, v14
	v_mov_b32_e32 v14, v28
	v_mad_u64_u32 v[28:29], s[0:1], v31, s31, v[14:15]
	v_cmp_lt_u32_e32 vcc, 63, v30
	v_cndmask_b32_e32 v14, 0, v21, vcc
	v_add_u32_e32 v32, v14, v30
	v_mov_b32_e32 v14, v29
	v_mad_u64_u32 v[29:30], s[0:1], v31, s33, v[14:15]
	v_cmp_lt_u32_e64 s[0:1], 31, v32
	v_cndmask_b32_e64 v14, 0, v22, s[0:1]
	v_add_u32_e32 v32, v14, v32
	v_mov_b32_e32 v14, v30
	v_mad_u64_u32 v[30:31], s[2:3], v31, s34, v[14:15]
	v_cmp_lt_u32_e64 s[2:3], 31, v32
	v_cndmask_b32_e64 v14, 0, v22, s[2:3]
	v_add_u32_e32 v14, v14, v32
	v_cndmask_b32_e32 v32, v29, v27, vcc
	v_cndmask_b32_e32 v30, v30, v28, vcc
	;; [unrolled: 1-line block ×4, first 2 shown]
	v_cndmask_b32_e64 v31, v30, v32, s[0:1]
	v_cndmask_b32_e64 v29, v29, v30, s[0:1]
	;; [unrolled: 1-line block ×3, first 2 shown]
	v_sub_u32_e32 v32, 32, v14
	v_cmp_eq_u32_e64 s[4:5], 0, v14
	v_cndmask_b32_e32 v14, v27, v25, vcc
	v_cndmask_b32_e64 v29, v29, v31, s[2:3]
	v_cndmask_b32_e64 v31, v31, v30, s[2:3]
	;; [unrolled: 1-line block ×3, first 2 shown]
	v_alignbit_b32 v33, v29, v31, v32
	v_cndmask_b32_e64 v27, v30, v25, s[2:3]
	v_cndmask_b32_e64 v29, v33, v29, s[4:5]
	v_alignbit_b32 v28, v31, v27, v32
	v_cndmask_b32_e32 v13, v26, v13, vcc
	v_cndmask_b32_e64 v28, v28, v31, s[4:5]
	v_bfe_u32 v33, v29, 29, 1
	v_cndmask_b32_e64 v13, v14, v13, s[0:1]
	v_alignbit_b32 v30, v29, v28, 30
	v_sub_u32_e32 v34, 0, v33
	v_cndmask_b32_e64 v13, v25, v13, s[2:3]
	v_xor_b32_e32 v30, v30, v34
	v_alignbit_b32 v14, v27, v13, v32
	v_cndmask_b32_e64 v14, v14, v27, s[4:5]
	v_ffbh_u32_e32 v26, v30
	v_alignbit_b32 v25, v28, v14, 30
	v_min_u32_e32 v26, 32, v26
	v_alignbit_b32 v13, v14, v13, 30
	v_xor_b32_e32 v25, v25, v34
	v_sub_u32_e32 v27, 31, v26
	v_xor_b32_e32 v13, v13, v34
	v_alignbit_b32 v28, v30, v25, v27
	v_alignbit_b32 v13, v25, v13, v27
	v_alignbit_b32 v14, v28, v13, 9
	v_ffbh_u32_e32 v25, v14
	v_min_u32_e32 v25, 32, v25
	v_lshrrev_b32_e32 v31, 29, v29
	v_not_b32_e32 v27, v25
	v_alignbit_b32 v13, v14, v13, v27
	v_lshlrev_b32_e32 v14, 31, v31
	v_or_b32_e32 v27, 0x33000000, v14
	v_add_lshl_u32 v25, v25, v26, 23
	v_lshrrev_b32_e32 v13, 9, v13
	v_sub_u32_e32 v25, v27, v25
	v_or_b32_e32 v14, 0.5, v14
	v_lshlrev_b32_e32 v26, 23, v26
	v_or_b32_e32 v13, v25, v13
	v_lshrrev_b32_e32 v25, 9, v28
	v_sub_u32_e32 v14, v14, v26
	v_or_b32_e32 v14, v25, v14
	v_mul_f32_e32 v25, 0x3fc90fda, v14
	v_fma_f32 v26, v14, s35, -v25
	v_fmac_f32_e32 v26, 0x33a22168, v14
	v_fmac_f32_e32 v26, 0x3fc90fda, v13
	v_lshrrev_b32_e32 v13, 30, v29
	v_add_f32_e32 v14, v25, v26
	v_add_u32_e32 v13, v33, v13
	s_andn2_saveexec_b64 s[0:1], s[18:19]
	s_cbranch_execnz .LBB138_308
	s_branch .LBB138_309
.LBB138_307:                            ;   in Loop: Header=BB138_201 Depth=1
	s_andn2_saveexec_b64 s[0:1], s[18:19]
.LBB138_308:                            ;   in Loop: Header=BB138_201 Depth=1
	v_mul_f32_e64 v13, |v3|, s36
	v_rndne_f32_e32 v25, v13
	v_cvt_i32_f32_e32 v13, v25
	v_fma_f32 v14, v25, s37, |v3|
	v_fmac_f32_e32 v14, 0xb3a22168, v25
	v_fmac_f32_e32 v14, 0xa7c234c4, v25
.LBB138_309:                            ;   in Loop: Header=BB138_201 Depth=1
	s_or_b64 exec, exec, s[0:1]
	v_mul_f32_e32 v26, v10, v10
	v_mov_b32_e32 v27, 0xbab64f3b
	v_fmac_f32_e32 v27, 0x37d75334, v26
	v_mov_b32_e32 v28, 0x3c0881c4
	v_fma_f32 v27, v26, v27, v19
	v_fmac_f32_e32 v28, 0xb94c1982, v26
	v_lshlrev_b32_e32 v25, 30, v11
	v_and_b32_e32 v11, 1, v11
	v_fma_f32 v27, v26, v27, v20
	v_fma_f32 v28, v26, v28, v18
	v_fma_f32 v27, v26, v27, 1.0
	v_mul_f32_e32 v26, v26, v28
	v_cmp_eq_u32_e32 vcc, 0, v11
	v_add_f32_e32 v11, 0xc322e3bc, v2
	v_fmac_f32_e32 v10, v10, v26
	v_mul_f32_e32 v26, 0x3fb8aa3b, v11
	v_cndmask_b32_e64 v10, -v10, v27, vcc
	v_fma_f32 v27, v11, s38, -v26
	v_rndne_f32_e32 v28, v26
	v_fmac_f32_e32 v27, 0x32a5705f, v11
	v_sub_f32_e32 v26, v26, v28
	v_add_f32_e32 v26, v26, v27
	v_exp_f32_e32 v26, v26
	v_cvt_i32_f32_e32 v27, v28
	v_and_b32_e32 v25, 0x80000000, v25
	v_xor_b32_e32 v10, v25, v10
	v_cmp_ngt_f32_e64 s[0:1], s39, v11
	v_ldexp_f32 v25, v26, v27
	v_cndmask_b32_e64 v25, 0, v25, s[0:1]
	v_cmp_nlt_f32_e64 s[0:1], s40, v11
	v_cndmask_b32_e64 v11, v23, v25, s[0:1]
	v_and_b32_e32 v25, 0x7fffff, v11
	v_lshrrev_b32_e32 v11, 23, v11
	v_subrev_u32_e32 v11, 19, v11
	v_lshrrev_b16_e32 v26, 15, v11
	v_add_u16_e32 v26, v11, v26
	v_ashrrev_i16_e32 v26, 1, v26
	v_bfe_i32 v26, v26, 0, 16
	v_lshl_add_u32 v27, v26, 23, 1.0
	v_sub_u32_e32 v11, v11, v26
	v_mul_f32_e32 v26, v14, v14
	v_mov_b32_e32 v28, 0x3c0881c4
	v_fmac_f32_e32 v28, 0xb94c1982, v26
	v_fma_f32 v28, v26, v28, v18
	v_mul_f32_e32 v28, v26, v28
	v_fmac_f32_e32 v14, v14, v28
	v_mov_b32_e32 v28, 0xbab64f3b
	v_fmac_f32_e32 v28, 0x37d75334, v26
	v_fma_f32 v28, v26, v28, v19
	v_fma_f32 v28, v26, v28, v20
	v_fma_f32 v26, v26, v28, 1.0
	v_and_b32_e32 v28, 1, v13
	v_cmp_eq_u32_e64 s[0:1], 0, v28
	v_lshlrev_b32_e32 v13, 30, v13
	v_cndmask_b32_e64 v14, v26, v14, s[0:1]
	v_and_or_b32 v12, v13, s41, v12
	v_xor_b32_e32 v12, v12, v14
	v_cmp_class_f32_e64 vcc, v3, s42
	v_xor_b32_e32 v12, v12, v3
	v_cndmask_b32_e32 v10, v24, v10, vcc
	v_or_b32_e32 v25, 0x7f000000, v25
	v_cndmask_b32_e32 v12, v24, v12, vcc
	v_mul_f32_e32 v10, v10, v25
	v_mul_f32_e32 v12, v12, v25
	;; [unrolled: 1-line block ×3, first 2 shown]
	v_lshl_add_u32 v11, v11, 23, 1.0
	v_mul_f32_e32 v12, v12, v27
	v_mul_f32_e32 v10, v10, v11
	;; [unrolled: 1-line block ×3, first 2 shown]
.LBB138_310:                            ;   in Loop: Header=BB138_201 Depth=1
	s_or_b64 exec, exec, s[16:17]
                                        ; implicit-def: $vgpr13
.LBB138_311:                            ;   in Loop: Header=BB138_201 Depth=1
	s_andn2_saveexec_b64 s[0:1], s[14:15]
	s_cbranch_execz .LBB138_315
; %bb.312:                              ;   in Loop: Header=BB138_201 Depth=1
	v_cmp_ne_u32_e32 vcc, s24, v13
	v_sub_f32_e32 v11, v3, v3
	s_and_saveexec_b64 s[2:3], vcc
	s_xor_b64 s[2:3], exec, s[2:3]
	s_or_saveexec_b64 s[2:3], s[2:3]
	v_mov_b32_e32 v10, v11
	s_xor_b64 exec, exec, s[2:3]
; %bb.313:                              ;   in Loop: Header=BB138_201 Depth=1
	v_cmp_lt_i32_e32 vcc, -1, v2
	v_cndmask_b32_e32 v10, 0, v2, vcc
	v_cndmask_b32_e32 v11, 0, v11, vcc
; %bb.314:                              ;   in Loop: Header=BB138_201 Depth=1
	s_or_b64 exec, exec, s[2:3]
.LBB138_315:                            ;   in Loop: Header=BB138_201 Depth=1
	s_or_b64 exec, exec, s[0:1]
                                        ; implicit-def: $vgpr12
.LBB138_316:                            ;   in Loop: Header=BB138_201 Depth=1
	s_andn2_saveexec_b64 s[12:13], s[12:13]
	s_cbranch_execz .LBB138_326
; %bb.317:                              ;   in Loop: Header=BB138_201 Depth=1
	v_cmp_nlt_f32_e64 s[14:15], |v3|, s26
                                        ; implicit-def: $vgpr10
                                        ; implicit-def: $vgpr11
	s_and_saveexec_b64 s[0:1], s[14:15]
	s_xor_b64 s[16:17], exec, s[0:1]
	s_cbranch_execz .LBB138_319
; %bb.318:                              ;   in Loop: Header=BB138_201 Depth=1
	v_and_b32_e32 v10, 0x7fffff, v12
	v_or_b32_e32 v30, 0x800000, v10
	v_mad_u64_u32 v[10:11], s[0:1], v30, s27, 0
	v_mov_b32_e32 v14, v11
	v_mad_u64_u32 v[13:14], s[0:1], v30, s28, v[14:15]
	v_lshrrev_b32_e32 v11, 23, v12
	v_add_u32_e32 v11, 0xffffff88, v11
	v_mad_u64_u32 v[25:26], s[0:1], v30, s29, v[14:15]
	v_cmp_lt_u32_e32 vcc, 63, v11
	v_mov_b32_e32 v14, v26
	v_mad_u64_u32 v[26:27], s[0:1], v30, s30, v[14:15]
	v_cndmask_b32_e32 v10, v25, v10, vcc
	v_mov_b32_e32 v14, v27
	v_mad_u64_u32 v[27:28], s[0:1], v30, s31, v[14:15]
	v_cndmask_b32_e32 v14, 0, v21, vcc
	v_add_u32_e32 v11, v14, v11
	v_mov_b32_e32 v14, v28
	v_mad_u64_u32 v[28:29], s[0:1], v30, s33, v[14:15]
	v_cmp_lt_u32_e64 s[0:1], 31, v11
	v_cndmask_b32_e64 v14, 0, v22, s[0:1]
	v_add_u32_e32 v11, v14, v11
	v_mov_b32_e32 v14, v29
	v_mad_u64_u32 v[29:30], s[2:3], v30, s34, v[14:15]
	v_cmp_lt_u32_e64 s[2:3], 31, v11
	v_cndmask_b32_e64 v14, 0, v22, s[2:3]
	v_add_u32_e32 v11, v14, v11
	v_cndmask_b32_e32 v14, v28, v26, vcc
	v_cndmask_b32_e32 v29, v29, v27, vcc
	;; [unrolled: 1-line block ×4, first 2 shown]
	v_cndmask_b32_e64 v30, v29, v14, s[0:1]
	v_cndmask_b32_e64 v28, v28, v29, s[0:1]
	;; [unrolled: 1-line block ×5, first 2 shown]
	v_sub_u32_e32 v30, 32, v11
	v_cmp_eq_u32_e64 s[4:5], 0, v11
	v_cndmask_b32_e32 v11, v26, v13, vcc
	v_cndmask_b32_e64 v13, v27, v11, s[0:1]
	v_alignbit_b32 v31, v28, v29, v30
	v_cndmask_b32_e64 v14, v14, v13, s[2:3]
	v_cndmask_b32_e64 v28, v31, v28, s[4:5]
	v_alignbit_b32 v26, v29, v14, v30
	v_cndmask_b32_e64 v26, v26, v29, s[4:5]
	v_bfe_u32 v31, v28, 29, 1
	v_cndmask_b32_e64 v10, v11, v10, s[0:1]
	v_alignbit_b32 v27, v28, v26, 30
	v_sub_u32_e32 v32, 0, v31
	v_cndmask_b32_e64 v10, v13, v10, s[2:3]
	v_xor_b32_e32 v27, v27, v32
	v_alignbit_b32 v11, v14, v10, v30
	v_cndmask_b32_e64 v11, v11, v14, s[4:5]
	v_ffbh_u32_e32 v14, v27
	v_alignbit_b32 v13, v26, v11, 30
	v_min_u32_e32 v14, 32, v14
	v_alignbit_b32 v10, v11, v10, 30
	v_xor_b32_e32 v13, v13, v32
	v_sub_u32_e32 v25, 31, v14
	v_xor_b32_e32 v10, v10, v32
	v_alignbit_b32 v26, v27, v13, v25
	v_alignbit_b32 v10, v13, v10, v25
	;; [unrolled: 1-line block ×3, first 2 shown]
	v_ffbh_u32_e32 v13, v11
	v_min_u32_e32 v13, 32, v13
	v_lshrrev_b32_e32 v29, 29, v28
	v_not_b32_e32 v25, v13
	v_alignbit_b32 v10, v11, v10, v25
	v_lshlrev_b32_e32 v11, 31, v29
	v_or_b32_e32 v25, 0x33000000, v11
	v_add_lshl_u32 v13, v13, v14, 23
	v_lshrrev_b32_e32 v10, 9, v10
	v_sub_u32_e32 v13, v25, v13
	v_or_b32_e32 v11, 0.5, v11
	v_lshlrev_b32_e32 v14, 23, v14
	v_or_b32_e32 v10, v13, v10
	v_lshrrev_b32_e32 v13, 9, v26
	v_sub_u32_e32 v11, v11, v14
	v_or_b32_e32 v11, v13, v11
	v_mul_f32_e32 v13, 0x3fc90fda, v11
	v_fma_f32 v14, v11, s35, -v13
	v_fmac_f32_e32 v14, 0x33a22168, v11
	v_fmac_f32_e32 v14, 0x3fc90fda, v10
	v_lshrrev_b32_e32 v10, 30, v28
	v_add_f32_e32 v11, v13, v14
	v_add_u32_e32 v10, v31, v10
	s_andn2_saveexec_b64 s[0:1], s[16:17]
	s_branch .LBB138_320
.LBB138_319:                            ;   in Loop: Header=BB138_201 Depth=1
	s_andn2_saveexec_b64 s[0:1], s[16:17]
.LBB138_320:                            ;   in Loop: Header=BB138_201 Depth=1
	v_mul_f32_e64 v10, |v3|, s36
	v_rndne_f32_e32 v13, v10
	v_cvt_i32_f32_e32 v10, v13
	v_fma_f32 v11, v13, s37, |v3|
	v_fmac_f32_e32 v11, 0xb3a22168, v13
	v_fmac_f32_e32 v11, 0xa7c234c4, v13
; %bb.321:                              ;   in Loop: Header=BB138_201 Depth=1
	s_or_b64 exec, exec, s[0:1]
                                        ; implicit-def: $vgpr13
                                        ; implicit-def: $vgpr14
	s_and_saveexec_b64 s[0:1], s[14:15]
	s_xor_b64 s[14:15], exec, s[0:1]
	s_cbranch_execz .LBB138_323
; %bb.322:                              ;   in Loop: Header=BB138_201 Depth=1
	v_and_b32_e32 v13, 0x7fffff, v12
	v_or_b32_e32 v31, 0x800000, v13
	v_mad_u64_u32 v[13:14], s[0:1], v31, s27, 0
	v_mad_u64_u32 v[25:26], s[0:1], v31, s28, v[14:15]
	v_mov_b32_e32 v14, v26
	v_mad_u64_u32 v[26:27], s[0:1], v31, s29, v[14:15]
	v_mov_b32_e32 v14, v27
	v_mad_u64_u32 v[27:28], s[0:1], v31, s30, v[14:15]
	v_lshrrev_b32_e32 v14, 23, v12
	v_add_u32_e32 v30, 0xffffff88, v14
	v_mov_b32_e32 v14, v28
	v_mad_u64_u32 v[28:29], s[0:1], v31, s31, v[14:15]
	v_cmp_lt_u32_e32 vcc, 63, v30
	v_cndmask_b32_e32 v14, 0, v21, vcc
	v_add_u32_e32 v32, v14, v30
	v_mov_b32_e32 v14, v29
	v_mad_u64_u32 v[29:30], s[0:1], v31, s33, v[14:15]
	v_cmp_lt_u32_e64 s[0:1], 31, v32
	v_cndmask_b32_e64 v14, 0, v22, s[0:1]
	v_add_u32_e32 v32, v14, v32
	v_mov_b32_e32 v14, v30
	v_mad_u64_u32 v[30:31], s[2:3], v31, s34, v[14:15]
	v_cmp_lt_u32_e64 s[2:3], 31, v32
	v_cndmask_b32_e64 v14, 0, v22, s[2:3]
	v_add_u32_e32 v14, v14, v32
	v_cndmask_b32_e32 v32, v29, v27, vcc
	v_cndmask_b32_e32 v30, v30, v28, vcc
	;; [unrolled: 1-line block ×4, first 2 shown]
	v_cndmask_b32_e64 v31, v30, v32, s[0:1]
	v_cndmask_b32_e64 v29, v29, v30, s[0:1]
	;; [unrolled: 1-line block ×3, first 2 shown]
	v_sub_u32_e32 v32, 32, v14
	v_cmp_eq_u32_e64 s[4:5], 0, v14
	v_cndmask_b32_e32 v14, v27, v25, vcc
	v_cndmask_b32_e64 v29, v29, v31, s[2:3]
	v_cndmask_b32_e64 v31, v31, v30, s[2:3]
	;; [unrolled: 1-line block ×3, first 2 shown]
	v_alignbit_b32 v33, v29, v31, v32
	v_cndmask_b32_e64 v27, v30, v25, s[2:3]
	v_cndmask_b32_e64 v29, v33, v29, s[4:5]
	v_alignbit_b32 v28, v31, v27, v32
	v_cndmask_b32_e32 v13, v26, v13, vcc
	v_cndmask_b32_e64 v28, v28, v31, s[4:5]
	v_bfe_u32 v33, v29, 29, 1
	v_cndmask_b32_e64 v13, v14, v13, s[0:1]
	v_alignbit_b32 v30, v29, v28, 30
	v_sub_u32_e32 v34, 0, v33
	v_cndmask_b32_e64 v13, v25, v13, s[2:3]
	v_xor_b32_e32 v30, v30, v34
	v_alignbit_b32 v14, v27, v13, v32
	v_cndmask_b32_e64 v14, v14, v27, s[4:5]
	v_ffbh_u32_e32 v26, v30
	v_alignbit_b32 v25, v28, v14, 30
	v_min_u32_e32 v26, 32, v26
	v_alignbit_b32 v13, v14, v13, 30
	v_xor_b32_e32 v25, v25, v34
	v_sub_u32_e32 v27, 31, v26
	v_xor_b32_e32 v13, v13, v34
	v_alignbit_b32 v28, v30, v25, v27
	v_alignbit_b32 v13, v25, v13, v27
	v_alignbit_b32 v14, v28, v13, 9
	v_ffbh_u32_e32 v25, v14
	v_min_u32_e32 v25, 32, v25
	v_lshrrev_b32_e32 v31, 29, v29
	v_not_b32_e32 v27, v25
	v_alignbit_b32 v13, v14, v13, v27
	v_lshlrev_b32_e32 v14, 31, v31
	v_or_b32_e32 v27, 0x33000000, v14
	v_add_lshl_u32 v25, v25, v26, 23
	v_lshrrev_b32_e32 v13, 9, v13
	v_sub_u32_e32 v25, v27, v25
	v_or_b32_e32 v14, 0.5, v14
	v_lshlrev_b32_e32 v26, 23, v26
	v_or_b32_e32 v13, v25, v13
	v_lshrrev_b32_e32 v25, 9, v28
	v_sub_u32_e32 v14, v14, v26
	v_or_b32_e32 v14, v25, v14
	v_mul_f32_e32 v25, 0x3fc90fda, v14
	v_fma_f32 v26, v14, s35, -v25
	v_fmac_f32_e32 v26, 0x33a22168, v14
	v_fmac_f32_e32 v26, 0x3fc90fda, v13
	v_lshrrev_b32_e32 v13, 30, v29
	v_add_f32_e32 v14, v25, v26
	v_add_u32_e32 v13, v33, v13
	s_andn2_saveexec_b64 s[0:1], s[14:15]
	s_cbranch_execnz .LBB138_324
	s_branch .LBB138_325
.LBB138_323:                            ;   in Loop: Header=BB138_201 Depth=1
	s_andn2_saveexec_b64 s[0:1], s[14:15]
.LBB138_324:                            ;   in Loop: Header=BB138_201 Depth=1
	v_mul_f32_e64 v13, |v3|, s36
	v_rndne_f32_e32 v25, v13
	v_cvt_i32_f32_e32 v13, v25
	v_fma_f32 v14, v25, s37, |v3|
	v_fmac_f32_e32 v14, 0xb3a22168, v25
	v_fmac_f32_e32 v14, 0xa7c234c4, v25
.LBB138_325:                            ;   in Loop: Header=BB138_201 Depth=1
	s_or_b64 exec, exec, s[0:1]
	v_mul_f32_e32 v25, v11, v11
	v_mov_b32_e32 v26, 0x3c0881c4
	v_fmac_f32_e32 v26, 0xb94c1982, v25
	v_fma_f32 v26, v25, v26, v18
	v_mul_f32_e32 v26, v25, v26
	v_fmac_f32_e32 v11, v11, v26
	v_mov_b32_e32 v26, 0xbab64f3b
	v_fmac_f32_e32 v26, 0x37d75334, v25
	v_fma_f32 v26, v25, v26, v19
	v_fma_f32 v26, v25, v26, v20
	v_fma_f32 v25, v25, v26, 1.0
	v_and_b32_e32 v26, 1, v10
	v_cmp_eq_u32_e32 vcc, 0, v26
	v_lshlrev_b32_e32 v10, 30, v10
	v_cndmask_b32_e64 v11, -v11, v25, vcc
	v_and_b32_e32 v10, 0x80000000, v10
	v_xor_b32_e32 v10, v10, v11
	v_mul_f32_e32 v11, v14, v14
	v_mov_b32_e32 v25, 0x3c0881c4
	v_fmac_f32_e32 v25, 0xb94c1982, v11
	v_fma_f32 v25, v11, v25, v18
	v_mul_f32_e32 v25, v11, v25
	v_fmac_f32_e32 v14, v14, v25
	v_mov_b32_e32 v25, 0xbab64f3b
	v_fmac_f32_e32 v25, 0x37d75334, v11
	v_fma_f32 v25, v11, v25, v19
	v_fma_f32 v25, v11, v25, v20
	v_fma_f32 v11, v11, v25, 1.0
	v_and_b32_e32 v25, 1, v13
	v_cmp_eq_u32_e64 s[0:1], 0, v25
	v_lshlrev_b32_e32 v13, 30, v13
	v_cndmask_b32_e64 v11, v11, v14, s[0:1]
	v_and_or_b32 v12, v13, s41, v12
	v_xor_b32_e32 v11, v12, v11
	v_cmp_class_f32_e64 vcc, v3, s42
	v_xor_b32_e32 v3, v11, v3
	v_cndmask_b32_e32 v10, v24, v10, vcc
	v_cndmask_b32_e32 v11, v24, v3, vcc
.LBB138_326:                            ;   in Loop: Header=BB138_201 Depth=1
	s_or_b64 exec, exec, s[12:13]
.LBB138_327:                            ;   in Loop: Header=BB138_201 Depth=1
	s_andn2_saveexec_b64 s[0:1], s[10:11]
	s_cbranch_execz .LBB138_329
; %bb.328:                              ;   in Loop: Header=BB138_201 Depth=1
	v_mul_f32_e32 v10, 0x3fb8aa3b, v2
	v_rndne_f32_e32 v11, v10
	v_sub_f32_e32 v12, v10, v11
	v_fma_f32 v10, v2, s38, -v10
	v_fmac_f32_e32 v10, 0x32a5705f, v2
	v_add_f32_e32 v10, v12, v10
	v_cvt_i32_f32_e32 v11, v11
	v_exp_f32_e32 v10, v10
	v_cmp_ngt_f32_e32 vcc, s39, v2
	v_ldexp_f32 v10, v10, v11
	v_cndmask_b32_e32 v10, 0, v10, vcc
	v_cmp_nlt_f32_e32 vcc, s40, v2
	v_cndmask_b32_e32 v10, v23, v10, vcc
	v_mov_b32_e32 v11, v3
.LBB138_329:                            ;   in Loop: Header=BB138_201 Depth=1
	s_or_b64 exec, exec, s[0:1]
	v_and_b32_e32 v2, 0x7fffffff, v5
	v_cmp_ne_u32_e32 vcc, 0, v2
	s_and_saveexec_b64 s[0:1], vcc
	s_xor_b64 s[10:11], exec, s[0:1]
	s_cbranch_execz .LBB138_371
; %bb.330:                              ;   in Loop: Header=BB138_201 Depth=1
	v_and_b32_e32 v3, 0x7fffffff, v4
	v_cmp_ne_u32_e32 vcc, 0, v3
	s_and_saveexec_b64 s[0:1], vcc
	s_xor_b64 s[12:13], exec, s[0:1]
	s_cbranch_execz .LBB138_360
; %bb.331:                              ;   in Loop: Header=BB138_201 Depth=1
	v_cmp_gt_u32_e32 vcc, s24, v2
	s_and_saveexec_b64 s[0:1], vcc
	s_xor_b64 s[14:15], exec, s[0:1]
	s_cbranch_execz .LBB138_353
; %bb.332:                              ;   in Loop: Header=BB138_201 Depth=1
	v_add_u32_e32 v3, 0xbd4e8de8, v4
	v_cmp_lt_u32_e32 vcc, s25, v3
	s_and_saveexec_b64 s[0:1], vcc
	s_xor_b64 s[16:17], exec, s[0:1]
	s_cbranch_execz .LBB138_342
; %bb.333:                              ;   in Loop: Header=BB138_201 Depth=1
	v_cmp_nlt_f32_e64 s[18:19], |v5|, s26
                                        ; implicit-def: $vgpr3
                                        ; implicit-def: $vgpr12
	s_and_saveexec_b64 s[0:1], s[18:19]
	s_xor_b64 s[20:21], exec, s[0:1]
	s_cbranch_execz .LBB138_335
; %bb.334:                              ;   in Loop: Header=BB138_201 Depth=1
	v_and_b32_e32 v3, 0x7fffff, v2
	v_or_b32_e32 v3, 0x800000, v3
	v_mad_u64_u32 v[12:13], s[0:1], v3, s27, 0
	v_mov_b32_e32 v14, v13
	v_mad_u64_u32 v[13:14], s[0:1], v3, s28, v[14:15]
	v_mad_u64_u32 v[25:26], s[0:1], v3, s29, v[14:15]
	v_mov_b32_e32 v14, v26
	v_mad_u64_u32 v[26:27], s[0:1], v3, s30, v[14:15]
	v_lshrrev_b32_e32 v14, 23, v2
	v_add_u32_e32 v29, 0xffffff88, v14
	v_mov_b32_e32 v14, v27
	v_mad_u64_u32 v[27:28], s[0:1], v3, s31, v[14:15]
	v_cmp_lt_u32_e32 vcc, 63, v29
	v_cndmask_b32_e32 v14, 0, v21, vcc
	v_add_u32_e32 v30, v14, v29
	v_mov_b32_e32 v14, v28
	v_mad_u64_u32 v[28:29], s[0:1], v3, s33, v[14:15]
	v_cmp_lt_u32_e64 s[0:1], 31, v30
	v_cndmask_b32_e64 v14, 0, v22, s[0:1]
	v_add_u32_e32 v31, v14, v30
	v_mov_b32_e32 v14, v29
	v_mad_u64_u32 v[29:30], s[2:3], v3, s34, v[14:15]
	v_cmp_lt_u32_e64 s[2:3], 31, v31
	v_cndmask_b32_e64 v3, 0, v22, s[2:3]
	v_cndmask_b32_e32 v14, v28, v26, vcc
	v_cndmask_b32_e32 v29, v29, v27, vcc
	;; [unrolled: 1-line block ×4, first 2 shown]
	v_add_u32_e32 v3, v3, v31
	v_cndmask_b32_e64 v30, v29, v14, s[0:1]
	v_cndmask_b32_e64 v28, v28, v29, s[0:1]
	;; [unrolled: 1-line block ×3, first 2 shown]
	v_cndmask_b32_e32 v13, v26, v13, vcc
	v_cndmask_b32_e64 v28, v28, v30, s[2:3]
	v_cndmask_b32_e64 v29, v30, v14, s[2:3]
	v_sub_u32_e32 v30, 32, v3
	v_cndmask_b32_e64 v26, v27, v13, s[0:1]
	v_alignbit_b32 v31, v28, v29, v30
	v_cmp_eq_u32_e64 s[4:5], 0, v3
	v_cndmask_b32_e64 v14, v14, v26, s[2:3]
	v_cndmask_b32_e64 v3, v31, v28, s[4:5]
	v_alignbit_b32 v27, v29, v14, v30
	v_cndmask_b32_e32 v12, v25, v12, vcc
	v_cndmask_b32_e64 v27, v27, v29, s[4:5]
	v_bfe_u32 v31, v3, 29, 1
	v_cndmask_b32_e64 v12, v13, v12, s[0:1]
	v_alignbit_b32 v28, v3, v27, 30
	v_sub_u32_e32 v32, 0, v31
	v_cndmask_b32_e64 v12, v26, v12, s[2:3]
	v_xor_b32_e32 v28, v28, v32
	v_alignbit_b32 v13, v14, v12, v30
	v_cndmask_b32_e64 v13, v13, v14, s[4:5]
	v_ffbh_u32_e32 v25, v28
	v_alignbit_b32 v14, v27, v13, 30
	v_min_u32_e32 v25, 32, v25
	v_alignbit_b32 v12, v13, v12, 30
	v_xor_b32_e32 v14, v14, v32
	v_sub_u32_e32 v26, 31, v25
	v_xor_b32_e32 v12, v12, v32
	v_alignbit_b32 v27, v28, v14, v26
	v_alignbit_b32 v12, v14, v12, v26
	;; [unrolled: 1-line block ×3, first 2 shown]
	v_ffbh_u32_e32 v14, v13
	v_min_u32_e32 v14, 32, v14
	v_lshrrev_b32_e32 v29, 29, v3
	v_not_b32_e32 v26, v14
	v_alignbit_b32 v12, v13, v12, v26
	v_lshlrev_b32_e32 v13, 31, v29
	v_or_b32_e32 v26, 0x33000000, v13
	v_add_lshl_u32 v14, v14, v25, 23
	v_lshrrev_b32_e32 v12, 9, v12
	v_sub_u32_e32 v14, v26, v14
	v_or_b32_e32 v13, 0.5, v13
	v_lshlrev_b32_e32 v25, 23, v25
	v_or_b32_e32 v12, v14, v12
	v_lshrrev_b32_e32 v14, 9, v27
	v_sub_u32_e32 v13, v13, v25
	v_or_b32_e32 v13, v14, v13
	v_mul_f32_e32 v14, 0x3fc90fda, v13
	v_fma_f32 v25, v13, s35, -v14
	v_fmac_f32_e32 v25, 0x33a22168, v13
	v_fmac_f32_e32 v25, 0x3fc90fda, v12
	v_lshrrev_b32_e32 v3, 30, v3
	v_add_f32_e32 v12, v14, v25
	v_add_u32_e32 v3, v31, v3
	s_andn2_saveexec_b64 s[0:1], s[20:21]
	s_branch .LBB138_336
.LBB138_335:                            ;   in Loop: Header=BB138_201 Depth=1
	s_andn2_saveexec_b64 s[0:1], s[20:21]
.LBB138_336:                            ;   in Loop: Header=BB138_201 Depth=1
	v_mul_f32_e64 v3, |v5|, s36
	v_rndne_f32_e32 v13, v3
	v_cvt_i32_f32_e32 v3, v13
	v_fma_f32 v12, v13, s37, |v5|
	v_fmac_f32_e32 v12, 0xb3a22168, v13
	v_fmac_f32_e32 v12, 0xa7c234c4, v13
; %bb.337:                              ;   in Loop: Header=BB138_201 Depth=1
	s_or_b64 exec, exec, s[0:1]
                                        ; implicit-def: $vgpr13
                                        ; implicit-def: $vgpr14
	s_and_saveexec_b64 s[0:1], s[18:19]
	s_xor_b64 s[18:19], exec, s[0:1]
	s_cbranch_execz .LBB138_339
; %bb.338:                              ;   in Loop: Header=BB138_201 Depth=1
	v_and_b32_e32 v13, 0x7fffff, v2
	v_or_b32_e32 v31, 0x800000, v13
	v_mad_u64_u32 v[13:14], s[0:1], v31, s27, 0
	v_mad_u64_u32 v[25:26], s[0:1], v31, s28, v[14:15]
	v_mov_b32_e32 v14, v26
	v_mad_u64_u32 v[26:27], s[0:1], v31, s29, v[14:15]
	v_mov_b32_e32 v14, v27
	v_mad_u64_u32 v[27:28], s[0:1], v31, s30, v[14:15]
	v_lshrrev_b32_e32 v14, 23, v2
	v_add_u32_e32 v30, 0xffffff88, v14
	v_mov_b32_e32 v14, v28
	v_mad_u64_u32 v[28:29], s[0:1], v31, s31, v[14:15]
	v_cmp_lt_u32_e32 vcc, 63, v30
	v_cndmask_b32_e32 v14, 0, v21, vcc
	v_add_u32_e32 v32, v14, v30
	v_mov_b32_e32 v14, v29
	v_mad_u64_u32 v[29:30], s[0:1], v31, s33, v[14:15]
	v_cmp_lt_u32_e64 s[0:1], 31, v32
	v_cndmask_b32_e64 v14, 0, v22, s[0:1]
	v_add_u32_e32 v32, v14, v32
	v_mov_b32_e32 v14, v30
	v_mad_u64_u32 v[30:31], s[2:3], v31, s34, v[14:15]
	v_cmp_lt_u32_e64 s[2:3], 31, v32
	v_cndmask_b32_e64 v14, 0, v22, s[2:3]
	v_add_u32_e32 v14, v14, v32
	v_cndmask_b32_e32 v32, v29, v27, vcc
	v_cndmask_b32_e32 v30, v30, v28, vcc
	v_cndmask_b32_e32 v29, v31, v29, vcc
	v_cndmask_b32_e32 v28, v28, v26, vcc
	v_cndmask_b32_e64 v31, v30, v32, s[0:1]
	v_cndmask_b32_e64 v29, v29, v30, s[0:1]
	;; [unrolled: 1-line block ×3, first 2 shown]
	v_sub_u32_e32 v32, 32, v14
	v_cmp_eq_u32_e64 s[4:5], 0, v14
	v_cndmask_b32_e32 v14, v27, v25, vcc
	v_cndmask_b32_e64 v29, v29, v31, s[2:3]
	v_cndmask_b32_e64 v31, v31, v30, s[2:3]
	;; [unrolled: 1-line block ×3, first 2 shown]
	v_alignbit_b32 v33, v29, v31, v32
	v_cndmask_b32_e64 v27, v30, v25, s[2:3]
	v_cndmask_b32_e64 v29, v33, v29, s[4:5]
	v_alignbit_b32 v28, v31, v27, v32
	v_cndmask_b32_e32 v13, v26, v13, vcc
	v_cndmask_b32_e64 v28, v28, v31, s[4:5]
	v_bfe_u32 v33, v29, 29, 1
	v_cndmask_b32_e64 v13, v14, v13, s[0:1]
	v_alignbit_b32 v30, v29, v28, 30
	v_sub_u32_e32 v34, 0, v33
	v_cndmask_b32_e64 v13, v25, v13, s[2:3]
	v_xor_b32_e32 v30, v30, v34
	v_alignbit_b32 v14, v27, v13, v32
	v_cndmask_b32_e64 v14, v14, v27, s[4:5]
	v_ffbh_u32_e32 v26, v30
	v_alignbit_b32 v25, v28, v14, 30
	v_min_u32_e32 v26, 32, v26
	v_alignbit_b32 v13, v14, v13, 30
	v_xor_b32_e32 v25, v25, v34
	v_sub_u32_e32 v27, 31, v26
	v_xor_b32_e32 v13, v13, v34
	v_alignbit_b32 v28, v30, v25, v27
	v_alignbit_b32 v13, v25, v13, v27
	;; [unrolled: 1-line block ×3, first 2 shown]
	v_ffbh_u32_e32 v25, v14
	v_min_u32_e32 v25, 32, v25
	v_lshrrev_b32_e32 v31, 29, v29
	v_not_b32_e32 v27, v25
	v_alignbit_b32 v13, v14, v13, v27
	v_lshlrev_b32_e32 v14, 31, v31
	v_or_b32_e32 v27, 0x33000000, v14
	v_add_lshl_u32 v25, v25, v26, 23
	v_lshrrev_b32_e32 v13, 9, v13
	v_sub_u32_e32 v25, v27, v25
	v_or_b32_e32 v14, 0.5, v14
	v_lshlrev_b32_e32 v26, 23, v26
	v_or_b32_e32 v13, v25, v13
	v_lshrrev_b32_e32 v25, 9, v28
	v_sub_u32_e32 v14, v14, v26
	v_or_b32_e32 v14, v25, v14
	v_mul_f32_e32 v25, 0x3fc90fda, v14
	v_fma_f32 v26, v14, s35, -v25
	v_fmac_f32_e32 v26, 0x33a22168, v14
	v_fmac_f32_e32 v26, 0x3fc90fda, v13
	v_lshrrev_b32_e32 v13, 30, v29
	v_add_f32_e32 v14, v25, v26
	v_add_u32_e32 v13, v33, v13
	s_andn2_saveexec_b64 s[0:1], s[18:19]
	s_cbranch_execnz .LBB138_340
	s_branch .LBB138_341
.LBB138_339:                            ;   in Loop: Header=BB138_201 Depth=1
	s_andn2_saveexec_b64 s[0:1], s[18:19]
.LBB138_340:                            ;   in Loop: Header=BB138_201 Depth=1
	v_mul_f32_e64 v13, |v5|, s36
	v_rndne_f32_e32 v25, v13
	v_cvt_i32_f32_e32 v13, v25
	v_fma_f32 v14, v25, s37, |v5|
	v_fmac_f32_e32 v14, 0xb3a22168, v25
	v_fmac_f32_e32 v14, 0xa7c234c4, v25
.LBB138_341:                            ;   in Loop: Header=BB138_201 Depth=1
	s_or_b64 exec, exec, s[0:1]
	v_mul_f32_e32 v25, 0x3fb8aa3b, v4
	v_rndne_f32_e32 v26, v25
	v_sub_f32_e32 v27, v25, v26
	v_fma_f32 v25, v4, s38, -v25
	v_fmac_f32_e32 v25, 0x32a5705f, v4
	v_add_f32_e32 v25, v27, v25
	v_cvt_i32_f32_e32 v26, v26
	v_exp_f32_e32 v25, v25
	v_cmp_ngt_f32_e32 vcc, s39, v4
	v_ldexp_f32 v25, v25, v26
	v_cndmask_b32_e32 v25, 0, v25, vcc
	v_cmp_nlt_f32_e32 vcc, s40, v4
	v_cndmask_b32_e32 v4, v23, v25, vcc
	v_mul_f32_e32 v25, v12, v12
	v_mov_b32_e32 v26, 0x3c0881c4
	v_fmac_f32_e32 v26, 0xb94c1982, v25
	v_fma_f32 v26, v25, v26, v18
	v_mul_f32_e32 v26, v25, v26
	v_fmac_f32_e32 v12, v12, v26
	v_mov_b32_e32 v26, 0xbab64f3b
	v_fmac_f32_e32 v26, 0x37d75334, v25
	v_fma_f32 v26, v25, v26, v19
	v_fma_f32 v26, v25, v26, v20
	v_fma_f32 v25, v25, v26, 1.0
	v_and_b32_e32 v26, 1, v3
	v_cmp_eq_u32_e32 vcc, 0, v26
	v_lshlrev_b32_e32 v3, 30, v3
	v_cndmask_b32_e64 v12, -v12, v25, vcc
	v_and_b32_e32 v3, 0x80000000, v3
	v_xor_b32_e32 v3, v3, v12
	v_cmp_class_f32_e64 vcc, v5, s42
	v_cndmask_b32_e32 v3, v24, v3, vcc
	v_mul_f32_e32 v12, v4, v3
	v_mul_f32_e32 v3, v14, v14
	v_mov_b32_e32 v25, 0x3c0881c4
	v_fmac_f32_e32 v25, 0xb94c1982, v3
	v_fma_f32 v25, v3, v25, v18
	v_mul_f32_e32 v25, v3, v25
	v_fmac_f32_e32 v14, v14, v25
	v_mov_b32_e32 v25, 0xbab64f3b
	v_fmac_f32_e32 v25, 0x37d75334, v3
	v_fma_f32 v25, v3, v25, v19
	v_fma_f32 v25, v3, v25, v20
	v_fma_f32 v3, v3, v25, 1.0
	v_and_b32_e32 v25, 1, v13
	v_cmp_eq_u32_e64 s[0:1], 0, v25
	v_lshlrev_b32_e32 v13, 30, v13
	v_cndmask_b32_e64 v3, v3, v14, s[0:1]
	v_and_or_b32 v2, v13, s41, v2
	v_xor_b32_e32 v2, v2, v3
	v_xor_b32_e32 v2, v2, v5
	v_cndmask_b32_e32 v2, v24, v2, vcc
	v_mul_f32_e32 v13, v4, v2
                                        ; implicit-def: $vgpr2_vgpr3_vgpr4_vgpr5
                                        ; implicit-def: $vgpr2
.LBB138_342:                            ;   in Loop: Header=BB138_201 Depth=1
	s_andn2_saveexec_b64 s[16:17], s[16:17]
	s_cbranch_execz .LBB138_352
; %bb.343:                              ;   in Loop: Header=BB138_201 Depth=1
	v_cmp_nlt_f32_e64 s[18:19], |v5|, s26
                                        ; implicit-def: $vgpr12
                                        ; implicit-def: $vgpr3
	s_and_saveexec_b64 s[0:1], s[18:19]
	s_xor_b64 s[20:21], exec, s[0:1]
	s_cbranch_execz .LBB138_345
; %bb.344:                              ;   in Loop: Header=BB138_201 Depth=1
	v_and_b32_e32 v3, 0x7fffff, v2
	v_or_b32_e32 v3, 0x800000, v3
	v_mad_u64_u32 v[12:13], s[0:1], v3, s27, 0
	v_mov_b32_e32 v14, v13
	v_mad_u64_u32 v[13:14], s[0:1], v3, s28, v[14:15]
	v_mad_u64_u32 v[25:26], s[0:1], v3, s29, v[14:15]
	v_mov_b32_e32 v14, v26
	v_mad_u64_u32 v[26:27], s[0:1], v3, s30, v[14:15]
	v_lshrrev_b32_e32 v14, 23, v2
	v_add_u32_e32 v29, 0xffffff88, v14
	v_mov_b32_e32 v14, v27
	v_mad_u64_u32 v[27:28], s[0:1], v3, s31, v[14:15]
	v_cmp_lt_u32_e32 vcc, 63, v29
	v_cndmask_b32_e32 v14, 0, v21, vcc
	v_add_u32_e32 v30, v14, v29
	v_mov_b32_e32 v14, v28
	v_mad_u64_u32 v[28:29], s[0:1], v3, s33, v[14:15]
	v_cmp_lt_u32_e64 s[0:1], 31, v30
	v_cndmask_b32_e64 v14, 0, v22, s[0:1]
	v_add_u32_e32 v31, v14, v30
	v_mov_b32_e32 v14, v29
	v_mad_u64_u32 v[29:30], s[2:3], v3, s34, v[14:15]
	v_cmp_lt_u32_e64 s[2:3], 31, v31
	v_cndmask_b32_e64 v3, 0, v22, s[2:3]
	v_cndmask_b32_e32 v14, v28, v26, vcc
	v_cndmask_b32_e32 v29, v29, v27, vcc
	;; [unrolled: 1-line block ×4, first 2 shown]
	v_add_u32_e32 v3, v3, v31
	v_cndmask_b32_e64 v30, v29, v14, s[0:1]
	v_cndmask_b32_e64 v28, v28, v29, s[0:1]
	v_cndmask_b32_e64 v14, v14, v27, s[0:1]
	v_cndmask_b32_e64 v28, v28, v30, s[2:3]
	v_cndmask_b32_e64 v29, v30, v14, s[2:3]
	v_sub_u32_e32 v30, 32, v3
	v_cmp_eq_u32_e64 s[4:5], 0, v3
	v_cndmask_b32_e32 v3, v26, v13, vcc
	v_cndmask_b32_e64 v13, v27, v3, s[0:1]
	v_alignbit_b32 v31, v28, v29, v30
	v_cndmask_b32_e64 v14, v14, v13, s[2:3]
	v_cndmask_b32_e64 v28, v31, v28, s[4:5]
	v_alignbit_b32 v26, v29, v14, v30
	v_cndmask_b32_e32 v12, v25, v12, vcc
	v_cndmask_b32_e64 v26, v26, v29, s[4:5]
	v_bfe_u32 v31, v28, 29, 1
	v_cndmask_b32_e64 v3, v3, v12, s[0:1]
	v_alignbit_b32 v27, v28, v26, 30
	v_sub_u32_e32 v32, 0, v31
	v_cndmask_b32_e64 v3, v13, v3, s[2:3]
	v_xor_b32_e32 v27, v27, v32
	v_alignbit_b32 v12, v14, v3, v30
	v_cndmask_b32_e64 v12, v12, v14, s[4:5]
	v_ffbh_u32_e32 v14, v27
	v_alignbit_b32 v13, v26, v12, 30
	v_min_u32_e32 v14, 32, v14
	v_alignbit_b32 v3, v12, v3, 30
	v_xor_b32_e32 v13, v13, v32
	v_sub_u32_e32 v25, 31, v14
	v_xor_b32_e32 v3, v3, v32
	v_alignbit_b32 v26, v27, v13, v25
	v_alignbit_b32 v3, v13, v3, v25
	;; [unrolled: 1-line block ×3, first 2 shown]
	v_ffbh_u32_e32 v13, v12
	v_min_u32_e32 v13, 32, v13
	v_lshrrev_b32_e32 v29, 29, v28
	v_not_b32_e32 v25, v13
	v_alignbit_b32 v3, v12, v3, v25
	v_lshlrev_b32_e32 v12, 31, v29
	v_or_b32_e32 v25, 0x33000000, v12
	v_add_lshl_u32 v13, v13, v14, 23
	v_lshrrev_b32_e32 v3, 9, v3
	v_sub_u32_e32 v13, v25, v13
	v_or_b32_e32 v12, 0.5, v12
	v_lshlrev_b32_e32 v14, 23, v14
	v_or_b32_e32 v3, v13, v3
	v_lshrrev_b32_e32 v13, 9, v26
	v_sub_u32_e32 v12, v12, v14
	v_or_b32_e32 v12, v13, v12
	v_mul_f32_e32 v13, 0x3fc90fda, v12
	v_fma_f32 v14, v12, s35, -v13
	v_fmac_f32_e32 v14, 0x33a22168, v12
	v_fmac_f32_e32 v14, 0x3fc90fda, v3
	v_lshrrev_b32_e32 v12, 30, v28
	v_add_f32_e32 v3, v13, v14
	v_add_u32_e32 v12, v31, v12
	s_andn2_saveexec_b64 s[0:1], s[20:21]
	s_branch .LBB138_346
.LBB138_345:                            ;   in Loop: Header=BB138_201 Depth=1
	s_andn2_saveexec_b64 s[0:1], s[20:21]
.LBB138_346:                            ;   in Loop: Header=BB138_201 Depth=1
	v_mul_f32_e64 v3, |v5|, s36
	v_rndne_f32_e32 v13, v3
	v_cvt_i32_f32_e32 v12, v13
	v_fma_f32 v3, v13, s37, |v5|
	v_fmac_f32_e32 v3, 0xb3a22168, v13
	v_fmac_f32_e32 v3, 0xa7c234c4, v13
; %bb.347:                              ;   in Loop: Header=BB138_201 Depth=1
	s_or_b64 exec, exec, s[0:1]
                                        ; implicit-def: $vgpr13
                                        ; implicit-def: $vgpr14
	s_and_saveexec_b64 s[0:1], s[18:19]
	s_xor_b64 s[18:19], exec, s[0:1]
	s_cbranch_execz .LBB138_349
; %bb.348:                              ;   in Loop: Header=BB138_201 Depth=1
	v_and_b32_e32 v13, 0x7fffff, v2
	v_or_b32_e32 v31, 0x800000, v13
	v_mad_u64_u32 v[13:14], s[0:1], v31, s27, 0
	v_mad_u64_u32 v[25:26], s[0:1], v31, s28, v[14:15]
	v_mov_b32_e32 v14, v26
	v_mad_u64_u32 v[26:27], s[0:1], v31, s29, v[14:15]
	v_mov_b32_e32 v14, v27
	v_mad_u64_u32 v[27:28], s[0:1], v31, s30, v[14:15]
	v_lshrrev_b32_e32 v14, 23, v2
	v_add_u32_e32 v30, 0xffffff88, v14
	v_mov_b32_e32 v14, v28
	v_mad_u64_u32 v[28:29], s[0:1], v31, s31, v[14:15]
	v_cmp_lt_u32_e32 vcc, 63, v30
	v_cndmask_b32_e32 v14, 0, v21, vcc
	v_add_u32_e32 v32, v14, v30
	v_mov_b32_e32 v14, v29
	v_mad_u64_u32 v[29:30], s[0:1], v31, s33, v[14:15]
	v_cmp_lt_u32_e64 s[0:1], 31, v32
	v_cndmask_b32_e64 v14, 0, v22, s[0:1]
	v_add_u32_e32 v32, v14, v32
	v_mov_b32_e32 v14, v30
	v_mad_u64_u32 v[30:31], s[2:3], v31, s34, v[14:15]
	v_cmp_lt_u32_e64 s[2:3], 31, v32
	v_cndmask_b32_e64 v14, 0, v22, s[2:3]
	v_add_u32_e32 v14, v14, v32
	v_cndmask_b32_e32 v32, v29, v27, vcc
	v_cndmask_b32_e32 v30, v30, v28, vcc
	;; [unrolled: 1-line block ×4, first 2 shown]
	v_cndmask_b32_e64 v31, v30, v32, s[0:1]
	v_cndmask_b32_e64 v29, v29, v30, s[0:1]
	;; [unrolled: 1-line block ×3, first 2 shown]
	v_sub_u32_e32 v32, 32, v14
	v_cmp_eq_u32_e64 s[4:5], 0, v14
	v_cndmask_b32_e32 v14, v27, v25, vcc
	v_cndmask_b32_e64 v29, v29, v31, s[2:3]
	v_cndmask_b32_e64 v31, v31, v30, s[2:3]
	;; [unrolled: 1-line block ×3, first 2 shown]
	v_alignbit_b32 v33, v29, v31, v32
	v_cndmask_b32_e64 v27, v30, v25, s[2:3]
	v_cndmask_b32_e64 v29, v33, v29, s[4:5]
	v_alignbit_b32 v28, v31, v27, v32
	v_cndmask_b32_e32 v13, v26, v13, vcc
	v_cndmask_b32_e64 v28, v28, v31, s[4:5]
	v_bfe_u32 v33, v29, 29, 1
	v_cndmask_b32_e64 v13, v14, v13, s[0:1]
	v_alignbit_b32 v30, v29, v28, 30
	v_sub_u32_e32 v34, 0, v33
	v_cndmask_b32_e64 v13, v25, v13, s[2:3]
	v_xor_b32_e32 v30, v30, v34
	v_alignbit_b32 v14, v27, v13, v32
	v_cndmask_b32_e64 v14, v14, v27, s[4:5]
	v_ffbh_u32_e32 v26, v30
	v_alignbit_b32 v25, v28, v14, 30
	v_min_u32_e32 v26, 32, v26
	v_alignbit_b32 v13, v14, v13, 30
	v_xor_b32_e32 v25, v25, v34
	v_sub_u32_e32 v27, 31, v26
	v_xor_b32_e32 v13, v13, v34
	v_alignbit_b32 v28, v30, v25, v27
	v_alignbit_b32 v13, v25, v13, v27
	;; [unrolled: 1-line block ×3, first 2 shown]
	v_ffbh_u32_e32 v25, v14
	v_min_u32_e32 v25, 32, v25
	v_lshrrev_b32_e32 v31, 29, v29
	v_not_b32_e32 v27, v25
	v_alignbit_b32 v13, v14, v13, v27
	v_lshlrev_b32_e32 v14, 31, v31
	v_or_b32_e32 v27, 0x33000000, v14
	v_add_lshl_u32 v25, v25, v26, 23
	v_lshrrev_b32_e32 v13, 9, v13
	v_sub_u32_e32 v25, v27, v25
	v_or_b32_e32 v14, 0.5, v14
	v_lshlrev_b32_e32 v26, 23, v26
	v_or_b32_e32 v13, v25, v13
	v_lshrrev_b32_e32 v25, 9, v28
	v_sub_u32_e32 v14, v14, v26
	v_or_b32_e32 v14, v25, v14
	v_mul_f32_e32 v25, 0x3fc90fda, v14
	v_fma_f32 v26, v14, s35, -v25
	v_fmac_f32_e32 v26, 0x33a22168, v14
	v_fmac_f32_e32 v26, 0x3fc90fda, v13
	v_lshrrev_b32_e32 v13, 30, v29
	v_add_f32_e32 v14, v25, v26
	v_add_u32_e32 v13, v33, v13
	s_andn2_saveexec_b64 s[0:1], s[18:19]
	s_cbranch_execnz .LBB138_350
	s_branch .LBB138_351
.LBB138_349:                            ;   in Loop: Header=BB138_201 Depth=1
	s_andn2_saveexec_b64 s[0:1], s[18:19]
.LBB138_350:                            ;   in Loop: Header=BB138_201 Depth=1
	v_mul_f32_e64 v13, |v5|, s36
	v_rndne_f32_e32 v25, v13
	v_cvt_i32_f32_e32 v13, v25
	v_fma_f32 v14, v25, s37, |v5|
	v_fmac_f32_e32 v14, 0xb3a22168, v25
	v_fmac_f32_e32 v14, 0xa7c234c4, v25
.LBB138_351:                            ;   in Loop: Header=BB138_201 Depth=1
	s_or_b64 exec, exec, s[0:1]
	v_mul_f32_e32 v26, v3, v3
	v_mov_b32_e32 v27, 0xbab64f3b
	v_fmac_f32_e32 v27, 0x37d75334, v26
	v_mov_b32_e32 v28, 0x3c0881c4
	v_fma_f32 v27, v26, v27, v19
	v_fmac_f32_e32 v28, 0xb94c1982, v26
	v_fma_f32 v27, v26, v27, v20
	v_fma_f32 v28, v26, v28, v18
	v_lshlrev_b32_e32 v25, 30, v12
	v_and_b32_e32 v12, 1, v12
	v_fma_f32 v27, v26, v27, 1.0
	v_mul_f32_e32 v26, v26, v28
	v_add_f32_e32 v4, 0xc322e3bc, v4
	v_fmac_f32_e32 v3, v3, v26
	v_cmp_eq_u32_e32 vcc, 0, v12
	v_mul_f32_e32 v12, 0x3fb8aa3b, v4
	v_cndmask_b32_e64 v3, -v3, v27, vcc
	v_fma_f32 v26, v4, s38, -v12
	v_rndne_f32_e32 v27, v12
	v_fmac_f32_e32 v26, 0x32a5705f, v4
	v_sub_f32_e32 v12, v12, v27
	v_add_f32_e32 v12, v12, v26
	v_exp_f32_e32 v12, v12
	v_cvt_i32_f32_e32 v26, v27
	v_cmp_ngt_f32_e64 s[0:1], s39, v4
	v_and_b32_e32 v25, 0x80000000, v25
	v_xor_b32_e32 v3, v25, v3
	v_ldexp_f32 v12, v12, v26
	v_cndmask_b32_e64 v12, 0, v12, s[0:1]
	v_cmp_nlt_f32_e64 s[0:1], s40, v4
	v_cndmask_b32_e64 v4, v23, v12, s[0:1]
	v_and_b32_e32 v12, 0x7fffff, v4
	v_lshrrev_b32_e32 v4, 23, v4
	v_subrev_u32_e32 v4, 19, v4
	v_or_b32_e32 v25, 0x7f000000, v12
	v_lshrrev_b16_e32 v12, 15, v4
	v_add_u16_e32 v12, v4, v12
	v_cmp_class_f32_e64 vcc, v5, s42
	v_ashrrev_i16_e32 v12, 1, v12
	v_cndmask_b32_e32 v3, v24, v3, vcc
	v_bfe_i32 v12, v12, 0, 16
	v_mul_f32_e32 v3, v3, v25
	v_lshl_add_u32 v26, v12, 23, 1.0
	v_sub_u32_e32 v4, v4, v12
	v_mul_f32_e32 v3, v3, v26
	v_lshl_add_u32 v4, v4, 23, 1.0
	v_mul_f32_e32 v12, v3, v4
	v_mul_f32_e32 v3, v14, v14
	v_mov_b32_e32 v27, 0x3c0881c4
	v_fmac_f32_e32 v27, 0xb94c1982, v3
	v_fma_f32 v27, v3, v27, v18
	v_mul_f32_e32 v27, v3, v27
	v_fmac_f32_e32 v14, v14, v27
	v_mov_b32_e32 v27, 0xbab64f3b
	v_fmac_f32_e32 v27, 0x37d75334, v3
	v_fma_f32 v27, v3, v27, v19
	v_fma_f32 v27, v3, v27, v20
	v_fma_f32 v3, v3, v27, 1.0
	v_and_b32_e32 v27, 1, v13
	v_cmp_eq_u32_e64 s[0:1], 0, v27
	v_lshlrev_b32_e32 v13, 30, v13
	v_cndmask_b32_e64 v3, v3, v14, s[0:1]
	v_and_or_b32 v2, v13, s41, v2
	v_xor_b32_e32 v2, v2, v3
	v_xor_b32_e32 v2, v2, v5
	v_cndmask_b32_e32 v2, v24, v2, vcc
	v_mul_f32_e32 v2, v2, v25
	v_mul_f32_e32 v2, v2, v26
	;; [unrolled: 1-line block ×3, first 2 shown]
.LBB138_352:                            ;   in Loop: Header=BB138_201 Depth=1
	s_or_b64 exec, exec, s[16:17]
                                        ; implicit-def: $vgpr2_vgpr3_vgpr4_vgpr5
                                        ; implicit-def: $vgpr3
.LBB138_353:                            ;   in Loop: Header=BB138_201 Depth=1
	s_andn2_saveexec_b64 s[0:1], s[14:15]
	s_cbranch_execz .LBB138_359
; %bb.354:                              ;   in Loop: Header=BB138_201 Depth=1
	v_cmp_ne_u32_e32 vcc, s24, v3
	v_sub_f32_e32 v13, v5, v5
	s_and_saveexec_b64 s[2:3], vcc
	s_xor_b64 s[2:3], exec, s[2:3]
; %bb.355:                              ;   in Loop: Header=BB138_201 Depth=1
                                        ; implicit-def: $vgpr2_vgpr3_vgpr4_vgpr5
; %bb.356:                              ;   in Loop: Header=BB138_201 Depth=1
	s_or_saveexec_b64 s[2:3], s[2:3]
	v_mov_b32_e32 v12, v13
	s_xor_b64 exec, exec, s[2:3]
; %bb.357:                              ;   in Loop: Header=BB138_201 Depth=1
	v_cmp_lt_i32_e32 vcc, -1, v4
	v_cndmask_b32_e32 v12, 0, v4, vcc
	v_cndmask_b32_e32 v13, 0, v13, vcc
; %bb.358:                              ;   in Loop: Header=BB138_201 Depth=1
	s_or_b64 exec, exec, s[2:3]
.LBB138_359:                            ;   in Loop: Header=BB138_201 Depth=1
	s_or_b64 exec, exec, s[0:1]
                                        ; implicit-def: $vgpr2_vgpr3_vgpr4_vgpr5
                                        ; implicit-def: $vgpr2
.LBB138_360:                            ;   in Loop: Header=BB138_201 Depth=1
	s_andn2_saveexec_b64 s[12:13], s[12:13]
	s_cbranch_execz .LBB138_370
; %bb.361:                              ;   in Loop: Header=BB138_201 Depth=1
	v_cmp_nlt_f32_e64 s[14:15], |v5|, s26
                                        ; implicit-def: $vgpr3
                                        ; implicit-def: $vgpr4
	s_and_saveexec_b64 s[0:1], s[14:15]
	s_xor_b64 s[16:17], exec, s[0:1]
	s_cbranch_execz .LBB138_363
; %bb.362:                              ;   in Loop: Header=BB138_201 Depth=1
	v_and_b32_e32 v3, 0x7fffff, v2
	v_or_b32_e32 v29, 0x800000, v3
	v_mad_u64_u32 v[3:4], s[0:1], v29, s27, 0
	v_mov_b32_e32 v14, v4
	v_mad_u64_u32 v[12:13], s[0:1], v29, s28, v[14:15]
	v_lshrrev_b32_e32 v4, 23, v2
	v_add_u32_e32 v4, 0xffffff88, v4
	v_mov_b32_e32 v14, v13
	v_mad_u64_u32 v[13:14], s[0:1], v29, s29, v[14:15]
	v_cmp_lt_u32_e32 vcc, 63, v4
	v_mad_u64_u32 v[25:26], s[0:1], v29, s30, v[14:15]
	v_cndmask_b32_e32 v3, v13, v3, vcc
	v_mov_b32_e32 v14, v26
	v_mad_u64_u32 v[26:27], s[0:1], v29, s31, v[14:15]
	v_cndmask_b32_e32 v14, 0, v21, vcc
	v_add_u32_e32 v4, v14, v4
	v_mov_b32_e32 v14, v27
	v_mad_u64_u32 v[27:28], s[0:1], v29, s33, v[14:15]
	v_cmp_lt_u32_e64 s[0:1], 31, v4
	v_cndmask_b32_e64 v14, 0, v22, s[0:1]
	v_add_u32_e32 v4, v14, v4
	v_mov_b32_e32 v14, v28
	v_mad_u64_u32 v[28:29], s[2:3], v29, s34, v[14:15]
	v_cmp_lt_u32_e64 s[2:3], 31, v4
	v_cndmask_b32_e64 v14, 0, v22, s[2:3]
	v_add_u32_e32 v4, v14, v4
	v_cndmask_b32_e32 v14, v27, v25, vcc
	v_cndmask_b32_e32 v28, v28, v26, vcc
	;; [unrolled: 1-line block ×4, first 2 shown]
	v_cndmask_b32_e64 v29, v28, v14, s[0:1]
	v_cndmask_b32_e64 v27, v27, v28, s[0:1]
	;; [unrolled: 1-line block ×5, first 2 shown]
	v_sub_u32_e32 v29, 32, v4
	v_cmp_eq_u32_e64 s[4:5], 0, v4
	v_cndmask_b32_e32 v4, v25, v12, vcc
	v_cndmask_b32_e64 v12, v26, v4, s[0:1]
	v_alignbit_b32 v30, v27, v28, v29
	v_cndmask_b32_e64 v14, v14, v12, s[2:3]
	v_cndmask_b32_e64 v27, v30, v27, s[4:5]
	v_alignbit_b32 v25, v28, v14, v29
	v_cndmask_b32_e64 v25, v25, v28, s[4:5]
	v_bfe_u32 v30, v27, 29, 1
	v_cndmask_b32_e64 v3, v4, v3, s[0:1]
	v_alignbit_b32 v26, v27, v25, 30
	v_sub_u32_e32 v31, 0, v30
	v_cndmask_b32_e64 v3, v12, v3, s[2:3]
	v_xor_b32_e32 v26, v26, v31
	v_alignbit_b32 v4, v14, v3, v29
	v_cndmask_b32_e64 v4, v4, v14, s[4:5]
	v_ffbh_u32_e32 v13, v26
	v_alignbit_b32 v12, v25, v4, 30
	v_min_u32_e32 v13, 32, v13
	v_alignbit_b32 v3, v4, v3, 30
	v_xor_b32_e32 v12, v12, v31
	v_sub_u32_e32 v14, 31, v13
	v_xor_b32_e32 v3, v3, v31
	v_alignbit_b32 v25, v26, v12, v14
	v_alignbit_b32 v3, v12, v3, v14
	;; [unrolled: 1-line block ×3, first 2 shown]
	v_ffbh_u32_e32 v12, v4
	v_min_u32_e32 v12, 32, v12
	v_lshrrev_b32_e32 v28, 29, v27
	v_not_b32_e32 v14, v12
	v_alignbit_b32 v3, v4, v3, v14
	v_lshlrev_b32_e32 v4, 31, v28
	v_or_b32_e32 v14, 0x33000000, v4
	v_add_lshl_u32 v12, v12, v13, 23
	v_lshrrev_b32_e32 v3, 9, v3
	v_sub_u32_e32 v12, v14, v12
	v_or_b32_e32 v4, 0.5, v4
	v_lshlrev_b32_e32 v13, 23, v13
	v_or_b32_e32 v3, v12, v3
	v_lshrrev_b32_e32 v12, 9, v25
	v_sub_u32_e32 v4, v4, v13
	v_or_b32_e32 v4, v12, v4
	v_mul_f32_e32 v12, 0x3fc90fda, v4
	v_fma_f32 v13, v4, s35, -v12
	v_fmac_f32_e32 v13, 0x33a22168, v4
	v_fmac_f32_e32 v13, 0x3fc90fda, v3
	v_lshrrev_b32_e32 v3, 30, v27
	v_add_f32_e32 v4, v12, v13
	v_add_u32_e32 v3, v30, v3
	s_andn2_saveexec_b64 s[0:1], s[16:17]
	s_branch .LBB138_364
.LBB138_363:                            ;   in Loop: Header=BB138_201 Depth=1
	s_andn2_saveexec_b64 s[0:1], s[16:17]
.LBB138_364:                            ;   in Loop: Header=BB138_201 Depth=1
	v_mul_f32_e64 v3, |v5|, s36
	v_rndne_f32_e32 v12, v3
	v_cvt_i32_f32_e32 v3, v12
	v_fma_f32 v4, v12, s37, |v5|
	v_fmac_f32_e32 v4, 0xb3a22168, v12
	v_fmac_f32_e32 v4, 0xa7c234c4, v12
; %bb.365:                              ;   in Loop: Header=BB138_201 Depth=1
	s_or_b64 exec, exec, s[0:1]
                                        ; implicit-def: $vgpr13
                                        ; implicit-def: $vgpr14
	s_and_saveexec_b64 s[0:1], s[14:15]
	s_xor_b64 s[14:15], exec, s[0:1]
	s_cbranch_execz .LBB138_367
; %bb.366:                              ;   in Loop: Header=BB138_201 Depth=1
	v_and_b32_e32 v12, 0x7fffff, v2
	v_or_b32_e32 v30, 0x800000, v12
	v_mad_u64_u32 v[12:13], s[0:1], v30, s27, 0
	v_mov_b32_e32 v14, v13
	v_mad_u64_u32 v[13:14], s[0:1], v30, s28, v[14:15]
	v_mad_u64_u32 v[25:26], s[0:1], v30, s29, v[14:15]
	v_mov_b32_e32 v14, v26
	v_mad_u64_u32 v[26:27], s[0:1], v30, s30, v[14:15]
	v_lshrrev_b32_e32 v14, 23, v2
	v_add_u32_e32 v29, 0xffffff88, v14
	v_mov_b32_e32 v14, v27
	v_mad_u64_u32 v[27:28], s[0:1], v30, s31, v[14:15]
	v_cmp_lt_u32_e32 vcc, 63, v29
	v_cndmask_b32_e32 v14, 0, v21, vcc
	v_add_u32_e32 v31, v14, v29
	v_mov_b32_e32 v14, v28
	v_mad_u64_u32 v[28:29], s[0:1], v30, s33, v[14:15]
	v_cmp_lt_u32_e64 s[0:1], 31, v31
	v_cndmask_b32_e64 v14, 0, v22, s[0:1]
	v_add_u32_e32 v31, v14, v31
	v_mov_b32_e32 v14, v29
	v_mad_u64_u32 v[29:30], s[2:3], v30, s34, v[14:15]
	v_cmp_lt_u32_e64 s[2:3], 31, v31
	v_cndmask_b32_e64 v14, 0, v22, s[2:3]
	v_add_u32_e32 v14, v14, v31
	v_cndmask_b32_e32 v31, v28, v26, vcc
	v_cndmask_b32_e32 v29, v29, v27, vcc
	;; [unrolled: 1-line block ×4, first 2 shown]
	v_cndmask_b32_e64 v30, v29, v31, s[0:1]
	v_cndmask_b32_e64 v28, v28, v29, s[0:1]
	;; [unrolled: 1-line block ×3, first 2 shown]
	v_cndmask_b32_e32 v13, v26, v13, vcc
	v_cndmask_b32_e64 v28, v28, v30, s[2:3]
	v_cndmask_b32_e64 v30, v30, v29, s[2:3]
	v_sub_u32_e32 v31, 32, v14
	v_cmp_eq_u32_e64 s[4:5], 0, v14
	v_cndmask_b32_e64 v14, v27, v13, s[0:1]
	v_alignbit_b32 v32, v28, v30, v31
	v_cndmask_b32_e64 v26, v29, v14, s[2:3]
	v_cndmask_b32_e64 v28, v32, v28, s[4:5]
	v_alignbit_b32 v27, v30, v26, v31
	v_cndmask_b32_e32 v12, v25, v12, vcc
	v_cndmask_b32_e64 v27, v27, v30, s[4:5]
	v_bfe_u32 v32, v28, 29, 1
	v_cndmask_b32_e64 v12, v13, v12, s[0:1]
	v_alignbit_b32 v29, v28, v27, 30
	v_sub_u32_e32 v33, 0, v32
	v_cndmask_b32_e64 v12, v14, v12, s[2:3]
	v_xor_b32_e32 v29, v29, v33
	v_alignbit_b32 v13, v26, v12, v31
	v_cndmask_b32_e64 v13, v13, v26, s[4:5]
	v_ffbh_u32_e32 v25, v29
	v_alignbit_b32 v14, v27, v13, 30
	v_min_u32_e32 v25, 32, v25
	v_alignbit_b32 v12, v13, v12, 30
	v_xor_b32_e32 v14, v14, v33
	v_sub_u32_e32 v26, 31, v25
	v_xor_b32_e32 v12, v12, v33
	v_alignbit_b32 v27, v29, v14, v26
	v_alignbit_b32 v12, v14, v12, v26
	;; [unrolled: 1-line block ×3, first 2 shown]
	v_ffbh_u32_e32 v14, v13
	v_min_u32_e32 v14, 32, v14
	v_lshrrev_b32_e32 v30, 29, v28
	v_not_b32_e32 v26, v14
	v_alignbit_b32 v12, v13, v12, v26
	v_lshlrev_b32_e32 v13, 31, v30
	v_or_b32_e32 v26, 0x33000000, v13
	v_add_lshl_u32 v14, v14, v25, 23
	v_lshrrev_b32_e32 v12, 9, v12
	v_sub_u32_e32 v14, v26, v14
	v_or_b32_e32 v13, 0.5, v13
	v_lshlrev_b32_e32 v25, 23, v25
	v_or_b32_e32 v12, v14, v12
	v_lshrrev_b32_e32 v14, 9, v27
	v_sub_u32_e32 v13, v13, v25
	v_or_b32_e32 v13, v14, v13
	v_mul_f32_e32 v14, 0x3fc90fda, v13
	v_fma_f32 v25, v13, s35, -v14
	v_fmac_f32_e32 v25, 0x33a22168, v13
	v_fmac_f32_e32 v25, 0x3fc90fda, v12
	v_lshrrev_b32_e32 v12, 30, v28
	v_add_f32_e32 v14, v14, v25
	v_add_u32_e32 v13, v32, v12
	s_andn2_saveexec_b64 s[0:1], s[14:15]
	s_cbranch_execnz .LBB138_368
	s_branch .LBB138_369
.LBB138_367:                            ;   in Loop: Header=BB138_201 Depth=1
	s_andn2_saveexec_b64 s[0:1], s[14:15]
.LBB138_368:                            ;   in Loop: Header=BB138_201 Depth=1
	v_mul_f32_e64 v12, |v5|, s36
	v_rndne_f32_e32 v12, v12
	v_cvt_i32_f32_e32 v13, v12
	v_fma_f32 v14, v12, s37, |v5|
	v_fmac_f32_e32 v14, 0xb3a22168, v12
	v_fmac_f32_e32 v14, 0xa7c234c4, v12
.LBB138_369:                            ;   in Loop: Header=BB138_201 Depth=1
	s_or_b64 exec, exec, s[0:1]
	v_mul_f32_e32 v12, v4, v4
	v_mov_b32_e32 v25, 0x3c0881c4
	v_fmac_f32_e32 v25, 0xb94c1982, v12
	v_fma_f32 v25, v12, v25, v18
	v_mul_f32_e32 v25, v12, v25
	v_fmac_f32_e32 v4, v4, v25
	v_mov_b32_e32 v25, 0xbab64f3b
	v_fmac_f32_e32 v25, 0x37d75334, v12
	v_fma_f32 v25, v12, v25, v19
	v_fma_f32 v25, v12, v25, v20
	v_fma_f32 v12, v12, v25, 1.0
	v_and_b32_e32 v25, 1, v3
	v_cmp_eq_u32_e32 vcc, 0, v25
	v_lshlrev_b32_e32 v3, 30, v3
	v_cndmask_b32_e64 v4, -v4, v12, vcc
	v_and_b32_e32 v3, 0x80000000, v3
	v_xor_b32_e32 v3, v3, v4
	v_cmp_class_f32_e64 vcc, v5, s42
	v_cndmask_b32_e32 v12, v24, v3, vcc
	v_mul_f32_e32 v3, v14, v14
	v_mov_b32_e32 v4, 0x3c0881c4
	v_fmac_f32_e32 v4, 0xb94c1982, v3
	v_fma_f32 v4, v3, v4, v18
	v_mul_f32_e32 v4, v3, v4
	v_fmac_f32_e32 v14, v14, v4
	v_mov_b32_e32 v4, 0xbab64f3b
	v_fmac_f32_e32 v4, 0x37d75334, v3
	v_fma_f32 v4, v3, v4, v19
	v_fma_f32 v4, v3, v4, v20
	v_fma_f32 v3, v3, v4, 1.0
	v_and_b32_e32 v4, 1, v13
	v_cmp_eq_u32_e64 s[0:1], 0, v4
	v_lshlrev_b32_e32 v4, 30, v13
	v_cndmask_b32_e64 v3, v3, v14, s[0:1]
	v_and_or_b32 v2, v4, s41, v2
	v_xor_b32_e32 v2, v2, v3
	v_xor_b32_e32 v2, v2, v5
	v_cndmask_b32_e32 v13, v24, v2, vcc
.LBB138_370:                            ;   in Loop: Header=BB138_201 Depth=1
	s_or_b64 exec, exec, s[12:13]
                                        ; implicit-def: $vgpr2_vgpr3_vgpr4_vgpr5
.LBB138_371:                            ;   in Loop: Header=BB138_201 Depth=1
	s_andn2_saveexec_b64 s[0:1], s[10:11]
	s_cbranch_execz .LBB138_200
; %bb.372:                              ;   in Loop: Header=BB138_201 Depth=1
	v_mul_f32_e32 v2, 0x3fb8aa3b, v4
	v_rndne_f32_e32 v3, v2
	v_sub_f32_e32 v12, v2, v3
	v_fma_f32 v2, v4, s38, -v2
	v_fmac_f32_e32 v2, 0x32a5705f, v4
	v_add_f32_e32 v2, v12, v2
	v_cvt_i32_f32_e32 v3, v3
	v_exp_f32_e32 v2, v2
	v_cmp_ngt_f32_e32 vcc, s39, v4
	v_mov_b32_e32 v13, v5
	v_ldexp_f32 v2, v2, v3
	v_cndmask_b32_e32 v2, 0, v2, vcc
	v_cmp_nlt_f32_e32 vcc, s40, v4
	v_cndmask_b32_e32 v12, v23, v2, vcc
	s_branch .LBB138_200
.LBB138_373:
	s_endpgm
	.section	.rodata,"a",@progbits
	.p2align	6, 0x0
	.amdhsa_kernel _ZN2at6native12_GLOBAL__N_125multi_tensor_apply_kernelINS1_18TensorListMetadataILi1EEENS1_14UnaryOpFunctorIN3c107complexIfEELi1ELi1ELi0EEEJNS0_3ExpIS8_EEEEEvT_T0_DpT1_
		.amdhsa_group_segment_fixed_size 0
		.amdhsa_private_segment_fixed_size 0
		.amdhsa_kernarg_size 3632
		.amdhsa_user_sgpr_count 6
		.amdhsa_user_sgpr_private_segment_buffer 1
		.amdhsa_user_sgpr_dispatch_ptr 0
		.amdhsa_user_sgpr_queue_ptr 0
		.amdhsa_user_sgpr_kernarg_segment_ptr 1
		.amdhsa_user_sgpr_dispatch_id 0
		.amdhsa_user_sgpr_flat_scratch_init 0
		.amdhsa_user_sgpr_private_segment_size 0
		.amdhsa_uses_dynamic_stack 0
		.amdhsa_system_sgpr_private_segment_wavefront_offset 0
		.amdhsa_system_sgpr_workgroup_id_x 1
		.amdhsa_system_sgpr_workgroup_id_y 0
		.amdhsa_system_sgpr_workgroup_id_z 0
		.amdhsa_system_sgpr_workgroup_info 0
		.amdhsa_system_vgpr_workitem_id 0
		.amdhsa_next_free_vgpr 44
		.amdhsa_next_free_sgpr 63
		.amdhsa_reserve_vcc 1
		.amdhsa_reserve_flat_scratch 0
		.amdhsa_float_round_mode_32 0
		.amdhsa_float_round_mode_16_64 0
		.amdhsa_float_denorm_mode_32 3
		.amdhsa_float_denorm_mode_16_64 3
		.amdhsa_dx10_clamp 1
		.amdhsa_ieee_mode 1
		.amdhsa_fp16_overflow 0
		.amdhsa_exception_fp_ieee_invalid_op 0
		.amdhsa_exception_fp_denorm_src 0
		.amdhsa_exception_fp_ieee_div_zero 0
		.amdhsa_exception_fp_ieee_overflow 0
		.amdhsa_exception_fp_ieee_underflow 0
		.amdhsa_exception_fp_ieee_inexact 0
		.amdhsa_exception_int_div_zero 0
	.end_amdhsa_kernel
	.section	.text._ZN2at6native12_GLOBAL__N_125multi_tensor_apply_kernelINS1_18TensorListMetadataILi1EEENS1_14UnaryOpFunctorIN3c107complexIfEELi1ELi1ELi0EEEJNS0_3ExpIS8_EEEEEvT_T0_DpT1_,"axG",@progbits,_ZN2at6native12_GLOBAL__N_125multi_tensor_apply_kernelINS1_18TensorListMetadataILi1EEENS1_14UnaryOpFunctorIN3c107complexIfEELi1ELi1ELi0EEEJNS0_3ExpIS8_EEEEEvT_T0_DpT1_,comdat
.Lfunc_end138:
	.size	_ZN2at6native12_GLOBAL__N_125multi_tensor_apply_kernelINS1_18TensorListMetadataILi1EEENS1_14UnaryOpFunctorIN3c107complexIfEELi1ELi1ELi0EEEJNS0_3ExpIS8_EEEEEvT_T0_DpT1_, .Lfunc_end138-_ZN2at6native12_GLOBAL__N_125multi_tensor_apply_kernelINS1_18TensorListMetadataILi1EEENS1_14UnaryOpFunctorIN3c107complexIfEELi1ELi1ELi0EEEJNS0_3ExpIS8_EEEEEvT_T0_DpT1_
                                        ; -- End function
	.set _ZN2at6native12_GLOBAL__N_125multi_tensor_apply_kernelINS1_18TensorListMetadataILi1EEENS1_14UnaryOpFunctorIN3c107complexIfEELi1ELi1ELi0EEEJNS0_3ExpIS8_EEEEEvT_T0_DpT1_.num_vgpr, 44
	.set _ZN2at6native12_GLOBAL__N_125multi_tensor_apply_kernelINS1_18TensorListMetadataILi1EEENS1_14UnaryOpFunctorIN3c107complexIfEELi1ELi1ELi0EEEJNS0_3ExpIS8_EEEEEvT_T0_DpT1_.num_agpr, 0
	.set _ZN2at6native12_GLOBAL__N_125multi_tensor_apply_kernelINS1_18TensorListMetadataILi1EEENS1_14UnaryOpFunctorIN3c107complexIfEELi1ELi1ELi0EEEJNS0_3ExpIS8_EEEEEvT_T0_DpT1_.numbered_sgpr, 63
	.set _ZN2at6native12_GLOBAL__N_125multi_tensor_apply_kernelINS1_18TensorListMetadataILi1EEENS1_14UnaryOpFunctorIN3c107complexIfEELi1ELi1ELi0EEEJNS0_3ExpIS8_EEEEEvT_T0_DpT1_.num_named_barrier, 0
	.set _ZN2at6native12_GLOBAL__N_125multi_tensor_apply_kernelINS1_18TensorListMetadataILi1EEENS1_14UnaryOpFunctorIN3c107complexIfEELi1ELi1ELi0EEEJNS0_3ExpIS8_EEEEEvT_T0_DpT1_.private_seg_size, 0
	.set _ZN2at6native12_GLOBAL__N_125multi_tensor_apply_kernelINS1_18TensorListMetadataILi1EEENS1_14UnaryOpFunctorIN3c107complexIfEELi1ELi1ELi0EEEJNS0_3ExpIS8_EEEEEvT_T0_DpT1_.uses_vcc, 1
	.set _ZN2at6native12_GLOBAL__N_125multi_tensor_apply_kernelINS1_18TensorListMetadataILi1EEENS1_14UnaryOpFunctorIN3c107complexIfEELi1ELi1ELi0EEEJNS0_3ExpIS8_EEEEEvT_T0_DpT1_.uses_flat_scratch, 0
	.set _ZN2at6native12_GLOBAL__N_125multi_tensor_apply_kernelINS1_18TensorListMetadataILi1EEENS1_14UnaryOpFunctorIN3c107complexIfEELi1ELi1ELi0EEEJNS0_3ExpIS8_EEEEEvT_T0_DpT1_.has_dyn_sized_stack, 0
	.set _ZN2at6native12_GLOBAL__N_125multi_tensor_apply_kernelINS1_18TensorListMetadataILi1EEENS1_14UnaryOpFunctorIN3c107complexIfEELi1ELi1ELi0EEEJNS0_3ExpIS8_EEEEEvT_T0_DpT1_.has_recursion, 0
	.set _ZN2at6native12_GLOBAL__N_125multi_tensor_apply_kernelINS1_18TensorListMetadataILi1EEENS1_14UnaryOpFunctorIN3c107complexIfEELi1ELi1ELi0EEEJNS0_3ExpIS8_EEEEEvT_T0_DpT1_.has_indirect_call, 0
	.section	.AMDGPU.csdata,"",@progbits
; Kernel info:
; codeLenInByte = 40736
; TotalNumSgprs: 67
; NumVgprs: 44
; ScratchSize: 0
; MemoryBound: 1
; FloatMode: 240
; IeeeMode: 1
; LDSByteSize: 0 bytes/workgroup (compile time only)
; SGPRBlocks: 8
; VGPRBlocks: 10
; NumSGPRsForWavesPerEU: 67
; NumVGPRsForWavesPerEU: 44
; Occupancy: 5
; WaveLimiterHint : 0
; COMPUTE_PGM_RSRC2:SCRATCH_EN: 0
; COMPUTE_PGM_RSRC2:USER_SGPR: 6
; COMPUTE_PGM_RSRC2:TRAP_HANDLER: 0
; COMPUTE_PGM_RSRC2:TGID_X_EN: 1
; COMPUTE_PGM_RSRC2:TGID_Y_EN: 0
; COMPUTE_PGM_RSRC2:TGID_Z_EN: 0
; COMPUTE_PGM_RSRC2:TIDIG_COMP_CNT: 0
	.section	.text._ZN2at6native12_GLOBAL__N_125multi_tensor_apply_kernelINS1_18TensorListMetadataILi1EEENS1_14UnaryOpFunctorIN3c104HalfELi1ELi1ELi0EEEJNS0_3ExpIfEEEEEvT_T0_DpT1_,"axG",@progbits,_ZN2at6native12_GLOBAL__N_125multi_tensor_apply_kernelINS1_18TensorListMetadataILi1EEENS1_14UnaryOpFunctorIN3c104HalfELi1ELi1ELi0EEEJNS0_3ExpIfEEEEEvT_T0_DpT1_,comdat
	.globl	_ZN2at6native12_GLOBAL__N_125multi_tensor_apply_kernelINS1_18TensorListMetadataILi1EEENS1_14UnaryOpFunctorIN3c104HalfELi1ELi1ELi0EEEJNS0_3ExpIfEEEEEvT_T0_DpT1_ ; -- Begin function _ZN2at6native12_GLOBAL__N_125multi_tensor_apply_kernelINS1_18TensorListMetadataILi1EEENS1_14UnaryOpFunctorIN3c104HalfELi1ELi1ELi0EEEJNS0_3ExpIfEEEEEvT_T0_DpT1_
	.p2align	8
	.type	_ZN2at6native12_GLOBAL__N_125multi_tensor_apply_kernelINS1_18TensorListMetadataILi1EEENS1_14UnaryOpFunctorIN3c104HalfELi1ELi1ELi0EEEJNS0_3ExpIfEEEEEvT_T0_DpT1_,@function
_ZN2at6native12_GLOBAL__N_125multi_tensor_apply_kernelINS1_18TensorListMetadataILi1EEENS1_14UnaryOpFunctorIN3c104HalfELi1ELi1ELi0EEEJNS0_3ExpIfEEEEEvT_T0_DpT1_: ; @_ZN2at6native12_GLOBAL__N_125multi_tensor_apply_kernelINS1_18TensorListMetadataILi1EEENS1_14UnaryOpFunctorIN3c104HalfELi1ELi1ELi0EEEJNS0_3ExpIfEEEEEvT_T0_DpT1_
; %bb.0:
	v_mov_b32_e32 v1, s6
	global_load_ubyte v1, v1, s[4:5] offset:1760
	s_add_u32 s0, s4, s6
	s_mul_hi_u32 s1, s6, 3
	s_mul_i32 s6, s6, 3
	s_addc_u32 s2, s5, 0
	s_add_u32 s0, s0, s6
	s_addc_u32 s1, s2, s1
	s_load_dword s0, s[0:1], 0x820
	s_mov_b32 s7, 0
	s_waitcnt vmcnt(0)
	v_readfirstlane_b32 s1, v1
	s_lshl_b32 s1, s1, 3
	s_load_dwordx2 s[2:3], s[4:5], s1 offset:0x370
	s_load_dwordx2 s[10:11], s[4:5], s1 offset:0x0
	s_waitcnt lgkmcnt(0)
	s_ashr_i32 s1, s0, 31
	s_lshl_b64 s[12:13], s[0:1], 17
	s_lshl_b64 s[0:1], s[0:1], 16
	s_and_b32 s6, s10, 7
	s_sub_u32 s14, s2, s0
	s_subb_u32 s15, s3, s1
	s_and_b32 s0, s2, 3
	s_mov_b32 s1, s7
	s_or_b64 s[0:1], s[6:7], s[0:1]
	s_cmp_eq_u64 s[0:1], 0
	s_cbranch_scc1 .LBB139_21
; %bb.1:
	v_cmp_lt_i64_e64 s[0:1], s[14:15], 1
	s_and_b64 vcc, exec, s[0:1]
	s_cbranch_vccnz .LBB139_20
; %bb.2:
	v_mov_b32_e32 v1, 0x10000
	s_load_dword s2, s[4:5], 0xd3c
	v_mov_b32_e32 v2, 0
	v_cmp_lt_i64_e32 vcc, s[14:15], v[1:2]
	s_mov_b64 s[20:21], 0
	s_and_b64 s[0:1], vcc, exec
	v_cmp_lt_u64_e32 vcc, s[14:15], v[1:2]
	s_cselect_b32 s17, s15, 0
	s_cselect_b32 s16, s14, 0x10000
	s_waitcnt lgkmcnt(0)
	s_and_b32 s2, s2, 0xffff
	s_and_b64 s[0:1], vcc, exec
	s_cselect_b32 s19, s15, 0
	s_cselect_b32 s18, s14, 0x10000
	s_lshl_b32 s3, s2, 1
	s_lshl_b32 s24, s2, 2
	s_add_u32 s6, s10, s12
	v_lshlrev_b32_e32 v1, 1, v0
	s_addc_u32 s7, s11, s13
	v_mov_b32_e32 v2, s7
	v_add_co_u32_e32 v1, vcc, s6, v1
	s_mul_i32 s0, s2, 3
	v_addc_co_u32_e32 v2, vcc, 0, v2, vcc
	v_add_co_u32_e32 v5, vcc, s0, v0
	v_addc_co_u32_e64 v6, s[0:1], 0, 0, vcc
	v_add_co_u32_e32 v7, vcc, s3, v0
	v_addc_co_u32_e64 v8, s[0:1], 0, 0, vcc
	v_add_co_u32_e32 v9, vcc, s2, v0
	v_lshlrev_b32_e32 v3, 1, v9
	v_addc_co_u32_e64 v10, s[0:1], 0, 0, vcc
	v_mov_b32_e32 v4, s7
	v_add_co_u32_e32 v3, vcc, s6, v3
	s_lshl_b32 s25, s2, 3
	s_mul_i32 s26, s2, 6
	v_addc_co_u32_e32 v4, vcc, 0, v4, vcc
	s_mov_b32 s27, 0x3fb8aa3b
	s_mov_b32 s28, 0x32a5705f
	;; [unrolled: 1-line block ×4, first 2 shown]
	v_mov_b32_e32 v11, 0x7f800000
	s_branch .LBB139_4
.LBB139_3:                              ;   in Loop: Header=BB139_4 Depth=1
	s_or_b64 exec, exec, s[0:1]
	s_add_u32 s20, s20, s24
	v_add_co_u32_e32 v1, vcc, s25, v1
	v_mov_b32_e32 v12, s16
	s_addc_u32 s21, s21, 0
	v_addc_co_u32_e32 v2, vcc, 0, v2, vcc
	v_mov_b32_e32 v13, s17
	v_cmp_lt_i64_e32 vcc, s[20:21], v[12:13]
	v_add_co_u32_e64 v3, s[0:1], s25, v3
	v_addc_co_u32_e64 v4, s[0:1], 0, v4, s[0:1]
	s_cbranch_vccz .LBB139_20
.LBB139_4:                              ; =>This Inner Loop Header: Depth=1
	v_mov_b32_e32 v13, s21
	v_add_co_u32_e32 v12, vcc, s20, v0
	v_addc_co_u32_e32 v13, vcc, 0, v13, vcc
	v_cmp_gt_u64_e32 vcc, s[18:19], v[12:13]
	v_mov_b32_e32 v12, 0x3c00
	v_mov_b32_e32 v13, 0x3c00
	s_and_saveexec_b64 s[2:3], vcc
	s_cbranch_execz .LBB139_6
; %bb.5:                                ;   in Loop: Header=BB139_4 Depth=1
	global_load_ushort v13, v[1:2], off
	s_waitcnt vmcnt(0)
	v_cvt_f32_f16_e32 v14, v13
	v_mul_f32_e32 v15, 0x3fb8aa3b, v14
	v_rndne_f32_e32 v16, v15
	v_fma_mix_f32 v17, v13, s27, -v15 op_sel_hi:[1,0,0]
	v_sub_f32_e32 v15, v15, v16
	v_fma_mix_f32 v13, v13, s28, v17 op_sel_hi:[1,0,0]
	v_add_f32_e32 v13, v15, v13
	v_cvt_i32_f32_e32 v16, v16
	v_exp_f32_e32 v13, v13
	v_cmp_ngt_f32_e64 s[0:1], s29, v14
	v_ldexp_f32 v13, v13, v16
	v_cndmask_b32_e64 v13, 0, v13, s[0:1]
	v_cmp_nlt_f32_e64 s[0:1], s30, v14
	v_cndmask_b32_e64 v13, v11, v13, s[0:1]
	v_cvt_f16_f32_e32 v13, v13
.LBB139_6:                              ;   in Loop: Header=BB139_4 Depth=1
	s_or_b64 exec, exec, s[2:3]
	v_mov_b32_e32 v15, s21
	v_add_co_u32_e64 v14, s[0:1], s20, v9
	v_addc_co_u32_e64 v15, s[0:1], v10, v15, s[0:1]
	v_cmp_gt_u64_e64 s[0:1], s[18:19], v[14:15]
	s_and_saveexec_b64 s[6:7], s[0:1]
	s_cbranch_execz .LBB139_8
; %bb.7:                                ;   in Loop: Header=BB139_4 Depth=1
	global_load_ushort v12, v[3:4], off
	s_waitcnt vmcnt(0)
	v_cvt_f32_f16_e32 v14, v12
	v_mul_f32_e32 v15, 0x3fb8aa3b, v14
	v_rndne_f32_e32 v16, v15
	v_fma_mix_f32 v17, v12, s27, -v15 op_sel_hi:[1,0,0]
	v_sub_f32_e32 v15, v15, v16
	v_fma_mix_f32 v12, v12, s28, v17 op_sel_hi:[1,0,0]
	v_add_f32_e32 v12, v15, v12
	v_cvt_i32_f32_e32 v16, v16
	v_exp_f32_e32 v12, v12
	v_cmp_ngt_f32_e64 s[2:3], s29, v14
	v_ldexp_f32 v12, v12, v16
	v_cndmask_b32_e64 v12, 0, v12, s[2:3]
	v_cmp_nlt_f32_e64 s[2:3], s30, v14
	v_cndmask_b32_e64 v12, v11, v12, s[2:3]
	v_cvt_f16_f32_e32 v12, v12
.LBB139_8:                              ;   in Loop: Header=BB139_4 Depth=1
	s_or_b64 exec, exec, s[6:7]
	v_mov_b32_e32 v15, s21
	v_add_co_u32_e64 v14, s[2:3], s20, v7
	v_addc_co_u32_e64 v15, s[2:3], v8, v15, s[2:3]
	v_cmp_gt_u64_e64 s[2:3], s[18:19], v[14:15]
	v_mov_b32_e32 v14, 0x3c00
	v_mov_b32_e32 v15, 0x3c00
	s_and_saveexec_b64 s[8:9], s[2:3]
	s_cbranch_execz .LBB139_10
; %bb.9:                                ;   in Loop: Header=BB139_4 Depth=1
	v_add_co_u32_e64 v15, s[6:7], s24, v1
	v_addc_co_u32_e64 v16, s[6:7], 0, v2, s[6:7]
	global_load_ushort v15, v[15:16], off
	s_waitcnt vmcnt(0)
	v_cvt_f32_f16_e32 v16, v15
	v_mul_f32_e32 v17, 0x3fb8aa3b, v16
	v_fma_mix_f32 v18, v15, s27, -v17 op_sel_hi:[1,0,0]
	v_rndne_f32_e32 v19, v17
	v_fma_mix_f32 v15, v15, s28, v18 op_sel_hi:[1,0,0]
	v_sub_f32_e32 v17, v17, v19
	v_add_f32_e32 v15, v17, v15
	v_cvt_i32_f32_e32 v18, v19
	v_exp_f32_e32 v15, v15
	v_cmp_ngt_f32_e64 s[6:7], s29, v16
	v_ldexp_f32 v15, v15, v18
	v_cndmask_b32_e64 v15, 0, v15, s[6:7]
	v_cmp_nlt_f32_e64 s[6:7], s30, v16
	v_cndmask_b32_e64 v15, v11, v15, s[6:7]
	v_cvt_f16_f32_e32 v15, v15
.LBB139_10:                             ;   in Loop: Header=BB139_4 Depth=1
	s_or_b64 exec, exec, s[8:9]
	v_mov_b32_e32 v17, s21
	v_add_co_u32_e64 v16, s[6:7], s20, v5
	v_addc_co_u32_e64 v17, s[6:7], v6, v17, s[6:7]
	v_cmp_gt_u64_e64 s[6:7], s[18:19], v[16:17]
	s_and_saveexec_b64 s[22:23], s[6:7]
	s_cbranch_execnz .LBB139_15
; %bb.11:                               ;   in Loop: Header=BB139_4 Depth=1
	s_or_b64 exec, exec, s[22:23]
	s_and_saveexec_b64 s[8:9], vcc
	s_cbranch_execnz .LBB139_16
.LBB139_12:                             ;   in Loop: Header=BB139_4 Depth=1
	s_or_b64 exec, exec, s[8:9]
	s_and_saveexec_b64 s[8:9], s[0:1]
	s_cbranch_execnz .LBB139_17
.LBB139_13:                             ;   in Loop: Header=BB139_4 Depth=1
	s_or_b64 exec, exec, s[8:9]
	s_and_saveexec_b64 s[0:1], s[2:3]
	s_cbranch_execnz .LBB139_18
.LBB139_14:                             ;   in Loop: Header=BB139_4 Depth=1
	s_or_b64 exec, exec, s[0:1]
	s_and_saveexec_b64 s[0:1], s[6:7]
	s_cbranch_execz .LBB139_3
	s_branch .LBB139_19
.LBB139_15:                             ;   in Loop: Header=BB139_4 Depth=1
	v_add_co_u32_e64 v16, s[8:9], s26, v1
	v_addc_co_u32_e64 v17, s[8:9], 0, v2, s[8:9]
	global_load_ushort v14, v[16:17], off
	s_waitcnt vmcnt(0)
	v_cvt_f32_f16_e32 v16, v14
	v_mul_f32_e32 v17, 0x3fb8aa3b, v16
	v_fma_mix_f32 v18, v14, s27, -v17 op_sel_hi:[1,0,0]
	v_rndne_f32_e32 v19, v17
	v_fma_mix_f32 v14, v14, s28, v18 op_sel_hi:[1,0,0]
	v_sub_f32_e32 v17, v17, v19
	v_add_f32_e32 v14, v17, v14
	v_cvt_i32_f32_e32 v18, v19
	v_exp_f32_e32 v14, v14
	v_cmp_ngt_f32_e64 s[8:9], s29, v16
	v_ldexp_f32 v14, v14, v18
	v_cndmask_b32_e64 v14, 0, v14, s[8:9]
	v_cmp_nlt_f32_e64 s[8:9], s30, v16
	v_cndmask_b32_e64 v14, v11, v14, s[8:9]
	v_cvt_f16_f32_e32 v14, v14
	s_or_b64 exec, exec, s[22:23]
	s_and_saveexec_b64 s[8:9], vcc
	s_cbranch_execz .LBB139_12
.LBB139_16:                             ;   in Loop: Header=BB139_4 Depth=1
	global_store_short v[1:2], v13, off
	s_or_b64 exec, exec, s[8:9]
	s_and_saveexec_b64 s[8:9], s[0:1]
	s_cbranch_execz .LBB139_13
.LBB139_17:                             ;   in Loop: Header=BB139_4 Depth=1
	global_store_short v[3:4], v12, off
	s_or_b64 exec, exec, s[8:9]
	s_and_saveexec_b64 s[0:1], s[2:3]
	s_cbranch_execz .LBB139_14
.LBB139_18:                             ;   in Loop: Header=BB139_4 Depth=1
	v_add_co_u32_e32 v12, vcc, s24, v1
	v_addc_co_u32_e32 v13, vcc, 0, v2, vcc
	global_store_short v[12:13], v15, off
	s_or_b64 exec, exec, s[0:1]
	s_and_saveexec_b64 s[0:1], s[6:7]
	s_cbranch_execz .LBB139_3
.LBB139_19:                             ;   in Loop: Header=BB139_4 Depth=1
	v_add_co_u32_e32 v12, vcc, s26, v1
	v_addc_co_u32_e32 v13, vcc, 0, v2, vcc
	global_store_short v[12:13], v14, off
	s_branch .LBB139_3
.LBB139_20:
	s_cbranch_execz .LBB139_22
	s_branch .LBB139_25
.LBB139_21:
.LBB139_22:
	v_mov_b32_e32 v1, 0x10000
	v_mov_b32_e32 v2, 0
	v_cmp_lt_i64_e32 vcc, s[14:15], v[1:2]
	v_mov_b32_e32 v2, 0
	s_and_b64 s[0:1], vcc, exec
	s_cselect_b32 s3, s15, 0
	s_cselect_b32 s2, s14, 0x10000
	v_lshlrev_b32_e32 v1, 2, v0
	v_cmp_gt_i64_e32 vcc, s[2:3], v[1:2]
	s_and_saveexec_b64 s[0:1], vcc
	s_cbranch_execz .LBB139_25
; %bb.23:
	s_load_dword s0, s[4:5], 0xd3c
	v_mov_b32_e32 v1, v2
	v_lshlrev_b32_e32 v2, 3, v0
	s_mov_b64 s[4:5], 0
	s_mov_b32 s8, 0x3fb8aa3b
	s_waitcnt lgkmcnt(0)
	s_and_b32 s6, s0, 0xffff
	s_add_u32 s0, s10, s12
	s_addc_u32 s1, s11, s13
	v_mov_b32_e32 v3, s1
	v_add_co_u32_e32 v2, vcc, s0, v2
	v_addc_co_u32_e32 v3, vcc, 0, v3, vcc
	v_add_co_u32_e32 v2, vcc, 4, v2
	v_addc_co_u32_e32 v3, vcc, 0, v3, vcc
	s_lshl_b32 s7, s6, 3
	s_mov_b32 s9, 0x32a5705f
	s_mov_b32 s10, 0xc2ce8ed0
	;; [unrolled: 1-line block ×3, first 2 shown]
	v_mov_b32_e32 v4, 0x7f800000
.LBB139_24:                             ; =>This Inner Loop Header: Depth=1
	global_load_dwordx2 v[5:6], v[2:3], off offset:-4
	v_add_co_u32_e32 v0, vcc, s6, v0
	v_addc_co_u32_e32 v1, vcc, 0, v1, vcc
	v_lshlrev_b64 v[7:8], 2, v[0:1]
	v_cmp_le_i64_e32 vcc, s[2:3], v[7:8]
	s_or_b64 s[4:5], vcc, s[4:5]
	s_waitcnt vmcnt(0)
	v_cvt_f32_f16_e32 v7, v5
	v_cvt_f32_f16_sdwa v8, v5 dst_sel:DWORD dst_unused:UNUSED_PAD src0_sel:WORD_1
	v_cvt_f32_f16_e32 v9, v6
	v_cvt_f32_f16_sdwa v10, v6 dst_sel:DWORD dst_unused:UNUSED_PAD src0_sel:WORD_1
	v_mul_f32_e32 v11, 0x3fb8aa3b, v7
	v_mul_f32_e32 v12, 0x3fb8aa3b, v8
	;; [unrolled: 1-line block ×4, first 2 shown]
	v_rndne_f32_e32 v15, v11
	v_fma_mix_f32 v16, v5, s8, -v11 op_sel_hi:[1,0,0]
	v_fma_mix_f32 v17, v5, s8, -v12 op_sel:[1,0,0] op_sel_hi:[1,0,0]
	v_fma_mix_f32 v18, v6, s8, -v13 op_sel_hi:[1,0,0]
	v_fma_mix_f32 v19, v6, s8, -v14 op_sel:[1,0,0] op_sel_hi:[1,0,0]
	v_fma_mix_f32 v16, v5, s9, v16 op_sel_hi:[1,0,0]
	v_fma_mix_f32 v5, v5, s9, v17 op_sel:[1,0,0] op_sel_hi:[1,0,0]
	v_fma_mix_f32 v17, v6, s9, v18 op_sel_hi:[1,0,0]
	v_rndne_f32_e32 v18, v12
	v_sub_f32_e32 v11, v11, v15
	v_fma_mix_f32 v6, v6, s9, v19 op_sel:[1,0,0] op_sel_hi:[1,0,0]
	v_rndne_f32_e32 v19, v13
	v_add_f32_e32 v11, v11, v16
	v_sub_f32_e32 v12, v12, v18
	v_rndne_f32_e32 v16, v14
	v_cvt_i32_f32_e32 v15, v15
	v_sub_f32_e32 v13, v13, v19
	v_add_f32_e32 v5, v12, v5
	v_exp_f32_e32 v11, v11
	v_cvt_i32_f32_e32 v18, v18
	v_sub_f32_e32 v14, v14, v16
	v_add_f32_e32 v12, v13, v17
	v_exp_f32_e32 v5, v5
	v_cvt_i32_f32_e32 v19, v19
	v_add_f32_e32 v6, v14, v6
	v_exp_f32_e32 v12, v12
	v_cvt_i32_f32_e32 v16, v16
	v_exp_f32_e32 v6, v6
	v_ldexp_f32 v11, v11, v15
	v_cmp_ngt_f32_e64 s[0:1], s10, v7
	v_ldexp_f32 v5, v5, v18
	v_cndmask_b32_e64 v11, 0, v11, s[0:1]
	v_cmp_ngt_f32_e64 s[0:1], s10, v8
	v_ldexp_f32 v12, v12, v19
	v_cndmask_b32_e64 v5, 0, v5, s[0:1]
	;; [unrolled: 3-line block ×3, first 2 shown]
	v_cmp_ngt_f32_e64 s[0:1], s10, v10
	v_cndmask_b32_e64 v6, 0, v6, s[0:1]
	v_cmp_nlt_f32_e64 s[0:1], s11, v7
	v_cndmask_b32_e64 v7, v4, v11, s[0:1]
	v_cmp_nlt_f32_e64 s[0:1], s11, v8
	;; [unrolled: 2-line block ×4, first 2 shown]
	v_cndmask_b32_e64 v6, v4, v6, s[0:1]
	v_cvt_f16_f32_e32 v7, v7
	v_cvt_f16_f32_e32 v8, v8
	;; [unrolled: 1-line block ×4, first 2 shown]
	v_pack_b32_f16 v6, v8, v6
	v_pack_b32_f16 v5, v7, v5
	global_store_dwordx2 v[2:3], v[5:6], off offset:-4
	v_add_co_u32_e32 v2, vcc, s7, v2
	v_addc_co_u32_e32 v3, vcc, 0, v3, vcc
	s_andn2_b64 exec, exec, s[4:5]
	s_cbranch_execnz .LBB139_24
.LBB139_25:
	s_endpgm
	.section	.rodata,"a",@progbits
	.p2align	6, 0x0
	.amdhsa_kernel _ZN2at6native12_GLOBAL__N_125multi_tensor_apply_kernelINS1_18TensorListMetadataILi1EEENS1_14UnaryOpFunctorIN3c104HalfELi1ELi1ELi0EEEJNS0_3ExpIfEEEEEvT_T0_DpT1_
		.amdhsa_group_segment_fixed_size 0
		.amdhsa_private_segment_fixed_size 0
		.amdhsa_kernarg_size 3632
		.amdhsa_user_sgpr_count 6
		.amdhsa_user_sgpr_private_segment_buffer 1
		.amdhsa_user_sgpr_dispatch_ptr 0
		.amdhsa_user_sgpr_queue_ptr 0
		.amdhsa_user_sgpr_kernarg_segment_ptr 1
		.amdhsa_user_sgpr_dispatch_id 0
		.amdhsa_user_sgpr_flat_scratch_init 0
		.amdhsa_user_sgpr_private_segment_size 0
		.amdhsa_uses_dynamic_stack 0
		.amdhsa_system_sgpr_private_segment_wavefront_offset 0
		.amdhsa_system_sgpr_workgroup_id_x 1
		.amdhsa_system_sgpr_workgroup_id_y 0
		.amdhsa_system_sgpr_workgroup_id_z 0
		.amdhsa_system_sgpr_workgroup_info 0
		.amdhsa_system_vgpr_workitem_id 0
		.amdhsa_next_free_vgpr 20
		.amdhsa_next_free_sgpr 31
		.amdhsa_reserve_vcc 1
		.amdhsa_reserve_flat_scratch 0
		.amdhsa_float_round_mode_32 0
		.amdhsa_float_round_mode_16_64 0
		.amdhsa_float_denorm_mode_32 3
		.amdhsa_float_denorm_mode_16_64 3
		.amdhsa_dx10_clamp 1
		.amdhsa_ieee_mode 1
		.amdhsa_fp16_overflow 0
		.amdhsa_exception_fp_ieee_invalid_op 0
		.amdhsa_exception_fp_denorm_src 0
		.amdhsa_exception_fp_ieee_div_zero 0
		.amdhsa_exception_fp_ieee_overflow 0
		.amdhsa_exception_fp_ieee_underflow 0
		.amdhsa_exception_fp_ieee_inexact 0
		.amdhsa_exception_int_div_zero 0
	.end_amdhsa_kernel
	.section	.text._ZN2at6native12_GLOBAL__N_125multi_tensor_apply_kernelINS1_18TensorListMetadataILi1EEENS1_14UnaryOpFunctorIN3c104HalfELi1ELi1ELi0EEEJNS0_3ExpIfEEEEEvT_T0_DpT1_,"axG",@progbits,_ZN2at6native12_GLOBAL__N_125multi_tensor_apply_kernelINS1_18TensorListMetadataILi1EEENS1_14UnaryOpFunctorIN3c104HalfELi1ELi1ELi0EEEJNS0_3ExpIfEEEEEvT_T0_DpT1_,comdat
.Lfunc_end139:
	.size	_ZN2at6native12_GLOBAL__N_125multi_tensor_apply_kernelINS1_18TensorListMetadataILi1EEENS1_14UnaryOpFunctorIN3c104HalfELi1ELi1ELi0EEEJNS0_3ExpIfEEEEEvT_T0_DpT1_, .Lfunc_end139-_ZN2at6native12_GLOBAL__N_125multi_tensor_apply_kernelINS1_18TensorListMetadataILi1EEENS1_14UnaryOpFunctorIN3c104HalfELi1ELi1ELi0EEEJNS0_3ExpIfEEEEEvT_T0_DpT1_
                                        ; -- End function
	.set _ZN2at6native12_GLOBAL__N_125multi_tensor_apply_kernelINS1_18TensorListMetadataILi1EEENS1_14UnaryOpFunctorIN3c104HalfELi1ELi1ELi0EEEJNS0_3ExpIfEEEEEvT_T0_DpT1_.num_vgpr, 20
	.set _ZN2at6native12_GLOBAL__N_125multi_tensor_apply_kernelINS1_18TensorListMetadataILi1EEENS1_14UnaryOpFunctorIN3c104HalfELi1ELi1ELi0EEEJNS0_3ExpIfEEEEEvT_T0_DpT1_.num_agpr, 0
	.set _ZN2at6native12_GLOBAL__N_125multi_tensor_apply_kernelINS1_18TensorListMetadataILi1EEENS1_14UnaryOpFunctorIN3c104HalfELi1ELi1ELi0EEEJNS0_3ExpIfEEEEEvT_T0_DpT1_.numbered_sgpr, 31
	.set _ZN2at6native12_GLOBAL__N_125multi_tensor_apply_kernelINS1_18TensorListMetadataILi1EEENS1_14UnaryOpFunctorIN3c104HalfELi1ELi1ELi0EEEJNS0_3ExpIfEEEEEvT_T0_DpT1_.num_named_barrier, 0
	.set _ZN2at6native12_GLOBAL__N_125multi_tensor_apply_kernelINS1_18TensorListMetadataILi1EEENS1_14UnaryOpFunctorIN3c104HalfELi1ELi1ELi0EEEJNS0_3ExpIfEEEEEvT_T0_DpT1_.private_seg_size, 0
	.set _ZN2at6native12_GLOBAL__N_125multi_tensor_apply_kernelINS1_18TensorListMetadataILi1EEENS1_14UnaryOpFunctorIN3c104HalfELi1ELi1ELi0EEEJNS0_3ExpIfEEEEEvT_T0_DpT1_.uses_vcc, 1
	.set _ZN2at6native12_GLOBAL__N_125multi_tensor_apply_kernelINS1_18TensorListMetadataILi1EEENS1_14UnaryOpFunctorIN3c104HalfELi1ELi1ELi0EEEJNS0_3ExpIfEEEEEvT_T0_DpT1_.uses_flat_scratch, 0
	.set _ZN2at6native12_GLOBAL__N_125multi_tensor_apply_kernelINS1_18TensorListMetadataILi1EEENS1_14UnaryOpFunctorIN3c104HalfELi1ELi1ELi0EEEJNS0_3ExpIfEEEEEvT_T0_DpT1_.has_dyn_sized_stack, 0
	.set _ZN2at6native12_GLOBAL__N_125multi_tensor_apply_kernelINS1_18TensorListMetadataILi1EEENS1_14UnaryOpFunctorIN3c104HalfELi1ELi1ELi0EEEJNS0_3ExpIfEEEEEvT_T0_DpT1_.has_recursion, 0
	.set _ZN2at6native12_GLOBAL__N_125multi_tensor_apply_kernelINS1_18TensorListMetadataILi1EEENS1_14UnaryOpFunctorIN3c104HalfELi1ELi1ELi0EEEJNS0_3ExpIfEEEEEvT_T0_DpT1_.has_indirect_call, 0
	.section	.AMDGPU.csdata,"",@progbits
; Kernel info:
; codeLenInByte = 1804
; TotalNumSgprs: 35
; NumVgprs: 20
; ScratchSize: 0
; MemoryBound: 0
; FloatMode: 240
; IeeeMode: 1
; LDSByteSize: 0 bytes/workgroup (compile time only)
; SGPRBlocks: 4
; VGPRBlocks: 4
; NumSGPRsForWavesPerEU: 35
; NumVGPRsForWavesPerEU: 20
; Occupancy: 10
; WaveLimiterHint : 0
; COMPUTE_PGM_RSRC2:SCRATCH_EN: 0
; COMPUTE_PGM_RSRC2:USER_SGPR: 6
; COMPUTE_PGM_RSRC2:TRAP_HANDLER: 0
; COMPUTE_PGM_RSRC2:TGID_X_EN: 1
; COMPUTE_PGM_RSRC2:TGID_Y_EN: 0
; COMPUTE_PGM_RSRC2:TGID_Z_EN: 0
; COMPUTE_PGM_RSRC2:TIDIG_COMP_CNT: 0
	.section	.text._ZN2at6native12_GLOBAL__N_125multi_tensor_apply_kernelINS1_18TensorListMetadataILi1EEENS1_14UnaryOpFunctorIN3c108BFloat16ELi1ELi1ELi0EEEJNS0_3ExpIfEEEEEvT_T0_DpT1_,"axG",@progbits,_ZN2at6native12_GLOBAL__N_125multi_tensor_apply_kernelINS1_18TensorListMetadataILi1EEENS1_14UnaryOpFunctorIN3c108BFloat16ELi1ELi1ELi0EEEJNS0_3ExpIfEEEEEvT_T0_DpT1_,comdat
	.globl	_ZN2at6native12_GLOBAL__N_125multi_tensor_apply_kernelINS1_18TensorListMetadataILi1EEENS1_14UnaryOpFunctorIN3c108BFloat16ELi1ELi1ELi0EEEJNS0_3ExpIfEEEEEvT_T0_DpT1_ ; -- Begin function _ZN2at6native12_GLOBAL__N_125multi_tensor_apply_kernelINS1_18TensorListMetadataILi1EEENS1_14UnaryOpFunctorIN3c108BFloat16ELi1ELi1ELi0EEEJNS0_3ExpIfEEEEEvT_T0_DpT1_
	.p2align	8
	.type	_ZN2at6native12_GLOBAL__N_125multi_tensor_apply_kernelINS1_18TensorListMetadataILi1EEENS1_14UnaryOpFunctorIN3c108BFloat16ELi1ELi1ELi0EEEJNS0_3ExpIfEEEEEvT_T0_DpT1_,@function
_ZN2at6native12_GLOBAL__N_125multi_tensor_apply_kernelINS1_18TensorListMetadataILi1EEENS1_14UnaryOpFunctorIN3c108BFloat16ELi1ELi1ELi0EEEJNS0_3ExpIfEEEEEvT_T0_DpT1_: ; @_ZN2at6native12_GLOBAL__N_125multi_tensor_apply_kernelINS1_18TensorListMetadataILi1EEENS1_14UnaryOpFunctorIN3c108BFloat16ELi1ELi1ELi0EEEJNS0_3ExpIfEEEEEvT_T0_DpT1_
; %bb.0:
	v_mov_b32_e32 v1, s6
	global_load_ubyte v1, v1, s[4:5] offset:1760
	s_add_u32 s0, s4, s6
	s_mul_hi_u32 s1, s6, 3
	s_mul_i32 s6, s6, 3
	s_addc_u32 s2, s5, 0
	s_add_u32 s0, s0, s6
	s_addc_u32 s1, s2, s1
	s_load_dword s0, s[0:1], 0x820
	s_mov_b32 s7, 0
	s_waitcnt vmcnt(0)
	v_readfirstlane_b32 s1, v1
	s_lshl_b32 s1, s1, 3
	s_load_dwordx2 s[2:3], s[4:5], s1 offset:0x370
	s_load_dwordx2 s[10:11], s[4:5], s1 offset:0x0
	s_waitcnt lgkmcnt(0)
	s_ashr_i32 s1, s0, 31
	s_lshl_b64 s[12:13], s[0:1], 17
	s_lshl_b64 s[0:1], s[0:1], 16
	s_and_b32 s6, s10, 7
	s_sub_u32 s14, s2, s0
	s_subb_u32 s15, s3, s1
	s_and_b32 s0, s2, 3
	s_mov_b32 s1, s7
	s_or_b64 s[0:1], s[6:7], s[0:1]
	s_cmp_eq_u64 s[0:1], 0
	s_cbranch_scc1 .LBB140_21
; %bb.1:
	v_cmp_lt_i64_e64 s[0:1], s[14:15], 1
	s_and_b64 vcc, exec, s[0:1]
	s_cbranch_vccnz .LBB140_20
; %bb.2:
	v_mov_b32_e32 v1, 0x10000
	s_load_dword s2, s[4:5], 0xd3c
	v_mov_b32_e32 v2, 0
	v_cmp_lt_i64_e32 vcc, s[14:15], v[1:2]
	s_mov_b64 s[20:21], 0
	s_and_b64 s[0:1], vcc, exec
	v_cmp_lt_u64_e32 vcc, s[14:15], v[1:2]
	s_cselect_b32 s17, s15, 0
	s_cselect_b32 s16, s14, 0x10000
	s_waitcnt lgkmcnt(0)
	s_and_b32 s2, s2, 0xffff
	s_and_b64 s[0:1], vcc, exec
	s_cselect_b32 s19, s15, 0
	s_cselect_b32 s18, s14, 0x10000
	s_lshl_b32 s3, s2, 1
	s_lshl_b32 s24, s2, 2
	s_add_u32 s6, s10, s12
	v_lshlrev_b32_e32 v1, 1, v0
	s_addc_u32 s7, s11, s13
	v_mov_b32_e32 v2, s7
	v_add_co_u32_e32 v1, vcc, s6, v1
	s_mul_i32 s0, s2, 3
	v_addc_co_u32_e32 v2, vcc, 0, v2, vcc
	v_add_co_u32_e32 v5, vcc, s0, v0
	v_addc_co_u32_e64 v6, s[0:1], 0, 0, vcc
	v_add_co_u32_e32 v7, vcc, s3, v0
	v_addc_co_u32_e64 v8, s[0:1], 0, 0, vcc
	v_add_co_u32_e32 v9, vcc, s2, v0
	v_lshlrev_b32_e32 v3, 1, v9
	v_addc_co_u32_e64 v10, s[0:1], 0, 0, vcc
	v_mov_b32_e32 v4, s7
	v_add_co_u32_e32 v3, vcc, s6, v3
	s_lshl_b32 s25, s2, 3
	s_mul_i32 s26, s2, 6
	v_addc_co_u32_e32 v4, vcc, 0, v4, vcc
	s_mov_b32 s27, 0x3fb8aa3b
	s_mov_b32 s28, 0xc2ce8ed0
	;; [unrolled: 1-line block ×3, first 2 shown]
	s_movk_i32 s30, 0x7fff
	v_mov_b32_e32 v11, 0x7f800000
	v_mov_b32_e32 v12, 0x7fc0
	s_branch .LBB140_4
.LBB140_3:                              ;   in Loop: Header=BB140_4 Depth=1
	s_or_b64 exec, exec, s[0:1]
	s_add_u32 s20, s20, s24
	v_add_co_u32_e32 v1, vcc, s25, v1
	v_mov_b32_e32 v13, s16
	s_addc_u32 s21, s21, 0
	v_addc_co_u32_e32 v2, vcc, 0, v2, vcc
	v_mov_b32_e32 v14, s17
	v_cmp_lt_i64_e32 vcc, s[20:21], v[13:14]
	v_add_co_u32_e64 v3, s[0:1], s25, v3
	v_addc_co_u32_e64 v4, s[0:1], 0, v4, s[0:1]
	s_cbranch_vccz .LBB140_20
.LBB140_4:                              ; =>This Inner Loop Header: Depth=1
	v_mov_b32_e32 v14, s21
	v_add_co_u32_e32 v13, vcc, s20, v0
	v_addc_co_u32_e32 v14, vcc, 0, v14, vcc
	v_cmp_gt_u64_e32 vcc, s[18:19], v[13:14]
	v_mov_b32_e32 v13, 1.0
	v_mov_b32_e32 v14, 1.0
	s_and_saveexec_b64 s[2:3], vcc
	s_cbranch_execz .LBB140_6
; %bb.5:                                ;   in Loop: Header=BB140_4 Depth=1
	global_load_ushort v14, v[1:2], off
	s_waitcnt vmcnt(0)
	v_lshlrev_b32_e32 v14, 16, v14
	v_mul_f32_e32 v15, 0x3fb8aa3b, v14
	v_fma_f32 v16, v14, s27, -v15
	v_rndne_f32_e32 v17, v15
	v_fmac_f32_e32 v16, 0x32a5705f, v14
	v_sub_f32_e32 v15, v15, v17
	v_add_f32_e32 v15, v15, v16
	v_cvt_i32_f32_e32 v17, v17
	v_exp_f32_e32 v15, v15
	v_cmp_ngt_f32_e64 s[0:1], s28, v14
	v_ldexp_f32 v15, v15, v17
	v_cndmask_b32_e64 v15, 0, v15, s[0:1]
	v_cmp_nlt_f32_e64 s[0:1], s29, v14
	v_cndmask_b32_e64 v14, v11, v15, s[0:1]
.LBB140_6:                              ;   in Loop: Header=BB140_4 Depth=1
	s_or_b64 exec, exec, s[2:3]
	v_mov_b32_e32 v16, s21
	v_add_co_u32_e64 v15, s[0:1], s20, v9
	v_addc_co_u32_e64 v16, s[0:1], v10, v16, s[0:1]
	v_cmp_gt_u64_e64 s[0:1], s[18:19], v[15:16]
	s_and_saveexec_b64 s[6:7], s[0:1]
	s_cbranch_execz .LBB140_8
; %bb.7:                                ;   in Loop: Header=BB140_4 Depth=1
	global_load_ushort v13, v[3:4], off
	s_waitcnt vmcnt(0)
	v_lshlrev_b32_e32 v13, 16, v13
	v_mul_f32_e32 v15, 0x3fb8aa3b, v13
	v_fma_f32 v16, v13, s27, -v15
	v_rndne_f32_e32 v17, v15
	v_fmac_f32_e32 v16, 0x32a5705f, v13
	v_sub_f32_e32 v15, v15, v17
	v_add_f32_e32 v15, v15, v16
	v_cvt_i32_f32_e32 v17, v17
	v_exp_f32_e32 v15, v15
	v_cmp_ngt_f32_e64 s[2:3], s28, v13
	v_ldexp_f32 v15, v15, v17
	v_cndmask_b32_e64 v15, 0, v15, s[2:3]
	v_cmp_nlt_f32_e64 s[2:3], s29, v13
	v_cndmask_b32_e64 v13, v11, v15, s[2:3]
.LBB140_8:                              ;   in Loop: Header=BB140_4 Depth=1
	s_or_b64 exec, exec, s[6:7]
	v_mov_b32_e32 v16, s21
	v_add_co_u32_e64 v15, s[2:3], s20, v7
	v_addc_co_u32_e64 v16, s[2:3], v8, v16, s[2:3]
	v_cmp_gt_u64_e64 s[2:3], s[18:19], v[15:16]
	v_mov_b32_e32 v15, 1.0
	v_mov_b32_e32 v16, 1.0
	s_and_saveexec_b64 s[8:9], s[2:3]
	s_cbranch_execz .LBB140_10
; %bb.9:                                ;   in Loop: Header=BB140_4 Depth=1
	v_add_co_u32_e64 v16, s[6:7], s24, v1
	v_addc_co_u32_e64 v17, s[6:7], 0, v2, s[6:7]
	global_load_ushort v16, v[16:17], off
	s_waitcnt vmcnt(0)
	v_lshlrev_b32_e32 v16, 16, v16
	v_mul_f32_e32 v17, 0x3fb8aa3b, v16
	v_fma_f32 v18, v16, s27, -v17
	v_rndne_f32_e32 v19, v17
	v_fmac_f32_e32 v18, 0x32a5705f, v16
	v_sub_f32_e32 v17, v17, v19
	v_add_f32_e32 v17, v17, v18
	v_cvt_i32_f32_e32 v19, v19
	v_exp_f32_e32 v17, v17
	v_cmp_ngt_f32_e64 s[6:7], s28, v16
	v_ldexp_f32 v17, v17, v19
	v_cndmask_b32_e64 v17, 0, v17, s[6:7]
	v_cmp_nlt_f32_e64 s[6:7], s29, v16
	v_cndmask_b32_e64 v16, v11, v17, s[6:7]
.LBB140_10:                             ;   in Loop: Header=BB140_4 Depth=1
	s_or_b64 exec, exec, s[8:9]
	v_mov_b32_e32 v18, s21
	v_add_co_u32_e64 v17, s[6:7], s20, v5
	v_addc_co_u32_e64 v18, s[6:7], v6, v18, s[6:7]
	v_cmp_gt_u64_e64 s[6:7], s[18:19], v[17:18]
	s_and_saveexec_b64 s[22:23], s[6:7]
	s_cbranch_execnz .LBB140_15
; %bb.11:                               ;   in Loop: Header=BB140_4 Depth=1
	s_or_b64 exec, exec, s[22:23]
	s_and_saveexec_b64 s[8:9], vcc
	s_cbranch_execnz .LBB140_16
.LBB140_12:                             ;   in Loop: Header=BB140_4 Depth=1
	s_or_b64 exec, exec, s[8:9]
	s_and_saveexec_b64 s[8:9], s[0:1]
	s_cbranch_execnz .LBB140_17
.LBB140_13:                             ;   in Loop: Header=BB140_4 Depth=1
	s_or_b64 exec, exec, s[8:9]
	s_and_saveexec_b64 s[0:1], s[2:3]
	s_cbranch_execnz .LBB140_18
.LBB140_14:                             ;   in Loop: Header=BB140_4 Depth=1
	s_or_b64 exec, exec, s[0:1]
	s_and_saveexec_b64 s[0:1], s[6:7]
	s_cbranch_execz .LBB140_3
	s_branch .LBB140_19
.LBB140_15:                             ;   in Loop: Header=BB140_4 Depth=1
	v_add_co_u32_e64 v17, s[8:9], s26, v1
	v_addc_co_u32_e64 v18, s[8:9], 0, v2, s[8:9]
	global_load_ushort v15, v[17:18], off
	s_waitcnt vmcnt(0)
	v_lshlrev_b32_e32 v15, 16, v15
	v_mul_f32_e32 v17, 0x3fb8aa3b, v15
	v_fma_f32 v18, v15, s27, -v17
	v_rndne_f32_e32 v19, v17
	v_fmac_f32_e32 v18, 0x32a5705f, v15
	v_sub_f32_e32 v17, v17, v19
	v_add_f32_e32 v17, v17, v18
	v_cvt_i32_f32_e32 v19, v19
	v_exp_f32_e32 v17, v17
	v_cmp_ngt_f32_e64 s[8:9], s28, v15
	v_ldexp_f32 v17, v17, v19
	v_cndmask_b32_e64 v17, 0, v17, s[8:9]
	v_cmp_nlt_f32_e64 s[8:9], s29, v15
	v_cndmask_b32_e64 v15, v11, v17, s[8:9]
	s_or_b64 exec, exec, s[22:23]
	s_and_saveexec_b64 s[8:9], vcc
	s_cbranch_execz .LBB140_12
.LBB140_16:                             ;   in Loop: Header=BB140_4 Depth=1
	v_bfe_u32 v17, v14, 16, 1
	v_add3_u32 v17, v14, v17, s30
	v_cmp_o_f32_e32 vcc, v14, v14
	v_cndmask_b32_sdwa v14, v12, v17, vcc dst_sel:DWORD dst_unused:UNUSED_PAD src0_sel:DWORD src1_sel:WORD_1
	global_store_short v[1:2], v14, off
	s_or_b64 exec, exec, s[8:9]
	s_and_saveexec_b64 s[8:9], s[0:1]
	s_cbranch_execz .LBB140_13
.LBB140_17:                             ;   in Loop: Header=BB140_4 Depth=1
	v_bfe_u32 v14, v13, 16, 1
	v_add3_u32 v14, v13, v14, s30
	v_cmp_o_f32_e32 vcc, v13, v13
	v_cndmask_b32_sdwa v13, v12, v14, vcc dst_sel:DWORD dst_unused:UNUSED_PAD src0_sel:DWORD src1_sel:WORD_1
	global_store_short v[3:4], v13, off
	s_or_b64 exec, exec, s[8:9]
	s_and_saveexec_b64 s[0:1], s[2:3]
	s_cbranch_execz .LBB140_14
.LBB140_18:                             ;   in Loop: Header=BB140_4 Depth=1
	v_bfe_u32 v13, v16, 16, 1
	v_add3_u32 v13, v16, v13, s30
	v_cmp_o_f32_e32 vcc, v16, v16
	v_cndmask_b32_sdwa v16, v12, v13, vcc dst_sel:DWORD dst_unused:UNUSED_PAD src0_sel:DWORD src1_sel:WORD_1
	v_add_co_u32_e32 v13, vcc, s24, v1
	v_addc_co_u32_e32 v14, vcc, 0, v2, vcc
	global_store_short v[13:14], v16, off
	s_or_b64 exec, exec, s[0:1]
	s_and_saveexec_b64 s[0:1], s[6:7]
	s_cbranch_execz .LBB140_3
.LBB140_19:                             ;   in Loop: Header=BB140_4 Depth=1
	v_bfe_u32 v13, v15, 16, 1
	v_add3_u32 v13, v15, v13, s30
	v_cmp_o_f32_e32 vcc, v15, v15
	v_cndmask_b32_sdwa v15, v12, v13, vcc dst_sel:DWORD dst_unused:UNUSED_PAD src0_sel:DWORD src1_sel:WORD_1
	v_add_co_u32_e32 v13, vcc, s26, v1
	v_addc_co_u32_e32 v14, vcc, 0, v2, vcc
	global_store_short v[13:14], v15, off
	s_branch .LBB140_3
.LBB140_20:
	s_cbranch_execz .LBB140_22
	s_branch .LBB140_25
.LBB140_21:
.LBB140_22:
	v_mov_b32_e32 v1, 0x10000
	v_mov_b32_e32 v2, 0
	v_cmp_lt_i64_e32 vcc, s[14:15], v[1:2]
	v_mov_b32_e32 v2, 0
	s_and_b64 s[0:1], vcc, exec
	s_cselect_b32 s1, s15, 0
	s_cselect_b32 s0, s14, 0x10000
	v_lshlrev_b32_e32 v1, 2, v0
	v_cmp_gt_i64_e32 vcc, s[0:1], v[1:2]
	s_and_saveexec_b64 s[2:3], vcc
	s_cbranch_execz .LBB140_25
; %bb.23:
	s_load_dword s2, s[4:5], 0xd3c
	v_mov_b32_e32 v1, v2
	v_lshlrev_b32_e32 v2, 3, v0
	s_mov_b32 s6, 0x3fb8aa3b
	s_mov_b32 s7, 0xc2ce8ed0
	s_waitcnt lgkmcnt(0)
	s_and_b32 s4, s2, 0xffff
	s_add_u32 s2, s10, s12
	s_addc_u32 s3, s11, s13
	v_mov_b32_e32 v3, s3
	v_add_co_u32_e32 v2, vcc, s2, v2
	v_addc_co_u32_e32 v3, vcc, 0, v3, vcc
	s_lshl_b32 s5, s4, 3
	s_mov_b64 s[2:3], 0
	s_mov_b32 s8, 0x42b17218
	v_mov_b32_e32 v4, 0x7f800000
	s_movk_i32 s9, 0x7fff
	v_mov_b32_e32 v5, 0x7fc00000
	v_mov_b32_e32 v6, 0x7fc0
.LBB140_24:                             ; =>This Inner Loop Header: Depth=1
	global_load_dwordx2 v[7:8], v[2:3], off
	v_add_co_u32_e32 v0, vcc, s4, v0
	v_addc_co_u32_e32 v1, vcc, 0, v1, vcc
	v_lshlrev_b64 v[9:10], 2, v[0:1]
	v_cmp_le_i64_e32 vcc, s[0:1], v[9:10]
	s_or_b64 s[2:3], vcc, s[2:3]
	s_waitcnt vmcnt(0)
	v_lshlrev_b32_e32 v10, 16, v7
	v_and_b32_e32 v9, 0xffff0000, v7
	v_mul_f32_e32 v11, 0x3fb8aa3b, v10
	v_alignbit_b32 v7, v8, v7, 16
	v_and_b32_e32 v8, 0xffff0000, v8
	v_mul_f32_e32 v12, 0x3fb8aa3b, v9
	v_fma_f32 v14, v10, s6, -v11
	v_rndne_f32_e32 v15, v11
	v_mul_f32_e32 v13, 0x3fb8aa3b, v8
	v_fma_f32 v16, v9, s6, -v12
	v_rndne_f32_e32 v17, v12
	v_fmac_f32_e32 v14, 0x32a5705f, v10
	v_sub_f32_e32 v11, v11, v15
	v_fma_f32 v19, v8, s6, -v13
	v_add_f32_e32 v11, v11, v14
	v_rndne_f32_e32 v14, v13
	v_fmac_f32_e32 v16, 0x32a5705f, v9
	v_sub_f32_e32 v12, v12, v17
	v_and_b32_e32 v7, 0xffff0000, v7
	v_cvt_i32_f32_e32 v15, v15
	v_add_f32_e32 v12, v12, v16
	v_fmac_f32_e32 v19, 0x32a5705f, v8
	v_sub_f32_e32 v13, v13, v14
	v_exp_f32_e32 v11, v11
	v_mul_f32_e32 v18, 0x3fb8aa3b, v7
	v_cvt_i32_f32_e32 v17, v17
	v_add_f32_e32 v13, v13, v19
	v_exp_f32_e32 v12, v12
	v_fma_f32 v16, v7, s6, -v18
	v_rndne_f32_e32 v19, v18
	v_cvt_i32_f32_e32 v14, v14
	v_exp_f32_e32 v13, v13
	v_fmac_f32_e32 v16, 0x32a5705f, v7
	v_sub_f32_e32 v18, v18, v19
	v_add_f32_e32 v16, v18, v16
	v_ldexp_f32 v11, v11, v15
	v_cmp_ngt_f32_e32 vcc, s7, v10
	v_cvt_i32_f32_e32 v19, v19
	v_exp_f32_e32 v16, v16
	v_ldexp_f32 v12, v12, v17
	v_cndmask_b32_e32 v11, 0, v11, vcc
	v_cmp_ngt_f32_e32 vcc, s7, v9
	v_ldexp_f32 v13, v13, v14
	v_cndmask_b32_e32 v12, 0, v12, vcc
	v_cmp_ngt_f32_e32 vcc, s7, v8
	v_cndmask_b32_e32 v13, 0, v13, vcc
	v_cmp_nlt_f32_e32 vcc, s8, v10
	v_cndmask_b32_e32 v10, v4, v11, vcc
	v_cmp_nlt_f32_e32 vcc, s8, v9
	v_ldexp_f32 v14, v16, v19
	v_cndmask_b32_e32 v9, v4, v12, vcc
	v_cmp_ngt_f32_e32 vcc, s7, v7
	v_cndmask_b32_e32 v11, 0, v14, vcc
	v_cmp_nlt_f32_e32 vcc, s8, v8
	v_cndmask_b32_e32 v8, v4, v13, vcc
	v_cmp_nlt_f32_e32 vcc, s8, v7
	v_cndmask_b32_e32 v7, v4, v11, vcc
	v_bfe_u32 v11, v8, 16, 1
	v_bfe_u32 v13, v9, 16, 1
	v_add3_u32 v11, v8, v11, s9
	v_bfe_u32 v12, v10, 16, 1
	v_add3_u32 v13, v9, v13, s9
	v_and_b32_e32 v11, 0xffff0000, v11
	v_cmp_o_f32_e32 vcc, v8, v8
	v_add3_u32 v12, v10, v12, s9
	v_bfe_u32 v14, v7, 16, 1
	v_and_b32_e32 v13, 0xffff0000, v13
	v_cndmask_b32_e32 v8, v5, v11, vcc
	v_cmp_o_f32_e32 vcc, v9, v9
	v_lshrrev_b32_e32 v12, 16, v12
	v_add3_u32 v14, v7, v14, s9
	v_cndmask_b32_e32 v9, v5, v13, vcc
	v_cmp_o_f32_e32 vcc, v10, v10
	v_lshrrev_b32_e32 v14, 16, v14
	v_cndmask_b32_e32 v10, v6, v12, vcc
	v_cmp_o_f32_e32 vcc, v7, v7
	v_cndmask_b32_e32 v7, v6, v14, vcc
	v_or_b32_e32 v9, v10, v9
	v_or3_b32 v8, 0, v7, v8
	v_or3_b32 v7, v9, 0, 0
	global_store_dwordx2 v[2:3], v[7:8], off
	v_add_co_u32_e32 v2, vcc, s5, v2
	v_addc_co_u32_e32 v3, vcc, 0, v3, vcc
	s_andn2_b64 exec, exec, s[2:3]
	s_cbranch_execnz .LBB140_24
.LBB140_25:
	s_endpgm
	.section	.rodata,"a",@progbits
	.p2align	6, 0x0
	.amdhsa_kernel _ZN2at6native12_GLOBAL__N_125multi_tensor_apply_kernelINS1_18TensorListMetadataILi1EEENS1_14UnaryOpFunctorIN3c108BFloat16ELi1ELi1ELi0EEEJNS0_3ExpIfEEEEEvT_T0_DpT1_
		.amdhsa_group_segment_fixed_size 0
		.amdhsa_private_segment_fixed_size 0
		.amdhsa_kernarg_size 3632
		.amdhsa_user_sgpr_count 6
		.amdhsa_user_sgpr_private_segment_buffer 1
		.amdhsa_user_sgpr_dispatch_ptr 0
		.amdhsa_user_sgpr_queue_ptr 0
		.amdhsa_user_sgpr_kernarg_segment_ptr 1
		.amdhsa_user_sgpr_dispatch_id 0
		.amdhsa_user_sgpr_flat_scratch_init 0
		.amdhsa_user_sgpr_private_segment_size 0
		.amdhsa_uses_dynamic_stack 0
		.amdhsa_system_sgpr_private_segment_wavefront_offset 0
		.amdhsa_system_sgpr_workgroup_id_x 1
		.amdhsa_system_sgpr_workgroup_id_y 0
		.amdhsa_system_sgpr_workgroup_id_z 0
		.amdhsa_system_sgpr_workgroup_info 0
		.amdhsa_system_vgpr_workitem_id 0
		.amdhsa_next_free_vgpr 20
		.amdhsa_next_free_sgpr 31
		.amdhsa_reserve_vcc 1
		.amdhsa_reserve_flat_scratch 0
		.amdhsa_float_round_mode_32 0
		.amdhsa_float_round_mode_16_64 0
		.amdhsa_float_denorm_mode_32 3
		.amdhsa_float_denorm_mode_16_64 3
		.amdhsa_dx10_clamp 1
		.amdhsa_ieee_mode 1
		.amdhsa_fp16_overflow 0
		.amdhsa_exception_fp_ieee_invalid_op 0
		.amdhsa_exception_fp_denorm_src 0
		.amdhsa_exception_fp_ieee_div_zero 0
		.amdhsa_exception_fp_ieee_overflow 0
		.amdhsa_exception_fp_ieee_underflow 0
		.amdhsa_exception_fp_ieee_inexact 0
		.amdhsa_exception_int_div_zero 0
	.end_amdhsa_kernel
	.section	.text._ZN2at6native12_GLOBAL__N_125multi_tensor_apply_kernelINS1_18TensorListMetadataILi1EEENS1_14UnaryOpFunctorIN3c108BFloat16ELi1ELi1ELi0EEEJNS0_3ExpIfEEEEEvT_T0_DpT1_,"axG",@progbits,_ZN2at6native12_GLOBAL__N_125multi_tensor_apply_kernelINS1_18TensorListMetadataILi1EEENS1_14UnaryOpFunctorIN3c108BFloat16ELi1ELi1ELi0EEEJNS0_3ExpIfEEEEEvT_T0_DpT1_,comdat
.Lfunc_end140:
	.size	_ZN2at6native12_GLOBAL__N_125multi_tensor_apply_kernelINS1_18TensorListMetadataILi1EEENS1_14UnaryOpFunctorIN3c108BFloat16ELi1ELi1ELi0EEEJNS0_3ExpIfEEEEEvT_T0_DpT1_, .Lfunc_end140-_ZN2at6native12_GLOBAL__N_125multi_tensor_apply_kernelINS1_18TensorListMetadataILi1EEENS1_14UnaryOpFunctorIN3c108BFloat16ELi1ELi1ELi0EEEJNS0_3ExpIfEEEEEvT_T0_DpT1_
                                        ; -- End function
	.set _ZN2at6native12_GLOBAL__N_125multi_tensor_apply_kernelINS1_18TensorListMetadataILi1EEENS1_14UnaryOpFunctorIN3c108BFloat16ELi1ELi1ELi0EEEJNS0_3ExpIfEEEEEvT_T0_DpT1_.num_vgpr, 20
	.set _ZN2at6native12_GLOBAL__N_125multi_tensor_apply_kernelINS1_18TensorListMetadataILi1EEENS1_14UnaryOpFunctorIN3c108BFloat16ELi1ELi1ELi0EEEJNS0_3ExpIfEEEEEvT_T0_DpT1_.num_agpr, 0
	.set _ZN2at6native12_GLOBAL__N_125multi_tensor_apply_kernelINS1_18TensorListMetadataILi1EEENS1_14UnaryOpFunctorIN3c108BFloat16ELi1ELi1ELi0EEEJNS0_3ExpIfEEEEEvT_T0_DpT1_.numbered_sgpr, 31
	.set _ZN2at6native12_GLOBAL__N_125multi_tensor_apply_kernelINS1_18TensorListMetadataILi1EEENS1_14UnaryOpFunctorIN3c108BFloat16ELi1ELi1ELi0EEEJNS0_3ExpIfEEEEEvT_T0_DpT1_.num_named_barrier, 0
	.set _ZN2at6native12_GLOBAL__N_125multi_tensor_apply_kernelINS1_18TensorListMetadataILi1EEENS1_14UnaryOpFunctorIN3c108BFloat16ELi1ELi1ELi0EEEJNS0_3ExpIfEEEEEvT_T0_DpT1_.private_seg_size, 0
	.set _ZN2at6native12_GLOBAL__N_125multi_tensor_apply_kernelINS1_18TensorListMetadataILi1EEENS1_14UnaryOpFunctorIN3c108BFloat16ELi1ELi1ELi0EEEJNS0_3ExpIfEEEEEvT_T0_DpT1_.uses_vcc, 1
	.set _ZN2at6native12_GLOBAL__N_125multi_tensor_apply_kernelINS1_18TensorListMetadataILi1EEENS1_14UnaryOpFunctorIN3c108BFloat16ELi1ELi1ELi0EEEJNS0_3ExpIfEEEEEvT_T0_DpT1_.uses_flat_scratch, 0
	.set _ZN2at6native12_GLOBAL__N_125multi_tensor_apply_kernelINS1_18TensorListMetadataILi1EEENS1_14UnaryOpFunctorIN3c108BFloat16ELi1ELi1ELi0EEEJNS0_3ExpIfEEEEEvT_T0_DpT1_.has_dyn_sized_stack, 0
	.set _ZN2at6native12_GLOBAL__N_125multi_tensor_apply_kernelINS1_18TensorListMetadataILi1EEENS1_14UnaryOpFunctorIN3c108BFloat16ELi1ELi1ELi0EEEJNS0_3ExpIfEEEEEvT_T0_DpT1_.has_recursion, 0
	.set _ZN2at6native12_GLOBAL__N_125multi_tensor_apply_kernelINS1_18TensorListMetadataILi1EEENS1_14UnaryOpFunctorIN3c108BFloat16ELi1ELi1ELi0EEEJNS0_3ExpIfEEEEEvT_T0_DpT1_.has_indirect_call, 0
	.section	.AMDGPU.csdata,"",@progbits
; Kernel info:
; codeLenInByte = 1948
; TotalNumSgprs: 35
; NumVgprs: 20
; ScratchSize: 0
; MemoryBound: 0
; FloatMode: 240
; IeeeMode: 1
; LDSByteSize: 0 bytes/workgroup (compile time only)
; SGPRBlocks: 4
; VGPRBlocks: 4
; NumSGPRsForWavesPerEU: 35
; NumVGPRsForWavesPerEU: 20
; Occupancy: 10
; WaveLimiterHint : 0
; COMPUTE_PGM_RSRC2:SCRATCH_EN: 0
; COMPUTE_PGM_RSRC2:USER_SGPR: 6
; COMPUTE_PGM_RSRC2:TRAP_HANDLER: 0
; COMPUTE_PGM_RSRC2:TGID_X_EN: 1
; COMPUTE_PGM_RSRC2:TGID_Y_EN: 0
; COMPUTE_PGM_RSRC2:TGID_Z_EN: 0
; COMPUTE_PGM_RSRC2:TIDIG_COMP_CNT: 0
	.section	.text._ZN2at6native12_GLOBAL__N_125multi_tensor_apply_kernelINS1_18TensorListMetadataILi2EEENS1_14UnaryOpFunctorIdLi2ELi1ELi1EEEJNS0_5Expm1IdEEEEEvT_T0_DpT1_,"axG",@progbits,_ZN2at6native12_GLOBAL__N_125multi_tensor_apply_kernelINS1_18TensorListMetadataILi2EEENS1_14UnaryOpFunctorIdLi2ELi1ELi1EEEJNS0_5Expm1IdEEEEEvT_T0_DpT1_,comdat
	.globl	_ZN2at6native12_GLOBAL__N_125multi_tensor_apply_kernelINS1_18TensorListMetadataILi2EEENS1_14UnaryOpFunctorIdLi2ELi1ELi1EEEJNS0_5Expm1IdEEEEEvT_T0_DpT1_ ; -- Begin function _ZN2at6native12_GLOBAL__N_125multi_tensor_apply_kernelINS1_18TensorListMetadataILi2EEENS1_14UnaryOpFunctorIdLi2ELi1ELi1EEEJNS0_5Expm1IdEEEEEvT_T0_DpT1_
	.p2align	8
	.type	_ZN2at6native12_GLOBAL__N_125multi_tensor_apply_kernelINS1_18TensorListMetadataILi2EEENS1_14UnaryOpFunctorIdLi2ELi1ELi1EEEJNS0_5Expm1IdEEEEEvT_T0_DpT1_,@function
_ZN2at6native12_GLOBAL__N_125multi_tensor_apply_kernelINS1_18TensorListMetadataILi2EEENS1_14UnaryOpFunctorIdLi2ELi1ELi1EEEJNS0_5Expm1IdEEEEEvT_T0_DpT1_: ; @_ZN2at6native12_GLOBAL__N_125multi_tensor_apply_kernelINS1_18TensorListMetadataILi2EEENS1_14UnaryOpFunctorIdLi2ELi1ELi1EEEJNS0_5Expm1IdEEEEEvT_T0_DpT1_
; %bb.0:
	v_mov_b32_e32 v1, s6
	global_load_ubyte v1, v1, s[4:5] offset:1536
	s_add_u32 s0, s4, s6
	s_mul_hi_u32 s2, s6, 3
	s_mul_i32 s6, s6, 3
	s_addc_u32 s7, s5, 0
	s_add_u32 s6, s0, s6
	s_addc_u32 s7, s7, s2
	s_load_dword s6, s[6:7], 0x740
	s_mov_b32 s1, 0
	s_mov_b32 s3, s1
	s_waitcnt lgkmcnt(0)
	s_ashr_i32 s7, s6, 31
	s_lshl_b64 s[18:19], s[6:7], 19
	s_lshl_b64 s[6:7], s[6:7], 16
	s_waitcnt vmcnt(0)
	v_readfirstlane_b32 s0, v1
	s_lshl_b32 s0, s0, 3
	s_load_dwordx2 s[8:9], s[4:5], s0 offset:0x400
	s_load_dwordx2 s[22:23], s[4:5], s0 offset:0x0
	;; [unrolled: 1-line block ×3, first 2 shown]
	s_waitcnt lgkmcnt(0)
	s_add_u32 s0, s22, s18
	s_and_b32 s2, s20, 31
	s_and_b32 s0, s0, 31
	s_sub_u32 s24, s8, s6
	s_subb_u32 s25, s9, s7
	s_and_b32 s6, s8, 3
	s_mov_b32 s7, s1
	s_or_b64 s[2:3], s[2:3], s[6:7]
	s_or_b64 s[0:1], s[2:3], s[0:1]
	s_cmp_eq_u64 s[0:1], 0
	s_mov_b64 s[0:1], -1
	s_cbranch_scc0 .LBB141_5
; %bb.1:
	v_mov_b32_e32 v1, 0x10000
	v_mov_b32_e32 v2, 0
	v_cmp_lt_i64_e32 vcc, s[24:25], v[1:2]
	v_mov_b32_e32 v2, 0
	s_and_b64 s[0:1], vcc, exec
	s_cselect_b32 s27, s25, 0
	s_cselect_b32 s26, s24, 0x10000
	v_lshlrev_b32_e32 v1, 2, v0
	v_cmp_gt_i64_e32 vcc, s[26:27], v[1:2]
	s_and_saveexec_b64 s[28:29], vcc
	s_cbranch_execz .LBB141_4
; %bb.2:
	s_load_dword s0, s[4:5], 0xc5c
	v_mov_b32_e32 v1, v2
	v_lshlrev_b32_e32 v2, 5, v0
	v_mov_b32_e32 v3, s19
	v_add_co_u32_e32 v8, vcc, s18, v2
	s_waitcnt lgkmcnt(0)
	s_and_b32 s33, s0, 0xffff
	s_mov_b32 s0, 0x2a1b768b
	s_mov_b32 s1, 0x3e5af4eb
	v_addc_co_u32_e32 v9, vcc, 0, v3, vcc
	s_mov_b32 s34, 0x652b82fe
	s_mov_b32 s36, 0xfefa39ef
	;; [unrolled: 1-line block ×4, first 2 shown]
	v_mov_b32_e32 v3, s1
	s_mov_b32 s42, 0xe0ac05b
	s_mov_b32 s44, 0x1b889c29
	;; [unrolled: 1-line block ×10, first 2 shown]
	v_mov_b32_e32 v5, v1
	s_lshl_b32 s64, s33, 5
	s_mov_b64 s[30:31], 0
	v_mov_b32_e32 v10, s23
	s_mov_b32 s35, 0x3ff71547
	s_mov_b32 s37, 0xbfe62e42
	;; [unrolled: 1-line block ×4, first 2 shown]
	v_mov_b32_e32 v2, s0
	s_mov_b32 s43, 0x3e927e50
	s_mov_b32 s45, 0x3ec71de0
	;; [unrolled: 1-line block ×9, first 2 shown]
	v_mov_b32_e32 v11, 0x7fe00000
	s_mov_b32 s61, 0x40862e42
	s_mov_b32 s60, s36
	v_mov_b32_e32 v12, 0x7ff00000
	s_mov_b32 s63, 0xc0428000
	v_mov_b32_e32 v13, 0xbff00000
	v_mov_b32_e32 v14, s21
	;; [unrolled: 1-line block ×3, first 2 shown]
.LBB141_3:                              ; =>This Inner Loop Header: Depth=1
	v_add_co_u32_e32 v6, vcc, s22, v8
	v_addc_co_u32_e32 v7, vcc, v10, v9, vcc
	global_load_dwordx4 v[15:18], v[6:7], off
	global_load_dwordx4 v[19:22], v[6:7], off offset:16
	v_add_co_u32_e32 v23, vcc, s20, v8
	v_addc_co_u32_e32 v24, vcc, v14, v9, vcc
	v_add_co_u32_e32 v4, vcc, s33, v4
	v_addc_co_u32_e32 v5, vcc, 0, v5, vcc
	v_add_co_u32_e32 v8, vcc, s64, v8
	v_lshlrev_b64 v[6:7], 2, v[4:5]
	v_addc_co_u32_e32 v9, vcc, 0, v9, vcc
	v_cmp_le_i64_e32 vcc, s[26:27], v[6:7]
	s_waitcnt vmcnt(1)
	v_mul_f64 v[6:7], v[15:16], s[34:35]
	s_waitcnt vmcnt(0)
	v_mul_f64 v[27:28], v[19:20], s[34:35]
	v_mul_f64 v[29:30], v[21:22], s[34:35]
	;; [unrolled: 1-line block ×3, first 2 shown]
	v_cmp_ngt_f64_e64 s[12:13], s[62:63], v[17:18]
	v_cmp_ngt_f64_e64 s[14:15], s[62:63], v[19:20]
	;; [unrolled: 1-line block ×4, first 2 shown]
	v_rndne_f64_e32 v[6:7], v[6:7]
	v_rndne_f64_e32 v[27:28], v[27:28]
	;; [unrolled: 1-line block ×4, first 2 shown]
	v_fma_f64 v[31:32], v[6:7], s[36:37], v[15:16]
	v_cvt_i32_f64_e32 v43, v[27:28]
	v_cvt_i32_f64_e32 v1, v[6:7]
	v_fma_f64 v[37:38], v[29:30], s[36:37], v[21:22]
	v_cmp_eq_f64_e64 s[0:1], s[58:59], v[6:7]
	v_ldexp_f64 v[43:44], 1.0, v43
	v_cmp_eq_f64_e64 s[6:7], s[58:59], v[27:28]
	v_cvt_i32_f64_e32 v45, v[29:30]
	v_fma_f64 v[6:7], v[6:7], s[38:39], v[31:32]
	v_cmp_eq_f64_e64 s[8:9], s[58:59], v[29:30]
	v_fma_f64 v[33:34], v[25:26], s[36:37], v[17:18]
	v_fma_f64 v[29:30], v[29:30], s[38:39], v[37:38]
	v_ldexp_f64 v[39:40], 1.0, v1
	v_cvt_i32_f64_e32 v41, v[25:26]
	v_cndmask_b32_e64 v38, v44, v11, s[6:7]
	v_cndmask_b32_e64 v37, v43, 0, s[6:7]
	v_fma_f64 v[43:44], v[6:7], s[40:41], v[2:3]
	v_cmp_eq_f64_e64 s[2:3], s[58:59], v[25:26]
	v_fma_f64 v[25:26], v[25:26], s[38:39], v[33:34]
	v_fma_f64 v[35:36], v[27:28], s[36:37], v[19:20]
	v_cndmask_b32_e64 v34, v40, v11, s[0:1]
	v_cndmask_b32_e64 v33, v39, 0, s[0:1]
	v_add_f64 v[39:40], v[33:34], -1.0
	v_ldexp_f64 v[41:42], 1.0, v41
	v_fma_f64 v[43:44], v[6:7], v[43:44], s[42:43]
	v_ldexp_f64 v[31:32], 1.0, v45
	v_fma_f64 v[27:28], v[27:28], s[38:39], v[35:36]
	v_cndmask_b32_e64 v36, v42, v11, s[2:3]
	v_fma_f64 v[43:44], v[6:7], v[43:44], s[44:45]
	v_cndmask_b32_e64 v35, v41, 0, s[2:3]
	v_add_f64 v[41:42], v[35:36], -1.0
	v_cndmask_b32_e64 v32, v32, v11, s[8:9]
	v_cndmask_b32_e64 v31, v31, 0, s[8:9]
	v_fma_f64 v[43:44], v[6:7], v[43:44], s[46:47]
	v_fma_f64 v[43:44], v[6:7], v[43:44], s[48:49]
	;; [unrolled: 1-line block ×6, first 2 shown]
	v_fma_f64 v[43:44], v[6:7], v[43:44], 0.5
	v_mul_f64 v[43:44], v[6:7], v[43:44]
	v_fma_f64 v[6:7], v[6:7], v[43:44], v[6:7]
	v_add_f64 v[43:44], v[37:38], -1.0
	v_fma_f64 v[6:7], v[33:34], v[6:7], v[39:40]
	v_fma_f64 v[39:40], v[25:26], s[40:41], v[2:3]
	v_add_f64 v[33:34], v[31:32], -1.0
	v_fma_f64 v[39:40], v[25:26], v[39:40], s[42:43]
	v_fma_f64 v[39:40], v[25:26], v[39:40], s[44:45]
	;; [unrolled: 1-line block ×8, first 2 shown]
	v_fma_f64 v[39:40], v[25:26], v[39:40], 0.5
	v_mul_f64 v[39:40], v[25:26], v[39:40]
	v_fma_f64 v[25:26], v[25:26], v[39:40], v[25:26]
	v_fma_f64 v[39:40], v[27:28], s[40:41], v[2:3]
	;; [unrolled: 1-line block ×11, first 2 shown]
	v_fma_f64 v[39:40], v[27:28], v[39:40], 0.5
	v_mul_f64 v[39:40], v[27:28], v[39:40]
	v_fma_f64 v[27:28], v[27:28], v[39:40], v[27:28]
	v_fma_f64 v[39:40], v[29:30], s[40:41], v[2:3]
	;; [unrolled: 1-line block ×4, first 2 shown]
	v_add_f64 v[35:36], v[27:28], v[27:28]
	v_fma_f64 v[39:40], v[29:30], v[39:40], s[44:45]
	v_fma_f64 v[39:40], v[29:30], v[39:40], s[46:47]
	;; [unrolled: 1-line block ×7, first 2 shown]
	v_fma_f64 v[39:40], v[29:30], v[39:40], 0.5
	v_mul_f64 v[39:40], v[29:30], v[39:40]
	v_fma_f64 v[29:30], v[29:30], v[39:40], v[29:30]
	v_fma_f64 v[29:30], v[31:32], v[29:30], v[33:34]
	v_add_f64 v[31:32], v[6:7], v[6:7]
	v_add_f64 v[33:34], v[25:26], v[25:26]
	;; [unrolled: 1-line block ×3, first 2 shown]
	v_cndmask_b32_e64 v1, v6, v31, s[0:1]
	v_cndmask_b32_e64 v6, v7, v32, s[0:1]
	;; [unrolled: 1-line block ×4, first 2 shown]
	v_cmp_nlt_f64_e64 s[0:1], s[60:61], v[17:18]
	v_cmp_nlt_f64_e64 s[2:3], s[60:61], v[19:20]
	v_cndmask_b32_e64 v26, v27, v35, s[6:7]
	v_cndmask_b32_e64 v27, v28, v36, s[6:7]
	v_cmp_nlt_f64_e64 s[6:7], s[60:61], v[21:22]
	v_cndmask_b32_e64 v28, v29, v37, s[8:9]
	v_cndmask_b32_e64 v29, v30, v38, s[8:9]
	;; [unrolled: 3-line block ×3, first 2 shown]
	s_and_b64 s[0:1], s[12:13], s[0:1]
	v_cndmask_b32_e64 v20, v13, v17, s[14:15]
	v_cndmask_b32_e64 v19, v12, v29, s[6:7]
	v_cndmask_b32_e64 v17, 0, v7, s[0:1]
	s_and_b64 s[0:1], s[14:15], s[2:3]
	v_cndmask_b32_e64 v6, v12, v6, s[8:9]
	v_cndmask_b32_e64 v22, v13, v19, s[16:17]
	s_and_b64 s[8:9], s[10:11], s[8:9]
	v_cndmask_b32_e64 v19, 0, v26, s[0:1]
	s_and_b64 s[0:1], s[16:17], s[6:7]
	v_cndmask_b32_e64 v16, v13, v6, s[10:11]
	v_cndmask_b32_e64 v18, v13, v15, s[12:13]
	;; [unrolled: 1-line block ×4, first 2 shown]
	s_or_b64 s[30:31], vcc, s[30:31]
	global_store_dwordx4 v[23:24], v[15:18], off
	global_store_dwordx4 v[23:24], v[19:22], off offset:16
	s_andn2_b64 exec, exec, s[30:31]
	s_cbranch_execnz .LBB141_3
.LBB141_4:
	s_or_b64 exec, exec, s[28:29]
	s_mov_b64 s[0:1], 0
.LBB141_5:
	s_andn2_b64 vcc, exec, s[0:1]
	s_cbranch_vccnz .LBB141_25
; %bb.6:
	v_cmp_lt_i64_e64 s[0:1], s[24:25], 1
	s_and_b64 vcc, exec, s[0:1]
	s_cbranch_vccnz .LBB141_25
; %bb.7:
	v_mov_b32_e32 v1, 0x10000
	s_load_dword s2, s[4:5], 0xc5c
	v_mov_b32_e32 v2, 0
	v_cmp_lt_i64_e32 vcc, s[24:25], v[1:2]
	v_mov_b32_e32 v3, 0
	s_and_b64 s[0:1], vcc, exec
	v_cmp_lt_u64_e32 vcc, s[24:25], v[1:2]
	s_cselect_b32 s15, s25, 0
	s_cselect_b32 s14, s24, 0x10000
	s_waitcnt lgkmcnt(0)
	s_and_b32 s2, s2, 0xffff
	v_lshlrev_b32_e32 v2, 3, v0
	s_and_b64 s[0:1], vcc, exec
	v_mov_b32_e32 v1, s23
	v_add_co_u32_e32 v11, vcc, s22, v2
	v_mad_u64_u32 v[3:4], s[0:1], s2, 24, v[2:3]
	v_addc_co_u32_e32 v12, vcc, 0, v1, vcc
	v_mov_b32_e32 v1, s21
	v_add_co_u32_e32 v13, vcc, s20, v2
	v_addc_co_u32_e32 v14, vcc, 0, v1, vcc
	v_mov_b32_e32 v1, s23
	v_add_co_u32_e32 v15, vcc, s22, v3
	;; [unrolled: 3-line block ×3, first 2 shown]
	s_cselect_b32 s17, s25, 0
	s_cselect_b32 s16, s24, 0x10000
	v_addc_co_u32_e32 v18, vcc, v1, v4, vcc
	s_lshl_b32 s0, s2, 4
	v_add_co_u32_e32 v1, vcc, s0, v2
	v_addc_co_u32_e64 v2, s[0:1], 0, 0, vcc
	v_mov_b32_e32 v3, s23
	v_add_co_u32_e32 v19, vcc, s22, v1
	v_addc_co_u32_e32 v20, vcc, v3, v2, vcc
	v_mov_b32_e32 v3, s21
	v_add_co_u32_e32 v21, vcc, s20, v1
	v_addc_co_u32_e32 v22, vcc, v3, v2, vcc
	v_add_co_u32_e32 v23, vcc, s2, v0
	v_lshlrev_b32_e32 v1, 3, v23
	v_addc_co_u32_e64 v24, s[0:1], 0, 0, vcc
	v_mov_b32_e32 v2, s23
	v_add_co_u32_e32 v25, vcc, s22, v1
	v_addc_co_u32_e32 v26, vcc, 0, v2, vcc
	v_mov_b32_e32 v2, s21
	v_add_co_u32_e32 v27, vcc, s20, v1
	s_mul_i32 s4, s2, 3
	v_addc_co_u32_e32 v28, vcc, 0, v2, vcc
	s_lshl_b32 s3, s2, 1
	v_add_co_u32_e32 v29, vcc, s4, v0
	s_mov_b32 s22, 0x652b82fe
	s_mov_b32 s24, 0
	;; [unrolled: 1-line block ×14, first 2 shown]
	v_addc_co_u32_e64 v30, s[0:1], 0, 0, vcc
	v_add_co_u32_e32 v31, vcc, s3, v0
	s_lshl_b32 s33, s2, 2
	s_lshl_b32 s56, s2, 5
	s_mov_b64 s[20:21], 0
	s_mov_b32 s23, 0x3ff71547
	s_mov_b32 s25, 0x40900000
	;; [unrolled: 1-line block ×15, first 2 shown]
	v_mov_b32_e32 v1, 0x2a1b768b
	v_mov_b32_e32 v2, 0x3e5af4eb
	v_addc_co_u32_e64 v32, s[0:1], 0, 0, vcc
	v_mov_b32_e32 v33, 0x7fe00000
	v_mov_b32_e32 v34, 0x7ff00000
	;; [unrolled: 1-line block ×3, first 2 shown]
	s_branch .LBB141_9
.LBB141_8:                              ;   in Loop: Header=BB141_9 Depth=1
	s_or_b64 exec, exec, s[4:5]
	v_add_co_u32_e32 v11, vcc, s56, v11
	v_addc_co_u32_e32 v12, vcc, 0, v12, vcc
	v_add_co_u32_e32 v13, vcc, s56, v13
	v_addc_co_u32_e32 v14, vcc, 0, v14, vcc
	;; [unrolled: 2-line block ×6, first 2 shown]
	s_add_u32 s20, s20, s33
	v_add_co_u32_e32 v25, vcc, s56, v25
	s_waitcnt vmcnt(0)
	v_mov_b32_e32 v3, s14
	s_addc_u32 s21, s21, 0
	v_addc_co_u32_e32 v26, vcc, 0, v26, vcc
	v_mov_b32_e32 v4, s15
	v_cmp_ge_i64_e32 vcc, s[20:21], v[3:4]
	v_add_co_u32_e64 v27, s[0:1], s56, v27
	v_addc_co_u32_e64 v28, s[0:1], 0, v28, s[0:1]
	s_cbranch_vccnz .LBB141_25
.LBB141_9:                              ; =>This Inner Loop Header: Depth=1
	v_mov_b32_e32 v4, s21
	v_add_co_u32_e32 v3, vcc, s20, v0
	v_addc_co_u32_e32 v4, vcc, 0, v4, vcc
	v_cmp_gt_u64_e64 s[4:5], s[16:17], v[3:4]
	v_mov_b32_e32 v7, 0
	v_mov_b32_e32 v9, 0
	;; [unrolled: 1-line block ×4, first 2 shown]
	s_and_saveexec_b64 s[0:1], s[4:5]
	s_cbranch_execz .LBB141_11
; %bb.10:                               ;   in Loop: Header=BB141_9 Depth=1
	v_mov_b32_e32 v4, s19
	v_add_co_u32_e32 v3, vcc, s18, v11
	v_addc_co_u32_e32 v4, vcc, v12, v4, vcc
	global_load_dwordx2 v[9:10], v[3:4], off
.LBB141_11:                             ;   in Loop: Header=BB141_9 Depth=1
	s_or_b64 exec, exec, s[0:1]
	v_mov_b32_e32 v4, s21
	v_add_co_u32_e32 v3, vcc, s20, v23
	v_addc_co_u32_e32 v4, vcc, v24, v4, vcc
	v_cmp_gt_u64_e64 s[2:3], s[16:17], v[3:4]
	s_and_saveexec_b64 s[0:1], s[2:3]
	s_cbranch_execz .LBB141_13
; %bb.12:                               ;   in Loop: Header=BB141_9 Depth=1
	v_mov_b32_e32 v4, s19
	v_add_co_u32_e32 v3, vcc, s18, v25
	v_addc_co_u32_e32 v4, vcc, v26, v4, vcc
	global_load_dwordx2 v[7:8], v[3:4], off
.LBB141_13:                             ;   in Loop: Header=BB141_9 Depth=1
	s_or_b64 exec, exec, s[0:1]
	v_mov_b32_e32 v4, s21
	v_add_co_u32_e32 v3, vcc, s20, v31
	v_addc_co_u32_e32 v4, vcc, v32, v4, vcc
	v_cmp_gt_u64_e64 s[0:1], s[16:17], v[3:4]
	v_mov_b32_e32 v3, 0
	v_mov_b32_e32 v5, 0
	;; [unrolled: 1-line block ×4, first 2 shown]
	s_and_saveexec_b64 s[6:7], s[0:1]
	s_cbranch_execz .LBB141_15
; %bb.14:                               ;   in Loop: Header=BB141_9 Depth=1
	v_mov_b32_e32 v6, s19
	v_add_co_u32_e32 v5, vcc, s18, v19
	v_addc_co_u32_e32 v6, vcc, v20, v6, vcc
	global_load_dwordx2 v[5:6], v[5:6], off
.LBB141_15:                             ;   in Loop: Header=BB141_9 Depth=1
	s_or_b64 exec, exec, s[6:7]
	v_mov_b32_e32 v37, s21
	v_add_co_u32_e32 v36, vcc, s20, v29
	v_addc_co_u32_e32 v37, vcc, v30, v37, vcc
	v_cmp_gt_u64_e32 vcc, s[16:17], v[36:37]
	s_and_saveexec_b64 s[8:9], vcc
	s_cbranch_execnz .LBB141_20
; %bb.16:                               ;   in Loop: Header=BB141_9 Depth=1
	s_or_b64 exec, exec, s[8:9]
	s_and_saveexec_b64 s[54:55], s[4:5]
	s_cbranch_execnz .LBB141_21
.LBB141_17:                             ;   in Loop: Header=BB141_9 Depth=1
	s_or_b64 exec, exec, s[54:55]
	s_and_saveexec_b64 s[8:9], s[2:3]
	s_cbranch_execnz .LBB141_22
.LBB141_18:                             ;   in Loop: Header=BB141_9 Depth=1
	s_or_b64 exec, exec, s[8:9]
	s_and_saveexec_b64 s[6:7], s[0:1]
	s_cbranch_execnz .LBB141_23
.LBB141_19:                             ;   in Loop: Header=BB141_9 Depth=1
	s_or_b64 exec, exec, s[6:7]
	s_and_saveexec_b64 s[4:5], vcc
	s_cbranch_execz .LBB141_8
	s_branch .LBB141_24
.LBB141_20:                             ;   in Loop: Header=BB141_9 Depth=1
	v_mov_b32_e32 v4, s19
	v_add_co_u32_e64 v3, s[6:7], s18, v15
	v_addc_co_u32_e64 v4, s[6:7], v16, v4, s[6:7]
	global_load_dwordx2 v[3:4], v[3:4], off
	s_or_b64 exec, exec, s[8:9]
	s_and_saveexec_b64 s[54:55], s[4:5]
	s_cbranch_execz .LBB141_17
.LBB141_21:                             ;   in Loop: Header=BB141_9 Depth=1
	s_waitcnt vmcnt(0)
	v_mul_f64 v[36:37], v[9:10], s[22:23]
	s_mov_b32 s50, s26
	v_cmp_ngt_f64_e64 s[6:7], s[52:53], v[9:10]
	v_cmp_nlt_f64_e64 s[8:9], s[50:51], v[9:10]
	v_rndne_f64_e32 v[36:37], v[36:37]
	s_and_b64 s[12:13], s[6:7], s[8:9]
	v_fma_f64 v[38:39], v[36:37], s[26:27], v[9:10]
	v_cvt_i32_f64_e32 v42, v[36:37]
	v_cmp_eq_f64_e64 s[4:5], s[24:25], v[36:37]
	v_fma_f64 v[38:39], v[36:37], s[28:29], v[38:39]
	v_ldexp_f64 v[36:37], 1.0, v42
	v_fma_f64 v[40:41], v[38:39], s[30:31], v[1:2]
	v_cndmask_b32_e64 v37, v37, v33, s[4:5]
	v_cndmask_b32_e64 v36, v36, 0, s[4:5]
	v_add_f64 v[42:43], v[36:37], -1.0
	v_fma_f64 v[40:41], v[38:39], v[40:41], s[34:35]
	v_fma_f64 v[40:41], v[38:39], v[40:41], s[36:37]
	;; [unrolled: 1-line block ×8, first 2 shown]
	v_fma_f64 v[40:41], v[38:39], v[40:41], 0.5
	v_mul_f64 v[40:41], v[38:39], v[40:41]
	v_fma_f64 v[38:39], v[38:39], v[40:41], v[38:39]
	v_fma_f64 v[36:37], v[36:37], v[38:39], v[42:43]
	v_mov_b32_e32 v39, s19
	v_add_co_u32_e64 v38, s[10:11], s18, v13
	v_add_f64 v[9:10], v[36:37], v[36:37]
	v_cndmask_b32_e64 v10, v37, v10, s[4:5]
	v_cndmask_b32_e64 v9, v36, v9, s[4:5]
	;; [unrolled: 1-line block ×5, first 2 shown]
	v_addc_co_u32_e64 v39, s[4:5], v14, v39, s[10:11]
	global_store_dwordx2 v[38:39], v[9:10], off
	s_or_b64 exec, exec, s[54:55]
	s_and_saveexec_b64 s[8:9], s[2:3]
	s_cbranch_execz .LBB141_18
.LBB141_22:                             ;   in Loop: Header=BB141_9 Depth=1
	s_waitcnt vmcnt(0)
	v_mul_f64 v[9:10], v[7:8], s[22:23]
	s_mov_b32 s50, s26
	v_cmp_nlt_f64_e64 s[4:5], s[50:51], v[7:8]
	v_cmp_ngt_f64_e64 s[6:7], s[52:53], v[7:8]
	v_rndne_f64_e32 v[9:10], v[9:10]
	v_fma_f64 v[36:37], v[9:10], s[26:27], v[7:8]
	v_cvt_i32_f64_e32 v40, v[9:10]
	v_cmp_eq_f64_e64 s[2:3], s[24:25], v[9:10]
	v_ldexp_f64 v[40:41], 1.0, v40
	v_fma_f64 v[36:37], v[9:10], s[28:29], v[36:37]
	v_fma_f64 v[38:39], v[36:37], s[30:31], v[1:2]
	;; [unrolled: 1-line block ×10, first 2 shown]
	v_fma_f64 v[38:39], v[36:37], v[38:39], 0.5
	v_mul_f64 v[9:10], v[36:37], v[38:39]
	v_cndmask_b32_e64 v39, v41, v33, s[2:3]
	v_cndmask_b32_e64 v38, v40, 0, s[2:3]
	v_add_f64 v[40:41], v[38:39], -1.0
	v_fma_f64 v[9:10], v[36:37], v[9:10], v[36:37]
	v_fma_f64 v[9:10], v[38:39], v[9:10], v[40:41]
	v_add_f64 v[36:37], v[9:10], v[9:10]
	v_cndmask_b32_e64 v10, v10, v37, s[2:3]
	v_cndmask_b32_e64 v7, v9, v36, s[2:3]
	s_and_b64 s[2:3], s[6:7], s[4:5]
	v_cndmask_b32_e64 v10, v34, v10, s[4:5]
	v_mov_b32_e32 v37, s19
	v_cndmask_b32_e64 v7, 0, v7, s[2:3]
	v_add_co_u32_e64 v9, s[2:3], s18, v27
	v_cndmask_b32_e64 v8, v35, v10, s[6:7]
	v_addc_co_u32_e64 v10, s[2:3], v28, v37, s[2:3]
	global_store_dwordx2 v[9:10], v[7:8], off
	s_or_b64 exec, exec, s[8:9]
	s_and_saveexec_b64 s[6:7], s[0:1]
	s_cbranch_execz .LBB141_19
.LBB141_23:                             ;   in Loop: Header=BB141_9 Depth=1
	s_waitcnt vmcnt(0)
	v_mul_f64 v[7:8], v[5:6], s[22:23]
	s_mov_b32 s50, s26
	v_cmp_nlt_f64_e64 s[2:3], s[50:51], v[5:6]
	v_cmp_ngt_f64_e64 s[4:5], s[52:53], v[5:6]
	v_rndne_f64_e32 v[7:8], v[7:8]
	v_fma_f64 v[9:10], v[7:8], s[26:27], v[5:6]
	v_cvt_i32_f64_e32 v38, v[7:8]
	v_cmp_eq_f64_e64 s[0:1], s[24:25], v[7:8]
	v_ldexp_f64 v[38:39], 1.0, v38
	v_fma_f64 v[9:10], v[7:8], s[28:29], v[9:10]
	v_fma_f64 v[36:37], v[9:10], s[30:31], v[1:2]
	;; [unrolled: 1-line block ×10, first 2 shown]
	v_fma_f64 v[36:37], v[9:10], v[36:37], 0.5
	v_mul_f64 v[7:8], v[9:10], v[36:37]
	v_cndmask_b32_e64 v37, v39, v33, s[0:1]
	v_cndmask_b32_e64 v36, v38, 0, s[0:1]
	v_add_f64 v[38:39], v[36:37], -1.0
	v_fma_f64 v[7:8], v[9:10], v[7:8], v[9:10]
	v_fma_f64 v[7:8], v[36:37], v[7:8], v[38:39]
	v_add_f64 v[9:10], v[7:8], v[7:8]
	v_cndmask_b32_e64 v8, v8, v10, s[0:1]
	v_cndmask_b32_e64 v5, v7, v9, s[0:1]
	s_and_b64 s[0:1], s[4:5], s[2:3]
	v_cndmask_b32_e64 v8, v34, v8, s[2:3]
	v_mov_b32_e32 v10, s19
	v_cndmask_b32_e64 v5, 0, v5, s[0:1]
	v_add_co_u32_e64 v7, s[0:1], s18, v21
	v_cndmask_b32_e64 v6, v35, v8, s[4:5]
	v_addc_co_u32_e64 v8, s[0:1], v22, v10, s[0:1]
	global_store_dwordx2 v[7:8], v[5:6], off
	s_or_b64 exec, exec, s[6:7]
	s_and_saveexec_b64 s[4:5], vcc
	s_cbranch_execz .LBB141_8
.LBB141_24:                             ;   in Loop: Header=BB141_9 Depth=1
	s_waitcnt vmcnt(0)
	v_mul_f64 v[5:6], v[3:4], s[22:23]
	s_mov_b32 s50, s26
	v_cmp_nlt_f64_e64 s[0:1], s[50:51], v[3:4]
	v_cmp_ngt_f64_e64 s[2:3], s[52:53], v[3:4]
	v_rndne_f64_e32 v[5:6], v[5:6]
	v_fma_f64 v[7:8], v[5:6], s[26:27], v[3:4]
	v_cvt_i32_f64_e32 v36, v[5:6]
	v_cmp_eq_f64_e32 vcc, s[24:25], v[5:6]
	v_ldexp_f64 v[36:37], 1.0, v36
	v_fma_f64 v[7:8], v[5:6], s[28:29], v[7:8]
	v_fma_f64 v[9:10], v[7:8], s[30:31], v[1:2]
	;; [unrolled: 1-line block ×10, first 2 shown]
	v_fma_f64 v[9:10], v[7:8], v[9:10], 0.5
	v_mul_f64 v[5:6], v[7:8], v[9:10]
	v_cndmask_b32_e32 v10, v37, v33, vcc
	v_cndmask_b32_e64 v9, v36, 0, vcc
	v_add_f64 v[36:37], v[9:10], -1.0
	v_fma_f64 v[5:6], v[7:8], v[5:6], v[7:8]
	v_fma_f64 v[5:6], v[9:10], v[5:6], v[36:37]
	v_add_f64 v[7:8], v[5:6], v[5:6]
	v_cndmask_b32_e32 v6, v6, v8, vcc
	v_cndmask_b32_e32 v3, v5, v7, vcc
	s_and_b64 vcc, s[2:3], s[0:1]
	v_cndmask_b32_e64 v6, v34, v6, s[0:1]
	v_mov_b32_e32 v8, s19
	v_cndmask_b32_e32 v3, 0, v3, vcc
	v_add_co_u32_e32 v5, vcc, s18, v17
	v_cndmask_b32_e64 v4, v35, v6, s[2:3]
	v_addc_co_u32_e32 v6, vcc, v18, v8, vcc
	global_store_dwordx2 v[5:6], v[3:4], off
	s_branch .LBB141_8
.LBB141_25:
	s_endpgm
	.section	.rodata,"a",@progbits
	.p2align	6, 0x0
	.amdhsa_kernel _ZN2at6native12_GLOBAL__N_125multi_tensor_apply_kernelINS1_18TensorListMetadataILi2EEENS1_14UnaryOpFunctorIdLi2ELi1ELi1EEEJNS0_5Expm1IdEEEEEvT_T0_DpT1_
		.amdhsa_group_segment_fixed_size 0
		.amdhsa_private_segment_fixed_size 0
		.amdhsa_kernarg_size 3408
		.amdhsa_user_sgpr_count 6
		.amdhsa_user_sgpr_private_segment_buffer 1
		.amdhsa_user_sgpr_dispatch_ptr 0
		.amdhsa_user_sgpr_queue_ptr 0
		.amdhsa_user_sgpr_kernarg_segment_ptr 1
		.amdhsa_user_sgpr_dispatch_id 0
		.amdhsa_user_sgpr_flat_scratch_init 0
		.amdhsa_user_sgpr_private_segment_size 0
		.amdhsa_uses_dynamic_stack 0
		.amdhsa_system_sgpr_private_segment_wavefront_offset 0
		.amdhsa_system_sgpr_workgroup_id_x 1
		.amdhsa_system_sgpr_workgroup_id_y 0
		.amdhsa_system_sgpr_workgroup_id_z 0
		.amdhsa_system_sgpr_workgroup_info 0
		.amdhsa_system_vgpr_workitem_id 0
		.amdhsa_next_free_vgpr 46
		.amdhsa_next_free_sgpr 65
		.amdhsa_reserve_vcc 1
		.amdhsa_reserve_flat_scratch 0
		.amdhsa_float_round_mode_32 0
		.amdhsa_float_round_mode_16_64 0
		.amdhsa_float_denorm_mode_32 3
		.amdhsa_float_denorm_mode_16_64 3
		.amdhsa_dx10_clamp 1
		.amdhsa_ieee_mode 1
		.amdhsa_fp16_overflow 0
		.amdhsa_exception_fp_ieee_invalid_op 0
		.amdhsa_exception_fp_denorm_src 0
		.amdhsa_exception_fp_ieee_div_zero 0
		.amdhsa_exception_fp_ieee_overflow 0
		.amdhsa_exception_fp_ieee_underflow 0
		.amdhsa_exception_fp_ieee_inexact 0
		.amdhsa_exception_int_div_zero 0
	.end_amdhsa_kernel
	.section	.text._ZN2at6native12_GLOBAL__N_125multi_tensor_apply_kernelINS1_18TensorListMetadataILi2EEENS1_14UnaryOpFunctorIdLi2ELi1ELi1EEEJNS0_5Expm1IdEEEEEvT_T0_DpT1_,"axG",@progbits,_ZN2at6native12_GLOBAL__N_125multi_tensor_apply_kernelINS1_18TensorListMetadataILi2EEENS1_14UnaryOpFunctorIdLi2ELi1ELi1EEEJNS0_5Expm1IdEEEEEvT_T0_DpT1_,comdat
.Lfunc_end141:
	.size	_ZN2at6native12_GLOBAL__N_125multi_tensor_apply_kernelINS1_18TensorListMetadataILi2EEENS1_14UnaryOpFunctorIdLi2ELi1ELi1EEEJNS0_5Expm1IdEEEEEvT_T0_DpT1_, .Lfunc_end141-_ZN2at6native12_GLOBAL__N_125multi_tensor_apply_kernelINS1_18TensorListMetadataILi2EEENS1_14UnaryOpFunctorIdLi2ELi1ELi1EEEJNS0_5Expm1IdEEEEEvT_T0_DpT1_
                                        ; -- End function
	.set _ZN2at6native12_GLOBAL__N_125multi_tensor_apply_kernelINS1_18TensorListMetadataILi2EEENS1_14UnaryOpFunctorIdLi2ELi1ELi1EEEJNS0_5Expm1IdEEEEEvT_T0_DpT1_.num_vgpr, 46
	.set _ZN2at6native12_GLOBAL__N_125multi_tensor_apply_kernelINS1_18TensorListMetadataILi2EEENS1_14UnaryOpFunctorIdLi2ELi1ELi1EEEJNS0_5Expm1IdEEEEEvT_T0_DpT1_.num_agpr, 0
	.set _ZN2at6native12_GLOBAL__N_125multi_tensor_apply_kernelINS1_18TensorListMetadataILi2EEENS1_14UnaryOpFunctorIdLi2ELi1ELi1EEEJNS0_5Expm1IdEEEEEvT_T0_DpT1_.numbered_sgpr, 65
	.set _ZN2at6native12_GLOBAL__N_125multi_tensor_apply_kernelINS1_18TensorListMetadataILi2EEENS1_14UnaryOpFunctorIdLi2ELi1ELi1EEEJNS0_5Expm1IdEEEEEvT_T0_DpT1_.num_named_barrier, 0
	.set _ZN2at6native12_GLOBAL__N_125multi_tensor_apply_kernelINS1_18TensorListMetadataILi2EEENS1_14UnaryOpFunctorIdLi2ELi1ELi1EEEJNS0_5Expm1IdEEEEEvT_T0_DpT1_.private_seg_size, 0
	.set _ZN2at6native12_GLOBAL__N_125multi_tensor_apply_kernelINS1_18TensorListMetadataILi2EEENS1_14UnaryOpFunctorIdLi2ELi1ELi1EEEJNS0_5Expm1IdEEEEEvT_T0_DpT1_.uses_vcc, 1
	.set _ZN2at6native12_GLOBAL__N_125multi_tensor_apply_kernelINS1_18TensorListMetadataILi2EEENS1_14UnaryOpFunctorIdLi2ELi1ELi1EEEJNS0_5Expm1IdEEEEEvT_T0_DpT1_.uses_flat_scratch, 0
	.set _ZN2at6native12_GLOBAL__N_125multi_tensor_apply_kernelINS1_18TensorListMetadataILi2EEENS1_14UnaryOpFunctorIdLi2ELi1ELi1EEEJNS0_5Expm1IdEEEEEvT_T0_DpT1_.has_dyn_sized_stack, 0
	.set _ZN2at6native12_GLOBAL__N_125multi_tensor_apply_kernelINS1_18TensorListMetadataILi2EEENS1_14UnaryOpFunctorIdLi2ELi1ELi1EEEJNS0_5Expm1IdEEEEEvT_T0_DpT1_.has_recursion, 0
	.set _ZN2at6native12_GLOBAL__N_125multi_tensor_apply_kernelINS1_18TensorListMetadataILi2EEENS1_14UnaryOpFunctorIdLi2ELi1ELi1EEEJNS0_5Expm1IdEEEEEvT_T0_DpT1_.has_indirect_call, 0
	.section	.AMDGPU.csdata,"",@progbits
; Kernel info:
; codeLenInByte = 3724
; TotalNumSgprs: 69
; NumVgprs: 46
; ScratchSize: 0
; MemoryBound: 0
; FloatMode: 240
; IeeeMode: 1
; LDSByteSize: 0 bytes/workgroup (compile time only)
; SGPRBlocks: 8
; VGPRBlocks: 11
; NumSGPRsForWavesPerEU: 69
; NumVGPRsForWavesPerEU: 46
; Occupancy: 5
; WaveLimiterHint : 0
; COMPUTE_PGM_RSRC2:SCRATCH_EN: 0
; COMPUTE_PGM_RSRC2:USER_SGPR: 6
; COMPUTE_PGM_RSRC2:TRAP_HANDLER: 0
; COMPUTE_PGM_RSRC2:TGID_X_EN: 1
; COMPUTE_PGM_RSRC2:TGID_Y_EN: 0
; COMPUTE_PGM_RSRC2:TGID_Z_EN: 0
; COMPUTE_PGM_RSRC2:TIDIG_COMP_CNT: 0
	.section	.text._ZN2at6native12_GLOBAL__N_125multi_tensor_apply_kernelINS1_18TensorListMetadataILi2EEENS1_14UnaryOpFunctorIfLi2ELi1ELi1EEEJNS0_5Expm1IfEEEEEvT_T0_DpT1_,"axG",@progbits,_ZN2at6native12_GLOBAL__N_125multi_tensor_apply_kernelINS1_18TensorListMetadataILi2EEENS1_14UnaryOpFunctorIfLi2ELi1ELi1EEEJNS0_5Expm1IfEEEEEvT_T0_DpT1_,comdat
	.globl	_ZN2at6native12_GLOBAL__N_125multi_tensor_apply_kernelINS1_18TensorListMetadataILi2EEENS1_14UnaryOpFunctorIfLi2ELi1ELi1EEEJNS0_5Expm1IfEEEEEvT_T0_DpT1_ ; -- Begin function _ZN2at6native12_GLOBAL__N_125multi_tensor_apply_kernelINS1_18TensorListMetadataILi2EEENS1_14UnaryOpFunctorIfLi2ELi1ELi1EEEJNS0_5Expm1IfEEEEEvT_T0_DpT1_
	.p2align	8
	.type	_ZN2at6native12_GLOBAL__N_125multi_tensor_apply_kernelINS1_18TensorListMetadataILi2EEENS1_14UnaryOpFunctorIfLi2ELi1ELi1EEEJNS0_5Expm1IfEEEEEvT_T0_DpT1_,@function
_ZN2at6native12_GLOBAL__N_125multi_tensor_apply_kernelINS1_18TensorListMetadataILi2EEENS1_14UnaryOpFunctorIfLi2ELi1ELi1EEEJNS0_5Expm1IfEEEEEvT_T0_DpT1_: ; @_ZN2at6native12_GLOBAL__N_125multi_tensor_apply_kernelINS1_18TensorListMetadataILi2EEENS1_14UnaryOpFunctorIfLi2ELi1ELi1EEEJNS0_5Expm1IfEEEEEvT_T0_DpT1_
; %bb.0:
	v_mov_b32_e32 v1, s6
	global_load_ubyte v1, v1, s[4:5] offset:1536
	s_add_u32 s0, s4, s6
	s_mul_hi_u32 s2, s6, 3
	s_mul_i32 s6, s6, 3
	s_addc_u32 s7, s5, 0
	s_add_u32 s6, s0, s6
	s_addc_u32 s7, s7, s2
	s_load_dword s6, s[6:7], 0x740
	s_mov_b32 s1, 0
	s_mov_b32 s3, s1
	s_waitcnt lgkmcnt(0)
	s_ashr_i32 s7, s6, 31
	s_lshl_b64 s[8:9], s[6:7], 18
	s_lshl_b64 s[6:7], s[6:7], 16
	s_waitcnt vmcnt(0)
	v_readfirstlane_b32 s0, v1
	s_lshl_b32 s0, s0, 3
	s_load_dwordx2 s[14:15], s[4:5], s0 offset:0x400
	s_load_dwordx2 s[12:13], s[4:5], s0 offset:0x0
	;; [unrolled: 1-line block ×3, first 2 shown]
	s_waitcnt lgkmcnt(0)
	s_add_u32 s0, s12, s8
	s_and_b32 s2, s10, 15
	s_and_b32 s0, s0, 15
	s_sub_u32 s16, s14, s6
	s_subb_u32 s17, s15, s7
	s_and_b32 s6, s14, 3
	s_mov_b32 s7, s1
	s_or_b64 s[2:3], s[2:3], s[6:7]
	s_or_b64 s[0:1], s[2:3], s[0:1]
	s_cmp_eq_u64 s[0:1], 0
	s_mov_b64 s[0:1], -1
	s_cbranch_scc0 .LBB142_5
; %bb.1:
	v_mov_b32_e32 v1, 0x10000
	v_mov_b32_e32 v2, 0
	v_cmp_lt_i64_e32 vcc, s[16:17], v[1:2]
	v_mov_b32_e32 v2, 0
	s_and_b64 s[0:1], vcc, exec
	s_cselect_b32 s15, s17, 0
	s_cselect_b32 s14, s16, 0x10000
	v_lshlrev_b32_e32 v1, 2, v0
	v_cmp_gt_i64_e32 vcc, s[14:15], v[1:2]
	s_and_saveexec_b64 s[18:19], vcc
	s_cbranch_execz .LBB142_4
; %bb.2:
	s_load_dword s0, s[4:5], 0xc5c
	v_mov_b32_e32 v1, v2
	v_lshlrev_b32_e32 v2, 4, v0
	v_mov_b32_e32 v4, s9
	v_add_co_u32_e32 v3, vcc, s8, v2
	s_waitcnt lgkmcnt(0)
	s_and_b32 s22, s0, 0xffff
	v_mov_b32_e32 v2, v1
	v_addc_co_u32_e32 v4, vcc, 0, v4, vcc
	s_lshl_b32 s23, s22, 4
	s_mov_b64 s[20:21], 0
	v_mov_b32_e32 v5, s13
	v_mov_b32_e32 v6, 0x3c0887f9
	v_mov_b32_e32 v7, 0x3d2aaa81
	v_mov_b32_e32 v8, 0x3e2aaaab
	s_mov_b32 s24, 0x43000000
	v_mov_b32_e32 v9, 0x7f000000
	s_mov_b32 s25, 0x42b17217
	v_mov_b32_e32 v10, 0x7f800000
	s_mov_b32 s26, 0xc1880000
	v_mov_b32_e32 v11, s11
	v_mov_b32_e32 v1, v0
.LBB142_3:                              ; =>This Inner Loop Header: Depth=1
	v_add_co_u32_e32 v12, vcc, s12, v3
	v_addc_co_u32_e32 v13, vcc, v5, v4, vcc
	global_load_dwordx4 v[12:15], v[12:13], off
	v_add_co_u32_e32 v16, vcc, s10, v3
	v_addc_co_u32_e32 v17, vcc, v11, v4, vcc
	v_add_co_u32_e32 v1, vcc, s22, v1
	v_addc_co_u32_e32 v2, vcc, 0, v2, vcc
	v_add_co_u32_e32 v3, vcc, s23, v3
	v_lshlrev_b64 v[18:19], 2, v[1:2]
	v_addc_co_u32_e32 v4, vcc, 0, v4, vcc
	v_cmp_le_i64_e32 vcc, s[14:15], v[18:19]
	v_mov_b32_e32 v20, 0x3ab69700
	v_mov_b32_e32 v21, 0x3ab69700
	;; [unrolled: 1-line block ×4, first 2 shown]
	s_or_b64 s[20:21], vcc, s[20:21]
	s_waitcnt vmcnt(0)
	v_mul_f32_e32 v18, 0x3fb8aa3b, v12
	v_mul_f32_e32 v24, 0x3fb8aa3b, v13
	;; [unrolled: 1-line block ×4, first 2 shown]
	v_mov_b32_e32 v19, v12
	v_mov_b32_e32 v25, v13
	;; [unrolled: 1-line block ×4, first 2 shown]
	v_rndne_f32_e32 v18, v18
	v_rndne_f32_e32 v24, v24
	;; [unrolled: 1-line block ×4, first 2 shown]
	v_fmac_f32_e32 v19, 0xbf317218, v18
	v_fmac_f32_e32 v25, 0xbf317218, v24
	;; [unrolled: 1-line block ×8, first 2 shown]
	v_cvt_i32_f32_e32 v30, v18
	v_cvt_i32_f32_e32 v31, v24
	;; [unrolled: 1-line block ×3, first 2 shown]
	v_cmp_eq_f32_e32 vcc, s24, v18
	v_cvt_i32_f32_e32 v18, v28
	v_fmac_f32_e32 v20, 0x395133b1, v19
	v_fmac_f32_e32 v21, 0x395133b1, v25
	;; [unrolled: 1-line block ×4, first 2 shown]
	v_fma_f32 v20, v19, v20, v6
	v_fma_f32 v21, v25, v21, v6
	;; [unrolled: 1-line block ×12, first 2 shown]
	v_ldexp_f32 v30, 1.0, v30
	v_ldexp_f32 v31, 1.0, v31
	v_cmp_eq_f32_e64 s[0:1], s24, v24
	v_ldexp_f32 v24, 1.0, v32
	v_cmp_eq_f32_e64 s[2:3], s24, v26
	;; [unrolled: 2-line block ×3, first 2 shown]
	v_fma_f32 v20, v19, v20, 0.5
	v_fma_f32 v21, v25, v21, 0.5
	;; [unrolled: 1-line block ×4, first 2 shown]
	v_cndmask_b32_e32 v26, v30, v9, vcc
	v_cndmask_b32_e64 v28, v31, v9, s[0:1]
	v_cndmask_b32_e64 v24, v24, v9, s[2:3]
	;; [unrolled: 1-line block ×3, first 2 shown]
	v_mul_f32_e32 v20, v19, v20
	v_mul_f32_e32 v21, v25, v21
	;; [unrolled: 1-line block ×4, first 2 shown]
	v_add_f32_e32 v30, -1.0, v26
	v_add_f32_e32 v31, -1.0, v28
	;; [unrolled: 1-line block ×3, first 2 shown]
	v_fmac_f32_e32 v19, v19, v20
	v_add_f32_e32 v20, -1.0, v18
	v_fmac_f32_e32 v25, v25, v21
	v_fmac_f32_e32 v27, v27, v22
	;; [unrolled: 1-line block ×7, first 2 shown]
	v_add_f32_e32 v18, v30, v30
	v_add_f32_e32 v19, v31, v31
	;; [unrolled: 1-line block ×4, first 2 shown]
	v_cndmask_b32_e32 v18, v30, v18, vcc
	v_cndmask_b32_e64 v19, v31, v19, s[0:1]
	v_cmp_nlt_f32_e32 vcc, s25, v13
	v_cndmask_b32_e64 v21, v32, v21, s[2:3]
	v_cmp_nlt_f32_e64 s[0:1], s25, v14
	v_cndmask_b32_e64 v20, v20, v22, s[6:7]
	v_cmp_nlt_f32_e64 s[2:3], s25, v15
	v_cmp_nlt_f32_e64 s[6:7], s25, v12
	v_cndmask_b32_e64 v18, v10, v18, s[6:7]
	v_cndmask_b32_e32 v19, v10, v19, vcc
	v_cmp_ngt_f32_e32 vcc, s26, v13
	v_cndmask_b32_e64 v21, v10, v21, s[0:1]
	v_cmp_ngt_f32_e64 s[0:1], s26, v14
	v_cndmask_b32_e64 v20, v10, v20, s[2:3]
	v_cmp_ngt_f32_e64 s[2:3], s26, v15
	v_cmp_ngt_f32_e64 s[6:7], s26, v12
	v_cndmask_b32_e64 v12, -1.0, v18, s[6:7]
	v_cndmask_b32_e32 v13, -1.0, v19, vcc
	v_cndmask_b32_e64 v14, -1.0, v21, s[0:1]
	v_cndmask_b32_e64 v15, -1.0, v20, s[2:3]
	global_store_dwordx4 v[16:17], v[12:15], off
	s_andn2_b64 exec, exec, s[20:21]
	s_cbranch_execnz .LBB142_3
.LBB142_4:
	s_or_b64 exec, exec, s[18:19]
	s_mov_b64 s[0:1], 0
.LBB142_5:
	s_andn2_b64 vcc, exec, s[0:1]
	s_cbranch_vccnz .LBB142_25
; %bb.6:
	v_cmp_lt_i64_e64 s[0:1], s[16:17], 1
	s_and_b64 vcc, exec, s[0:1]
	s_cbranch_vccnz .LBB142_25
; %bb.7:
	v_mov_b32_e32 v1, 0x10000
	s_load_dword s2, s[4:5], 0xc5c
	v_mov_b32_e32 v2, 0
	v_cmp_lt_i64_e32 vcc, s[16:17], v[1:2]
	v_mov_b32_e32 v10, 0
	s_and_b64 s[0:1], vcc, exec
	v_cmp_lt_u64_e32 vcc, s[16:17], v[1:2]
	s_cselect_b32 s15, s17, 0
	s_cselect_b32 s14, s16, 0x10000
	s_waitcnt lgkmcnt(0)
	s_and_b32 s2, s2, 0xffff
	v_lshlrev_b32_e32 v9, 2, v0
	s_and_b64 s[0:1], vcc, exec
	v_mov_b32_e32 v2, s13
	v_add_co_u32_e32 v1, vcc, s12, v9
	v_mad_u64_u32 v[7:8], s[0:1], s2, 12, v[9:10]
	v_addc_co_u32_e32 v2, vcc, 0, v2, vcc
	v_mov_b32_e32 v4, s11
	v_add_co_u32_e32 v3, vcc, s10, v9
	v_addc_co_u32_e32 v4, vcc, 0, v4, vcc
	v_mov_b32_e32 v6, s13
	v_add_co_u32_e32 v5, vcc, s12, v7
	;; [unrolled: 3-line block ×3, first 2 shown]
	s_cselect_b32 s17, s17, 0
	s_cselect_b32 s16, s16, 0x10000
	v_addc_co_u32_e32 v8, vcc, v10, v8, vcc
	s_lshl_b32 s0, s2, 3
	v_add_co_u32_e32 v11, vcc, s0, v9
	v_addc_co_u32_e64 v12, s[0:1], 0, 0, vcc
	v_mov_b32_e32 v10, s13
	v_add_co_u32_e32 v9, vcc, s12, v11
	v_addc_co_u32_e32 v10, vcc, v10, v12, vcc
	v_mov_b32_e32 v13, s11
	v_add_co_u32_e32 v11, vcc, s10, v11
	v_addc_co_u32_e32 v12, vcc, v13, v12, vcc
	v_add_co_u32_e32 v13, vcc, s2, v0
	v_lshlrev_b32_e32 v17, 2, v13
	v_addc_co_u32_e64 v14, s[0:1], 0, 0, vcc
	v_mov_b32_e32 v16, s13
	v_add_co_u32_e32 v15, vcc, s12, v17
	v_addc_co_u32_e32 v16, vcc, 0, v16, vcc
	v_mov_b32_e32 v18, s11
	v_add_co_u32_e32 v17, vcc, s10, v17
	s_mul_i32 s4, s2, 3
	v_addc_co_u32_e32 v18, vcc, 0, v18, vcc
	s_lshl_b32 s3, s2, 1
	v_add_co_u32_e32 v19, vcc, s4, v0
	v_addc_co_u32_e64 v20, s[0:1], 0, 0, vcc
	v_add_co_u32_e32 v21, vcc, s3, v0
	s_lshl_b32 s18, s2, 2
	s_lshl_b32 s19, s2, 4
	s_mov_b64 s[10:11], 0
	s_mov_b32 s20, 0x43000000
	s_mov_b32 s21, 0x42b17217
	;; [unrolled: 1-line block ×3, first 2 shown]
	v_addc_co_u32_e64 v22, s[0:1], 0, 0, vcc
	v_mov_b32_e32 v23, 0x3c0887f9
	v_mov_b32_e32 v24, 0x3d2aaa81
	v_mov_b32_e32 v25, 0x3e2aaaab
	v_mov_b32_e32 v26, 0x7f000000
	v_mov_b32_e32 v27, 0x7f800000
	s_branch .LBB142_9
.LBB142_8:                              ;   in Loop: Header=BB142_9 Depth=1
	s_or_b64 exec, exec, s[0:1]
	v_add_co_u32_e32 v1, vcc, s19, v1
	v_addc_co_u32_e32 v2, vcc, 0, v2, vcc
	v_add_co_u32_e32 v3, vcc, s19, v3
	v_addc_co_u32_e32 v4, vcc, 0, v4, vcc
	;; [unrolled: 2-line block ×6, first 2 shown]
	s_add_u32 s10, s10, s18
	v_add_co_u32_e32 v15, vcc, s19, v15
	s_waitcnt vmcnt(0)
	v_mov_b32_e32 v29, s15
	s_addc_u32 s11, s11, 0
	v_addc_co_u32_e32 v16, vcc, 0, v16, vcc
	v_mov_b32_e32 v28, s14
	v_cmp_ge_i64_e32 vcc, s[10:11], v[28:29]
	v_add_co_u32_e64 v17, s[0:1], s19, v17
	v_addc_co_u32_e64 v18, s[0:1], 0, v18, s[0:1]
	s_cbranch_vccnz .LBB142_25
.LBB142_9:                              ; =>This Inner Loop Header: Depth=1
	v_mov_b32_e32 v29, s11
	v_add_co_u32_e32 v28, vcc, s10, v0
	v_addc_co_u32_e32 v29, vcc, 0, v29, vcc
	v_cmp_gt_u64_e64 s[4:5], s[16:17], v[28:29]
	v_mov_b32_e32 v31, 0
	s_and_saveexec_b64 s[0:1], s[4:5]
	s_cbranch_execz .LBB142_11
; %bb.10:                               ;   in Loop: Header=BB142_9 Depth=1
	v_mov_b32_e32 v29, s9
	v_add_co_u32_e32 v28, vcc, s8, v1
	v_addc_co_u32_e32 v29, vcc, v2, v29, vcc
	global_load_dword v31, v[28:29], off
.LBB142_11:                             ;   in Loop: Header=BB142_9 Depth=1
	s_or_b64 exec, exec, s[0:1]
	v_mov_b32_e32 v29, s11
	v_add_co_u32_e32 v28, vcc, s10, v13
	v_addc_co_u32_e32 v29, vcc, v14, v29, vcc
	v_cmp_gt_u64_e64 s[2:3], s[16:17], v[28:29]
	v_mov_b32_e32 v28, 0
	v_mov_b32_e32 v30, 0
	s_and_saveexec_b64 s[0:1], s[2:3]
	s_cbranch_execz .LBB142_13
; %bb.12:                               ;   in Loop: Header=BB142_9 Depth=1
	v_mov_b32_e32 v30, s9
	v_add_co_u32_e32 v29, vcc, s8, v15
	v_addc_co_u32_e32 v30, vcc, v16, v30, vcc
	global_load_dword v30, v[29:30], off
.LBB142_13:                             ;   in Loop: Header=BB142_9 Depth=1
	s_or_b64 exec, exec, s[0:1]
	v_mov_b32_e32 v29, s11
	v_add_co_u32_e32 v32, vcc, s10, v21
	v_addc_co_u32_e32 v33, vcc, v22, v29, vcc
	v_cmp_gt_u64_e64 s[0:1], s[16:17], v[32:33]
	s_and_saveexec_b64 s[6:7], s[0:1]
	s_cbranch_execz .LBB142_15
; %bb.14:                               ;   in Loop: Header=BB142_9 Depth=1
	v_mov_b32_e32 v29, s9
	v_add_co_u32_e32 v28, vcc, s8, v9
	v_addc_co_u32_e32 v29, vcc, v10, v29, vcc
	global_load_dword v28, v[28:29], off
.LBB142_15:                             ;   in Loop: Header=BB142_9 Depth=1
	s_or_b64 exec, exec, s[6:7]
	v_mov_b32_e32 v29, s11
	v_add_co_u32_e32 v32, vcc, s10, v19
	v_addc_co_u32_e32 v33, vcc, v20, v29, vcc
	v_cmp_gt_u64_e32 vcc, s[16:17], v[32:33]
	v_mov_b32_e32 v29, 0
	s_and_saveexec_b64 s[12:13], vcc
	s_cbranch_execnz .LBB142_20
; %bb.16:                               ;   in Loop: Header=BB142_9 Depth=1
	s_or_b64 exec, exec, s[12:13]
	s_and_saveexec_b64 s[6:7], s[4:5]
	s_cbranch_execnz .LBB142_21
.LBB142_17:                             ;   in Loop: Header=BB142_9 Depth=1
	s_or_b64 exec, exec, s[6:7]
	s_and_saveexec_b64 s[4:5], s[2:3]
	s_cbranch_execnz .LBB142_22
.LBB142_18:                             ;   in Loop: Header=BB142_9 Depth=1
	s_or_b64 exec, exec, s[4:5]
	s_and_saveexec_b64 s[2:3], s[0:1]
	s_cbranch_execnz .LBB142_23
.LBB142_19:                             ;   in Loop: Header=BB142_9 Depth=1
	s_or_b64 exec, exec, s[2:3]
	s_and_saveexec_b64 s[0:1], vcc
	s_cbranch_execz .LBB142_8
	s_branch .LBB142_24
.LBB142_20:                             ;   in Loop: Header=BB142_9 Depth=1
	v_mov_b32_e32 v29, s9
	v_add_co_u32_e64 v32, s[6:7], s8, v5
	v_addc_co_u32_e64 v33, s[6:7], v6, v29, s[6:7]
	global_load_dword v29, v[32:33], off
	s_or_b64 exec, exec, s[12:13]
	s_and_saveexec_b64 s[6:7], s[4:5]
	s_cbranch_execz .LBB142_17
.LBB142_21:                             ;   in Loop: Header=BB142_9 Depth=1
	s_waitcnt vmcnt(0)
	v_mul_f32_e32 v32, 0x3fb8aa3b, v31
	v_rndne_f32_e32 v32, v32
	v_mov_b32_e32 v34, v31
	v_fmac_f32_e32 v34, 0xbf317218, v32
	v_cvt_i32_f32_e32 v33, v32
	v_cmp_eq_f32_e64 s[4:5], s20, v32
	v_fmac_f32_e32 v34, 0x3102e308, v32
	v_mov_b32_e32 v32, 0x3ab69700
	v_fmac_f32_e32 v32, 0x395133b1, v34
	v_fma_f32 v32, v34, v32, v23
	v_fma_f32 v32, v34, v32, v24
	;; [unrolled: 1-line block ×3, first 2 shown]
	v_ldexp_f32 v33, 1.0, v33
	v_fma_f32 v32, v34, v32, 0.5
	v_cndmask_b32_e64 v33, v33, v26, s[4:5]
	v_mul_f32_e32 v32, v34, v32
	v_fmac_f32_e32 v34, v34, v32
	v_add_f32_e32 v32, -1.0, v33
	v_fmac_f32_e32 v32, v33, v34
	v_add_f32_e32 v33, v32, v32
	v_cndmask_b32_e64 v32, v32, v33, s[4:5]
	v_cmp_nlt_f32_e64 s[4:5], s21, v31
	v_cndmask_b32_e64 v32, v27, v32, s[4:5]
	v_cmp_ngt_f32_e64 s[4:5], s22, v31
	v_cndmask_b32_e64 v33, -1.0, v32, s[4:5]
	v_mov_b32_e32 v32, s9
	v_add_co_u32_e64 v31, s[4:5], s8, v3
	v_addc_co_u32_e64 v32, s[4:5], v4, v32, s[4:5]
	global_store_dword v[31:32], v33, off
	s_or_b64 exec, exec, s[6:7]
	s_and_saveexec_b64 s[4:5], s[2:3]
	s_cbranch_execz .LBB142_18
.LBB142_22:                             ;   in Loop: Header=BB142_9 Depth=1
	s_waitcnt vmcnt(0)
	v_mul_f32_e32 v31, 0x3fb8aa3b, v30
	v_rndne_f32_e32 v31, v31
	v_mov_b32_e32 v32, v30
	v_fmac_f32_e32 v32, 0xbf317218, v31
	v_fmac_f32_e32 v32, 0x3102e308, v31
	v_mov_b32_e32 v33, 0x3ab69700
	v_fmac_f32_e32 v33, 0x395133b1, v32
	v_fma_f32 v33, v32, v33, v23
	v_fma_f32 v33, v32, v33, v24
	v_cvt_i32_f32_e32 v34, v31
	v_fma_f32 v33, v32, v33, v25
	v_fma_f32 v33, v32, v33, 0.5
	v_mul_f32_e32 v33, v32, v33
	v_fmac_f32_e32 v32, v32, v33
	v_ldexp_f32 v33, 1.0, v34
	v_cmp_eq_f32_e64 s[2:3], s20, v31
	v_cndmask_b32_e64 v31, v33, v26, s[2:3]
	v_add_f32_e32 v33, -1.0, v31
	v_fmac_f32_e32 v33, v31, v32
	v_add_f32_e32 v31, v33, v33
	v_cndmask_b32_e64 v31, v33, v31, s[2:3]
	v_cmp_nlt_f32_e64 s[2:3], s21, v30
	v_cndmask_b32_e64 v31, v27, v31, s[2:3]
	v_cmp_ngt_f32_e64 s[2:3], s22, v30
	v_cndmask_b32_e64 v32, -1.0, v31, s[2:3]
	v_mov_b32_e32 v31, s9
	v_add_co_u32_e64 v30, s[2:3], s8, v17
	v_addc_co_u32_e64 v31, s[2:3], v18, v31, s[2:3]
	global_store_dword v[30:31], v32, off
	s_or_b64 exec, exec, s[4:5]
	s_and_saveexec_b64 s[2:3], s[0:1]
	s_cbranch_execz .LBB142_19
.LBB142_23:                             ;   in Loop: Header=BB142_9 Depth=1
	s_waitcnt vmcnt(0)
	v_mul_f32_e32 v30, 0x3fb8aa3b, v28
	v_rndne_f32_e32 v30, v30
	v_mov_b32_e32 v31, v28
	v_fmac_f32_e32 v31, 0xbf317218, v30
	v_fmac_f32_e32 v31, 0x3102e308, v30
	v_mov_b32_e32 v32, 0x3ab69700
	v_fmac_f32_e32 v32, 0x395133b1, v31
	v_fma_f32 v32, v31, v32, v23
	v_fma_f32 v32, v31, v32, v24
	v_cvt_i32_f32_e32 v33, v30
	v_fma_f32 v32, v31, v32, v25
	v_fma_f32 v32, v31, v32, 0.5
	v_mul_f32_e32 v32, v31, v32
	v_fmac_f32_e32 v31, v31, v32
	v_ldexp_f32 v32, 1.0, v33
	v_cmp_eq_f32_e64 s[0:1], s20, v30
	v_cndmask_b32_e64 v30, v32, v26, s[0:1]
	v_add_f32_e32 v32, -1.0, v30
	v_fmac_f32_e32 v32, v30, v31
	v_add_f32_e32 v30, v32, v32
	v_cndmask_b32_e64 v30, v32, v30, s[0:1]
	v_cmp_nlt_f32_e64 s[0:1], s21, v28
	v_cndmask_b32_e64 v30, v27, v30, s[0:1]
	v_cmp_ngt_f32_e64 s[0:1], s22, v28
	v_cndmask_b32_e64 v28, -1.0, v30, s[0:1]
	v_mov_b32_e32 v31, s9
	v_add_co_u32_e64 v30, s[0:1], s8, v11
	v_addc_co_u32_e64 v31, s[0:1], v12, v31, s[0:1]
	global_store_dword v[30:31], v28, off
	s_or_b64 exec, exec, s[2:3]
	s_and_saveexec_b64 s[0:1], vcc
	s_cbranch_execz .LBB142_8
.LBB142_24:                             ;   in Loop: Header=BB142_9 Depth=1
	s_waitcnt vmcnt(0)
	v_mul_f32_e32 v28, 0x3fb8aa3b, v29
	v_rndne_f32_e32 v28, v28
	v_mov_b32_e32 v30, v29
	v_fmac_f32_e32 v30, 0xbf317218, v28
	v_fmac_f32_e32 v30, 0x3102e308, v28
	v_mov_b32_e32 v31, 0x3ab69700
	v_fmac_f32_e32 v31, 0x395133b1, v30
	v_fma_f32 v31, v30, v31, v23
	v_fma_f32 v31, v30, v31, v24
	v_cvt_i32_f32_e32 v32, v28
	v_fma_f32 v31, v30, v31, v25
	v_fma_f32 v31, v30, v31, 0.5
	v_mul_f32_e32 v31, v30, v31
	v_fmac_f32_e32 v30, v30, v31
	v_ldexp_f32 v31, 1.0, v32
	v_cmp_eq_f32_e32 vcc, s20, v28
	v_cndmask_b32_e32 v28, v31, v26, vcc
	v_add_f32_e32 v31, -1.0, v28
	v_fmac_f32_e32 v31, v28, v30
	v_add_f32_e32 v28, v31, v31
	v_cndmask_b32_e32 v28, v31, v28, vcc
	v_cmp_nlt_f32_e32 vcc, s21, v29
	v_cndmask_b32_e32 v28, v27, v28, vcc
	v_cmp_ngt_f32_e32 vcc, s22, v29
	v_cndmask_b32_e32 v30, -1.0, v28, vcc
	v_mov_b32_e32 v29, s9
	v_add_co_u32_e32 v28, vcc, s8, v7
	v_addc_co_u32_e32 v29, vcc, v8, v29, vcc
	global_store_dword v[28:29], v30, off
	s_branch .LBB142_8
.LBB142_25:
	s_endpgm
	.section	.rodata,"a",@progbits
	.p2align	6, 0x0
	.amdhsa_kernel _ZN2at6native12_GLOBAL__N_125multi_tensor_apply_kernelINS1_18TensorListMetadataILi2EEENS1_14UnaryOpFunctorIfLi2ELi1ELi1EEEJNS0_5Expm1IfEEEEEvT_T0_DpT1_
		.amdhsa_group_segment_fixed_size 0
		.amdhsa_private_segment_fixed_size 0
		.amdhsa_kernarg_size 3408
		.amdhsa_user_sgpr_count 6
		.amdhsa_user_sgpr_private_segment_buffer 1
		.amdhsa_user_sgpr_dispatch_ptr 0
		.amdhsa_user_sgpr_queue_ptr 0
		.amdhsa_user_sgpr_kernarg_segment_ptr 1
		.amdhsa_user_sgpr_dispatch_id 0
		.amdhsa_user_sgpr_flat_scratch_init 0
		.amdhsa_user_sgpr_private_segment_size 0
		.amdhsa_uses_dynamic_stack 0
		.amdhsa_system_sgpr_private_segment_wavefront_offset 0
		.amdhsa_system_sgpr_workgroup_id_x 1
		.amdhsa_system_sgpr_workgroup_id_y 0
		.amdhsa_system_sgpr_workgroup_id_z 0
		.amdhsa_system_sgpr_workgroup_info 0
		.amdhsa_system_vgpr_workitem_id 0
		.amdhsa_next_free_vgpr 35
		.amdhsa_next_free_sgpr 27
		.amdhsa_reserve_vcc 1
		.amdhsa_reserve_flat_scratch 0
		.amdhsa_float_round_mode_32 0
		.amdhsa_float_round_mode_16_64 0
		.amdhsa_float_denorm_mode_32 3
		.amdhsa_float_denorm_mode_16_64 3
		.amdhsa_dx10_clamp 1
		.amdhsa_ieee_mode 1
		.amdhsa_fp16_overflow 0
		.amdhsa_exception_fp_ieee_invalid_op 0
		.amdhsa_exception_fp_denorm_src 0
		.amdhsa_exception_fp_ieee_div_zero 0
		.amdhsa_exception_fp_ieee_overflow 0
		.amdhsa_exception_fp_ieee_underflow 0
		.amdhsa_exception_fp_ieee_inexact 0
		.amdhsa_exception_int_div_zero 0
	.end_amdhsa_kernel
	.section	.text._ZN2at6native12_GLOBAL__N_125multi_tensor_apply_kernelINS1_18TensorListMetadataILi2EEENS1_14UnaryOpFunctorIfLi2ELi1ELi1EEEJNS0_5Expm1IfEEEEEvT_T0_DpT1_,"axG",@progbits,_ZN2at6native12_GLOBAL__N_125multi_tensor_apply_kernelINS1_18TensorListMetadataILi2EEENS1_14UnaryOpFunctorIfLi2ELi1ELi1EEEJNS0_5Expm1IfEEEEEvT_T0_DpT1_,comdat
.Lfunc_end142:
	.size	_ZN2at6native12_GLOBAL__N_125multi_tensor_apply_kernelINS1_18TensorListMetadataILi2EEENS1_14UnaryOpFunctorIfLi2ELi1ELi1EEEJNS0_5Expm1IfEEEEEvT_T0_DpT1_, .Lfunc_end142-_ZN2at6native12_GLOBAL__N_125multi_tensor_apply_kernelINS1_18TensorListMetadataILi2EEENS1_14UnaryOpFunctorIfLi2ELi1ELi1EEEJNS0_5Expm1IfEEEEEvT_T0_DpT1_
                                        ; -- End function
	.set _ZN2at6native12_GLOBAL__N_125multi_tensor_apply_kernelINS1_18TensorListMetadataILi2EEENS1_14UnaryOpFunctorIfLi2ELi1ELi1EEEJNS0_5Expm1IfEEEEEvT_T0_DpT1_.num_vgpr, 35
	.set _ZN2at6native12_GLOBAL__N_125multi_tensor_apply_kernelINS1_18TensorListMetadataILi2EEENS1_14UnaryOpFunctorIfLi2ELi1ELi1EEEJNS0_5Expm1IfEEEEEvT_T0_DpT1_.num_agpr, 0
	.set _ZN2at6native12_GLOBAL__N_125multi_tensor_apply_kernelINS1_18TensorListMetadataILi2EEENS1_14UnaryOpFunctorIfLi2ELi1ELi1EEEJNS0_5Expm1IfEEEEEvT_T0_DpT1_.numbered_sgpr, 27
	.set _ZN2at6native12_GLOBAL__N_125multi_tensor_apply_kernelINS1_18TensorListMetadataILi2EEENS1_14UnaryOpFunctorIfLi2ELi1ELi1EEEJNS0_5Expm1IfEEEEEvT_T0_DpT1_.num_named_barrier, 0
	.set _ZN2at6native12_GLOBAL__N_125multi_tensor_apply_kernelINS1_18TensorListMetadataILi2EEENS1_14UnaryOpFunctorIfLi2ELi1ELi1EEEJNS0_5Expm1IfEEEEEvT_T0_DpT1_.private_seg_size, 0
	.set _ZN2at6native12_GLOBAL__N_125multi_tensor_apply_kernelINS1_18TensorListMetadataILi2EEENS1_14UnaryOpFunctorIfLi2ELi1ELi1EEEJNS0_5Expm1IfEEEEEvT_T0_DpT1_.uses_vcc, 1
	.set _ZN2at6native12_GLOBAL__N_125multi_tensor_apply_kernelINS1_18TensorListMetadataILi2EEENS1_14UnaryOpFunctorIfLi2ELi1ELi1EEEJNS0_5Expm1IfEEEEEvT_T0_DpT1_.uses_flat_scratch, 0
	.set _ZN2at6native12_GLOBAL__N_125multi_tensor_apply_kernelINS1_18TensorListMetadataILi2EEENS1_14UnaryOpFunctorIfLi2ELi1ELi1EEEJNS0_5Expm1IfEEEEEvT_T0_DpT1_.has_dyn_sized_stack, 0
	.set _ZN2at6native12_GLOBAL__N_125multi_tensor_apply_kernelINS1_18TensorListMetadataILi2EEENS1_14UnaryOpFunctorIfLi2ELi1ELi1EEEJNS0_5Expm1IfEEEEEvT_T0_DpT1_.has_recursion, 0
	.set _ZN2at6native12_GLOBAL__N_125multi_tensor_apply_kernelINS1_18TensorListMetadataILi2EEENS1_14UnaryOpFunctorIfLi2ELi1ELi1EEEJNS0_5Expm1IfEEEEEvT_T0_DpT1_.has_indirect_call, 0
	.section	.AMDGPU.csdata,"",@progbits
; Kernel info:
; codeLenInByte = 2616
; TotalNumSgprs: 31
; NumVgprs: 35
; ScratchSize: 0
; MemoryBound: 0
; FloatMode: 240
; IeeeMode: 1
; LDSByteSize: 0 bytes/workgroup (compile time only)
; SGPRBlocks: 3
; VGPRBlocks: 8
; NumSGPRsForWavesPerEU: 31
; NumVGPRsForWavesPerEU: 35
; Occupancy: 7
; WaveLimiterHint : 0
; COMPUTE_PGM_RSRC2:SCRATCH_EN: 0
; COMPUTE_PGM_RSRC2:USER_SGPR: 6
; COMPUTE_PGM_RSRC2:TRAP_HANDLER: 0
; COMPUTE_PGM_RSRC2:TGID_X_EN: 1
; COMPUTE_PGM_RSRC2:TGID_Y_EN: 0
; COMPUTE_PGM_RSRC2:TGID_Z_EN: 0
; COMPUTE_PGM_RSRC2:TIDIG_COMP_CNT: 0
	.section	.text._ZN2at6native12_GLOBAL__N_125multi_tensor_apply_kernelINS1_18TensorListMetadataILi2EEENS1_14UnaryOpFunctorIN3c107complexIdEELi2ELi1ELi1EEEJNS0_5Expm1IS8_EEEEEvT_T0_DpT1_,"axG",@progbits,_ZN2at6native12_GLOBAL__N_125multi_tensor_apply_kernelINS1_18TensorListMetadataILi2EEENS1_14UnaryOpFunctorIN3c107complexIdEELi2ELi1ELi1EEEJNS0_5Expm1IS8_EEEEEvT_T0_DpT1_,comdat
	.globl	_ZN2at6native12_GLOBAL__N_125multi_tensor_apply_kernelINS1_18TensorListMetadataILi2EEENS1_14UnaryOpFunctorIN3c107complexIdEELi2ELi1ELi1EEEJNS0_5Expm1IS8_EEEEEvT_T0_DpT1_ ; -- Begin function _ZN2at6native12_GLOBAL__N_125multi_tensor_apply_kernelINS1_18TensorListMetadataILi2EEENS1_14UnaryOpFunctorIN3c107complexIdEELi2ELi1ELi1EEEJNS0_5Expm1IS8_EEEEEvT_T0_DpT1_
	.p2align	8
	.type	_ZN2at6native12_GLOBAL__N_125multi_tensor_apply_kernelINS1_18TensorListMetadataILi2EEENS1_14UnaryOpFunctorIN3c107complexIdEELi2ELi1ELi1EEEJNS0_5Expm1IS8_EEEEEvT_T0_DpT1_,@function
_ZN2at6native12_GLOBAL__N_125multi_tensor_apply_kernelINS1_18TensorListMetadataILi2EEENS1_14UnaryOpFunctorIN3c107complexIdEELi2ELi1ELi1EEEJNS0_5Expm1IS8_EEEEEvT_T0_DpT1_: ; @_ZN2at6native12_GLOBAL__N_125multi_tensor_apply_kernelINS1_18TensorListMetadataILi2EEENS1_14UnaryOpFunctorIN3c107complexIdEELi2ELi1ELi1EEEJNS0_5Expm1IS8_EEEEEvT_T0_DpT1_
; %bb.0:
	v_mov_b32_e32 v1, s6
	global_load_ubyte v1, v1, s[4:5] offset:1536
	s_add_u32 s0, s4, s6
	s_mul_hi_u32 s2, s6, 3
	s_mul_i32 s6, s6, 3
	s_addc_u32 s7, s5, 0
	s_add_u32 s6, s0, s6
	s_addc_u32 s7, s7, s2
	s_load_dword s14, s[6:7], 0x740
                                        ; implicit-def: $vgpr125 : SGPR spill to VGPR lane
	s_mov_b32 s1, 0
	s_mov_b32 s3, s1
	s_waitcnt lgkmcnt(0)
	s_ashr_i32 s15, s14, 31
	s_lshl_b64 s[12:13], s[14:15], 20
	s_waitcnt vmcnt(0)
	v_readfirstlane_b32 s0, v1
	s_lshl_b32 s0, s0, 3
	s_load_dwordx2 s[6:7], s[4:5], s0 offset:0x0
	s_load_dwordx2 s[8:9], s[4:5], s0 offset:0x400
	;; [unrolled: 1-line block ×3, first 2 shown]
	s_waitcnt lgkmcnt(0)
	s_add_u32 s6, s6, s12
	s_addc_u32 s7, s7, s13
	v_writelane_b32 v125, s6, 0
	s_and_b32 s0, s6, 63
	s_add_u32 s10, s10, s12
	v_writelane_b32 v125, s7, 1
	s_addc_u32 s11, s11, s13
	s_lshl_b64 s[6:7], s[14:15], 16
	v_writelane_b32 v125, s10, 2
	s_and_b32 s2, s10, 63
	s_sub_u32 s6, s8, s6
	v_writelane_b32 v125, s11, 3
	s_subb_u32 s7, s9, s7
	v_writelane_b32 v125, s6, 4
	v_writelane_b32 v125, s7, 5
	s_and_b32 s6, s8, 3
	s_mov_b32 s7, s1
	s_or_b64 s[2:3], s[2:3], s[6:7]
	s_or_b64 s[0:1], s[2:3], s[0:1]
	s_cmp_eq_u64 s[0:1], 0
	s_mov_b64 s[0:1], -1
	s_cbranch_scc0 .LBB143_53
; %bb.1:
	v_writelane_b32 v125, s4, 9
	v_writelane_b32 v125, s5, 10
	v_mov_b32_e32 v1, 0x10000
	v_readlane_b32 s2, v125, 4
	v_mov_b32_e32 v2, 0
	v_readlane_b32 s3, v125, 5
	v_cmp_lt_i64_e32 vcc, s[2:3], v[1:2]
	v_mov_b32_e32 v17, 0
	s_and_b64 s[0:1], vcc, exec
	s_cselect_b32 s1, s3, 0
	s_cselect_b32 s0, s2, 0x10000
	v_lshlrev_b32_e32 v1, 2, v0
	v_mov_b32_e32 v2, v17
	v_writelane_b32 v125, s0, 6
	v_writelane_b32 v125, s1, 7
	v_cmp_gt_i64_e32 vcc, s[0:1], v[1:2]
	s_mov_b64 s[0:1], exec
	v_writelane_b32 v125, s0, 11
	v_writelane_b32 v125, s1, 12
	s_and_b64 s[0:1], s[0:1], vcc
	s_mov_b64 exec, s[0:1]
	s_cbranch_execz .LBB143_52
; %bb.2:
	v_readlane_b32 s0, v125, 9
	v_readlane_b32 s1, v125, 10
	s_load_dword s0, s[0:1], 0xc5c
	v_mov_b32_e32 v1, v17
	s_mov_b32 s64, 0xfefa39ef
	s_mov_b32 s16, 0
	;; [unrolled: 1-line block ×3, first 2 shown]
	s_waitcnt lgkmcnt(0)
	s_and_b32 s0, s0, 0xffff
	v_writelane_b32 v125, s0, 8
	s_mov_b32 s22, 0x33145c00
	s_mov_b32 s65, 0xbfe62e42
	;; [unrolled: 1-line block ×8, first 2 shown]
	v_mov_b32_e32 v20, v1
	s_mov_b32 s84, 0
	s_mov_b32 s92, 0
	v_readlane_b32 s10, v125, 0
	v_readlane_b32 s12, v125, 2
	s_mov_b32 s20, 0x197bcfd8
	s_mov_b32 s46, 0x11122322
	;; [unrolled: 1-line block ×15, first 2 shown]
	v_lshlrev_b32_e32 v83, 6, v0
	s_mov_b64 s[14:15], 0
	s_lshl_b32 s33, s0, 6
	s_mov_b32 s17, 0x41d00000
	s_movk_i32 s56, 0xff80
	s_mov_b32 s19, 0xbff921fb
	s_mov_b32 s23, 0xbc91a626
	;; [unrolled: 1-line block ×3, first 2 shown]
	s_movk_i32 s57, 0x1f8
	s_mov_b32 s69, 0xbda907db
	s_mov_b32 s71, 0xbe927e4f
	;; [unrolled: 1-line block ×6, first 2 shown]
	v_mov_b32_e32 v84, 0x40100000
	v_mov_b32_e32 v85, 0x3ff00000
	v_mov_b32_e32 v86, 0x7ff00000
	v_mov_b32_e32 v87, 0x7fe00000
	v_mov_b32_e32 v88, 0xbff00000
	v_mov_b32_e32 v89, 0x7ff80000
	v_mov_b32_e32 v19, v0
	s_mov_b32 s85, 0x7ff00000
	s_mov_b32 s87, 0x3ff921fb
	;; [unrolled: 1-line block ×14, first 2 shown]
	v_readlane_b32 s11, v125, 1
	v_readlane_b32 s13, v125, 3
	s_mov_b32 s21, 0x3efa01a0
	s_mov_b32 s47, 0x3f811111
	;; [unrolled: 1-line block ×15, first 2 shown]
	s_branch .LBB143_4
.LBB143_3:                              ;   in Loop: Header=BB143_4 Depth=1
	s_or_b64 exec, exec, s[0:1]
	v_mul_f64 v[101:102], v[69:70], v[69:70]
	s_mov_b32 s0, 0xb42fdfa7
	s_mov_b32 s1, 0xbe5ae600
	v_mov_b32_e32 v68, s1
	v_mov_b32_e32 v67, s0
	s_mov_b32 s0, 0x9037ab78
	s_mov_b32 s1, 0x3e21eeb6
	v_mov_b32_e32 v66, s1
	v_fma_f64 v[103:104], v[101:102], s[76:77], v[67:68]
	v_mov_b32_e32 v65, s0
	v_fma_f64 v[105:106], v[101:102], s[68:69], v[65:66]
	v_mul_f64 v[107:108], v[101:102], 0.5
	s_mov_b32 s63, s21
	s_mov_b32 s55, s47
	v_mul_f64 v[111:112], v[71:72], 0.5
	v_mul_f64 v[113:114], v[69:70], -v[101:102]
	v_fma_f64 v[103:104], v[101:102], v[103:104], s[78:79]
	s_mov_b32 s67, s49
	v_fma_f64 v[105:106], v[101:102], v[105:106], s[70:71]
	v_add_f64 v[109:110], -v[107:108], 1.0
	s_mov_b32 s30, s66
	v_and_b32_e32 v18, 1, v81
	v_cmp_eq_u32_e32 vcc, 0, v18
	v_and_b32_e32 v18, 1, v99
	v_fma_f64 v[103:104], v[101:102], v[103:104], s[80:81]
	s_mov_b32 s40, 0x652b82fe
	v_fma_f64 v[105:106], v[101:102], v[105:106], s[62:63]
	v_add_f64 v[115:116], -v[109:110], 1.0
	s_mov_b32 s41, 0x3ff71547
	s_mov_b32 s52, 0x3b39803f
	;; [unrolled: 1-line block ×4, first 2 shown]
	v_fma_f64 v[103:104], v[101:102], v[103:104], s[54:55]
	s_mov_b32 s1, 0x3e928af3
	v_fma_f64 v[105:106], v[101:102], v[105:106], s[72:73]
	v_add_f64 v[107:108], v[115:116], -v[107:108]
	s_mov_b32 s2, 11
	s_mov_b32 s3, 0x3fe00000
	;; [unrolled: 1-line block ×4, first 2 shown]
	v_fma_f64 v[103:104], v[113:114], v[103:104], v[111:112]
	v_mul_f64 v[111:112], v[101:102], v[101:102]
	v_fma_f64 v[105:106], v[101:102], v[105:106], s[66:67]
	v_fma_f64 v[107:108], v[69:70], -v[71:72], v[107:108]
	s_mov_b32 s5, s47
	s_mov_b32 s83, s49
	;; [unrolled: 1-line block ×3, first 2 shown]
	v_fma_f64 v[71:72], v[101:102], v[103:104], -v[71:72]
	v_fma_f64 v[101:102], v[111:112], v[105:106], v[107:108]
	v_mul_f64 v[107:108], v[77:78], 0.5
	v_fma_f64 v[71:72], v[113:114], s[30:31], v[71:72]
	v_add_f64 v[101:102], v[109:110], v[101:102]
	v_add_f64 v[69:70], v[69:70], -v[71:72]
	v_cndmask_b32_e32 v82, v101, v69, vcc
	v_cndmask_b32_e32 v113, v102, v70, vcc
	v_mul_f64 v[69:70], v[73:74], v[73:74]
	v_cmp_eq_u32_e32 vcc, 0, v18
	v_fma_f64 v[71:72], v[69:70], s[76:77], v[67:68]
	v_fma_f64 v[101:102], v[69:70], s[68:69], v[65:66]
	v_mul_f64 v[103:104], v[69:70], 0.5
	v_mul_f64 v[109:110], v[73:74], -v[69:70]
	v_fma_f64 v[71:72], v[69:70], v[71:72], s[78:79]
	v_fma_f64 v[101:102], v[69:70], v[101:102], s[70:71]
	v_add_f64 v[105:106], -v[103:104], 1.0
	v_fma_f64 v[71:72], v[69:70], v[71:72], s[80:81]
	v_fma_f64 v[101:102], v[69:70], v[101:102], s[62:63]
	v_add_f64 v[111:112], -v[105:106], 1.0
	v_fma_f64 v[71:72], v[69:70], v[71:72], s[54:55]
	v_fma_f64 v[101:102], v[69:70], v[101:102], s[72:73]
	v_add_f64 v[103:104], v[111:112], -v[103:104]
	v_fma_f64 v[71:72], v[109:110], v[71:72], v[107:108]
	v_mul_f64 v[107:108], v[69:70], v[69:70]
	v_fma_f64 v[71:72], v[69:70], v[71:72], -v[77:78]
	v_fma_f64 v[69:70], v[69:70], v[101:102], s[66:67]
	v_fma_f64 v[77:78], v[73:74], -v[77:78], v[103:104]
	v_fma_f64 v[71:72], v[109:110], s[30:31], v[71:72]
	v_mul_f64 v[109:110], v[79:80], 0.5
	v_fma_f64 v[69:70], v[107:108], v[69:70], v[77:78]
	v_add_f64 v[71:72], v[73:74], -v[71:72]
	v_add_f64 v[69:70], v[105:106], v[69:70]
	v_xor_b32_e32 v72, 0x80000000, v72
	v_cndmask_b32_e32 v18, v71, v69, vcc
	v_cndmask_b32_e32 v71, v72, v70, vcc
	v_cmp_class_f64_e64 vcc, v[63:64], s57
	v_lshlrev_b32_e32 v69, 30, v81
	v_xor_b32_e32 v69, v69, v64
	v_and_b32_e32 v69, 0x80000000, v69
	v_xor_b32_e32 v69, v113, v69
	v_cndmask_b32_e32 v64, v89, v69, vcc
	v_mul_f64 v[69:70], v[13:14], s[40:41]
	v_cndmask_b32_e32 v63, 0, v82, vcc
	v_mov_b32_e32 v82, s1
	v_mov_b32_e32 v81, s0
	v_cmp_nlt_f64_e32 vcc, s[92:93], v[13:14]
	v_cmp_ngt_f64_e64 s[0:1], s[24:25], v[13:14]
	v_rndne_f64_e32 v[72:73], v[69:70]
	v_fma_f64 v[69:70], v[72:73], s[94:95], v[13:14]
	v_cvt_i32_f64_e32 v74, v[72:73]
	v_ldexp_f64 v[105:106], 1.0, v74
	v_fma_f64 v[101:102], v[72:73], s[52:53], v[69:70]
	v_fma_f64 v[69:70], v[101:102], s[58:59], v[81:82]
	v_fma_f64 v[69:70], v[101:102], v[69:70], s[60:61]
	v_fma_f64 v[69:70], v[101:102], v[69:70], s[28:29]
	v_fma_f64 v[69:70], v[101:102], v[69:70], s[42:43]
	v_fma_f64 v[69:70], v[101:102], v[69:70], s[44:45]
	v_fma_f64 v[69:70], v[101:102], v[69:70], s[46:47]
	v_fma_f64 v[69:70], v[101:102], v[69:70], s[48:49]
	v_fma_f64 v[69:70], v[101:102], v[69:70], s[50:51]
	v_fma_f64 v[69:70], v[101:102], v[69:70], s[2:3]
	v_fma_f64 v[69:70], v[101:102], v[69:70], 1.0
	v_fma_f64 v[69:70], v[101:102], v[69:70], 1.0
	v_ldexp_f64 v[69:70], v[69:70], v74
	v_and_b32_e32 v74, 1, v100
	v_cndmask_b32_e32 v70, v86, v70, vcc
	s_and_b64 vcc, s[0:1], vcc
	v_cndmask_b32_e64 v70, 0, v70, s[0:1]
	s_mov_b32 s0, 0x2a1b768b
	s_mov_b32 s1, 0x3e5af4eb
	v_mov_b32_e32 v78, s1
	v_mov_b32_e32 v77, s0
	v_fma_f64 v[103:104], v[101:102], s[36:37], v[77:78]
	v_cndmask_b32_e32 v69, 0, v69, vcc
	v_cmp_eq_f64_e32 vcc, s[92:93], v[72:73]
	v_cmp_ngt_f64_e64 s[0:1], s[26:27], v[13:14]
	v_fma_f64 v[103:104], v[101:102], v[103:104], s[38:39]
	v_cndmask_b32_e32 v73, v106, v87, vcc
	v_cndmask_b32_e64 v72, v105, 0, vcc
	v_add_f64 v[105:106], v[72:73], -1.0
	v_fma_f64 v[103:104], v[101:102], v[103:104], s[8:9]
	v_fma_f64 v[103:104], v[101:102], v[103:104], s[20:21]
	;; [unrolled: 1-line block ×7, first 2 shown]
	v_fma_f64 v[103:104], v[101:102], v[103:104], 0.5
	v_mul_f64 v[103:104], v[101:102], v[103:104]
	v_fma_f64 v[101:102], v[101:102], v[103:104], v[101:102]
	v_fma_f64 v[72:73], v[72:73], v[101:102], v[105:106]
	v_add_f64 v[101:102], v[72:73], v[72:73]
	v_cndmask_b32_e32 v72, v72, v101, vcc
	v_cndmask_b32_e32 v73, v73, v102, vcc
	v_cmp_nlt_f64_e32 vcc, s[64:65], v[13:14]
	v_cndmask_b32_e32 v73, v86, v73, vcc
	s_and_b64 vcc, s[0:1], vcc
	v_cndmask_b32_e32 v13, 0, v72, vcc
	v_cndmask_b32_e64 v14, v88, v73, s[0:1]
	v_mul_f64 v[72:73], v[75:76], v[75:76]
	v_cmp_eq_u32_e32 vcc, 0, v74
	v_cmp_ngt_f64_e64 s[0:1], s[24:25], v[9:10]
	v_fma_f64 v[101:102], v[72:73], s[76:77], v[67:68]
	v_fma_f64 v[103:104], v[72:73], s[68:69], v[65:66]
	v_mul_f64 v[105:106], v[72:73], 0.5
	v_mul_f64 v[111:112], v[75:76], -v[72:73]
	v_fma_f64 v[101:102], v[72:73], v[101:102], s[78:79]
	v_fma_f64 v[103:104], v[72:73], v[103:104], s[70:71]
	v_add_f64 v[107:108], -v[105:106], 1.0
	v_fma_f64 v[101:102], v[72:73], v[101:102], s[80:81]
	v_fma_f64 v[103:104], v[72:73], v[103:104], s[62:63]
	v_add_f64 v[113:114], -v[107:108], 1.0
	v_fma_f64 v[101:102], v[72:73], v[101:102], s[54:55]
	v_fma_f64 v[103:104], v[72:73], v[103:104], s[72:73]
	v_add_f64 v[105:106], v[113:114], -v[105:106]
	v_fma_f64 v[101:102], v[111:112], v[101:102], v[109:110]
	v_mul_f64 v[109:110], v[72:73], v[72:73]
	v_fma_f64 v[103:104], v[72:73], v[103:104], s[66:67]
	v_fma_f64 v[105:106], v[75:76], -v[79:80], v[105:106]
	v_fma_f64 v[72:73], v[72:73], v[101:102], -v[79:80]
	v_fma_f64 v[79:80], v[109:110], v[103:104], v[105:106]
	v_fma_f64 v[72:73], v[111:112], s[30:31], v[72:73]
	v_add_f64 v[79:80], v[107:108], v[79:80]
	v_mul_f64 v[107:108], v[43:44], 0.5
	v_add_f64 v[72:73], v[75:76], -v[72:73]
	v_cndmask_b32_e32 v74, v79, v72, vcc
	v_cndmask_b32_e32 v73, v80, v73, vcc
	v_cmp_class_f64_e64 vcc, v[15:16], s57
	v_lshlrev_b32_e32 v15, 30, v100
	v_xor_b32_e32 v15, v15, v16
	v_and_b32_e32 v15, 0x80000000, v15
	v_xor_b32_e32 v16, v73, v15
	v_lshlrev_b32_e32 v72, 30, v99
	v_and_b32_e32 v72, 0x80000000, v72
	v_xor_b32_e32 v72, v71, v72
	v_cndmask_b32_e32 v15, 0, v74, vcc
	v_mul_f64 v[73:74], v[9:10], s[40:41]
	v_cndmask_b32_e32 v71, 0, v18, vcc
	v_cndmask_b32_e32 v72, v89, v72, vcc
	;; [unrolled: 1-line block ×3, first 2 shown]
	v_cmp_nlt_f64_e32 vcc, s[92:93], v[9:10]
	v_mul_f64 v[15:16], v[69:70], v[15:16]
	v_rndne_f64_e32 v[75:76], v[73:74]
	v_fma_f64 v[73:74], v[75:76], s[94:95], v[9:10]
	v_cvt_i32_f64_e32 v18, v[75:76]
	v_ldexp_f64 v[101:102], 1.0, v18
	v_fma_f64 v[79:80], v[75:76], s[52:53], v[73:74]
	v_fma_f64 v[73:74], v[79:80], s[58:59], v[81:82]
	;; [unrolled: 1-line block ×19, first 2 shown]
	v_fma_f64 v[73:74], v[79:80], v[73:74], 1.0
	v_fma_f64 v[99:100], v[79:80], v[99:100], 0.5
	v_fma_f64 v[73:74], v[79:80], v[73:74], 1.0
	v_mul_f64 v[99:100], v[79:80], v[99:100]
	v_ldexp_f64 v[73:74], v[73:74], v18
	v_fma_f64 v[79:80], v[79:80], v[99:100], v[79:80]
	v_cndmask_b32_e32 v74, v86, v74, vcc
	s_and_b64 vcc, s[0:1], vcc
	v_cndmask_b32_e32 v73, 0, v73, vcc
	v_cmp_eq_f64_e32 vcc, s[92:93], v[75:76]
	v_cndmask_b32_e64 v74, 0, v74, s[0:1]
	v_cmp_ngt_f64_e64 s[0:1], s[26:27], v[9:10]
	v_cndmask_b32_e32 v76, v102, v87, vcc
	v_cndmask_b32_e64 v75, v101, 0, vcc
	v_add_f64 v[99:100], v[75:76], -1.0
	v_fma_f64 v[75:76], v[75:76], v[79:80], v[99:100]
	v_add_f64 v[79:80], v[75:76], v[75:76]
	v_cndmask_b32_e32 v18, v75, v79, vcc
	v_cndmask_b32_e32 v75, v76, v80, vcc
	v_cmp_nlt_f64_e32 vcc, s[64:65], v[9:10]
	v_cndmask_b32_e32 v75, v86, v75, vcc
	v_cndmask_b32_e64 v10, v88, v75, s[0:1]
	v_mul_f64 v[75:76], v[41:42], v[41:42]
	s_and_b64 vcc, s[0:1], vcc
	v_cndmask_b32_e32 v9, 0, v18, vcc
	v_and_b32_e32 v18, 1, v94
	v_cmp_eq_u32_e32 vcc, 0, v18
	v_cmp_ngt_f64_e64 s[0:1], s[24:25], v[5:6]
	v_fma_f64 v[79:80], v[75:76], s[76:77], v[67:68]
	v_fma_f64 v[99:100], v[75:76], s[68:69], v[65:66]
	v_mul_f64 v[101:102], v[75:76], 0.5
	v_mul_f64 v[105:106], v[41:42], -v[75:76]
	v_fma_f64 v[79:80], v[75:76], v[79:80], s[78:79]
	v_fma_f64 v[99:100], v[75:76], v[99:100], s[70:71]
	v_add_f64 v[103:104], -v[101:102], 1.0
	v_fma_f64 v[79:80], v[75:76], v[79:80], s[80:81]
	v_fma_f64 v[99:100], v[75:76], v[99:100], s[62:63]
	v_add_f64 v[109:110], -v[103:104], 1.0
	v_fma_f64 v[79:80], v[75:76], v[79:80], s[54:55]
	v_fma_f64 v[99:100], v[75:76], v[99:100], s[72:73]
	v_add_f64 v[101:102], v[109:110], -v[101:102]
	v_fma_f64 v[79:80], v[105:106], v[79:80], v[107:108]
	v_mul_f64 v[107:108], v[75:76], v[75:76]
	v_fma_f64 v[79:80], v[75:76], v[79:80], -v[43:44]
	v_fma_f64 v[75:76], v[75:76], v[99:100], s[66:67]
	v_fma_f64 v[43:44], v[41:42], -v[43:44], v[101:102]
	v_fma_f64 v[79:80], v[105:106], s[30:31], v[79:80]
	v_fma_f64 v[43:44], v[107:108], v[75:76], v[43:44]
	v_add_f64 v[41:42], v[41:42], -v[79:80]
	v_add_f64 v[43:44], v[103:104], v[43:44]
	v_mul_f64 v[103:104], v[39:40], 0.5
	v_xor_b32_e32 v42, 0x80000000, v42
	v_cndmask_b32_e32 v18, v41, v43, vcc
	v_cndmask_b32_e32 v107, v42, v44, vcc
	v_mul_f64 v[41:42], v[37:38], v[37:38]
	v_fma_f64 v[43:44], v[41:42], s[76:77], v[67:68]
	v_fma_f64 v[75:76], v[41:42], s[68:69], v[65:66]
	v_mul_f64 v[79:80], v[41:42], 0.5
	v_mul_f64 v[101:102], v[37:38], -v[41:42]
	v_fma_f64 v[43:44], v[41:42], v[43:44], s[78:79]
	v_fma_f64 v[75:76], v[41:42], v[75:76], s[70:71]
	v_add_f64 v[99:100], -v[79:80], 1.0
	v_fma_f64 v[43:44], v[41:42], v[43:44], s[80:81]
	v_fma_f64 v[75:76], v[41:42], v[75:76], s[62:63]
	v_add_f64 v[105:106], -v[99:100], 1.0
	v_fma_f64 v[43:44], v[41:42], v[43:44], s[54:55]
	v_fma_f64 v[75:76], v[41:42], v[75:76], s[72:73]
	v_add_f64 v[79:80], v[105:106], -v[79:80]
	v_fma_f64 v[43:44], v[101:102], v[43:44], v[103:104]
	v_mul_f64 v[103:104], v[41:42], v[41:42]
	v_fma_f64 v[43:44], v[41:42], v[43:44], -v[39:40]
	v_fma_f64 v[41:42], v[41:42], v[75:76], s[66:67]
	v_fma_f64 v[39:40], v[37:38], -v[39:40], v[79:80]
	v_fma_f64 v[43:44], v[101:102], s[30:31], v[43:44]
	v_mul_f64 v[101:102], v[49:50], 0.5
	v_fma_f64 v[39:40], v[103:104], v[41:42], v[39:40]
	v_and_b32_e32 v41, 1, v93
	v_cmp_eq_u32_e32 vcc, 0, v41
	v_add_f64 v[37:38], v[37:38], -v[43:44]
	v_add_f64 v[39:40], v[99:100], v[39:40]
	v_cndmask_b32_e32 v37, v39, v37, vcc
	v_cndmask_b32_e32 v38, v40, v38, vcc
	v_cmp_class_f64_e64 vcc, v[35:36], s57
	v_lshlrev_b32_e32 v39, 30, v93
	v_xor_b32_e32 v39, v39, v36
	v_and_b32_e32 v39, 0x80000000, v39
	v_xor_b32_e32 v38, v38, v39
	v_cndmask_b32_e32 v35, 0, v37, vcc
	v_cndmask_b32_e32 v36, v89, v38, vcc
	v_mul_f64 v[37:38], v[47:48], v[47:48]
	v_fma_f64 v[39:40], v[37:38], s[76:77], v[67:68]
	v_mul_f64 v[41:42], v[37:38], 0.5
	v_fma_f64 v[43:44], v[37:38], s[68:69], v[65:66]
	v_mul_f64 v[99:100], v[47:48], -v[37:38]
	v_fma_f64 v[39:40], v[37:38], v[39:40], s[78:79]
	v_add_f64 v[75:76], -v[41:42], 1.0
	v_fma_f64 v[43:44], v[37:38], v[43:44], s[70:71]
	v_fma_f64 v[39:40], v[37:38], v[39:40], s[80:81]
	v_add_f64 v[79:80], -v[75:76], 1.0
	v_fma_f64 v[43:44], v[37:38], v[43:44], s[62:63]
	v_fma_f64 v[39:40], v[37:38], v[39:40], s[54:55]
	v_add_f64 v[41:42], v[79:80], -v[41:42]
	v_fma_f64 v[43:44], v[37:38], v[43:44], s[72:73]
	v_mul_f64 v[79:80], v[37:38], v[37:38]
	v_fma_f64 v[39:40], v[99:100], v[39:40], v[101:102]
	v_fma_f64 v[41:42], v[47:48], -v[49:50], v[41:42]
	v_fma_f64 v[43:44], v[37:38], v[43:44], s[66:67]
	v_fma_f64 v[37:38], v[37:38], v[39:40], -v[49:50]
	v_fma_f64 v[39:40], v[79:80], v[43:44], v[41:42]
	v_and_b32_e32 v41, 1, v95
	v_cmp_eq_u32_e32 vcc, 0, v41
	v_fma_f64 v[37:38], v[99:100], s[30:31], v[37:38]
	v_add_f64 v[39:40], v[75:76], v[39:40]
	v_add_f64 v[37:38], v[47:48], -v[37:38]
	v_cndmask_b32_e32 v39, v39, v37, vcc
	v_cndmask_b32_e32 v40, v40, v38, vcc
	v_cmp_class_f64_e64 vcc, v[11:12], s57
	v_lshlrev_b32_e32 v11, 30, v95
	v_xor_b32_e32 v11, v11, v12
	v_and_b32_e32 v11, 0x80000000, v11
	v_xor_b32_e32 v12, v40, v11
	v_lshlrev_b32_e32 v37, 30, v94
	v_and_b32_e32 v37, 0x80000000, v37
	v_xor_b32_e32 v38, v107, v37
	v_cndmask_b32_e32 v11, 0, v39, vcc
	v_mul_f64 v[39:40], v[5:6], s[40:41]
	v_cndmask_b32_e32 v37, 0, v18, vcc
	v_cndmask_b32_e32 v38, v89, v38, vcc
	v_cndmask_b32_e32 v12, v89, v12, vcc
	v_cmp_nlt_f64_e32 vcc, s[92:93], v[5:6]
	v_mul_f64 v[93:94], v[29:30], 0.5
	v_rndne_f64_e32 v[41:42], v[39:40]
	v_fma_f64 v[39:40], v[41:42], s[94:95], v[5:6]
	v_cvt_i32_f64_e32 v18, v[41:42]
	v_ldexp_f64 v[49:50], 1.0, v18
	v_fma_f64 v[43:44], v[41:42], s[52:53], v[39:40]
	v_fma_f64 v[39:40], v[43:44], s[58:59], v[81:82]
	v_fma_f64 v[47:48], v[43:44], s[36:37], v[77:78]
	v_fma_f64 v[39:40], v[43:44], v[39:40], s[60:61]
	v_fma_f64 v[47:48], v[43:44], v[47:48], s[38:39]
	v_fma_f64 v[39:40], v[43:44], v[39:40], s[28:29]
	v_fma_f64 v[47:48], v[43:44], v[47:48], s[8:9]
	v_fma_f64 v[39:40], v[43:44], v[39:40], s[42:43]
	v_fma_f64 v[47:48], v[43:44], v[47:48], s[20:21]
	v_fma_f64 v[39:40], v[43:44], v[39:40], s[44:45]
	v_fma_f64 v[47:48], v[43:44], v[47:48], s[34:35]
	v_fma_f64 v[39:40], v[43:44], v[39:40], s[46:47]
	v_fma_f64 v[47:48], v[43:44], v[47:48], s[74:75]
	v_fma_f64 v[39:40], v[43:44], v[39:40], s[48:49]
	v_fma_f64 v[47:48], v[43:44], v[47:48], s[4:5]
	v_fma_f64 v[39:40], v[43:44], v[39:40], s[50:51]
	v_fma_f64 v[47:48], v[43:44], v[47:48], s[82:83]
	v_fma_f64 v[39:40], v[43:44], v[39:40], s[2:3]
	v_fma_f64 v[47:48], v[43:44], v[47:48], s[6:7]
	v_fma_f64 v[39:40], v[43:44], v[39:40], 1.0
	v_fma_f64 v[47:48], v[43:44], v[47:48], 0.5
	;; [unrolled: 1-line block ×3, first 2 shown]
	v_mul_f64 v[47:48], v[43:44], v[47:48]
	v_ldexp_f64 v[39:40], v[39:40], v18
	v_fma_f64 v[43:44], v[43:44], v[47:48], v[43:44]
	v_cndmask_b32_e32 v40, v86, v40, vcc
	s_and_b64 vcc, s[0:1], vcc
	v_cndmask_b32_e32 v39, 0, v39, vcc
	v_cmp_eq_f64_e32 vcc, s[92:93], v[41:42]
	v_cndmask_b32_e64 v40, 0, v40, s[0:1]
	v_cmp_ngt_f64_e64 s[0:1], s[26:27], v[5:6]
	v_cndmask_b32_e32 v42, v50, v87, vcc
	v_cndmask_b32_e64 v41, v49, 0, vcc
	v_add_f64 v[47:48], v[41:42], -1.0
	v_fma_f64 v[41:42], v[41:42], v[43:44], v[47:48]
	v_add_f64 v[43:44], v[41:42], v[41:42]
	v_cndmask_b32_e32 v18, v41, v43, vcc
	v_cndmask_b32_e32 v41, v42, v44, vcc
	v_cmp_nlt_f64_e32 vcc, s[64:65], v[5:6]
	v_cndmask_b32_e32 v41, v86, v41, vcc
	v_cndmask_b32_e64 v6, v88, v41, s[0:1]
	v_mul_f64 v[41:42], v[27:28], v[27:28]
	s_and_b64 vcc, s[0:1], vcc
	v_cndmask_b32_e32 v5, 0, v18, vcc
	v_and_b32_e32 v18, 1, v91
	v_cmp_eq_u32_e32 vcc, 0, v18
	v_cmp_ngt_f64_e64 s[0:1], s[24:25], v[1:2]
	v_fma_f64 v[43:44], v[41:42], s[76:77], v[67:68]
	v_fma_f64 v[47:48], v[41:42], s[68:69], v[65:66]
	v_mul_f64 v[49:50], v[41:42], 0.5
	v_mul_f64 v[79:80], v[27:28], -v[41:42]
	v_fma_f64 v[43:44], v[41:42], v[43:44], s[78:79]
	v_fma_f64 v[47:48], v[41:42], v[47:48], s[70:71]
	v_add_f64 v[75:76], -v[49:50], 1.0
	v_fma_f64 v[43:44], v[41:42], v[43:44], s[80:81]
	v_fma_f64 v[47:48], v[41:42], v[47:48], s[62:63]
	v_add_f64 v[99:100], -v[75:76], 1.0
	v_fma_f64 v[43:44], v[41:42], v[43:44], s[54:55]
	v_fma_f64 v[47:48], v[41:42], v[47:48], s[72:73]
	v_add_f64 v[49:50], v[99:100], -v[49:50]
	v_fma_f64 v[43:44], v[79:80], v[43:44], v[93:94]
	v_mul_f64 v[93:94], v[41:42], v[41:42]
	v_fma_f64 v[43:44], v[41:42], v[43:44], -v[29:30]
	v_fma_f64 v[41:42], v[41:42], v[47:48], s[66:67]
	v_fma_f64 v[29:30], v[27:28], -v[29:30], v[49:50]
	v_fma_f64 v[43:44], v[79:80], s[30:31], v[43:44]
	v_fma_f64 v[29:30], v[93:94], v[41:42], v[29:30]
	v_add_f64 v[27:28], v[27:28], -v[43:44]
	v_add_f64 v[29:30], v[75:76], v[29:30]
	v_mul_f64 v[75:76], v[25:26], 0.5
	v_xor_b32_e32 v28, 0x80000000, v28
	v_cndmask_b32_e32 v18, v27, v29, vcc
	v_cndmask_b32_e32 v93, v28, v30, vcc
	v_mul_f64 v[27:28], v[23:24], v[23:24]
	v_fma_f64 v[29:30], v[27:28], s[76:77], v[67:68]
	v_fma_f64 v[41:42], v[27:28], s[68:69], v[65:66]
	v_mul_f64 v[43:44], v[27:28], 0.5
	v_mul_f64 v[49:50], v[23:24], -v[27:28]
	v_fma_f64 v[29:30], v[27:28], v[29:30], s[78:79]
	v_fma_f64 v[41:42], v[27:28], v[41:42], s[70:71]
	v_add_f64 v[47:48], -v[43:44], 1.0
	v_fma_f64 v[29:30], v[27:28], v[29:30], s[80:81]
	v_fma_f64 v[41:42], v[27:28], v[41:42], s[62:63]
	v_add_f64 v[79:80], -v[47:48], 1.0
	v_fma_f64 v[29:30], v[27:28], v[29:30], s[54:55]
	v_fma_f64 v[41:42], v[27:28], v[41:42], s[72:73]
	v_add_f64 v[43:44], v[79:80], -v[43:44]
	v_fma_f64 v[29:30], v[49:50], v[29:30], v[75:76]
	v_mul_f64 v[75:76], v[27:28], v[27:28]
	v_fma_f64 v[29:30], v[27:28], v[29:30], -v[25:26]
	v_fma_f64 v[27:28], v[27:28], v[41:42], s[66:67]
	v_fma_f64 v[25:26], v[23:24], -v[25:26], v[43:44]
	v_fma_f64 v[29:30], v[49:50], s[30:31], v[29:30]
	v_mul_f64 v[49:50], v[33:34], 0.5
	v_fma_f64 v[25:26], v[75:76], v[27:28], v[25:26]
	v_and_b32_e32 v27, 1, v90
	v_cmp_eq_u32_e32 vcc, 0, v27
	v_add_f64 v[23:24], v[23:24], -v[29:30]
	v_add_f64 v[25:26], v[47:48], v[25:26]
	v_cndmask_b32_e32 v23, v25, v23, vcc
	v_cndmask_b32_e32 v24, v26, v24, vcc
	v_cmp_class_f64_e64 vcc, v[21:22], s57
	v_lshlrev_b32_e32 v25, 30, v90
	v_xor_b32_e32 v25, v25, v22
	v_and_b32_e32 v25, 0x80000000, v25
	v_xor_b32_e32 v24, v24, v25
	v_cndmask_b32_e32 v21, 0, v23, vcc
	v_cndmask_b32_e32 v22, v89, v24, vcc
	v_mul_f64 v[23:24], v[31:32], v[31:32]
	v_fma_f64 v[25:26], v[23:24], s[76:77], v[67:68]
	v_mul_f64 v[27:28], v[23:24], 0.5
	v_fma_f64 v[29:30], v[23:24], s[68:69], v[65:66]
	v_mul_f64 v[47:48], v[31:32], -v[23:24]
	v_fma_f64 v[25:26], v[23:24], v[25:26], s[78:79]
	v_add_f64 v[41:42], -v[27:28], 1.0
	v_fma_f64 v[29:30], v[23:24], v[29:30], s[70:71]
	v_fma_f64 v[25:26], v[23:24], v[25:26], s[80:81]
	v_add_f64 v[43:44], -v[41:42], 1.0
	v_fma_f64 v[29:30], v[23:24], v[29:30], s[62:63]
	v_fma_f64 v[25:26], v[23:24], v[25:26], s[54:55]
	v_add_f64 v[27:28], v[43:44], -v[27:28]
	v_fma_f64 v[29:30], v[23:24], v[29:30], s[72:73]
	v_mul_f64 v[43:44], v[23:24], v[23:24]
	v_fma_f64 v[25:26], v[47:48], v[25:26], v[49:50]
	v_fma_f64 v[27:28], v[31:32], -v[33:34], v[27:28]
	v_fma_f64 v[29:30], v[23:24], v[29:30], s[66:67]
	v_fma_f64 v[23:24], v[23:24], v[25:26], -v[33:34]
	v_fma_f64 v[25:26], v[43:44], v[29:30], v[27:28]
	v_and_b32_e32 v27, 1, v92
	v_cmp_eq_u32_e32 vcc, 0, v27
	v_fma_f64 v[23:24], v[47:48], s[30:31], v[23:24]
	v_mul_f64 v[47:48], v[59:60], 0.5
	v_add_f64 v[25:26], v[41:42], v[25:26]
	v_add_f64 v[23:24], v[31:32], -v[23:24]
	v_cndmask_b32_e32 v25, v25, v23, vcc
	v_cndmask_b32_e32 v26, v26, v24, vcc
	v_cmp_class_f64_e64 vcc, v[7:8], s57
	v_lshlrev_b32_e32 v7, 30, v92
	v_xor_b32_e32 v7, v7, v8
	v_and_b32_e32 v7, 0x80000000, v7
	v_xor_b32_e32 v8, v26, v7
	v_lshlrev_b32_e32 v23, 30, v91
	v_and_b32_e32 v23, 0x80000000, v23
	v_xor_b32_e32 v24, v93, v23
	v_cndmask_b32_e32 v7, 0, v25, vcc
	v_mul_f64 v[25:26], v[1:2], s[40:41]
	v_cndmask_b32_e32 v23, 0, v18, vcc
	v_cndmask_b32_e32 v24, v89, v24, vcc
	;; [unrolled: 1-line block ×3, first 2 shown]
	v_cmp_nlt_f64_e32 vcc, s[92:93], v[1:2]
	v_rndne_f64_e32 v[27:28], v[25:26]
	v_fma_f64 v[25:26], v[27:28], s[94:95], v[1:2]
	v_cvt_i32_f64_e32 v18, v[27:28]
	v_ldexp_f64 v[33:34], 1.0, v18
	v_fma_f64 v[29:30], v[27:28], s[52:53], v[25:26]
	v_fma_f64 v[25:26], v[29:30], s[58:59], v[81:82]
	;; [unrolled: 1-line block ×19, first 2 shown]
	v_fma_f64 v[25:26], v[29:30], v[25:26], 1.0
	v_fma_f64 v[31:32], v[29:30], v[31:32], 0.5
	;; [unrolled: 1-line block ×3, first 2 shown]
	v_mul_f64 v[31:32], v[29:30], v[31:32]
	v_ldexp_f64 v[25:26], v[25:26], v18
	v_fma_f64 v[29:30], v[29:30], v[31:32], v[29:30]
	v_cndmask_b32_e32 v26, v86, v26, vcc
	s_and_b64 vcc, s[0:1], vcc
	v_cndmask_b32_e32 v25, 0, v25, vcc
	v_cmp_eq_f64_e32 vcc, s[92:93], v[27:28]
	v_cndmask_b32_e64 v26, 0, v26, s[0:1]
	v_cmp_ngt_f64_e64 s[0:1], s[26:27], v[1:2]
	v_cndmask_b32_e32 v28, v34, v87, vcc
	v_cndmask_b32_e64 v27, v33, 0, vcc
	v_add_f64 v[31:32], v[27:28], -1.0
	v_fma_f64 v[27:28], v[27:28], v[29:30], v[31:32]
	v_add_f64 v[29:30], v[27:28], v[27:28]
	v_cndmask_b32_e32 v18, v27, v29, vcc
	v_cndmask_b32_e32 v27, v28, v30, vcc
	v_cmp_nlt_f64_e32 vcc, s[64:65], v[1:2]
	v_cndmask_b32_e32 v27, v86, v27, vcc
	v_cndmask_b32_e64 v2, v88, v27, s[0:1]
	v_mul_f64 v[27:28], v[57:58], v[57:58]
	s_and_b64 vcc, s[0:1], vcc
	v_cndmask_b32_e32 v1, 0, v18, vcc
	v_and_b32_e32 v18, 1, v97
	v_cmp_eq_u32_e32 vcc, 0, v18
	v_readlane_b32 s0, v125, 8
	v_fma_f64 v[29:30], v[27:28], s[76:77], v[67:68]
	v_fma_f64 v[31:32], v[27:28], s[68:69], v[65:66]
	v_mul_f64 v[33:34], v[27:28], 0.5
	v_mul_f64 v[43:44], v[57:58], -v[27:28]
	v_fma_f64 v[29:30], v[27:28], v[29:30], s[78:79]
	v_fma_f64 v[31:32], v[27:28], v[31:32], s[70:71]
	v_add_f64 v[41:42], -v[33:34], 1.0
	v_fma_f64 v[29:30], v[27:28], v[29:30], s[80:81]
	v_fma_f64 v[31:32], v[27:28], v[31:32], s[62:63]
	v_add_f64 v[49:50], -v[41:42], 1.0
	v_fma_f64 v[29:30], v[27:28], v[29:30], s[54:55]
	v_fma_f64 v[31:32], v[27:28], v[31:32], s[72:73]
	v_add_f64 v[33:34], v[49:50], -v[33:34]
	v_mul_f64 v[49:50], v[53:54], 0.5
	v_fma_f64 v[29:30], v[43:44], v[29:30], v[47:48]
	v_mul_f64 v[47:48], v[27:28], v[27:28]
	v_fma_f64 v[29:30], v[27:28], v[29:30], -v[59:60]
	v_fma_f64 v[27:28], v[27:28], v[31:32], s[66:67]
	v_fma_f64 v[31:32], v[57:58], -v[59:60], v[33:34]
	v_and_b32_e32 v34, 1, v98
	v_fma_f64 v[29:30], v[43:44], s[30:31], v[29:30]
	v_fma_f64 v[27:28], v[47:48], v[27:28], v[31:32]
	v_add_f64 v[29:30], v[57:58], -v[29:30]
	v_add_f64 v[27:28], v[41:42], v[27:28]
	v_xor_b32_e32 v30, 0x80000000, v30
	v_cndmask_b32_e32 v18, v29, v27, vcc
	v_cndmask_b32_e32 v29, v30, v28, vcc
	v_mul_f64 v[27:28], v[51:52], v[51:52]
	v_fma_f64 v[30:31], v[27:28], s[76:77], v[67:68]
	v_fma_f64 v[32:33], v[27:28], s[68:69], v[65:66]
	v_mul_f64 v[41:42], v[27:28], 0.5
	v_mul_f64 v[47:48], v[51:52], -v[27:28]
	v_fma_f64 v[30:31], v[27:28], v[30:31], s[78:79]
	v_fma_f64 v[32:33], v[27:28], v[32:33], s[70:71]
	v_add_f64 v[43:44], -v[41:42], 1.0
	v_fma_f64 v[30:31], v[27:28], v[30:31], s[80:81]
	v_fma_f64 v[32:33], v[27:28], v[32:33], s[62:63]
	v_add_f64 v[57:58], -v[43:44], 1.0
	v_fma_f64 v[30:31], v[27:28], v[30:31], s[54:55]
	v_fma_f64 v[32:33], v[27:28], v[32:33], s[72:73]
	v_add_f64 v[41:42], v[57:58], -v[41:42]
	v_fma_f64 v[30:31], v[47:48], v[30:31], v[49:50]
	v_mul_f64 v[49:50], v[27:28], v[27:28]
	v_fma_f64 v[30:31], v[27:28], v[30:31], -v[53:54]
	v_fma_f64 v[27:28], v[27:28], v[32:33], s[66:67]
	v_fma_f64 v[32:33], v[51:52], -v[53:54], v[41:42]
	v_fma_f64 v[30:31], v[47:48], s[30:31], v[30:31]
	v_fma_f64 v[27:28], v[49:50], v[27:28], v[32:33]
	v_and_b32_e32 v32, 1, v96
	v_cmp_eq_u32_e32 vcc, 0, v32
	v_add_f64 v[30:31], v[51:52], -v[30:31]
	v_mul_f64 v[51:52], v[61:62], 0.5
	v_add_f64 v[27:28], v[43:44], v[27:28]
	v_cndmask_b32_e32 v27, v27, v30, vcc
	v_lshlrev_b32_e32 v30, 30, v96
	v_xor_b32_e32 v30, v30, v46
	v_cndmask_b32_e32 v28, v28, v31, vcc
	v_and_b32_e32 v30, 0x80000000, v30
	v_xor_b32_e32 v28, v28, v30
	v_mul_f64 v[30:31], v[55:56], v[55:56]
	v_cmp_class_f64_e64 vcc, v[45:46], s57
	v_fma_f64 v[32:33], v[30:31], s[76:77], v[67:68]
	v_mul_f64 v[41:42], v[30:31], 0.5
	v_fma_f64 v[43:44], v[30:31], s[68:69], v[65:66]
	v_mul_f64 v[49:50], v[55:56], -v[30:31]
	v_cndmask_b32_e32 v27, 0, v27, vcc
	v_cndmask_b32_e32 v28, v89, v28, vcc
	v_cmp_eq_u32_e32 vcc, 0, v34
	v_fma_f64 v[32:33], v[30:31], v[32:33], s[78:79]
	v_add_f64 v[45:46], -v[41:42], 1.0
	v_fma_f64 v[43:44], v[30:31], v[43:44], s[70:71]
	v_fma_f64 v[32:33], v[30:31], v[32:33], s[80:81]
	v_add_f64 v[47:48], -v[45:46], 1.0
	v_fma_f64 v[43:44], v[30:31], v[43:44], s[62:63]
	v_fma_f64 v[32:33], v[30:31], v[32:33], s[54:55]
	v_add_f64 v[41:42], v[47:48], -v[41:42]
	v_fma_f64 v[43:44], v[30:31], v[43:44], s[72:73]
	v_mul_f64 v[47:48], v[30:31], v[30:31]
	v_fma_f64 v[32:33], v[49:50], v[32:33], v[51:52]
	v_fma_f64 v[41:42], v[55:56], -v[61:62], v[41:42]
	v_fma_f64 v[43:44], v[30:31], v[43:44], s[66:67]
	v_fma_f64 v[30:31], v[30:31], v[32:33], -v[61:62]
	v_fma_f64 v[32:33], v[47:48], v[43:44], v[41:42]
	v_add_f64 v[43:44], v[21:22], v[21:22]
	v_add_f64 v[41:42], v[35:36], v[35:36]
	v_fma_f64 v[30:31], v[49:50], s[30:31], v[30:31]
	v_add_f64 v[32:33], v[45:46], v[32:33]
	v_add_f64 v[45:46], v[27:28], v[27:28]
	v_mul_f64 v[21:22], v[43:44], v[21:22]
	v_mul_f64 v[35:36], v[41:42], v[35:36]
	v_add_f64 v[30:31], v[55:56], -v[30:31]
	v_mul_f64 v[27:28], v[45:46], v[27:28]
	v_fma_f64 v[21:22], v[5:6], v[23:24], -v[21:22]
	v_mul_f64 v[23:24], v[39:40], v[7:8]
	v_mul_f64 v[5:6], v[73:74], v[11:12]
	v_cndmask_b32_e32 v32, v32, v30, vcc
	v_cndmask_b32_e32 v31, v33, v31, vcc
	v_cmp_class_f64_e64 vcc, v[3:4], s57
	v_lshlrev_b32_e32 v3, 30, v98
	v_lshlrev_b32_e32 v30, 30, v97
	v_xor_b32_e32 v3, v3, v4
	v_and_b32_e32 v30, 0x80000000, v30
	v_and_b32_e32 v3, 0x80000000, v3
	v_xor_b32_e32 v30, v29, v30
	v_xor_b32_e32 v3, v31, v3
	v_cndmask_b32_e32 v29, 0, v18, vcc
	v_cndmask_b32_e32 v30, v89, v30, vcc
	;; [unrolled: 1-line block ×4, first 2 shown]
	v_mov_b32_e32 v3, s13
	v_add_co_u32_e32 v33, vcc, s12, v83
	v_addc_co_u32_e32 v34, vcc, 0, v3, vcc
	v_add_co_u32_e32 v19, vcc, s0, v19
	v_addc_co_u32_e32 v20, vcc, 0, v20, vcc
	v_lshlrev_b64 v[3:4], 2, v[19:20]
	v_readlane_b32 s0, v125, 6
	v_readlane_b32 s1, v125, 7
	v_cmp_le_i64_e32 vcc, s[0:1], v[3:4]
	v_add_f64 v[3:4], v[63:64], v[63:64]
	s_add_u32 s12, s12, s33
	v_fma_f64 v[7:8], v[1:2], v[29:30], -v[27:28]
	s_addc_u32 s13, s13, 0
	s_add_u32 s10, s10, s33
	s_addc_u32 s11, s11, 0
	s_or_b64 s[14:15], vcc, s[14:15]
	v_mul_f64 v[3:4], v[3:4], v[63:64]
	v_fma_f64 v[13:14], v[13:14], v[71:72], -v[3:4]
	v_fma_f64 v[3:4], v[9:10], v[37:38], -v[35:36]
	v_mul_f64 v[9:10], v[25:26], v[31:32]
	global_store_dwordx4 v[33:34], v[21:24], off
	global_store_dwordx4 v[33:34], v[3:6], off offset:16
	global_store_dwordx4 v[33:34], v[13:16], off offset:32
	;; [unrolled: 1-line block ×3, first 2 shown]
	s_andn2_b64 exec, exec, s[14:15]
	s_cbranch_execz .LBB143_52
.LBB143_4:                              ; =>This Inner Loop Header: Depth=1
	v_mov_b32_e32 v1, s11
	v_add_co_u32_e32 v13, vcc, s10, v83
	v_addc_co_u32_e32 v14, vcc, 0, v1, vcc
	global_load_dwordx4 v[5:8], v[13:14], off
	global_load_dwordx4 v[9:12], v[13:14], off offset:16
	global_load_dwordx4 v[1:4], v[13:14], off offset:48
	s_nop 0
	global_load_dwordx4 v[13:16], v[13:14], off offset:32
                                        ; implicit-def: $vgpr90
                                        ; implicit-def: $vgpr23_vgpr24
                                        ; implicit-def: $vgpr25_vgpr26
	s_waitcnt vmcnt(3)
	v_mul_f64 v[21:22], v[7:8], 0.5
	v_cmp_nlt_f64_e64 s[0:1], |v[21:22]|, s[16:17]
	s_and_saveexec_b64 s[40:41], s[0:1]
	s_xor_b64 s[0:1], exec, s[40:41]
	s_cbranch_execz .LBB143_6
; %bb.5:                                ;   in Loop: Header=BB143_4 Depth=1
	v_trig_preop_f64 v[23:24], |v[21:22]|, 0
	s_mov_b32 s2, 0
	s_mov_b32 s3, 0x7b000000
	v_ldexp_f64 v[25:26], |v[21:22]|, s56
	v_cmp_ge_f64_e64 vcc, |v[21:22]|, s[2:3]
	v_trig_preop_f64 v[27:28], |v[21:22]|, 1
	v_and_b32_e32 v18, 0x7fffffff, v22
	v_trig_preop_f64 v[35:36], |v[21:22]|, 2
	s_mov_b32 s86, s18
	s_mov_b32 s91, s89
	v_cndmask_b32_e32 v26, v18, v26, vcc
	v_cndmask_b32_e32 v25, v21, v25, vcc
	v_mul_f64 v[29:30], v[23:24], v[25:26]
	v_mul_f64 v[31:32], v[27:28], v[25:26]
	;; [unrolled: 1-line block ×3, first 2 shown]
	v_fma_f64 v[23:24], v[23:24], v[25:26], -v[29:30]
	v_fma_f64 v[27:28], v[27:28], v[25:26], -v[31:32]
	;; [unrolled: 1-line block ×3, first 2 shown]
	v_add_f64 v[33:34], v[31:32], v[23:24]
	v_add_f64 v[37:38], v[33:34], -v[31:32]
	v_add_f64 v[43:44], v[29:30], v[33:34]
	v_add_f64 v[39:40], v[33:34], -v[37:38]
	v_add_f64 v[23:24], v[23:24], -v[37:38]
	v_add_f64 v[37:38], v[41:42], v[27:28]
	v_add_f64 v[29:30], v[43:44], -v[29:30]
	v_add_f64 v[31:32], v[31:32], -v[39:40]
	v_ldexp_f64 v[39:40], v[43:44], -2
	v_add_f64 v[45:46], v[37:38], -v[41:42]
	v_add_f64 v[29:30], v[33:34], -v[29:30]
	v_add_f64 v[23:24], v[23:24], v[31:32]
	v_fract_f64_e32 v[31:32], v[39:40]
	v_cmp_neq_f64_e64 vcc, |v[39:40]|, s[84:85]
	v_add_f64 v[27:28], v[27:28], -v[45:46]
	v_add_f64 v[33:34], v[37:38], v[23:24]
	v_ldexp_f64 v[31:32], v[31:32], 2
	v_add_f64 v[39:40], v[29:30], v[33:34]
	v_cndmask_b32_e32 v32, 0, v32, vcc
	v_cndmask_b32_e32 v31, 0, v31, vcc
	v_add_f64 v[47:48], v[33:34], -v[37:38]
	v_add_f64 v[43:44], v[39:40], v[31:32]
	v_add_f64 v[29:30], v[39:40], -v[29:30]
	v_add_f64 v[49:50], v[33:34], -v[47:48]
	;; [unrolled: 1-line block ×3, first 2 shown]
	v_cmp_gt_f64_e32 vcc, 0, v[43:44]
	v_add_f64 v[43:44], v[37:38], -v[45:46]
	v_add_f64 v[29:30], v[33:34], -v[29:30]
	v_add_f64 v[37:38], v[37:38], -v[49:50]
	v_cndmask_b32_e32 v18, 0, v84, vcc
	v_add_f64 v[31:32], v[31:32], v[17:18]
	v_add_f64 v[43:44], v[41:42], -v[43:44]
	v_add_f64 v[23:24], v[23:24], v[37:38]
	v_add_f64 v[51:52], v[39:40], v[31:32]
	v_add_f64 v[27:28], v[27:28], v[43:44]
	v_cvt_i32_f64_e32 v47, v[51:52]
	v_add_f64 v[23:24], v[27:28], v[23:24]
	v_cvt_f64_i32_e32 v[45:46], v47
	v_add_f64 v[31:32], v[31:32], -v[45:46]
	v_add_f64 v[23:24], v[25:26], v[23:24]
	v_add_f64 v[27:28], v[39:40], v[31:32]
	;; [unrolled: 1-line block ×3, first 2 shown]
	v_add_f64 v[25:26], v[27:28], -v[31:32]
	v_cmp_le_f64_e32 vcc, 0.5, v[27:28]
	v_add_f64 v[25:26], v[39:40], -v[25:26]
	v_cndmask_b32_e32 v18, 0, v85, vcc
	v_addc_co_u32_e32 v90, vcc, 0, v47, vcc
	v_add_f64 v[23:24], v[23:24], v[25:26]
	v_add_f64 v[25:26], v[27:28], -v[17:18]
	v_add_f64 v[27:28], v[25:26], v[23:24]
	v_mul_f64 v[29:30], v[27:28], s[86:87]
	v_add_f64 v[25:26], v[27:28], -v[25:26]
	v_fma_f64 v[31:32], v[27:28], s[86:87], -v[29:30]
	v_add_f64 v[23:24], v[23:24], -v[25:26]
	v_fma_f64 v[25:26], v[27:28], s[90:91], v[31:32]
	v_fma_f64 v[25:26], v[23:24], s[86:87], v[25:26]
	v_add_f64 v[23:24], v[29:30], v[25:26]
	v_add_f64 v[27:28], v[23:24], -v[29:30]
	v_add_f64 v[25:26], v[25:26], -v[27:28]
.LBB143_6:                              ;   in Loop: Header=BB143_4 Depth=1
	s_andn2_saveexec_b64 s[0:1], s[0:1]
	s_cbranch_execz .LBB143_8
; %bb.7:                                ;   in Loop: Header=BB143_4 Depth=1
	s_mov_b32 s2, 0x6dc9c883
	s_mov_b32 s3, 0x3fe45f30
	v_mul_f64 v[23:24], |v[21:22]|, s[2:3]
	s_mov_b32 s88, s22
	s_mov_b32 s2, 0x252049c0
	;; [unrolled: 1-line block ×3, first 2 shown]
	v_rndne_f64_e32 v[27:28], v[23:24]
	v_fma_f64 v[23:24], v[27:28], s[18:19], |v[21:22]|
	v_mul_f64 v[25:26], v[27:28], s[22:23]
	v_cvt_i32_f64_e32 v90, v[27:28]
	v_fma_f64 v[33:34], v[27:28], s[22:23], v[23:24]
	v_add_f64 v[29:30], v[23:24], v[25:26]
	v_add_f64 v[31:32], v[23:24], -v[29:30]
	v_add_f64 v[29:30], v[29:30], -v[33:34]
	v_add_f64 v[23:24], v[31:32], v[25:26]
	v_fma_f64 v[25:26], v[27:28], s[88:89], v[25:26]
	v_add_f64 v[23:24], v[29:30], v[23:24]
	v_add_f64 v[23:24], v[23:24], -v[25:26]
	v_fma_f64 v[25:26], v[27:28], s[2:3], v[23:24]
	v_add_f64 v[23:24], v[33:34], v[25:26]
	v_add_f64 v[29:30], v[23:24], -v[33:34]
	v_add_f64 v[25:26], v[25:26], -v[29:30]
.LBB143_8:                              ;   in Loop: Header=BB143_4 Depth=1
	s_or_b64 exec, exec, s[0:1]
	v_cmp_nlt_f64_e64 s[0:1], |v[7:8]|, s[16:17]
                                        ; implicit-def: $vgpr91
                                        ; implicit-def: $vgpr27_vgpr28
                                        ; implicit-def: $vgpr29_vgpr30
	s_and_saveexec_b64 s[40:41], s[0:1]
	s_xor_b64 s[40:41], exec, s[40:41]
	s_cbranch_execz .LBB143_10
; %bb.9:                                ;   in Loop: Header=BB143_4 Depth=1
	v_trig_preop_f64 v[27:28], |v[7:8]|, 0
	s_mov_b32 s2, 0
	s_mov_b32 s3, 0x7b000000
	v_ldexp_f64 v[29:30], |v[7:8]|, s56
	v_cmp_ge_f64_e64 vcc, |v[7:8]|, s[2:3]
	v_trig_preop_f64 v[31:32], |v[7:8]|, 1
	v_and_b32_e32 v18, 0x7fffffff, v8
	v_trig_preop_f64 v[39:40], |v[7:8]|, 2
	s_mov_b32 s86, s18
	s_mov_b32 s91, s89
	v_cndmask_b32_e32 v30, v18, v30, vcc
	v_cndmask_b32_e32 v29, v7, v29, vcc
	v_mul_f64 v[33:34], v[27:28], v[29:30]
	v_mul_f64 v[35:36], v[31:32], v[29:30]
	;; [unrolled: 1-line block ×3, first 2 shown]
	v_fma_f64 v[27:28], v[27:28], v[29:30], -v[33:34]
	v_fma_f64 v[31:32], v[31:32], v[29:30], -v[35:36]
	;; [unrolled: 1-line block ×3, first 2 shown]
	v_add_f64 v[37:38], v[35:36], v[27:28]
	v_add_f64 v[41:42], v[37:38], -v[35:36]
	v_add_f64 v[47:48], v[33:34], v[37:38]
	v_add_f64 v[43:44], v[37:38], -v[41:42]
	v_add_f64 v[27:28], v[27:28], -v[41:42]
	v_add_f64 v[41:42], v[45:46], v[31:32]
	v_add_f64 v[33:34], v[47:48], -v[33:34]
	v_add_f64 v[35:36], v[35:36], -v[43:44]
	v_ldexp_f64 v[43:44], v[47:48], -2
	v_add_f64 v[49:50], v[41:42], -v[45:46]
	v_add_f64 v[33:34], v[37:38], -v[33:34]
	v_add_f64 v[27:28], v[27:28], v[35:36]
	v_fract_f64_e32 v[35:36], v[43:44]
	v_cmp_neq_f64_e64 vcc, |v[43:44]|, s[84:85]
	v_add_f64 v[31:32], v[31:32], -v[49:50]
	v_add_f64 v[37:38], v[41:42], v[27:28]
	v_ldexp_f64 v[35:36], v[35:36], 2
	v_add_f64 v[43:44], v[33:34], v[37:38]
	v_cndmask_b32_e32 v36, 0, v36, vcc
	v_cndmask_b32_e32 v35, 0, v35, vcc
	v_add_f64 v[51:52], v[37:38], -v[41:42]
	v_add_f64 v[47:48], v[43:44], v[35:36]
	v_add_f64 v[33:34], v[43:44], -v[33:34]
	v_add_f64 v[53:54], v[37:38], -v[51:52]
	;; [unrolled: 1-line block ×3, first 2 shown]
	v_cmp_gt_f64_e32 vcc, 0, v[47:48]
	v_add_f64 v[47:48], v[41:42], -v[49:50]
	v_add_f64 v[33:34], v[37:38], -v[33:34]
	v_add_f64 v[41:42], v[41:42], -v[53:54]
	v_cndmask_b32_e32 v18, 0, v84, vcc
	v_add_f64 v[35:36], v[35:36], v[17:18]
	v_add_f64 v[47:48], v[45:46], -v[47:48]
	v_add_f64 v[27:28], v[27:28], v[41:42]
	v_add_f64 v[55:56], v[43:44], v[35:36]
	;; [unrolled: 1-line block ×3, first 2 shown]
	v_cvt_i32_f64_e32 v51, v[55:56]
	v_add_f64 v[27:28], v[31:32], v[27:28]
	v_cvt_f64_i32_e32 v[49:50], v51
	v_add_f64 v[35:36], v[35:36], -v[49:50]
	v_add_f64 v[27:28], v[29:30], v[27:28]
	v_add_f64 v[31:32], v[43:44], v[35:36]
	;; [unrolled: 1-line block ×3, first 2 shown]
	v_add_f64 v[29:30], v[31:32], -v[35:36]
	v_cmp_le_f64_e32 vcc, 0.5, v[31:32]
	v_add_f64 v[29:30], v[43:44], -v[29:30]
	v_cndmask_b32_e32 v18, 0, v85, vcc
	v_addc_co_u32_e32 v91, vcc, 0, v51, vcc
	v_add_f64 v[27:28], v[27:28], v[29:30]
	v_add_f64 v[29:30], v[31:32], -v[17:18]
	v_add_f64 v[31:32], v[29:30], v[27:28]
	v_mul_f64 v[33:34], v[31:32], s[86:87]
	v_add_f64 v[29:30], v[31:32], -v[29:30]
	v_fma_f64 v[35:36], v[31:32], s[86:87], -v[33:34]
	v_add_f64 v[27:28], v[27:28], -v[29:30]
	v_fma_f64 v[29:30], v[31:32], s[90:91], v[35:36]
	v_fma_f64 v[29:30], v[27:28], s[86:87], v[29:30]
	v_add_f64 v[27:28], v[33:34], v[29:30]
	v_add_f64 v[31:32], v[27:28], -v[33:34]
	v_add_f64 v[29:30], v[29:30], -v[31:32]
	s_andn2_saveexec_b64 s[40:41], s[40:41]
	s_cbranch_execz .LBB143_12
	s_branch .LBB143_11
.LBB143_10:                             ;   in Loop: Header=BB143_4 Depth=1
	s_andn2_saveexec_b64 s[40:41], s[40:41]
	s_cbranch_execz .LBB143_12
.LBB143_11:                             ;   in Loop: Header=BB143_4 Depth=1
	s_mov_b32 s2, 0x6dc9c883
	s_mov_b32 s3, 0x3fe45f30
	v_mul_f64 v[27:28], |v[7:8]|, s[2:3]
	s_mov_b32 s88, s22
	s_mov_b32 s2, 0x252049c0
	;; [unrolled: 1-line block ×3, first 2 shown]
	v_rndne_f64_e32 v[31:32], v[27:28]
	v_fma_f64 v[27:28], v[31:32], s[18:19], |v[7:8]|
	v_mul_f64 v[29:30], v[31:32], s[22:23]
	v_cvt_i32_f64_e32 v91, v[31:32]
	v_fma_f64 v[37:38], v[31:32], s[22:23], v[27:28]
	v_add_f64 v[33:34], v[27:28], v[29:30]
	v_add_f64 v[35:36], v[27:28], -v[33:34]
	v_add_f64 v[33:34], v[33:34], -v[37:38]
	v_add_f64 v[27:28], v[35:36], v[29:30]
	v_fma_f64 v[29:30], v[31:32], s[88:89], v[29:30]
	v_add_f64 v[27:28], v[33:34], v[27:28]
	v_add_f64 v[27:28], v[27:28], -v[29:30]
	v_fma_f64 v[29:30], v[31:32], s[2:3], v[27:28]
	v_add_f64 v[27:28], v[37:38], v[29:30]
	v_add_f64 v[33:34], v[27:28], -v[37:38]
	v_add_f64 v[29:30], v[29:30], -v[33:34]
.LBB143_12:                             ;   in Loop: Header=BB143_4 Depth=1
	s_or_b64 exec, exec, s[40:41]
                                        ; implicit-def: $vgpr92
                                        ; implicit-def: $vgpr31_vgpr32
                                        ; implicit-def: $vgpr33_vgpr34
	s_and_saveexec_b64 s[40:41], s[0:1]
	s_xor_b64 s[0:1], exec, s[40:41]
	s_cbranch_execz .LBB143_14
; %bb.13:                               ;   in Loop: Header=BB143_4 Depth=1
	v_trig_preop_f64 v[31:32], |v[7:8]|, 0
	s_mov_b32 s2, 0
	s_mov_b32 s3, 0x7b000000
	v_ldexp_f64 v[33:34], |v[7:8]|, s56
	v_cmp_ge_f64_e64 vcc, |v[7:8]|, s[2:3]
	v_trig_preop_f64 v[35:36], |v[7:8]|, 1
	v_and_b32_e32 v18, 0x7fffffff, v8
	v_trig_preop_f64 v[43:44], |v[7:8]|, 2
	s_mov_b32 s86, s18
	s_mov_b32 s91, s89
	v_cndmask_b32_e32 v34, v18, v34, vcc
	v_cndmask_b32_e32 v33, v7, v33, vcc
	v_mul_f64 v[37:38], v[31:32], v[33:34]
	v_mul_f64 v[39:40], v[35:36], v[33:34]
	;; [unrolled: 1-line block ×3, first 2 shown]
	v_fma_f64 v[31:32], v[31:32], v[33:34], -v[37:38]
	v_fma_f64 v[35:36], v[35:36], v[33:34], -v[39:40]
	;; [unrolled: 1-line block ×3, first 2 shown]
	v_add_f64 v[41:42], v[39:40], v[31:32]
	v_add_f64 v[45:46], v[41:42], -v[39:40]
	v_add_f64 v[51:52], v[37:38], v[41:42]
	v_add_f64 v[47:48], v[41:42], -v[45:46]
	v_add_f64 v[31:32], v[31:32], -v[45:46]
	v_add_f64 v[45:46], v[49:50], v[35:36]
	v_add_f64 v[37:38], v[51:52], -v[37:38]
	v_add_f64 v[39:40], v[39:40], -v[47:48]
	v_ldexp_f64 v[47:48], v[51:52], -2
	v_add_f64 v[53:54], v[45:46], -v[49:50]
	v_add_f64 v[37:38], v[41:42], -v[37:38]
	v_add_f64 v[31:32], v[31:32], v[39:40]
	v_fract_f64_e32 v[39:40], v[47:48]
	v_cmp_neq_f64_e64 vcc, |v[47:48]|, s[84:85]
	v_add_f64 v[35:36], v[35:36], -v[53:54]
	v_add_f64 v[41:42], v[45:46], v[31:32]
	v_ldexp_f64 v[39:40], v[39:40], 2
	v_add_f64 v[47:48], v[37:38], v[41:42]
	v_cndmask_b32_e32 v40, 0, v40, vcc
	v_cndmask_b32_e32 v39, 0, v39, vcc
	v_add_f64 v[55:56], v[41:42], -v[45:46]
	v_add_f64 v[51:52], v[47:48], v[39:40]
	v_add_f64 v[37:38], v[47:48], -v[37:38]
	v_add_f64 v[57:58], v[41:42], -v[55:56]
	;; [unrolled: 1-line block ×3, first 2 shown]
	v_cmp_gt_f64_e32 vcc, 0, v[51:52]
	v_add_f64 v[51:52], v[45:46], -v[53:54]
	v_add_f64 v[37:38], v[41:42], -v[37:38]
	;; [unrolled: 1-line block ×3, first 2 shown]
	v_cndmask_b32_e32 v18, 0, v84, vcc
	v_add_f64 v[39:40], v[39:40], v[17:18]
	v_add_f64 v[51:52], v[49:50], -v[51:52]
	v_add_f64 v[31:32], v[31:32], v[45:46]
	v_add_f64 v[59:60], v[47:48], v[39:40]
	;; [unrolled: 1-line block ×3, first 2 shown]
	v_cvt_i32_f64_e32 v55, v[59:60]
	v_add_f64 v[31:32], v[35:36], v[31:32]
	v_cvt_f64_i32_e32 v[53:54], v55
	v_add_f64 v[39:40], v[39:40], -v[53:54]
	v_add_f64 v[31:32], v[33:34], v[31:32]
	v_add_f64 v[35:36], v[47:48], v[39:40]
	;; [unrolled: 1-line block ×3, first 2 shown]
	v_add_f64 v[33:34], v[35:36], -v[39:40]
	v_cmp_le_f64_e32 vcc, 0.5, v[35:36]
	v_add_f64 v[33:34], v[47:48], -v[33:34]
	v_cndmask_b32_e32 v18, 0, v85, vcc
	v_addc_co_u32_e32 v92, vcc, 0, v55, vcc
	v_add_f64 v[31:32], v[31:32], v[33:34]
	v_add_f64 v[33:34], v[35:36], -v[17:18]
	v_add_f64 v[35:36], v[33:34], v[31:32]
	v_mul_f64 v[37:38], v[35:36], s[86:87]
	v_add_f64 v[33:34], v[35:36], -v[33:34]
	v_fma_f64 v[39:40], v[35:36], s[86:87], -v[37:38]
	v_add_f64 v[31:32], v[31:32], -v[33:34]
	v_fma_f64 v[33:34], v[35:36], s[90:91], v[39:40]
	v_fma_f64 v[33:34], v[31:32], s[86:87], v[33:34]
	v_add_f64 v[31:32], v[37:38], v[33:34]
	v_add_f64 v[35:36], v[31:32], -v[37:38]
	v_add_f64 v[33:34], v[33:34], -v[35:36]
	s_andn2_saveexec_b64 s[0:1], s[0:1]
	s_cbranch_execnz .LBB143_15
	s_branch .LBB143_16
.LBB143_14:                             ;   in Loop: Header=BB143_4 Depth=1
	s_andn2_saveexec_b64 s[0:1], s[0:1]
	s_cbranch_execz .LBB143_16
.LBB143_15:                             ;   in Loop: Header=BB143_4 Depth=1
	s_mov_b32 s2, 0x6dc9c883
	s_mov_b32 s3, 0x3fe45f30
	v_mul_f64 v[31:32], |v[7:8]|, s[2:3]
	s_mov_b32 s88, s22
	s_mov_b32 s2, 0x252049c0
	;; [unrolled: 1-line block ×3, first 2 shown]
	v_rndne_f64_e32 v[35:36], v[31:32]
	v_fma_f64 v[31:32], v[35:36], s[18:19], |v[7:8]|
	v_mul_f64 v[33:34], v[35:36], s[22:23]
	v_cvt_i32_f64_e32 v92, v[35:36]
	v_fma_f64 v[41:42], v[35:36], s[22:23], v[31:32]
	v_add_f64 v[37:38], v[31:32], v[33:34]
	v_add_f64 v[39:40], v[31:32], -v[37:38]
	v_add_f64 v[37:38], v[37:38], -v[41:42]
	v_add_f64 v[31:32], v[39:40], v[33:34]
	v_fma_f64 v[33:34], v[35:36], s[88:89], v[33:34]
	v_add_f64 v[31:32], v[37:38], v[31:32]
	v_add_f64 v[31:32], v[31:32], -v[33:34]
	v_fma_f64 v[33:34], v[35:36], s[2:3], v[31:32]
	v_add_f64 v[31:32], v[41:42], v[33:34]
	v_add_f64 v[37:38], v[31:32], -v[41:42]
	v_add_f64 v[33:34], v[33:34], -v[37:38]
.LBB143_16:                             ;   in Loop: Header=BB143_4 Depth=1
	s_or_b64 exec, exec, s[0:1]
	s_waitcnt vmcnt(2)
	v_mul_f64 v[35:36], v[11:12], 0.5
                                        ; implicit-def: $vgpr93
                                        ; implicit-def: $vgpr37_vgpr38
                                        ; implicit-def: $vgpr39_vgpr40
	v_cmp_nlt_f64_e64 s[0:1], |v[35:36]|, s[16:17]
	s_and_saveexec_b64 s[40:41], s[0:1]
	s_xor_b64 s[0:1], exec, s[40:41]
	s_cbranch_execz .LBB143_18
; %bb.17:                               ;   in Loop: Header=BB143_4 Depth=1
	v_trig_preop_f64 v[37:38], |v[35:36]|, 0
	s_mov_b32 s2, 0
	s_mov_b32 s3, 0x7b000000
	v_ldexp_f64 v[39:40], |v[35:36]|, s56
	v_cmp_ge_f64_e64 vcc, |v[35:36]|, s[2:3]
	v_trig_preop_f64 v[41:42], |v[35:36]|, 1
	v_and_b32_e32 v18, 0x7fffffff, v36
	v_trig_preop_f64 v[49:50], |v[35:36]|, 2
	s_mov_b32 s86, s18
	s_mov_b32 s91, s89
	v_cndmask_b32_e32 v40, v18, v40, vcc
	v_cndmask_b32_e32 v39, v35, v39, vcc
	v_mul_f64 v[43:44], v[37:38], v[39:40]
	v_mul_f64 v[45:46], v[41:42], v[39:40]
	;; [unrolled: 1-line block ×3, first 2 shown]
	v_fma_f64 v[37:38], v[37:38], v[39:40], -v[43:44]
	v_fma_f64 v[41:42], v[41:42], v[39:40], -v[45:46]
	;; [unrolled: 1-line block ×3, first 2 shown]
	v_add_f64 v[47:48], v[45:46], v[37:38]
	v_add_f64 v[51:52], v[47:48], -v[45:46]
	v_add_f64 v[57:58], v[43:44], v[47:48]
	v_add_f64 v[53:54], v[47:48], -v[51:52]
	v_add_f64 v[37:38], v[37:38], -v[51:52]
	v_add_f64 v[51:52], v[55:56], v[41:42]
	v_add_f64 v[43:44], v[57:58], -v[43:44]
	v_add_f64 v[45:46], v[45:46], -v[53:54]
	v_ldexp_f64 v[53:54], v[57:58], -2
	v_add_f64 v[59:60], v[51:52], -v[55:56]
	v_add_f64 v[43:44], v[47:48], -v[43:44]
	v_add_f64 v[37:38], v[37:38], v[45:46]
	v_fract_f64_e32 v[45:46], v[53:54]
	v_cmp_neq_f64_e64 vcc, |v[53:54]|, s[84:85]
	v_add_f64 v[41:42], v[41:42], -v[59:60]
	v_add_f64 v[47:48], v[51:52], v[37:38]
	v_ldexp_f64 v[45:46], v[45:46], 2
	v_add_f64 v[53:54], v[43:44], v[47:48]
	v_cndmask_b32_e32 v46, 0, v46, vcc
	v_cndmask_b32_e32 v45, 0, v45, vcc
	v_add_f64 v[61:62], v[47:48], -v[51:52]
	v_add_f64 v[57:58], v[53:54], v[45:46]
	v_add_f64 v[43:44], v[53:54], -v[43:44]
	v_add_f64 v[63:64], v[47:48], -v[61:62]
	;; [unrolled: 1-line block ×3, first 2 shown]
	v_cmp_gt_f64_e32 vcc, 0, v[57:58]
	v_add_f64 v[57:58], v[51:52], -v[59:60]
	v_add_f64 v[43:44], v[47:48], -v[43:44]
	;; [unrolled: 1-line block ×3, first 2 shown]
	v_cndmask_b32_e32 v18, 0, v84, vcc
	v_add_f64 v[45:46], v[45:46], v[17:18]
	v_add_f64 v[57:58], v[55:56], -v[57:58]
	v_add_f64 v[37:38], v[37:38], v[51:52]
	v_add_f64 v[65:66], v[53:54], v[45:46]
	;; [unrolled: 1-line block ×3, first 2 shown]
	v_cvt_i32_f64_e32 v61, v[65:66]
	v_add_f64 v[37:38], v[41:42], v[37:38]
	v_cvt_f64_i32_e32 v[59:60], v61
	v_add_f64 v[45:46], v[45:46], -v[59:60]
	v_add_f64 v[37:38], v[39:40], v[37:38]
	v_add_f64 v[41:42], v[53:54], v[45:46]
	;; [unrolled: 1-line block ×3, first 2 shown]
	v_add_f64 v[39:40], v[41:42], -v[45:46]
	v_cmp_le_f64_e32 vcc, 0.5, v[41:42]
	v_add_f64 v[39:40], v[53:54], -v[39:40]
	v_cndmask_b32_e32 v18, 0, v85, vcc
	v_addc_co_u32_e32 v93, vcc, 0, v61, vcc
	v_add_f64 v[37:38], v[37:38], v[39:40]
	v_add_f64 v[39:40], v[41:42], -v[17:18]
	v_add_f64 v[41:42], v[39:40], v[37:38]
	v_mul_f64 v[43:44], v[41:42], s[86:87]
	v_add_f64 v[39:40], v[41:42], -v[39:40]
	v_fma_f64 v[45:46], v[41:42], s[86:87], -v[43:44]
	v_add_f64 v[37:38], v[37:38], -v[39:40]
	v_fma_f64 v[39:40], v[41:42], s[90:91], v[45:46]
	v_fma_f64 v[39:40], v[37:38], s[86:87], v[39:40]
	v_add_f64 v[37:38], v[43:44], v[39:40]
	v_add_f64 v[41:42], v[37:38], -v[43:44]
	v_add_f64 v[39:40], v[39:40], -v[41:42]
.LBB143_18:                             ;   in Loop: Header=BB143_4 Depth=1
	s_andn2_saveexec_b64 s[0:1], s[0:1]
	s_cbranch_execz .LBB143_20
; %bb.19:                               ;   in Loop: Header=BB143_4 Depth=1
	s_mov_b32 s2, 0x6dc9c883
	s_mov_b32 s3, 0x3fe45f30
	v_mul_f64 v[37:38], |v[35:36]|, s[2:3]
	s_mov_b32 s88, s22
	s_mov_b32 s2, 0x252049c0
	;; [unrolled: 1-line block ×3, first 2 shown]
	v_rndne_f64_e32 v[41:42], v[37:38]
	v_fma_f64 v[37:38], v[41:42], s[18:19], |v[35:36]|
	v_mul_f64 v[39:40], v[41:42], s[22:23]
	v_cvt_i32_f64_e32 v93, v[41:42]
	v_fma_f64 v[47:48], v[41:42], s[22:23], v[37:38]
	v_add_f64 v[43:44], v[37:38], v[39:40]
	v_add_f64 v[45:46], v[37:38], -v[43:44]
	v_add_f64 v[43:44], v[43:44], -v[47:48]
	v_add_f64 v[37:38], v[45:46], v[39:40]
	v_fma_f64 v[39:40], v[41:42], s[88:89], v[39:40]
	v_add_f64 v[37:38], v[43:44], v[37:38]
	v_add_f64 v[37:38], v[37:38], -v[39:40]
	v_fma_f64 v[39:40], v[41:42], s[2:3], v[37:38]
	v_add_f64 v[37:38], v[47:48], v[39:40]
	v_add_f64 v[43:44], v[37:38], -v[47:48]
	v_add_f64 v[39:40], v[39:40], -v[43:44]
.LBB143_20:                             ;   in Loop: Header=BB143_4 Depth=1
	s_or_b64 exec, exec, s[0:1]
	v_cmp_nlt_f64_e64 s[0:1], |v[11:12]|, s[16:17]
                                        ; implicit-def: $vgpr94
                                        ; implicit-def: $vgpr41_vgpr42
                                        ; implicit-def: $vgpr43_vgpr44
	s_and_saveexec_b64 s[40:41], s[0:1]
	s_xor_b64 s[40:41], exec, s[40:41]
	s_cbranch_execz .LBB143_22
; %bb.21:                               ;   in Loop: Header=BB143_4 Depth=1
	v_trig_preop_f64 v[41:42], |v[11:12]|, 0
	s_mov_b32 s2, 0
	s_mov_b32 s3, 0x7b000000
	v_ldexp_f64 v[43:44], |v[11:12]|, s56
	v_cmp_ge_f64_e64 vcc, |v[11:12]|, s[2:3]
	v_trig_preop_f64 v[45:46], |v[11:12]|, 1
	v_and_b32_e32 v18, 0x7fffffff, v12
	v_trig_preop_f64 v[53:54], |v[11:12]|, 2
	s_mov_b32 s86, s18
	s_mov_b32 s91, s89
	v_cndmask_b32_e32 v44, v18, v44, vcc
	v_cndmask_b32_e32 v43, v11, v43, vcc
	v_mul_f64 v[47:48], v[41:42], v[43:44]
	v_mul_f64 v[49:50], v[45:46], v[43:44]
	;; [unrolled: 1-line block ×3, first 2 shown]
	v_fma_f64 v[41:42], v[41:42], v[43:44], -v[47:48]
	v_fma_f64 v[45:46], v[45:46], v[43:44], -v[49:50]
	;; [unrolled: 1-line block ×3, first 2 shown]
	v_add_f64 v[51:52], v[49:50], v[41:42]
	v_add_f64 v[55:56], v[51:52], -v[49:50]
	v_add_f64 v[61:62], v[47:48], v[51:52]
	v_add_f64 v[57:58], v[51:52], -v[55:56]
	v_add_f64 v[41:42], v[41:42], -v[55:56]
	v_add_f64 v[55:56], v[59:60], v[45:46]
	v_add_f64 v[47:48], v[61:62], -v[47:48]
	v_add_f64 v[49:50], v[49:50], -v[57:58]
	v_ldexp_f64 v[57:58], v[61:62], -2
	v_add_f64 v[63:64], v[55:56], -v[59:60]
	v_add_f64 v[47:48], v[51:52], -v[47:48]
	v_add_f64 v[41:42], v[41:42], v[49:50]
	v_fract_f64_e32 v[49:50], v[57:58]
	v_cmp_neq_f64_e64 vcc, |v[57:58]|, s[84:85]
	v_add_f64 v[45:46], v[45:46], -v[63:64]
	v_add_f64 v[51:52], v[55:56], v[41:42]
	v_ldexp_f64 v[49:50], v[49:50], 2
	v_add_f64 v[57:58], v[47:48], v[51:52]
	v_cndmask_b32_e32 v50, 0, v50, vcc
	v_cndmask_b32_e32 v49, 0, v49, vcc
	v_add_f64 v[65:66], v[51:52], -v[55:56]
	v_add_f64 v[61:62], v[57:58], v[49:50]
	v_add_f64 v[47:48], v[57:58], -v[47:48]
	v_add_f64 v[67:68], v[51:52], -v[65:66]
	;; [unrolled: 1-line block ×3, first 2 shown]
	v_cmp_gt_f64_e32 vcc, 0, v[61:62]
	v_add_f64 v[61:62], v[55:56], -v[63:64]
	v_add_f64 v[47:48], v[51:52], -v[47:48]
	;; [unrolled: 1-line block ×3, first 2 shown]
	v_cndmask_b32_e32 v18, 0, v84, vcc
	v_add_f64 v[49:50], v[49:50], v[17:18]
	v_add_f64 v[61:62], v[59:60], -v[61:62]
	v_add_f64 v[41:42], v[41:42], v[55:56]
	v_add_f64 v[69:70], v[57:58], v[49:50]
	;; [unrolled: 1-line block ×3, first 2 shown]
	v_cvt_i32_f64_e32 v65, v[69:70]
	v_add_f64 v[41:42], v[45:46], v[41:42]
	v_cvt_f64_i32_e32 v[63:64], v65
	v_add_f64 v[49:50], v[49:50], -v[63:64]
	v_add_f64 v[41:42], v[43:44], v[41:42]
	v_add_f64 v[45:46], v[57:58], v[49:50]
	;; [unrolled: 1-line block ×3, first 2 shown]
	v_add_f64 v[43:44], v[45:46], -v[49:50]
	v_cmp_le_f64_e32 vcc, 0.5, v[45:46]
	v_add_f64 v[43:44], v[57:58], -v[43:44]
	v_cndmask_b32_e32 v18, 0, v85, vcc
	v_addc_co_u32_e32 v94, vcc, 0, v65, vcc
	v_add_f64 v[41:42], v[41:42], v[43:44]
	v_add_f64 v[43:44], v[45:46], -v[17:18]
	v_add_f64 v[45:46], v[43:44], v[41:42]
	v_mul_f64 v[47:48], v[45:46], s[86:87]
	v_add_f64 v[43:44], v[45:46], -v[43:44]
	v_fma_f64 v[49:50], v[45:46], s[86:87], -v[47:48]
	v_add_f64 v[41:42], v[41:42], -v[43:44]
	v_fma_f64 v[43:44], v[45:46], s[90:91], v[49:50]
	v_fma_f64 v[43:44], v[41:42], s[86:87], v[43:44]
	v_add_f64 v[41:42], v[47:48], v[43:44]
	v_add_f64 v[45:46], v[41:42], -v[47:48]
	v_add_f64 v[43:44], v[43:44], -v[45:46]
	s_andn2_saveexec_b64 s[40:41], s[40:41]
	s_cbranch_execz .LBB143_24
	s_branch .LBB143_23
.LBB143_22:                             ;   in Loop: Header=BB143_4 Depth=1
	s_andn2_saveexec_b64 s[40:41], s[40:41]
	s_cbranch_execz .LBB143_24
.LBB143_23:                             ;   in Loop: Header=BB143_4 Depth=1
	s_mov_b32 s2, 0x6dc9c883
	s_mov_b32 s3, 0x3fe45f30
	v_mul_f64 v[41:42], |v[11:12]|, s[2:3]
	s_mov_b32 s88, s22
	s_mov_b32 s2, 0x252049c0
	;; [unrolled: 1-line block ×3, first 2 shown]
	v_rndne_f64_e32 v[45:46], v[41:42]
	v_fma_f64 v[41:42], v[45:46], s[18:19], |v[11:12]|
	v_mul_f64 v[43:44], v[45:46], s[22:23]
	v_cvt_i32_f64_e32 v94, v[45:46]
	v_fma_f64 v[51:52], v[45:46], s[22:23], v[41:42]
	v_add_f64 v[47:48], v[41:42], v[43:44]
	v_add_f64 v[49:50], v[41:42], -v[47:48]
	v_add_f64 v[47:48], v[47:48], -v[51:52]
	v_add_f64 v[41:42], v[49:50], v[43:44]
	v_fma_f64 v[43:44], v[45:46], s[88:89], v[43:44]
	v_add_f64 v[41:42], v[47:48], v[41:42]
	v_add_f64 v[41:42], v[41:42], -v[43:44]
	v_fma_f64 v[43:44], v[45:46], s[2:3], v[41:42]
	v_add_f64 v[41:42], v[51:52], v[43:44]
	v_add_f64 v[47:48], v[41:42], -v[51:52]
	v_add_f64 v[43:44], v[43:44], -v[47:48]
.LBB143_24:                             ;   in Loop: Header=BB143_4 Depth=1
	s_or_b64 exec, exec, s[40:41]
                                        ; implicit-def: $vgpr95
                                        ; implicit-def: $vgpr47_vgpr48
                                        ; implicit-def: $vgpr49_vgpr50
	s_and_saveexec_b64 s[40:41], s[0:1]
	s_xor_b64 s[40:41], exec, s[40:41]
	s_cbranch_execz .LBB143_26
; %bb.25:                               ;   in Loop: Header=BB143_4 Depth=1
	v_trig_preop_f64 v[45:46], |v[11:12]|, 0
	s_mov_b32 s0, 0
	s_mov_b32 s1, 0x7b000000
	v_cmp_ge_f64_e64 vcc, |v[11:12]|, s[0:1]
	v_ldexp_f64 v[49:50], |v[11:12]|, s56
	v_trig_preop_f64 v[47:48], |v[11:12]|, 1
	v_and_b32_e32 v18, 0x7fffffff, v12
	s_mov_b32 s86, s18
	s_mov_b32 s91, s89
	v_cndmask_b32_e32 v50, v18, v50, vcc
	v_cndmask_b32_e32 v49, v11, v49, vcc
	v_mul_f64 v[53:54], v[45:46], v[49:50]
	v_mul_f64 v[51:52], v[47:48], v[49:50]
	v_fma_f64 v[45:46], v[45:46], v[49:50], -v[53:54]
	v_fma_f64 v[47:48], v[47:48], v[49:50], -v[51:52]
	v_add_f64 v[55:56], v[51:52], v[45:46]
	v_add_f64 v[63:64], v[55:56], -v[51:52]
	v_add_f64 v[57:58], v[53:54], v[55:56]
	v_add_f64 v[45:46], v[45:46], -v[63:64]
	v_add_f64 v[63:64], v[55:56], -v[63:64]
	v_ldexp_f64 v[59:60], v[57:58], -2
	v_add_f64 v[53:54], v[57:58], -v[53:54]
	v_add_f64 v[63:64], v[51:52], -v[63:64]
	v_trig_preop_f64 v[51:52], |v[11:12]|, 2
	v_fract_f64_e32 v[61:62], v[59:60]
	v_add_f64 v[53:54], v[55:56], -v[53:54]
	v_cmp_neq_f64_e64 vcc, |v[59:60]|, s[84:85]
	v_add_f64 v[45:46], v[45:46], v[63:64]
	v_mul_f64 v[63:64], v[51:52], v[49:50]
	v_add_f64 v[65:66], v[63:64], v[47:48]
	v_add_f64 v[67:68], v[65:66], v[45:46]
	v_add_f64 v[57:58], v[67:68], -v[65:66]
	v_add_f64 v[55:56], v[53:54], v[67:68]
	v_add_f64 v[45:46], v[45:46], -v[57:58]
	v_add_f64 v[57:58], v[67:68], -v[57:58]
	;; [unrolled: 1-line block ×5, first 2 shown]
	v_add_f64 v[45:46], v[45:46], v[57:58]
	v_add_f64 v[57:58], v[65:66], -v[63:64]
	v_add_f64 v[47:48], v[47:48], -v[57:58]
	;; [unrolled: 1-line block ×4, first 2 shown]
	v_add_f64 v[47:48], v[47:48], v[57:58]
	v_add_f64 v[45:46], v[47:48], v[45:46]
	v_fma_f64 v[47:48], v[51:52], v[49:50], -v[63:64]
	v_add_f64 v[45:46], v[47:48], v[45:46]
	v_ldexp_f64 v[47:48], v[61:62], 2
	v_add_f64 v[45:46], v[53:54], v[45:46]
	v_cndmask_b32_e32 v48, 0, v48, vcc
	v_cndmask_b32_e32 v47, 0, v47, vcc
	v_add_f64 v[49:50], v[55:56], v[47:48]
	v_cmp_gt_f64_e32 vcc, 0, v[49:50]
	v_cndmask_b32_e32 v18, 0, v84, vcc
	v_add_f64 v[47:48], v[47:48], v[17:18]
	v_add_f64 v[49:50], v[55:56], v[47:48]
	v_cvt_i32_f64_e32 v18, v[49:50]
	v_cvt_f64_i32_e32 v[49:50], v18
	v_add_f64 v[47:48], v[47:48], -v[49:50]
	v_add_f64 v[49:50], v[55:56], v[47:48]
	v_add_f64 v[47:48], v[49:50], -v[47:48]
	v_cmp_le_f64_e32 vcc, 0.5, v[49:50]
	v_add_f64 v[47:48], v[55:56], -v[47:48]
	v_addc_co_u32_e64 v95, s[0:1], 0, v18, vcc
	v_cndmask_b32_e32 v18, 0, v85, vcc
	v_add_f64 v[45:46], v[45:46], v[47:48]
	v_add_f64 v[47:48], v[49:50], -v[17:18]
	v_add_f64 v[49:50], v[47:48], v[45:46]
	v_add_f64 v[47:48], v[49:50], -v[47:48]
	v_mul_f64 v[51:52], v[49:50], s[86:87]
	v_add_f64 v[45:46], v[45:46], -v[47:48]
	v_fma_f64 v[47:48], v[49:50], s[86:87], -v[51:52]
	v_fma_f64 v[47:48], v[49:50], s[90:91], v[47:48]
	v_fma_f64 v[45:46], v[45:46], s[86:87], v[47:48]
	v_add_f64 v[47:48], v[51:52], v[45:46]
	v_add_f64 v[49:50], v[47:48], -v[51:52]
	v_add_f64 v[49:50], v[45:46], -v[49:50]
	s_andn2_saveexec_b64 s[0:1], s[40:41]
	s_cbranch_execnz .LBB143_27
	s_branch .LBB143_28
.LBB143_26:                             ;   in Loop: Header=BB143_4 Depth=1
	s_andn2_saveexec_b64 s[0:1], s[40:41]
	s_cbranch_execz .LBB143_28
.LBB143_27:                             ;   in Loop: Header=BB143_4 Depth=1
	s_mov_b32 s2, 0x6dc9c883
	s_mov_b32 s3, 0x3fe45f30
	v_mul_f64 v[45:46], |v[11:12]|, s[2:3]
	s_mov_b32 s88, s22
	s_mov_b32 s2, 0x252049c0
	;; [unrolled: 1-line block ×3, first 2 shown]
	v_rndne_f64_e32 v[45:46], v[45:46]
	v_fma_f64 v[47:48], v[45:46], s[18:19], |v[11:12]|
	v_mul_f64 v[49:50], v[45:46], s[22:23]
	v_cvt_i32_f64_e32 v95, v[45:46]
	v_fma_f64 v[55:56], v[45:46], s[22:23], v[47:48]
	v_add_f64 v[51:52], v[47:48], v[49:50]
	v_add_f64 v[53:54], v[47:48], -v[51:52]
	v_add_f64 v[51:52], v[51:52], -v[55:56]
	v_add_f64 v[47:48], v[53:54], v[49:50]
	v_fma_f64 v[49:50], v[45:46], s[88:89], v[49:50]
	v_add_f64 v[47:48], v[51:52], v[47:48]
	v_add_f64 v[47:48], v[47:48], -v[49:50]
	v_fma_f64 v[49:50], v[45:46], s[2:3], v[47:48]
	v_add_f64 v[47:48], v[55:56], v[49:50]
	v_add_f64 v[51:52], v[47:48], -v[55:56]
	v_add_f64 v[49:50], v[49:50], -v[51:52]
.LBB143_28:                             ;   in Loop: Header=BB143_4 Depth=1
	s_or_b64 exec, exec, s[0:1]
	s_waitcnt vmcnt(0)
	v_mul_f64 v[63:64], v[15:16], 0.5
                                        ; implicit-def: $vgpr81
                                        ; implicit-def: $vgpr69_vgpr70
                                        ; implicit-def: $vgpr71_vgpr72
	v_cmp_nlt_f64_e64 s[0:1], |v[63:64]|, s[16:17]
	s_and_saveexec_b64 s[40:41], s[0:1]
	s_xor_b64 s[40:41], exec, s[40:41]
	s_cbranch_execz .LBB143_30
; %bb.29:                               ;   in Loop: Header=BB143_4 Depth=1
	v_trig_preop_f64 v[45:46], |v[63:64]|, 0
	s_mov_b32 s0, 0
	s_mov_b32 s1, 0x7b000000
	v_cmp_ge_f64_e64 vcc, |v[63:64]|, s[0:1]
	v_ldexp_f64 v[53:54], |v[63:64]|, s56
	v_trig_preop_f64 v[51:52], |v[63:64]|, 1
	v_and_b32_e32 v18, 0x7fffffff, v64
	s_mov_b32 s86, s18
	s_mov_b32 s91, s89
	v_cndmask_b32_e32 v54, v18, v54, vcc
	v_cndmask_b32_e32 v53, v63, v53, vcc
	v_mul_f64 v[57:58], v[45:46], v[53:54]
	v_mul_f64 v[55:56], v[51:52], v[53:54]
	v_fma_f64 v[45:46], v[45:46], v[53:54], -v[57:58]
	v_fma_f64 v[51:52], v[51:52], v[53:54], -v[55:56]
	v_add_f64 v[59:60], v[55:56], v[45:46]
	v_add_f64 v[69:70], v[59:60], -v[55:56]
	v_add_f64 v[61:62], v[57:58], v[59:60]
	v_add_f64 v[45:46], v[45:46], -v[69:70]
	v_add_f64 v[69:70], v[59:60], -v[69:70]
	v_ldexp_f64 v[65:66], v[61:62], -2
	v_add_f64 v[57:58], v[61:62], -v[57:58]
	v_add_f64 v[69:70], v[55:56], -v[69:70]
	v_trig_preop_f64 v[55:56], |v[63:64]|, 2
	v_fract_f64_e32 v[67:68], v[65:66]
	v_add_f64 v[57:58], v[59:60], -v[57:58]
	v_cmp_neq_f64_e64 vcc, |v[65:66]|, s[84:85]
	v_add_f64 v[45:46], v[45:46], v[69:70]
	v_mul_f64 v[69:70], v[55:56], v[53:54]
	v_add_f64 v[71:72], v[69:70], v[51:52]
	v_add_f64 v[73:74], v[71:72], v[45:46]
	v_add_f64 v[61:62], v[73:74], -v[71:72]
	v_add_f64 v[59:60], v[57:58], v[73:74]
	v_add_f64 v[45:46], v[45:46], -v[61:62]
	v_add_f64 v[61:62], v[73:74], -v[61:62]
	;; [unrolled: 1-line block ×5, first 2 shown]
	v_add_f64 v[45:46], v[45:46], v[61:62]
	v_add_f64 v[61:62], v[71:72], -v[69:70]
	v_add_f64 v[51:52], v[51:52], -v[61:62]
	;; [unrolled: 1-line block ×4, first 2 shown]
	v_add_f64 v[51:52], v[51:52], v[61:62]
	v_add_f64 v[45:46], v[51:52], v[45:46]
	v_fma_f64 v[51:52], v[55:56], v[53:54], -v[69:70]
	v_add_f64 v[45:46], v[51:52], v[45:46]
	v_ldexp_f64 v[51:52], v[67:68], 2
	v_add_f64 v[45:46], v[57:58], v[45:46]
	v_cndmask_b32_e32 v52, 0, v52, vcc
	v_cndmask_b32_e32 v51, 0, v51, vcc
	v_add_f64 v[53:54], v[59:60], v[51:52]
	v_cmp_gt_f64_e32 vcc, 0, v[53:54]
	v_cndmask_b32_e32 v18, 0, v84, vcc
	v_add_f64 v[51:52], v[51:52], v[17:18]
	v_add_f64 v[53:54], v[59:60], v[51:52]
	v_cvt_i32_f64_e32 v18, v[53:54]
	v_cvt_f64_i32_e32 v[53:54], v18
	v_add_f64 v[51:52], v[51:52], -v[53:54]
	v_add_f64 v[53:54], v[59:60], v[51:52]
	v_add_f64 v[51:52], v[53:54], -v[51:52]
	v_cmp_le_f64_e32 vcc, 0.5, v[53:54]
	v_add_f64 v[51:52], v[59:60], -v[51:52]
	v_addc_co_u32_e64 v81, s[0:1], 0, v18, vcc
	v_cndmask_b32_e32 v18, 0, v85, vcc
	v_add_f64 v[45:46], v[45:46], v[51:52]
	v_add_f64 v[51:52], v[53:54], -v[17:18]
	v_add_f64 v[53:54], v[51:52], v[45:46]
	v_add_f64 v[51:52], v[53:54], -v[51:52]
	v_add_f64 v[45:46], v[45:46], -v[51:52]
	v_mul_f64 v[51:52], v[53:54], s[86:87]
	v_fma_f64 v[55:56], v[53:54], s[86:87], -v[51:52]
	v_fma_f64 v[53:54], v[53:54], s[90:91], v[55:56]
	v_fma_f64 v[45:46], v[45:46], s[86:87], v[53:54]
	v_add_f64 v[69:70], v[51:52], v[45:46]
	v_add_f64 v[51:52], v[69:70], -v[51:52]
	v_add_f64 v[71:72], v[45:46], -v[51:52]
.LBB143_30:                             ;   in Loop: Header=BB143_4 Depth=1
	s_andn2_saveexec_b64 s[0:1], s[40:41]
	s_cbranch_execz .LBB143_32
; %bb.31:                               ;   in Loop: Header=BB143_4 Depth=1
	s_mov_b32 s2, 0x6dc9c883
	s_mov_b32 s3, 0x3fe45f30
	v_mul_f64 v[45:46], |v[63:64]|, s[2:3]
	s_mov_b32 s88, s22
	s_mov_b32 s2, 0x252049c0
	;; [unrolled: 1-line block ×3, first 2 shown]
	v_rndne_f64_e32 v[45:46], v[45:46]
	v_fma_f64 v[51:52], v[45:46], s[18:19], |v[63:64]|
	v_mul_f64 v[53:54], v[45:46], s[22:23]
	v_cvt_i32_f64_e32 v81, v[45:46]
	v_add_f64 v[55:56], v[51:52], v[53:54]
	v_add_f64 v[57:58], v[51:52], -v[55:56]
	v_fma_f64 v[51:52], v[45:46], s[22:23], v[51:52]
	v_add_f64 v[57:58], v[57:58], v[53:54]
	v_add_f64 v[55:56], v[55:56], -v[51:52]
	v_fma_f64 v[53:54], v[45:46], s[88:89], v[53:54]
	;; [unrolled: 3-line block ×3, first 2 shown]
	v_add_f64 v[69:70], v[51:52], v[53:54]
	v_add_f64 v[51:52], v[69:70], -v[51:52]
	v_add_f64 v[71:72], v[53:54], -v[51:52]
.LBB143_32:                             ;   in Loop: Header=BB143_4 Depth=1
	s_or_b64 exec, exec, s[0:1]
	v_cmp_nlt_f64_e64 s[40:41], |v[15:16]|, s[16:17]
                                        ; implicit-def: $vgpr99
                                        ; implicit-def: $vgpr73_vgpr74
                                        ; implicit-def: $vgpr77_vgpr78
	s_and_saveexec_b64 s[0:1], s[40:41]
	s_xor_b64 s[52:53], exec, s[0:1]
	s_cbranch_execz .LBB143_34
; %bb.33:                               ;   in Loop: Header=BB143_4 Depth=1
	v_trig_preop_f64 v[45:46], |v[15:16]|, 0
	s_mov_b32 s0, 0
	s_mov_b32 s1, 0x7b000000
	v_cmp_ge_f64_e64 vcc, |v[15:16]|, s[0:1]
	v_ldexp_f64 v[53:54], |v[15:16]|, s56
	v_trig_preop_f64 v[51:52], |v[15:16]|, 1
	v_and_b32_e32 v18, 0x7fffffff, v16
	s_mov_b32 s86, s18
	s_mov_b32 s91, s89
	v_cndmask_b32_e32 v54, v18, v54, vcc
	v_cndmask_b32_e32 v53, v15, v53, vcc
	v_mul_f64 v[57:58], v[45:46], v[53:54]
	v_mul_f64 v[55:56], v[51:52], v[53:54]
	v_fma_f64 v[45:46], v[45:46], v[53:54], -v[57:58]
	v_fma_f64 v[51:52], v[51:52], v[53:54], -v[55:56]
	v_add_f64 v[59:60], v[55:56], v[45:46]
	v_add_f64 v[73:74], v[59:60], -v[55:56]
	v_add_f64 v[61:62], v[57:58], v[59:60]
	v_add_f64 v[45:46], v[45:46], -v[73:74]
	v_add_f64 v[73:74], v[59:60], -v[73:74]
	v_ldexp_f64 v[65:66], v[61:62], -2
	v_add_f64 v[57:58], v[61:62], -v[57:58]
	v_add_f64 v[73:74], v[55:56], -v[73:74]
	v_trig_preop_f64 v[55:56], |v[15:16]|, 2
	v_fract_f64_e32 v[67:68], v[65:66]
	v_add_f64 v[57:58], v[59:60], -v[57:58]
	v_cmp_neq_f64_e64 vcc, |v[65:66]|, s[84:85]
	v_add_f64 v[45:46], v[45:46], v[73:74]
	v_mul_f64 v[73:74], v[55:56], v[53:54]
	v_add_f64 v[75:76], v[73:74], v[51:52]
	v_add_f64 v[77:78], v[75:76], v[45:46]
	v_add_f64 v[61:62], v[77:78], -v[75:76]
	v_add_f64 v[59:60], v[57:58], v[77:78]
	v_add_f64 v[45:46], v[45:46], -v[61:62]
	v_add_f64 v[61:62], v[77:78], -v[61:62]
	;; [unrolled: 1-line block ×5, first 2 shown]
	v_add_f64 v[45:46], v[45:46], v[61:62]
	v_add_f64 v[61:62], v[75:76], -v[73:74]
	v_add_f64 v[51:52], v[51:52], -v[61:62]
	;; [unrolled: 1-line block ×4, first 2 shown]
	v_add_f64 v[51:52], v[51:52], v[61:62]
	v_add_f64 v[45:46], v[51:52], v[45:46]
	v_fma_f64 v[51:52], v[55:56], v[53:54], -v[73:74]
	v_add_f64 v[45:46], v[51:52], v[45:46]
	v_ldexp_f64 v[51:52], v[67:68], 2
	v_add_f64 v[45:46], v[57:58], v[45:46]
	v_cndmask_b32_e32 v52, 0, v52, vcc
	v_cndmask_b32_e32 v51, 0, v51, vcc
	v_add_f64 v[53:54], v[59:60], v[51:52]
	v_cmp_gt_f64_e32 vcc, 0, v[53:54]
	v_cndmask_b32_e32 v18, 0, v84, vcc
	v_add_f64 v[51:52], v[51:52], v[17:18]
	v_add_f64 v[53:54], v[59:60], v[51:52]
	v_cvt_i32_f64_e32 v18, v[53:54]
	v_cvt_f64_i32_e32 v[53:54], v18
	v_add_f64 v[51:52], v[51:52], -v[53:54]
	v_add_f64 v[53:54], v[59:60], v[51:52]
	v_add_f64 v[51:52], v[53:54], -v[51:52]
	v_cmp_le_f64_e32 vcc, 0.5, v[53:54]
	v_add_f64 v[51:52], v[59:60], -v[51:52]
	v_addc_co_u32_e64 v99, s[0:1], 0, v18, vcc
	v_cndmask_b32_e32 v18, 0, v85, vcc
	v_add_f64 v[45:46], v[45:46], v[51:52]
	v_add_f64 v[51:52], v[53:54], -v[17:18]
	v_add_f64 v[53:54], v[51:52], v[45:46]
	v_add_f64 v[51:52], v[53:54], -v[51:52]
	v_add_f64 v[45:46], v[45:46], -v[51:52]
	v_mul_f64 v[51:52], v[53:54], s[86:87]
	v_fma_f64 v[55:56], v[53:54], s[86:87], -v[51:52]
	v_fma_f64 v[53:54], v[53:54], s[90:91], v[55:56]
	v_fma_f64 v[45:46], v[45:46], s[86:87], v[53:54]
	v_add_f64 v[73:74], v[51:52], v[45:46]
	v_add_f64 v[51:52], v[73:74], -v[51:52]
	v_add_f64 v[77:78], v[45:46], -v[51:52]
	s_andn2_saveexec_b64 s[0:1], s[52:53]
	s_cbranch_execz .LBB143_36
	s_branch .LBB143_35
.LBB143_34:                             ;   in Loop: Header=BB143_4 Depth=1
	s_andn2_saveexec_b64 s[0:1], s[52:53]
	s_cbranch_execz .LBB143_36
.LBB143_35:                             ;   in Loop: Header=BB143_4 Depth=1
	s_mov_b32 s2, 0x6dc9c883
	s_mov_b32 s3, 0x3fe45f30
	v_mul_f64 v[45:46], |v[15:16]|, s[2:3]
	s_mov_b32 s88, s22
	s_mov_b32 s2, 0x252049c0
	;; [unrolled: 1-line block ×3, first 2 shown]
	v_rndne_f64_e32 v[45:46], v[45:46]
	v_fma_f64 v[51:52], v[45:46], s[18:19], |v[15:16]|
	v_mul_f64 v[53:54], v[45:46], s[22:23]
	v_cvt_i32_f64_e32 v99, v[45:46]
	v_add_f64 v[55:56], v[51:52], v[53:54]
	v_add_f64 v[57:58], v[51:52], -v[55:56]
	v_fma_f64 v[51:52], v[45:46], s[22:23], v[51:52]
	v_add_f64 v[57:58], v[57:58], v[53:54]
	v_add_f64 v[55:56], v[55:56], -v[51:52]
	v_fma_f64 v[53:54], v[45:46], s[88:89], v[53:54]
	;; [unrolled: 3-line block ×3, first 2 shown]
	v_add_f64 v[73:74], v[51:52], v[53:54]
	v_add_f64 v[51:52], v[73:74], -v[51:52]
	v_add_f64 v[77:78], v[53:54], -v[51:52]
.LBB143_36:                             ;   in Loop: Header=BB143_4 Depth=1
	s_or_b64 exec, exec, s[0:1]
                                        ; implicit-def: $vgpr100
                                        ; implicit-def: $vgpr75_vgpr76
                                        ; implicit-def: $vgpr79_vgpr80
	s_and_saveexec_b64 s[0:1], s[40:41]
	s_xor_b64 s[40:41], exec, s[0:1]
	s_cbranch_execz .LBB143_38
; %bb.37:                               ;   in Loop: Header=BB143_4 Depth=1
	v_trig_preop_f64 v[45:46], |v[15:16]|, 0
	s_mov_b32 s0, 0
	s_mov_b32 s1, 0x7b000000
	v_cmp_ge_f64_e64 vcc, |v[15:16]|, s[0:1]
	v_ldexp_f64 v[53:54], |v[15:16]|, s56
	v_trig_preop_f64 v[51:52], |v[15:16]|, 1
	v_and_b32_e32 v18, 0x7fffffff, v16
	s_mov_b32 s86, s18
	s_mov_b32 s91, s89
	v_cndmask_b32_e32 v54, v18, v54, vcc
	v_cndmask_b32_e32 v53, v15, v53, vcc
	v_mul_f64 v[57:58], v[45:46], v[53:54]
	v_mul_f64 v[55:56], v[51:52], v[53:54]
	v_fma_f64 v[45:46], v[45:46], v[53:54], -v[57:58]
	v_fma_f64 v[51:52], v[51:52], v[53:54], -v[55:56]
	v_add_f64 v[59:60], v[55:56], v[45:46]
	v_add_f64 v[75:76], v[59:60], -v[55:56]
	v_add_f64 v[61:62], v[57:58], v[59:60]
	v_add_f64 v[45:46], v[45:46], -v[75:76]
	v_add_f64 v[75:76], v[59:60], -v[75:76]
	v_ldexp_f64 v[65:66], v[61:62], -2
	v_add_f64 v[57:58], v[61:62], -v[57:58]
	v_add_f64 v[75:76], v[55:56], -v[75:76]
	v_trig_preop_f64 v[55:56], |v[15:16]|, 2
	v_fract_f64_e32 v[67:68], v[65:66]
	v_add_f64 v[57:58], v[59:60], -v[57:58]
	v_cmp_neq_f64_e64 vcc, |v[65:66]|, s[84:85]
	v_add_f64 v[45:46], v[45:46], v[75:76]
	v_mul_f64 v[75:76], v[55:56], v[53:54]
	v_add_f64 v[79:80], v[75:76], v[51:52]
	v_add_f64 v[96:97], v[79:80], v[45:46]
	v_add_f64 v[61:62], v[96:97], -v[79:80]
	v_add_f64 v[59:60], v[57:58], v[96:97]
	v_add_f64 v[45:46], v[45:46], -v[61:62]
	v_add_f64 v[61:62], v[96:97], -v[61:62]
	v_add_f64 v[57:58], v[59:60], -v[57:58]
	v_add_f64 v[61:62], v[79:80], -v[61:62]
	v_add_f64 v[57:58], v[96:97], -v[57:58]
	v_add_f64 v[45:46], v[45:46], v[61:62]
	v_add_f64 v[61:62], v[79:80], -v[75:76]
	v_add_f64 v[51:52], v[51:52], -v[61:62]
	;; [unrolled: 1-line block ×4, first 2 shown]
	v_add_f64 v[51:52], v[51:52], v[61:62]
	v_add_f64 v[45:46], v[51:52], v[45:46]
	v_fma_f64 v[51:52], v[55:56], v[53:54], -v[75:76]
	v_add_f64 v[45:46], v[51:52], v[45:46]
	v_ldexp_f64 v[51:52], v[67:68], 2
	v_add_f64 v[45:46], v[57:58], v[45:46]
	v_cndmask_b32_e32 v52, 0, v52, vcc
	v_cndmask_b32_e32 v51, 0, v51, vcc
	v_add_f64 v[53:54], v[59:60], v[51:52]
	v_cmp_gt_f64_e32 vcc, 0, v[53:54]
	v_cndmask_b32_e32 v18, 0, v84, vcc
	v_add_f64 v[51:52], v[51:52], v[17:18]
	v_add_f64 v[53:54], v[59:60], v[51:52]
	v_cvt_i32_f64_e32 v18, v[53:54]
	v_cvt_f64_i32_e32 v[53:54], v18
	v_add_f64 v[51:52], v[51:52], -v[53:54]
	v_add_f64 v[53:54], v[59:60], v[51:52]
	v_add_f64 v[51:52], v[53:54], -v[51:52]
	v_cmp_le_f64_e32 vcc, 0.5, v[53:54]
	v_add_f64 v[51:52], v[59:60], -v[51:52]
	v_addc_co_u32_e64 v100, s[0:1], 0, v18, vcc
	v_cndmask_b32_e32 v18, 0, v85, vcc
	v_add_f64 v[45:46], v[45:46], v[51:52]
	v_add_f64 v[51:52], v[53:54], -v[17:18]
	v_add_f64 v[53:54], v[51:52], v[45:46]
	v_add_f64 v[51:52], v[53:54], -v[51:52]
	v_add_f64 v[45:46], v[45:46], -v[51:52]
	v_mul_f64 v[51:52], v[53:54], s[86:87]
	v_fma_f64 v[55:56], v[53:54], s[86:87], -v[51:52]
	v_fma_f64 v[53:54], v[53:54], s[90:91], v[55:56]
	v_fma_f64 v[45:46], v[45:46], s[86:87], v[53:54]
	v_add_f64 v[75:76], v[51:52], v[45:46]
	v_add_f64 v[51:52], v[75:76], -v[51:52]
	v_add_f64 v[79:80], v[45:46], -v[51:52]
	s_andn2_saveexec_b64 s[0:1], s[40:41]
	s_cbranch_execnz .LBB143_39
	s_branch .LBB143_40
.LBB143_38:                             ;   in Loop: Header=BB143_4 Depth=1
	s_andn2_saveexec_b64 s[0:1], s[40:41]
	s_cbranch_execz .LBB143_40
.LBB143_39:                             ;   in Loop: Header=BB143_4 Depth=1
	s_mov_b32 s2, 0x6dc9c883
	s_mov_b32 s3, 0x3fe45f30
	v_mul_f64 v[45:46], |v[15:16]|, s[2:3]
	s_mov_b32 s88, s22
	s_mov_b32 s2, 0x252049c0
	;; [unrolled: 1-line block ×3, first 2 shown]
	v_rndne_f64_e32 v[45:46], v[45:46]
	v_fma_f64 v[51:52], v[45:46], s[18:19], |v[15:16]|
	v_mul_f64 v[53:54], v[45:46], s[22:23]
	v_cvt_i32_f64_e32 v100, v[45:46]
	v_add_f64 v[55:56], v[51:52], v[53:54]
	v_add_f64 v[57:58], v[51:52], -v[55:56]
	v_fma_f64 v[51:52], v[45:46], s[22:23], v[51:52]
	v_add_f64 v[57:58], v[57:58], v[53:54]
	v_add_f64 v[55:56], v[55:56], -v[51:52]
	v_fma_f64 v[53:54], v[45:46], s[88:89], v[53:54]
	;; [unrolled: 3-line block ×3, first 2 shown]
	v_add_f64 v[75:76], v[51:52], v[53:54]
	v_add_f64 v[51:52], v[75:76], -v[51:52]
	v_add_f64 v[79:80], v[53:54], -v[51:52]
.LBB143_40:                             ;   in Loop: Header=BB143_4 Depth=1
	s_or_b64 exec, exec, s[0:1]
	v_mul_f64 v[45:46], v[3:4], 0.5
                                        ; implicit-def: $vgpr96
                                        ; implicit-def: $vgpr51_vgpr52
                                        ; implicit-def: $vgpr53_vgpr54
	v_cmp_nlt_f64_e64 s[0:1], |v[45:46]|, s[16:17]
	s_and_saveexec_b64 s[40:41], s[0:1]
	s_xor_b64 s[40:41], exec, s[40:41]
	s_cbranch_execz .LBB143_42
; %bb.41:                               ;   in Loop: Header=BB143_4 Depth=1
	v_trig_preop_f64 v[51:52], |v[45:46]|, 0
	s_mov_b32 s0, 0
	s_mov_b32 s1, 0x7b000000
	v_cmp_ge_f64_e64 vcc, |v[45:46]|, s[0:1]
	v_ldexp_f64 v[55:56], |v[45:46]|, s56
	v_trig_preop_f64 v[53:54], |v[45:46]|, 1
	v_and_b32_e32 v18, 0x7fffffff, v46
	s_mov_b32 s86, s18
	s_mov_b32 s91, s89
	v_cndmask_b32_e32 v56, v18, v56, vcc
	v_cndmask_b32_e32 v55, v45, v55, vcc
	v_mul_f64 v[59:60], v[51:52], v[55:56]
	v_mul_f64 v[57:58], v[53:54], v[55:56]
	v_fma_f64 v[51:52], v[51:52], v[55:56], -v[59:60]
	v_fma_f64 v[53:54], v[53:54], v[55:56], -v[57:58]
	v_add_f64 v[61:62], v[57:58], v[51:52]
	v_add_f64 v[101:102], v[61:62], -v[57:58]
	v_add_f64 v[65:66], v[59:60], v[61:62]
	v_add_f64 v[51:52], v[51:52], -v[101:102]
	v_add_f64 v[101:102], v[61:62], -v[101:102]
	v_ldexp_f64 v[67:68], v[65:66], -2
	v_add_f64 v[59:60], v[65:66], -v[59:60]
	v_add_f64 v[101:102], v[57:58], -v[101:102]
	v_trig_preop_f64 v[57:58], |v[45:46]|, 2
	v_fract_f64_e32 v[96:97], v[67:68]
	v_add_f64 v[59:60], v[61:62], -v[59:60]
	v_cmp_neq_f64_e64 vcc, |v[67:68]|, s[84:85]
	v_add_f64 v[51:52], v[51:52], v[101:102]
	v_mul_f64 v[101:102], v[57:58], v[55:56]
	v_add_f64 v[103:104], v[101:102], v[53:54]
	v_add_f64 v[105:106], v[103:104], v[51:52]
	v_add_f64 v[65:66], v[105:106], -v[103:104]
	v_add_f64 v[61:62], v[59:60], v[105:106]
	v_add_f64 v[51:52], v[51:52], -v[65:66]
	v_add_f64 v[65:66], v[105:106], -v[65:66]
	;; [unrolled: 1-line block ×5, first 2 shown]
	v_add_f64 v[51:52], v[51:52], v[65:66]
	v_add_f64 v[65:66], v[103:104], -v[101:102]
	v_add_f64 v[53:54], v[53:54], -v[65:66]
	;; [unrolled: 1-line block ×4, first 2 shown]
	v_add_f64 v[53:54], v[53:54], v[65:66]
	v_add_f64 v[51:52], v[53:54], v[51:52]
	v_fma_f64 v[53:54], v[57:58], v[55:56], -v[101:102]
	v_add_f64 v[51:52], v[53:54], v[51:52]
	v_ldexp_f64 v[53:54], v[96:97], 2
	v_add_f64 v[51:52], v[59:60], v[51:52]
	v_cndmask_b32_e32 v54, 0, v54, vcc
	v_cndmask_b32_e32 v53, 0, v53, vcc
	v_add_f64 v[55:56], v[61:62], v[53:54]
	v_cmp_gt_f64_e32 vcc, 0, v[55:56]
	v_cndmask_b32_e32 v18, 0, v84, vcc
	v_add_f64 v[53:54], v[53:54], v[17:18]
	v_add_f64 v[55:56], v[61:62], v[53:54]
	v_cvt_i32_f64_e32 v18, v[55:56]
	v_cvt_f64_i32_e32 v[55:56], v18
	v_add_f64 v[53:54], v[53:54], -v[55:56]
	v_add_f64 v[55:56], v[61:62], v[53:54]
	v_add_f64 v[53:54], v[55:56], -v[53:54]
	v_cmp_le_f64_e32 vcc, 0.5, v[55:56]
	v_add_f64 v[53:54], v[61:62], -v[53:54]
	v_addc_co_u32_e64 v96, s[0:1], 0, v18, vcc
	v_cndmask_b32_e32 v18, 0, v85, vcc
	v_add_f64 v[51:52], v[51:52], v[53:54]
	v_add_f64 v[53:54], v[55:56], -v[17:18]
	v_add_f64 v[55:56], v[53:54], v[51:52]
	v_add_f64 v[53:54], v[55:56], -v[53:54]
	v_add_f64 v[51:52], v[51:52], -v[53:54]
	v_mul_f64 v[53:54], v[55:56], s[86:87]
	v_fma_f64 v[57:58], v[55:56], s[86:87], -v[53:54]
	v_fma_f64 v[55:56], v[55:56], s[90:91], v[57:58]
	v_fma_f64 v[55:56], v[51:52], s[86:87], v[55:56]
	v_add_f64 v[51:52], v[53:54], v[55:56]
	v_add_f64 v[53:54], v[51:52], -v[53:54]
	v_add_f64 v[53:54], v[55:56], -v[53:54]
.LBB143_42:                             ;   in Loop: Header=BB143_4 Depth=1
	s_andn2_saveexec_b64 s[0:1], s[40:41]
	s_cbranch_execz .LBB143_44
; %bb.43:                               ;   in Loop: Header=BB143_4 Depth=1
	s_mov_b32 s2, 0x6dc9c883
	s_mov_b32 s3, 0x3fe45f30
	v_mul_f64 v[51:52], |v[45:46]|, s[2:3]
	s_mov_b32 s88, s22
	s_mov_b32 s2, 0x252049c0
	;; [unrolled: 1-line block ×3, first 2 shown]
	v_rndne_f64_e32 v[55:56], v[51:52]
	v_fma_f64 v[51:52], v[55:56], s[18:19], |v[45:46]|
	v_mul_f64 v[53:54], v[55:56], s[22:23]
	v_cvt_i32_f64_e32 v96, v[55:56]
	v_fma_f64 v[61:62], v[55:56], s[22:23], v[51:52]
	v_add_f64 v[57:58], v[51:52], v[53:54]
	v_add_f64 v[59:60], v[51:52], -v[57:58]
	v_add_f64 v[57:58], v[57:58], -v[61:62]
	v_add_f64 v[51:52], v[59:60], v[53:54]
	v_fma_f64 v[53:54], v[55:56], s[88:89], v[53:54]
	v_add_f64 v[51:52], v[57:58], v[51:52]
	v_add_f64 v[51:52], v[51:52], -v[53:54]
	v_fma_f64 v[53:54], v[55:56], s[2:3], v[51:52]
	v_add_f64 v[51:52], v[61:62], v[53:54]
	v_add_f64 v[57:58], v[51:52], -v[61:62]
	v_add_f64 v[53:54], v[53:54], -v[57:58]
.LBB143_44:                             ;   in Loop: Header=BB143_4 Depth=1
	s_or_b64 exec, exec, s[0:1]
	v_cmp_nlt_f64_e64 s[40:41], |v[3:4]|, s[16:17]
                                        ; implicit-def: $vgpr97
                                        ; implicit-def: $vgpr57_vgpr58
                                        ; implicit-def: $vgpr59_vgpr60
	s_and_saveexec_b64 s[0:1], s[40:41]
	s_xor_b64 s[52:53], exec, s[0:1]
	s_cbranch_execz .LBB143_46
; %bb.45:                               ;   in Loop: Header=BB143_4 Depth=1
	v_trig_preop_f64 v[55:56], |v[3:4]|, 0
	s_mov_b32 s0, 0
	s_mov_b32 s1, 0x7b000000
	v_cmp_ge_f64_e64 vcc, |v[3:4]|, s[0:1]
	v_ldexp_f64 v[59:60], |v[3:4]|, s56
	v_trig_preop_f64 v[57:58], |v[3:4]|, 1
	v_and_b32_e32 v18, 0x7fffffff, v4
	s_mov_b32 s86, s18
	s_mov_b32 s91, s89
	v_cndmask_b32_e32 v60, v18, v60, vcc
	v_cndmask_b32_e32 v59, v3, v59, vcc
	v_mul_f64 v[65:66], v[55:56], v[59:60]
	v_mul_f64 v[61:62], v[57:58], v[59:60]
	v_fma_f64 v[55:56], v[55:56], v[59:60], -v[65:66]
	v_fma_f64 v[57:58], v[57:58], v[59:60], -v[61:62]
	v_add_f64 v[67:68], v[61:62], v[55:56]
	v_add_f64 v[105:106], v[67:68], -v[61:62]
	v_add_f64 v[97:98], v[65:66], v[67:68]
	v_add_f64 v[55:56], v[55:56], -v[105:106]
	v_add_f64 v[105:106], v[67:68], -v[105:106]
	v_ldexp_f64 v[101:102], v[97:98], -2
	v_add_f64 v[65:66], v[97:98], -v[65:66]
	v_add_f64 v[105:106], v[61:62], -v[105:106]
	v_trig_preop_f64 v[61:62], |v[3:4]|, 2
	v_fract_f64_e32 v[103:104], v[101:102]
	v_add_f64 v[65:66], v[67:68], -v[65:66]
	v_cmp_neq_f64_e64 vcc, |v[101:102]|, s[84:85]
	v_add_f64 v[55:56], v[55:56], v[105:106]
	v_mul_f64 v[105:106], v[61:62], v[59:60]
	v_add_f64 v[107:108], v[105:106], v[57:58]
	v_add_f64 v[109:110], v[107:108], v[55:56]
	v_add_f64 v[97:98], v[109:110], -v[107:108]
	v_add_f64 v[67:68], v[65:66], v[109:110]
	v_add_f64 v[55:56], v[55:56], -v[97:98]
	v_add_f64 v[97:98], v[109:110], -v[97:98]
	;; [unrolled: 1-line block ×5, first 2 shown]
	v_add_f64 v[55:56], v[55:56], v[97:98]
	v_add_f64 v[97:98], v[107:108], -v[105:106]
	v_add_f64 v[57:58], v[57:58], -v[97:98]
	;; [unrolled: 1-line block ×4, first 2 shown]
	v_add_f64 v[57:58], v[57:58], v[97:98]
	v_add_f64 v[55:56], v[57:58], v[55:56]
	v_fma_f64 v[57:58], v[61:62], v[59:60], -v[105:106]
	v_add_f64 v[55:56], v[57:58], v[55:56]
	v_ldexp_f64 v[57:58], v[103:104], 2
	v_add_f64 v[55:56], v[65:66], v[55:56]
	v_cndmask_b32_e32 v58, 0, v58, vcc
	v_cndmask_b32_e32 v57, 0, v57, vcc
	v_add_f64 v[59:60], v[67:68], v[57:58]
	v_cmp_gt_f64_e32 vcc, 0, v[59:60]
	v_cndmask_b32_e32 v18, 0, v84, vcc
	v_add_f64 v[57:58], v[57:58], v[17:18]
	v_add_f64 v[59:60], v[67:68], v[57:58]
	v_cvt_i32_f64_e32 v18, v[59:60]
	v_cvt_f64_i32_e32 v[59:60], v18
	v_add_f64 v[57:58], v[57:58], -v[59:60]
	v_add_f64 v[59:60], v[67:68], v[57:58]
	v_add_f64 v[57:58], v[59:60], -v[57:58]
	v_cmp_le_f64_e32 vcc, 0.5, v[59:60]
	v_add_f64 v[57:58], v[67:68], -v[57:58]
	v_addc_co_u32_e64 v97, s[0:1], 0, v18, vcc
	v_cndmask_b32_e32 v18, 0, v85, vcc
	v_add_f64 v[55:56], v[55:56], v[57:58]
	v_add_f64 v[57:58], v[59:60], -v[17:18]
	v_add_f64 v[59:60], v[57:58], v[55:56]
	v_add_f64 v[57:58], v[59:60], -v[57:58]
	v_mul_f64 v[61:62], v[59:60], s[86:87]
	v_add_f64 v[55:56], v[55:56], -v[57:58]
	v_fma_f64 v[57:58], v[59:60], s[86:87], -v[61:62]
	v_fma_f64 v[57:58], v[59:60], s[90:91], v[57:58]
	v_fma_f64 v[55:56], v[55:56], s[86:87], v[57:58]
	v_add_f64 v[57:58], v[61:62], v[55:56]
	v_add_f64 v[59:60], v[57:58], -v[61:62]
	v_add_f64 v[59:60], v[55:56], -v[59:60]
	s_andn2_saveexec_b64 s[0:1], s[52:53]
	s_cbranch_execz .LBB143_48
	s_branch .LBB143_47
.LBB143_46:                             ;   in Loop: Header=BB143_4 Depth=1
	s_andn2_saveexec_b64 s[0:1], s[52:53]
	s_cbranch_execz .LBB143_48
.LBB143_47:                             ;   in Loop: Header=BB143_4 Depth=1
	s_mov_b32 s2, 0x6dc9c883
	s_mov_b32 s3, 0x3fe45f30
	v_mul_f64 v[55:56], |v[3:4]|, s[2:3]
	s_mov_b32 s88, s22
	s_mov_b32 s2, 0x252049c0
	;; [unrolled: 1-line block ×3, first 2 shown]
	v_rndne_f64_e32 v[55:56], v[55:56]
	v_fma_f64 v[57:58], v[55:56], s[18:19], |v[3:4]|
	v_mul_f64 v[59:60], v[55:56], s[22:23]
	v_cvt_i32_f64_e32 v97, v[55:56]
	v_fma_f64 v[67:68], v[55:56], s[22:23], v[57:58]
	v_add_f64 v[61:62], v[57:58], v[59:60]
	v_add_f64 v[65:66], v[57:58], -v[61:62]
	v_add_f64 v[61:62], v[61:62], -v[67:68]
	v_add_f64 v[57:58], v[65:66], v[59:60]
	v_fma_f64 v[59:60], v[55:56], s[88:89], v[59:60]
	v_add_f64 v[57:58], v[61:62], v[57:58]
	v_add_f64 v[57:58], v[57:58], -v[59:60]
	v_fma_f64 v[59:60], v[55:56], s[2:3], v[57:58]
	v_add_f64 v[57:58], v[67:68], v[59:60]
	v_add_f64 v[61:62], v[57:58], -v[67:68]
	v_add_f64 v[59:60], v[59:60], -v[61:62]
.LBB143_48:                             ;   in Loop: Header=BB143_4 Depth=1
	s_or_b64 exec, exec, s[0:1]
                                        ; implicit-def: $vgpr98
                                        ; implicit-def: $vgpr55_vgpr56
                                        ; implicit-def: $vgpr61_vgpr62
	s_and_saveexec_b64 s[0:1], s[40:41]
	s_xor_b64 s[40:41], exec, s[0:1]
	s_cbranch_execz .LBB143_50
; %bb.49:                               ;   in Loop: Header=BB143_4 Depth=1
	v_trig_preop_f64 v[55:56], |v[3:4]|, 0
	s_mov_b32 s0, 0
	s_mov_b32 s1, 0x7b000000
	v_cmp_ge_f64_e64 vcc, |v[3:4]|, s[0:1]
	v_ldexp_f64 v[65:66], |v[3:4]|, s56
	v_trig_preop_f64 v[61:62], |v[3:4]|, 1
	v_and_b32_e32 v18, 0x7fffffff, v4
	s_mov_b32 s86, s18
	s_mov_b32 s91, s89
	v_cndmask_b32_e32 v66, v18, v66, vcc
	v_cndmask_b32_e32 v65, v3, v65, vcc
	v_mul_f64 v[101:102], v[55:56], v[65:66]
	v_mul_f64 v[67:68], v[61:62], v[65:66]
	v_fma_f64 v[55:56], v[55:56], v[65:66], -v[101:102]
	v_fma_f64 v[61:62], v[61:62], v[65:66], -v[67:68]
	v_add_f64 v[103:104], v[67:68], v[55:56]
	v_add_f64 v[111:112], v[103:104], -v[67:68]
	v_add_f64 v[105:106], v[101:102], v[103:104]
	v_add_f64 v[55:56], v[55:56], -v[111:112]
	v_add_f64 v[111:112], v[103:104], -v[111:112]
	v_ldexp_f64 v[107:108], v[105:106], -2
	v_add_f64 v[101:102], v[105:106], -v[101:102]
	v_add_f64 v[111:112], v[67:68], -v[111:112]
	v_trig_preop_f64 v[67:68], |v[3:4]|, 2
	v_fract_f64_e32 v[109:110], v[107:108]
	v_add_f64 v[101:102], v[103:104], -v[101:102]
	v_cmp_neq_f64_e64 vcc, |v[107:108]|, s[84:85]
	v_add_f64 v[55:56], v[55:56], v[111:112]
	v_mul_f64 v[111:112], v[67:68], v[65:66]
	v_add_f64 v[113:114], v[111:112], v[61:62]
	v_add_f64 v[115:116], v[113:114], v[55:56]
	v_add_f64 v[105:106], v[115:116], -v[113:114]
	v_add_f64 v[103:104], v[101:102], v[115:116]
	v_add_f64 v[55:56], v[55:56], -v[105:106]
	v_add_f64 v[105:106], v[115:116], -v[105:106]
	;; [unrolled: 1-line block ×5, first 2 shown]
	v_add_f64 v[55:56], v[55:56], v[105:106]
	v_add_f64 v[105:106], v[113:114], -v[111:112]
	v_add_f64 v[61:62], v[61:62], -v[105:106]
	;; [unrolled: 1-line block ×4, first 2 shown]
	v_add_f64 v[61:62], v[61:62], v[105:106]
	v_add_f64 v[55:56], v[61:62], v[55:56]
	v_fma_f64 v[61:62], v[67:68], v[65:66], -v[111:112]
	v_add_f64 v[55:56], v[61:62], v[55:56]
	v_ldexp_f64 v[61:62], v[109:110], 2
	v_add_f64 v[55:56], v[101:102], v[55:56]
	v_cndmask_b32_e32 v62, 0, v62, vcc
	v_cndmask_b32_e32 v61, 0, v61, vcc
	v_add_f64 v[65:66], v[103:104], v[61:62]
	v_cmp_gt_f64_e32 vcc, 0, v[65:66]
	v_cndmask_b32_e32 v18, 0, v84, vcc
	v_add_f64 v[61:62], v[61:62], v[17:18]
	v_add_f64 v[65:66], v[103:104], v[61:62]
	v_cvt_i32_f64_e32 v18, v[65:66]
	v_cvt_f64_i32_e32 v[65:66], v18
	v_add_f64 v[61:62], v[61:62], -v[65:66]
	v_add_f64 v[65:66], v[103:104], v[61:62]
	v_add_f64 v[61:62], v[65:66], -v[61:62]
	v_cmp_le_f64_e32 vcc, 0.5, v[65:66]
	v_add_f64 v[61:62], v[103:104], -v[61:62]
	v_addc_co_u32_e64 v98, s[0:1], 0, v18, vcc
	v_cndmask_b32_e32 v18, 0, v85, vcc
	v_add_f64 v[55:56], v[55:56], v[61:62]
	v_add_f64 v[61:62], v[65:66], -v[17:18]
	v_add_f64 v[65:66], v[61:62], v[55:56]
	v_add_f64 v[61:62], v[65:66], -v[61:62]
	v_add_f64 v[55:56], v[55:56], -v[61:62]
	v_mul_f64 v[61:62], v[65:66], s[86:87]
	v_fma_f64 v[67:68], v[65:66], s[86:87], -v[61:62]
	v_fma_f64 v[65:66], v[65:66], s[90:91], v[67:68]
	v_fma_f64 v[65:66], v[55:56], s[86:87], v[65:66]
	v_add_f64 v[55:56], v[61:62], v[65:66]
	v_add_f64 v[61:62], v[55:56], -v[61:62]
	v_add_f64 v[61:62], v[65:66], -v[61:62]
	s_andn2_saveexec_b64 s[0:1], s[40:41]
	s_cbranch_execz .LBB143_3
	s_branch .LBB143_51
.LBB143_50:                             ;   in Loop: Header=BB143_4 Depth=1
	s_andn2_saveexec_b64 s[0:1], s[40:41]
	s_cbranch_execz .LBB143_3
.LBB143_51:                             ;   in Loop: Header=BB143_4 Depth=1
	s_mov_b32 s2, 0x6dc9c883
	s_mov_b32 s3, 0x3fe45f30
	v_mul_f64 v[55:56], |v[3:4]|, s[2:3]
	s_mov_b32 s88, s22
	s_mov_b32 s2, 0x252049c0
	;; [unrolled: 1-line block ×3, first 2 shown]
	v_rndne_f64_e32 v[65:66], v[55:56]
	v_fma_f64 v[55:56], v[65:66], s[18:19], |v[3:4]|
	v_mul_f64 v[61:62], v[65:66], s[22:23]
	v_cvt_i32_f64_e32 v98, v[65:66]
	v_fma_f64 v[103:104], v[65:66], s[22:23], v[55:56]
	v_add_f64 v[67:68], v[55:56], v[61:62]
	v_add_f64 v[101:102], v[55:56], -v[67:68]
	v_add_f64 v[67:68], v[67:68], -v[103:104]
	v_add_f64 v[55:56], v[101:102], v[61:62]
	v_fma_f64 v[61:62], v[65:66], s[88:89], v[61:62]
	v_add_f64 v[55:56], v[67:68], v[55:56]
	v_add_f64 v[55:56], v[55:56], -v[61:62]
	v_fma_f64 v[61:62], v[65:66], s[2:3], v[55:56]
	v_add_f64 v[55:56], v[103:104], v[61:62]
	v_add_f64 v[67:68], v[55:56], -v[103:104]
	v_add_f64 v[61:62], v[61:62], -v[67:68]
	s_branch .LBB143_3
.LBB143_52:
	v_readlane_b32 s0, v125, 11
	v_readlane_b32 s1, v125, 12
	s_or_b64 exec, exec, s[0:1]
	v_readlane_b32 s4, v125, 9
	s_mov_b64 s[0:1], 0
	v_readlane_b32 s5, v125, 10
.LBB143_53:
	s_andn2_b64 vcc, exec, s[0:1]
	s_cbranch_vccnz .LBB143_121
; %bb.54:
	v_readlane_b32 s0, v125, 4
	v_readlane_b32 s1, v125, 5
	v_cmp_lt_i64_e64 s[0:1], s[0:1], 1
	s_and_b64 vcc, exec, s[0:1]
	s_cbranch_vccnz .LBB143_121
; %bb.55:
	v_mov_b32_e32 v1, 0x10000
	v_readlane_b32 s6, v125, 4
	s_load_dword s2, s[4:5], 0xc5c
	v_mov_b32_e32 v2, 0
	v_readlane_b32 s7, v125, 5
	v_cmp_lt_i64_e32 vcc, s[6:7], v[1:2]
	s_mov_b32 s18, 0x54442d18
	s_and_b64 s[0:1], vcc, exec
	v_cmp_lt_u64_e32 vcc, s[6:7], v[1:2]
	s_cselect_b32 s15, s7, 0
	s_cselect_b32 s14, s6, 0x10000
	s_waitcnt lgkmcnt(0)
	s_and_b32 s33, s2, 0xffff
	s_and_b64 s[0:1], vcc, exec
	s_cselect_b32 s17, s7, 0
	s_cselect_b32 s16, s6, 0x10000
	s_mov_b32 s20, 0x6dc9c883
	s_mov_b32 s22, 0x33145c00
	;; [unrolled: 1-line block ×16, first 2 shown]
	s_lshl_b32 s0, s33, 1
	s_mov_b32 s78, 0
	s_mov_b32 s80, 0
	;; [unrolled: 1-line block ×4, first 2 shown]
	v_mov_b32_e32 v17, 0
	s_mov_b32 s19, 0xbff921fb
	s_mov_b32 s21, 0x3fe45f30
	;; [unrolled: 1-line block ×17, first 2 shown]
	v_mov_b32_e32 v93, 0x40100000
	v_mov_b32_e32 v94, 0x3ff00000
	v_mov_b32_e32 v19, 0xfca7ab0c
	v_mov_b32_e32 v20, 0x3e928af3
	v_mov_b32_e32 v95, 0x7ff00000
	v_mov_b32_e32 v96, 0x7fe00000
	v_mov_b32_e32 v21, 0x2a1b768b
	v_mov_b32_e32 v22, 0x3e5af4eb
	v_mov_b32_e32 v97, 0xbff00000
	v_mov_b32_e32 v98, 0x7ff80000
	v_writelane_b32 v125, s0, 6
	s_lshl_b32 s0, s33, 2
	s_movk_i32 s68, 0xff80
	s_movk_i32 s69, 0x1f8
	s_mov_b64 s[76:77], 0
	s_mov_b32 s79, 0x41d00000
	s_mov_b32 s81, 0x7b000000
	;; [unrolled: 1-line block ×17, first 2 shown]
	v_writelane_b32 v125, s0, 8
	s_branch .LBB143_57
.LBB143_56:                             ;   in Loop: Header=BB143_57 Depth=1
	s_or_b64 exec, exec, s[4:5]
	v_readlane_b32 s0, v125, 8
	s_add_u32 s76, s76, s0
	v_mov_b32_e32 v1, s14
	s_addc_u32 s77, s77, 0
	v_mov_b32_e32 v2, s15
	v_cmp_ge_i64_e32 vcc, s[76:77], v[1:2]
	s_cbranch_vccnz .LBB143_121
.LBB143_57:                             ; =>This Inner Loop Header: Depth=1
	v_mov_b32_e32 v1, s77
	v_add_co_u32_e32 v29, vcc, s76, v0
	v_addc_co_u32_e32 v30, vcc, 0, v1, vcc
	v_cmp_gt_u64_e64 s[4:5], s[16:17], v[29:30]
	v_mov_b32_e32 v11, 0
	v_mov_b32_e32 v15, 0
	;; [unrolled: 1-line block ×6, first 2 shown]
	s_and_saveexec_b64 s[0:1], s[4:5]
	s_cbranch_execz .LBB143_59
; %bb.58:                               ;   in Loop: Header=BB143_57 Depth=1
	v_lshlrev_b64 v[1:2], 4, v[29:30]
	v_readlane_b32 s2, v125, 0
	v_readlane_b32 s3, v125, 1
	v_mov_b32_e32 v3, s3
	v_add_co_u32_e32 v1, vcc, s2, v1
	v_addc_co_u32_e32 v2, vcc, v3, v2, vcc
	global_load_dwordx4 v[13:16], v[1:2], off
.LBB143_59:                             ;   in Loop: Header=BB143_57 Depth=1
	s_or_b64 exec, exec, s[0:1]
	v_add_co_u32_e32 v27, vcc, s33, v29
	v_addc_co_u32_e32 v28, vcc, 0, v30, vcc
	v_cmp_gt_u64_e64 s[2:3], s[16:17], v[27:28]
	v_mov_b32_e32 v9, 0
	v_mov_b32_e32 v10, 0
	s_and_saveexec_b64 s[0:1], s[2:3]
	s_cbranch_execz .LBB143_61
; %bb.60:                               ;   in Loop: Header=BB143_57 Depth=1
	v_lshlrev_b64 v[1:2], 4, v[27:28]
	v_readlane_b32 s6, v125, 0
	v_readlane_b32 s7, v125, 1
	v_mov_b32_e32 v3, s7
	v_add_co_u32_e32 v1, vcc, s6, v1
	v_addc_co_u32_e32 v2, vcc, v3, v2, vcc
	global_load_dwordx4 v[9:12], v[1:2], off
.LBB143_61:                             ;   in Loop: Header=BB143_57 Depth=1
	s_or_b64 exec, exec, s[0:1]
	v_readlane_b32 s0, v125, 6
	v_add_co_u32_e32 v25, vcc, s0, v29
	v_addc_co_u32_e32 v26, vcc, 0, v30, vcc
	v_cmp_gt_u64_e64 s[0:1], s[16:17], v[25:26]
	v_mov_b32_e32 v3, 0
	v_mov_b32_e32 v7, 0
	;; [unrolled: 1-line block ×6, first 2 shown]
	s_and_saveexec_b64 s[6:7], s[0:1]
	s_cbranch_execz .LBB143_63
; %bb.62:                               ;   in Loop: Header=BB143_57 Depth=1
	v_lshlrev_b64 v[1:2], 4, v[25:26]
	v_readlane_b32 s8, v125, 0
	v_readlane_b32 s9, v125, 1
	v_mov_b32_e32 v5, s9
	v_add_co_u32_e32 v1, vcc, s8, v1
	v_addc_co_u32_e32 v2, vcc, v5, v2, vcc
	global_load_dwordx4 v[5:8], v[1:2], off
.LBB143_63:                             ;   in Loop: Header=BB143_57 Depth=1
	s_or_b64 exec, exec, s[6:7]
	s_mul_i32 s6, s33, 3
	v_add_co_u32_e32 v23, vcc, s6, v29
	v_addc_co_u32_e32 v24, vcc, 0, v30, vcc
	v_cmp_gt_u64_e32 vcc, s[16:17], v[23:24]
	v_mov_b32_e32 v1, 0
	v_mov_b32_e32 v2, 0
	s_and_saveexec_b64 s[8:9], vcc
	s_cbranch_execz .LBB143_65
; %bb.64:                               ;   in Loop: Header=BB143_57 Depth=1
	v_lshlrev_b64 v[1:2], 4, v[23:24]
	v_readlane_b32 s6, v125, 0
	v_readlane_b32 s7, v125, 1
	v_mov_b32_e32 v3, s7
	v_add_co_u32_e64 v1, s[6:7], s6, v1
	v_addc_co_u32_e64 v2, s[6:7], v3, v2, s[6:7]
	global_load_dwordx4 v[1:4], v[1:2], off
.LBB143_65:                             ;   in Loop: Header=BB143_57 Depth=1
	s_or_b64 exec, exec, s[8:9]
	s_waitcnt vmcnt(0)
	v_mul_f64 v[37:38], v[15:16], 0.5
                                        ; implicit-def: $vgpr102
                                        ; implicit-def: $vgpr47_vgpr48
                                        ; implicit-def: $vgpr49_vgpr50
	v_cmp_nlt_f64_e64 s[6:7], |v[37:38]|, s[78:79]
	s_and_saveexec_b64 s[8:9], s[6:7]
	s_xor_b64 s[60:61], exec, s[8:9]
	s_cbranch_execz .LBB143_67
; %bb.66:                               ;   in Loop: Header=BB143_57 Depth=1
	v_trig_preop_f64 v[31:32], |v[37:38]|, 0
	v_cmp_ge_f64_e64 s[6:7], |v[37:38]|, s[80:81]
	v_ldexp_f64 v[35:36], |v[37:38]|, s68
	v_trig_preop_f64 v[33:34], |v[37:38]|, 1
	v_and_b32_e32 v18, 0x7fffffff, v38
	s_mov_b32 s84, s18
	s_mov_b32 s89, s87
	v_cndmask_b32_e64 v36, v18, v36, s[6:7]
	v_cndmask_b32_e64 v35, v37, v35, s[6:7]
	v_mul_f64 v[41:42], v[31:32], v[35:36]
	v_mul_f64 v[39:40], v[33:34], v[35:36]
	v_fma_f64 v[31:32], v[31:32], v[35:36], -v[41:42]
	v_fma_f64 v[33:34], v[33:34], v[35:36], -v[39:40]
	v_add_f64 v[43:44], v[39:40], v[31:32]
	v_add_f64 v[51:52], v[43:44], -v[39:40]
	v_add_f64 v[45:46], v[41:42], v[43:44]
	v_add_f64 v[31:32], v[31:32], -v[51:52]
	v_add_f64 v[51:52], v[43:44], -v[51:52]
	v_ldexp_f64 v[47:48], v[45:46], -2
	v_add_f64 v[41:42], v[45:46], -v[41:42]
	v_add_f64 v[51:52], v[39:40], -v[51:52]
	v_trig_preop_f64 v[39:40], |v[37:38]|, 2
	v_fract_f64_e32 v[49:50], v[47:48]
	v_add_f64 v[41:42], v[43:44], -v[41:42]
	v_cmp_neq_f64_e64 s[6:7], |v[47:48]|, s[82:83]
	v_add_f64 v[31:32], v[31:32], v[51:52]
	v_mul_f64 v[51:52], v[39:40], v[35:36]
	v_add_f64 v[53:54], v[51:52], v[33:34]
	v_add_f64 v[55:56], v[53:54], v[31:32]
	v_add_f64 v[45:46], v[55:56], -v[53:54]
	v_add_f64 v[43:44], v[41:42], v[55:56]
	v_add_f64 v[31:32], v[31:32], -v[45:46]
	v_add_f64 v[45:46], v[55:56], -v[45:46]
	;; [unrolled: 1-line block ×5, first 2 shown]
	v_add_f64 v[31:32], v[31:32], v[45:46]
	v_add_f64 v[45:46], v[53:54], -v[51:52]
	v_add_f64 v[33:34], v[33:34], -v[45:46]
	;; [unrolled: 1-line block ×4, first 2 shown]
	v_add_f64 v[33:34], v[33:34], v[45:46]
	v_add_f64 v[31:32], v[33:34], v[31:32]
	v_fma_f64 v[33:34], v[39:40], v[35:36], -v[51:52]
	v_add_f64 v[31:32], v[33:34], v[31:32]
	v_ldexp_f64 v[33:34], v[49:50], 2
	v_add_f64 v[31:32], v[41:42], v[31:32]
	v_cndmask_b32_e64 v34, 0, v34, s[6:7]
	v_cndmask_b32_e64 v33, 0, v33, s[6:7]
	v_add_f64 v[35:36], v[43:44], v[33:34]
	v_cmp_gt_f64_e64 s[6:7], 0, v[35:36]
	v_cndmask_b32_e64 v18, 0, v93, s[6:7]
	v_add_f64 v[33:34], v[33:34], v[17:18]
	v_add_f64 v[35:36], v[43:44], v[33:34]
	v_cvt_i32_f64_e32 v18, v[35:36]
	v_cvt_f64_i32_e32 v[35:36], v18
	v_add_f64 v[33:34], v[33:34], -v[35:36]
	v_add_f64 v[35:36], v[43:44], v[33:34]
	v_add_f64 v[33:34], v[35:36], -v[33:34]
	v_cmp_le_f64_e64 s[6:7], 0.5, v[35:36]
	v_add_f64 v[33:34], v[43:44], -v[33:34]
	v_addc_co_u32_e64 v102, s[8:9], 0, v18, s[6:7]
	v_cndmask_b32_e64 v18, 0, v94, s[6:7]
	v_add_f64 v[31:32], v[31:32], v[33:34]
	v_add_f64 v[33:34], v[35:36], -v[17:18]
	v_add_f64 v[35:36], v[33:34], v[31:32]
	v_add_f64 v[33:34], v[35:36], -v[33:34]
	v_add_f64 v[31:32], v[31:32], -v[33:34]
	v_mul_f64 v[33:34], v[35:36], s[84:85]
	v_fma_f64 v[39:40], v[35:36], s[84:85], -v[33:34]
	v_fma_f64 v[35:36], v[35:36], s[88:89], v[39:40]
	v_fma_f64 v[31:32], v[31:32], s[84:85], v[35:36]
	v_add_f64 v[47:48], v[33:34], v[31:32]
	v_add_f64 v[33:34], v[47:48], -v[33:34]
	v_add_f64 v[49:50], v[31:32], -v[33:34]
.LBB143_67:                             ;   in Loop: Header=BB143_57 Depth=1
	s_andn2_saveexec_b64 s[6:7], s[60:61]
	s_cbranch_execz .LBB143_69
; %bb.68:                               ;   in Loop: Header=BB143_57 Depth=1
	v_mul_f64 v[31:32], |v[37:38]|, s[20:21]
	s_mov_b32 s86, s22
	v_rndne_f64_e32 v[31:32], v[31:32]
	v_fma_f64 v[33:34], v[31:32], s[18:19], |v[37:38]|
	v_mul_f64 v[35:36], v[31:32], s[22:23]
	v_cvt_i32_f64_e32 v102, v[31:32]
	v_add_f64 v[39:40], v[33:34], v[35:36]
	v_add_f64 v[41:42], v[33:34], -v[39:40]
	v_fma_f64 v[33:34], v[31:32], s[22:23], v[33:34]
	v_add_f64 v[41:42], v[41:42], v[35:36]
	v_add_f64 v[39:40], v[39:40], -v[33:34]
	v_fma_f64 v[35:36], v[31:32], s[86:87], v[35:36]
	v_add_f64 v[39:40], v[39:40], v[41:42]
	v_add_f64 v[35:36], v[39:40], -v[35:36]
	v_fma_f64 v[35:36], v[31:32], s[24:25], v[35:36]
	v_add_f64 v[47:48], v[33:34], v[35:36]
	v_add_f64 v[33:34], v[47:48], -v[33:34]
	v_add_f64 v[49:50], v[35:36], -v[33:34]
.LBB143_69:                             ;   in Loop: Header=BB143_57 Depth=1
	s_or_b64 exec, exec, s[6:7]
	v_cmp_nlt_f64_e64 s[60:61], |v[15:16]|, s[78:79]
                                        ; implicit-def: $vgpr110
                                        ; implicit-def: $vgpr83_vgpr84
                                        ; implicit-def: $vgpr85_vgpr86
	s_and_saveexec_b64 s[6:7], s[60:61]
	s_xor_b64 s[50:51], exec, s[6:7]
	s_cbranch_execz .LBB143_71
; %bb.70:                               ;   in Loop: Header=BB143_57 Depth=1
	v_trig_preop_f64 v[31:32], |v[15:16]|, 0
	v_cmp_ge_f64_e64 s[6:7], |v[15:16]|, s[80:81]
	v_ldexp_f64 v[35:36], |v[15:16]|, s68
	v_trig_preop_f64 v[33:34], |v[15:16]|, 1
	v_and_b32_e32 v18, 0x7fffffff, v16
	s_mov_b32 s84, s18
	s_mov_b32 s89, s87
	v_cndmask_b32_e64 v36, v18, v36, s[6:7]
	v_cndmask_b32_e64 v35, v15, v35, s[6:7]
	v_mul_f64 v[41:42], v[31:32], v[35:36]
	v_mul_f64 v[39:40], v[33:34], v[35:36]
	v_fma_f64 v[31:32], v[31:32], v[35:36], -v[41:42]
	v_fma_f64 v[33:34], v[33:34], v[35:36], -v[39:40]
	v_add_f64 v[43:44], v[39:40], v[31:32]
	v_add_f64 v[55:56], v[43:44], -v[39:40]
	v_add_f64 v[45:46], v[41:42], v[43:44]
	v_add_f64 v[31:32], v[31:32], -v[55:56]
	v_add_f64 v[55:56], v[43:44], -v[55:56]
	v_ldexp_f64 v[51:52], v[45:46], -2
	v_add_f64 v[41:42], v[45:46], -v[41:42]
	v_add_f64 v[55:56], v[39:40], -v[55:56]
	v_trig_preop_f64 v[39:40], |v[15:16]|, 2
	v_fract_f64_e32 v[53:54], v[51:52]
	v_add_f64 v[41:42], v[43:44], -v[41:42]
	v_cmp_neq_f64_e64 s[6:7], |v[51:52]|, s[82:83]
	v_add_f64 v[31:32], v[31:32], v[55:56]
	v_mul_f64 v[55:56], v[39:40], v[35:36]
	v_add_f64 v[57:58], v[55:56], v[33:34]
	v_add_f64 v[59:60], v[57:58], v[31:32]
	v_add_f64 v[45:46], v[59:60], -v[57:58]
	v_add_f64 v[43:44], v[41:42], v[59:60]
	v_add_f64 v[31:32], v[31:32], -v[45:46]
	v_add_f64 v[45:46], v[59:60], -v[45:46]
	;; [unrolled: 1-line block ×5, first 2 shown]
	v_add_f64 v[31:32], v[31:32], v[45:46]
	v_add_f64 v[45:46], v[57:58], -v[55:56]
	v_add_f64 v[33:34], v[33:34], -v[45:46]
	;; [unrolled: 1-line block ×4, first 2 shown]
	v_add_f64 v[33:34], v[33:34], v[45:46]
	v_add_f64 v[31:32], v[33:34], v[31:32]
	v_fma_f64 v[33:34], v[39:40], v[35:36], -v[55:56]
	v_add_f64 v[31:32], v[33:34], v[31:32]
	v_ldexp_f64 v[33:34], v[53:54], 2
	v_add_f64 v[31:32], v[41:42], v[31:32]
	v_cndmask_b32_e64 v34, 0, v34, s[6:7]
	v_cndmask_b32_e64 v33, 0, v33, s[6:7]
	v_add_f64 v[35:36], v[43:44], v[33:34]
	v_cmp_gt_f64_e64 s[6:7], 0, v[35:36]
	v_cndmask_b32_e64 v18, 0, v93, s[6:7]
	v_add_f64 v[33:34], v[33:34], v[17:18]
	v_add_f64 v[35:36], v[43:44], v[33:34]
	v_cvt_i32_f64_e32 v18, v[35:36]
	v_cvt_f64_i32_e32 v[35:36], v18
	v_add_f64 v[33:34], v[33:34], -v[35:36]
	v_add_f64 v[35:36], v[43:44], v[33:34]
	v_add_f64 v[33:34], v[35:36], -v[33:34]
	v_cmp_le_f64_e64 s[6:7], 0.5, v[35:36]
	v_add_f64 v[33:34], v[43:44], -v[33:34]
	v_addc_co_u32_e64 v110, s[8:9], 0, v18, s[6:7]
	v_cndmask_b32_e64 v18, 0, v94, s[6:7]
	v_add_f64 v[31:32], v[31:32], v[33:34]
	v_add_f64 v[33:34], v[35:36], -v[17:18]
	v_add_f64 v[35:36], v[33:34], v[31:32]
	v_add_f64 v[33:34], v[35:36], -v[33:34]
	v_add_f64 v[31:32], v[31:32], -v[33:34]
	v_mul_f64 v[33:34], v[35:36], s[84:85]
	v_fma_f64 v[39:40], v[35:36], s[84:85], -v[33:34]
	v_fma_f64 v[35:36], v[35:36], s[88:89], v[39:40]
	v_fma_f64 v[31:32], v[31:32], s[84:85], v[35:36]
	v_add_f64 v[83:84], v[33:34], v[31:32]
	v_add_f64 v[33:34], v[83:84], -v[33:34]
	v_add_f64 v[85:86], v[31:32], -v[33:34]
	s_andn2_saveexec_b64 s[6:7], s[50:51]
	s_cbranch_execz .LBB143_73
	s_branch .LBB143_72
.LBB143_71:                             ;   in Loop: Header=BB143_57 Depth=1
	s_andn2_saveexec_b64 s[6:7], s[50:51]
	s_cbranch_execz .LBB143_73
.LBB143_72:                             ;   in Loop: Header=BB143_57 Depth=1
	v_mul_f64 v[31:32], |v[15:16]|, s[20:21]
	s_mov_b32 s86, s22
	v_rndne_f64_e32 v[31:32], v[31:32]
	v_fma_f64 v[33:34], v[31:32], s[18:19], |v[15:16]|
	v_mul_f64 v[35:36], v[31:32], s[22:23]
	v_cvt_i32_f64_e32 v110, v[31:32]
	v_add_f64 v[39:40], v[33:34], v[35:36]
	v_add_f64 v[41:42], v[33:34], -v[39:40]
	v_fma_f64 v[33:34], v[31:32], s[22:23], v[33:34]
	v_add_f64 v[41:42], v[41:42], v[35:36]
	v_add_f64 v[39:40], v[39:40], -v[33:34]
	v_fma_f64 v[35:36], v[31:32], s[86:87], v[35:36]
	;; [unrolled: 3-line block ×3, first 2 shown]
	v_add_f64 v[83:84], v[33:34], v[35:36]
	v_add_f64 v[33:34], v[83:84], -v[33:34]
	v_add_f64 v[85:86], v[35:36], -v[33:34]
.LBB143_73:                             ;   in Loop: Header=BB143_57 Depth=1
	s_or_b64 exec, exec, s[6:7]
                                        ; implicit-def: $vgpr106
                                        ; implicit-def: $vgpr65_vgpr66
                                        ; implicit-def: $vgpr69_vgpr70
	s_and_saveexec_b64 s[6:7], s[60:61]
	s_xor_b64 s[50:51], exec, s[6:7]
	s_cbranch_execz .LBB143_75
; %bb.74:                               ;   in Loop: Header=BB143_57 Depth=1
	v_trig_preop_f64 v[31:32], |v[15:16]|, 0
	v_cmp_ge_f64_e64 s[6:7], |v[15:16]|, s[80:81]
	v_ldexp_f64 v[35:36], |v[15:16]|, s68
	v_trig_preop_f64 v[33:34], |v[15:16]|, 1
	v_and_b32_e32 v18, 0x7fffffff, v16
	s_mov_b32 s84, s18
	s_mov_b32 s89, s87
	v_cndmask_b32_e64 v36, v18, v36, s[6:7]
	v_cndmask_b32_e64 v35, v15, v35, s[6:7]
	v_mul_f64 v[41:42], v[31:32], v[35:36]
	v_mul_f64 v[39:40], v[33:34], v[35:36]
	v_fma_f64 v[31:32], v[31:32], v[35:36], -v[41:42]
	v_fma_f64 v[33:34], v[33:34], v[35:36], -v[39:40]
	v_add_f64 v[43:44], v[39:40], v[31:32]
	v_add_f64 v[55:56], v[43:44], -v[39:40]
	v_add_f64 v[45:46], v[41:42], v[43:44]
	v_add_f64 v[31:32], v[31:32], -v[55:56]
	v_add_f64 v[55:56], v[43:44], -v[55:56]
	v_ldexp_f64 v[51:52], v[45:46], -2
	v_add_f64 v[41:42], v[45:46], -v[41:42]
	v_add_f64 v[55:56], v[39:40], -v[55:56]
	v_trig_preop_f64 v[39:40], |v[15:16]|, 2
	v_fract_f64_e32 v[53:54], v[51:52]
	v_add_f64 v[41:42], v[43:44], -v[41:42]
	v_cmp_neq_f64_e64 s[6:7], |v[51:52]|, s[82:83]
	v_add_f64 v[31:32], v[31:32], v[55:56]
	v_mul_f64 v[55:56], v[39:40], v[35:36]
	v_add_f64 v[57:58], v[55:56], v[33:34]
	v_add_f64 v[59:60], v[57:58], v[31:32]
	v_add_f64 v[45:46], v[59:60], -v[57:58]
	v_add_f64 v[43:44], v[41:42], v[59:60]
	v_add_f64 v[31:32], v[31:32], -v[45:46]
	v_add_f64 v[45:46], v[59:60], -v[45:46]
	;; [unrolled: 1-line block ×5, first 2 shown]
	v_add_f64 v[31:32], v[31:32], v[45:46]
	v_add_f64 v[45:46], v[57:58], -v[55:56]
	v_add_f64 v[33:34], v[33:34], -v[45:46]
	;; [unrolled: 1-line block ×4, first 2 shown]
	v_add_f64 v[33:34], v[33:34], v[45:46]
	v_add_f64 v[31:32], v[33:34], v[31:32]
	v_fma_f64 v[33:34], v[39:40], v[35:36], -v[55:56]
	v_add_f64 v[31:32], v[33:34], v[31:32]
	v_ldexp_f64 v[33:34], v[53:54], 2
	v_add_f64 v[31:32], v[41:42], v[31:32]
	v_cndmask_b32_e64 v34, 0, v34, s[6:7]
	v_cndmask_b32_e64 v33, 0, v33, s[6:7]
	v_add_f64 v[35:36], v[43:44], v[33:34]
	v_cmp_gt_f64_e64 s[6:7], 0, v[35:36]
	v_cndmask_b32_e64 v18, 0, v93, s[6:7]
	v_add_f64 v[33:34], v[33:34], v[17:18]
	v_add_f64 v[35:36], v[43:44], v[33:34]
	v_cvt_i32_f64_e32 v18, v[35:36]
	v_cvt_f64_i32_e32 v[35:36], v18
	v_add_f64 v[33:34], v[33:34], -v[35:36]
	v_add_f64 v[35:36], v[43:44], v[33:34]
	v_add_f64 v[33:34], v[35:36], -v[33:34]
	v_cmp_le_f64_e64 s[6:7], 0.5, v[35:36]
	v_add_f64 v[33:34], v[43:44], -v[33:34]
	v_addc_co_u32_e64 v106, s[8:9], 0, v18, s[6:7]
	v_cndmask_b32_e64 v18, 0, v94, s[6:7]
	v_add_f64 v[31:32], v[31:32], v[33:34]
	v_add_f64 v[33:34], v[35:36], -v[17:18]
	v_add_f64 v[35:36], v[33:34], v[31:32]
	v_add_f64 v[33:34], v[35:36], -v[33:34]
	v_add_f64 v[31:32], v[31:32], -v[33:34]
	v_mul_f64 v[33:34], v[35:36], s[84:85]
	v_fma_f64 v[39:40], v[35:36], s[84:85], -v[33:34]
	v_fma_f64 v[35:36], v[35:36], s[88:89], v[39:40]
	v_fma_f64 v[31:32], v[31:32], s[84:85], v[35:36]
	v_add_f64 v[65:66], v[33:34], v[31:32]
	v_add_f64 v[33:34], v[65:66], -v[33:34]
	v_add_f64 v[69:70], v[31:32], -v[33:34]
	s_andn2_saveexec_b64 s[6:7], s[50:51]
	s_cbranch_execnz .LBB143_76
	s_branch .LBB143_77
.LBB143_75:                             ;   in Loop: Header=BB143_57 Depth=1
	s_andn2_saveexec_b64 s[6:7], s[50:51]
	s_cbranch_execz .LBB143_77
.LBB143_76:                             ;   in Loop: Header=BB143_57 Depth=1
	v_mul_f64 v[31:32], |v[15:16]|, s[20:21]
	s_mov_b32 s86, s22
	v_rndne_f64_e32 v[31:32], v[31:32]
	v_fma_f64 v[33:34], v[31:32], s[18:19], |v[15:16]|
	v_mul_f64 v[35:36], v[31:32], s[22:23]
	v_cvt_i32_f64_e32 v106, v[31:32]
	v_add_f64 v[39:40], v[33:34], v[35:36]
	v_add_f64 v[41:42], v[33:34], -v[39:40]
	v_fma_f64 v[33:34], v[31:32], s[22:23], v[33:34]
	v_add_f64 v[41:42], v[41:42], v[35:36]
	v_add_f64 v[39:40], v[39:40], -v[33:34]
	v_fma_f64 v[35:36], v[31:32], s[86:87], v[35:36]
	;; [unrolled: 3-line block ×3, first 2 shown]
	v_add_f64 v[65:66], v[33:34], v[35:36]
	v_add_f64 v[33:34], v[65:66], -v[33:34]
	v_add_f64 v[69:70], v[35:36], -v[33:34]
.LBB143_77:                             ;   in Loop: Header=BB143_57 Depth=1
	s_or_b64 exec, exec, s[6:7]
	v_mul_f64 v[35:36], v[11:12], 0.5
                                        ; implicit-def: $vgpr101
                                        ; implicit-def: $vgpr51_vgpr52
                                        ; implicit-def: $vgpr53_vgpr54
	v_cmp_nlt_f64_e64 s[6:7], |v[35:36]|, s[78:79]
	s_and_saveexec_b64 s[8:9], s[6:7]
	s_xor_b64 s[50:51], exec, s[8:9]
	s_cbranch_execz .LBB143_79
; %bb.78:                               ;   in Loop: Header=BB143_57 Depth=1
	v_trig_preop_f64 v[31:32], |v[35:36]|, 0
	v_cmp_ge_f64_e64 s[6:7], |v[35:36]|, s[80:81]
	v_ldexp_f64 v[39:40], |v[35:36]|, s68
	v_trig_preop_f64 v[33:34], |v[35:36]|, 1
	v_and_b32_e32 v18, 0x7fffffff, v36
	s_mov_b32 s84, s18
	s_mov_b32 s89, s87
	v_cndmask_b32_e64 v40, v18, v40, s[6:7]
	v_cndmask_b32_e64 v39, v35, v39, s[6:7]
	v_mul_f64 v[43:44], v[31:32], v[39:40]
	v_mul_f64 v[41:42], v[33:34], v[39:40]
	v_fma_f64 v[31:32], v[31:32], v[39:40], -v[43:44]
	v_fma_f64 v[33:34], v[33:34], v[39:40], -v[41:42]
	v_add_f64 v[45:46], v[41:42], v[31:32]
	v_add_f64 v[57:58], v[45:46], -v[41:42]
	v_add_f64 v[51:52], v[43:44], v[45:46]
	v_add_f64 v[31:32], v[31:32], -v[57:58]
	v_add_f64 v[57:58], v[45:46], -v[57:58]
	v_ldexp_f64 v[53:54], v[51:52], -2
	v_add_f64 v[43:44], v[51:52], -v[43:44]
	v_add_f64 v[57:58], v[41:42], -v[57:58]
	v_trig_preop_f64 v[41:42], |v[35:36]|, 2
	v_fract_f64_e32 v[55:56], v[53:54]
	v_add_f64 v[43:44], v[45:46], -v[43:44]
	v_cmp_neq_f64_e64 s[6:7], |v[53:54]|, s[82:83]
	v_add_f64 v[31:32], v[31:32], v[57:58]
	v_mul_f64 v[57:58], v[41:42], v[39:40]
	v_add_f64 v[59:60], v[57:58], v[33:34]
	v_add_f64 v[61:62], v[59:60], v[31:32]
	v_add_f64 v[51:52], v[61:62], -v[59:60]
	v_add_f64 v[45:46], v[43:44], v[61:62]
	v_add_f64 v[31:32], v[31:32], -v[51:52]
	v_add_f64 v[51:52], v[61:62], -v[51:52]
	;; [unrolled: 1-line block ×5, first 2 shown]
	v_add_f64 v[31:32], v[31:32], v[51:52]
	v_add_f64 v[51:52], v[59:60], -v[57:58]
	v_add_f64 v[33:34], v[33:34], -v[51:52]
	;; [unrolled: 1-line block ×4, first 2 shown]
	v_add_f64 v[33:34], v[33:34], v[51:52]
	v_add_f64 v[31:32], v[33:34], v[31:32]
	v_fma_f64 v[33:34], v[41:42], v[39:40], -v[57:58]
	v_add_f64 v[31:32], v[33:34], v[31:32]
	v_ldexp_f64 v[33:34], v[55:56], 2
	v_add_f64 v[31:32], v[43:44], v[31:32]
	v_cndmask_b32_e64 v34, 0, v34, s[6:7]
	v_cndmask_b32_e64 v33, 0, v33, s[6:7]
	v_add_f64 v[39:40], v[45:46], v[33:34]
	v_cmp_gt_f64_e64 s[6:7], 0, v[39:40]
	v_cndmask_b32_e64 v18, 0, v93, s[6:7]
	v_add_f64 v[33:34], v[33:34], v[17:18]
	v_add_f64 v[39:40], v[45:46], v[33:34]
	v_cvt_i32_f64_e32 v18, v[39:40]
	v_cvt_f64_i32_e32 v[39:40], v18
	v_add_f64 v[33:34], v[33:34], -v[39:40]
	v_add_f64 v[39:40], v[45:46], v[33:34]
	v_add_f64 v[33:34], v[39:40], -v[33:34]
	v_cmp_le_f64_e64 s[6:7], 0.5, v[39:40]
	v_add_f64 v[33:34], v[45:46], -v[33:34]
	v_addc_co_u32_e64 v101, s[8:9], 0, v18, s[6:7]
	v_cndmask_b32_e64 v18, 0, v94, s[6:7]
	v_add_f64 v[31:32], v[31:32], v[33:34]
	v_add_f64 v[33:34], v[39:40], -v[17:18]
	v_add_f64 v[39:40], v[33:34], v[31:32]
	v_add_f64 v[33:34], v[39:40], -v[33:34]
	v_add_f64 v[31:32], v[31:32], -v[33:34]
	v_mul_f64 v[33:34], v[39:40], s[84:85]
	v_fma_f64 v[41:42], v[39:40], s[84:85], -v[33:34]
	v_fma_f64 v[39:40], v[39:40], s[88:89], v[41:42]
	v_fma_f64 v[31:32], v[31:32], s[84:85], v[39:40]
	v_add_f64 v[51:52], v[33:34], v[31:32]
	v_add_f64 v[33:34], v[51:52], -v[33:34]
	v_add_f64 v[53:54], v[31:32], -v[33:34]
.LBB143_79:                             ;   in Loop: Header=BB143_57 Depth=1
	s_andn2_saveexec_b64 s[6:7], s[50:51]
	s_cbranch_execz .LBB143_81
; %bb.80:                               ;   in Loop: Header=BB143_57 Depth=1
	v_mul_f64 v[31:32], |v[35:36]|, s[20:21]
	s_mov_b32 s86, s22
	v_rndne_f64_e32 v[31:32], v[31:32]
	v_fma_f64 v[33:34], v[31:32], s[18:19], |v[35:36]|
	v_mul_f64 v[39:40], v[31:32], s[22:23]
	v_cvt_i32_f64_e32 v101, v[31:32]
	v_add_f64 v[41:42], v[33:34], v[39:40]
	v_add_f64 v[43:44], v[33:34], -v[41:42]
	v_fma_f64 v[33:34], v[31:32], s[22:23], v[33:34]
	v_add_f64 v[43:44], v[43:44], v[39:40]
	v_add_f64 v[41:42], v[41:42], -v[33:34]
	v_fma_f64 v[39:40], v[31:32], s[86:87], v[39:40]
	;; [unrolled: 3-line block ×3, first 2 shown]
	v_add_f64 v[51:52], v[33:34], v[39:40]
	v_add_f64 v[33:34], v[51:52], -v[33:34]
	v_add_f64 v[53:54], v[39:40], -v[33:34]
.LBB143_81:                             ;   in Loop: Header=BB143_57 Depth=1
	s_or_b64 exec, exec, s[6:7]
	v_cmp_nlt_f64_e64 s[60:61], |v[11:12]|, s[78:79]
                                        ; implicit-def: $vgpr109
                                        ; implicit-def: $vgpr79_vgpr80
                                        ; implicit-def: $vgpr81_vgpr82
	s_and_saveexec_b64 s[6:7], s[60:61]
	s_xor_b64 s[50:51], exec, s[6:7]
	s_cbranch_execz .LBB143_83
; %bb.82:                               ;   in Loop: Header=BB143_57 Depth=1
	v_trig_preop_f64 v[31:32], |v[11:12]|, 0
	v_cmp_ge_f64_e64 s[6:7], |v[11:12]|, s[80:81]
	v_ldexp_f64 v[39:40], |v[11:12]|, s68
	v_trig_preop_f64 v[33:34], |v[11:12]|, 1
	v_and_b32_e32 v18, 0x7fffffff, v12
	s_mov_b32 s84, s18
	s_mov_b32 s89, s87
	v_cndmask_b32_e64 v40, v18, v40, s[6:7]
	v_cndmask_b32_e64 v39, v11, v39, s[6:7]
	v_mul_f64 v[43:44], v[31:32], v[39:40]
	v_mul_f64 v[41:42], v[33:34], v[39:40]
	v_fma_f64 v[31:32], v[31:32], v[39:40], -v[43:44]
	v_fma_f64 v[33:34], v[33:34], v[39:40], -v[41:42]
	v_add_f64 v[45:46], v[41:42], v[31:32]
	v_add_f64 v[61:62], v[45:46], -v[41:42]
	v_add_f64 v[55:56], v[43:44], v[45:46]
	v_add_f64 v[31:32], v[31:32], -v[61:62]
	v_add_f64 v[61:62], v[45:46], -v[61:62]
	v_ldexp_f64 v[57:58], v[55:56], -2
	v_add_f64 v[43:44], v[55:56], -v[43:44]
	v_add_f64 v[61:62], v[41:42], -v[61:62]
	v_trig_preop_f64 v[41:42], |v[11:12]|, 2
	v_fract_f64_e32 v[59:60], v[57:58]
	v_add_f64 v[43:44], v[45:46], -v[43:44]
	v_cmp_neq_f64_e64 s[6:7], |v[57:58]|, s[82:83]
	v_add_f64 v[31:32], v[31:32], v[61:62]
	v_mul_f64 v[61:62], v[41:42], v[39:40]
	v_add_f64 v[63:64], v[61:62], v[33:34]
	v_add_f64 v[67:68], v[63:64], v[31:32]
	v_add_f64 v[55:56], v[67:68], -v[63:64]
	v_add_f64 v[45:46], v[43:44], v[67:68]
	v_add_f64 v[31:32], v[31:32], -v[55:56]
	v_add_f64 v[55:56], v[67:68], -v[55:56]
	;; [unrolled: 1-line block ×5, first 2 shown]
	v_add_f64 v[31:32], v[31:32], v[55:56]
	v_add_f64 v[55:56], v[63:64], -v[61:62]
	v_add_f64 v[33:34], v[33:34], -v[55:56]
	;; [unrolled: 1-line block ×4, first 2 shown]
	v_add_f64 v[33:34], v[33:34], v[55:56]
	v_add_f64 v[31:32], v[33:34], v[31:32]
	v_fma_f64 v[33:34], v[41:42], v[39:40], -v[61:62]
	v_add_f64 v[31:32], v[33:34], v[31:32]
	v_ldexp_f64 v[33:34], v[59:60], 2
	v_add_f64 v[31:32], v[43:44], v[31:32]
	v_cndmask_b32_e64 v34, 0, v34, s[6:7]
	v_cndmask_b32_e64 v33, 0, v33, s[6:7]
	v_add_f64 v[39:40], v[45:46], v[33:34]
	v_cmp_gt_f64_e64 s[6:7], 0, v[39:40]
	v_cndmask_b32_e64 v18, 0, v93, s[6:7]
	v_add_f64 v[33:34], v[33:34], v[17:18]
	v_add_f64 v[39:40], v[45:46], v[33:34]
	v_cvt_i32_f64_e32 v18, v[39:40]
	v_cvt_f64_i32_e32 v[39:40], v18
	v_add_f64 v[33:34], v[33:34], -v[39:40]
	v_add_f64 v[39:40], v[45:46], v[33:34]
	v_add_f64 v[33:34], v[39:40], -v[33:34]
	v_cmp_le_f64_e64 s[6:7], 0.5, v[39:40]
	v_add_f64 v[33:34], v[45:46], -v[33:34]
	v_addc_co_u32_e64 v109, s[8:9], 0, v18, s[6:7]
	v_cndmask_b32_e64 v18, 0, v94, s[6:7]
	v_add_f64 v[31:32], v[31:32], v[33:34]
	v_add_f64 v[33:34], v[39:40], -v[17:18]
	v_add_f64 v[39:40], v[33:34], v[31:32]
	v_add_f64 v[33:34], v[39:40], -v[33:34]
	v_add_f64 v[31:32], v[31:32], -v[33:34]
	v_mul_f64 v[33:34], v[39:40], s[84:85]
	v_fma_f64 v[41:42], v[39:40], s[84:85], -v[33:34]
	v_fma_f64 v[39:40], v[39:40], s[88:89], v[41:42]
	v_fma_f64 v[31:32], v[31:32], s[84:85], v[39:40]
	v_add_f64 v[79:80], v[33:34], v[31:32]
	v_add_f64 v[33:34], v[79:80], -v[33:34]
	v_add_f64 v[81:82], v[31:32], -v[33:34]
	s_andn2_saveexec_b64 s[6:7], s[50:51]
	s_cbranch_execz .LBB143_85
	s_branch .LBB143_84
.LBB143_83:                             ;   in Loop: Header=BB143_57 Depth=1
	s_andn2_saveexec_b64 s[6:7], s[50:51]
	s_cbranch_execz .LBB143_85
.LBB143_84:                             ;   in Loop: Header=BB143_57 Depth=1
	v_mul_f64 v[31:32], |v[11:12]|, s[20:21]
	s_mov_b32 s86, s22
	v_rndne_f64_e32 v[31:32], v[31:32]
	v_fma_f64 v[33:34], v[31:32], s[18:19], |v[11:12]|
	v_mul_f64 v[39:40], v[31:32], s[22:23]
	v_cvt_i32_f64_e32 v109, v[31:32]
	v_add_f64 v[41:42], v[33:34], v[39:40]
	v_add_f64 v[43:44], v[33:34], -v[41:42]
	v_fma_f64 v[33:34], v[31:32], s[22:23], v[33:34]
	v_add_f64 v[43:44], v[43:44], v[39:40]
	v_add_f64 v[41:42], v[41:42], -v[33:34]
	v_fma_f64 v[39:40], v[31:32], s[86:87], v[39:40]
	;; [unrolled: 3-line block ×3, first 2 shown]
	v_add_f64 v[79:80], v[33:34], v[39:40]
	v_add_f64 v[33:34], v[79:80], -v[33:34]
	v_add_f64 v[81:82], v[39:40], -v[33:34]
.LBB143_85:                             ;   in Loop: Header=BB143_57 Depth=1
	s_or_b64 exec, exec, s[6:7]
                                        ; implicit-def: $vgpr105
                                        ; implicit-def: $vgpr61_vgpr62
                                        ; implicit-def: $vgpr67_vgpr68
	s_and_saveexec_b64 s[6:7], s[60:61]
	s_xor_b64 s[50:51], exec, s[6:7]
	s_cbranch_execz .LBB143_87
; %bb.86:                               ;   in Loop: Header=BB143_57 Depth=1
	v_trig_preop_f64 v[31:32], |v[11:12]|, 0
	v_cmp_ge_f64_e64 s[6:7], |v[11:12]|, s[80:81]
	v_ldexp_f64 v[39:40], |v[11:12]|, s68
	v_trig_preop_f64 v[33:34], |v[11:12]|, 1
	v_and_b32_e32 v18, 0x7fffffff, v12
	s_mov_b32 s84, s18
	s_mov_b32 s89, s87
	v_cndmask_b32_e64 v40, v18, v40, s[6:7]
	v_cndmask_b32_e64 v39, v11, v39, s[6:7]
	v_mul_f64 v[43:44], v[31:32], v[39:40]
	v_mul_f64 v[41:42], v[33:34], v[39:40]
	v_fma_f64 v[31:32], v[31:32], v[39:40], -v[43:44]
	v_fma_f64 v[33:34], v[33:34], v[39:40], -v[41:42]
	v_add_f64 v[45:46], v[41:42], v[31:32]
	v_add_f64 v[61:62], v[45:46], -v[41:42]
	v_add_f64 v[55:56], v[43:44], v[45:46]
	v_add_f64 v[31:32], v[31:32], -v[61:62]
	v_add_f64 v[61:62], v[45:46], -v[61:62]
	v_ldexp_f64 v[57:58], v[55:56], -2
	v_add_f64 v[43:44], v[55:56], -v[43:44]
	v_add_f64 v[61:62], v[41:42], -v[61:62]
	v_trig_preop_f64 v[41:42], |v[11:12]|, 2
	v_fract_f64_e32 v[59:60], v[57:58]
	v_add_f64 v[43:44], v[45:46], -v[43:44]
	v_cmp_neq_f64_e64 s[6:7], |v[57:58]|, s[82:83]
	v_add_f64 v[31:32], v[31:32], v[61:62]
	v_mul_f64 v[61:62], v[41:42], v[39:40]
	v_add_f64 v[63:64], v[61:62], v[33:34]
	v_add_f64 v[67:68], v[63:64], v[31:32]
	v_add_f64 v[55:56], v[67:68], -v[63:64]
	v_add_f64 v[45:46], v[43:44], v[67:68]
	v_add_f64 v[31:32], v[31:32], -v[55:56]
	v_add_f64 v[55:56], v[67:68], -v[55:56]
	;; [unrolled: 1-line block ×5, first 2 shown]
	v_add_f64 v[31:32], v[31:32], v[55:56]
	v_add_f64 v[55:56], v[63:64], -v[61:62]
	v_add_f64 v[33:34], v[33:34], -v[55:56]
	v_add_f64 v[55:56], v[63:64], -v[55:56]
	v_add_f64 v[55:56], v[61:62], -v[55:56]
	v_add_f64 v[33:34], v[33:34], v[55:56]
	v_add_f64 v[31:32], v[33:34], v[31:32]
	v_fma_f64 v[33:34], v[41:42], v[39:40], -v[61:62]
	v_add_f64 v[31:32], v[33:34], v[31:32]
	v_ldexp_f64 v[33:34], v[59:60], 2
	v_add_f64 v[31:32], v[43:44], v[31:32]
	v_cndmask_b32_e64 v34, 0, v34, s[6:7]
	v_cndmask_b32_e64 v33, 0, v33, s[6:7]
	v_add_f64 v[39:40], v[45:46], v[33:34]
	v_cmp_gt_f64_e64 s[6:7], 0, v[39:40]
	v_cndmask_b32_e64 v18, 0, v93, s[6:7]
	v_add_f64 v[33:34], v[33:34], v[17:18]
	v_add_f64 v[39:40], v[45:46], v[33:34]
	v_cvt_i32_f64_e32 v18, v[39:40]
	v_cvt_f64_i32_e32 v[39:40], v18
	v_add_f64 v[33:34], v[33:34], -v[39:40]
	v_add_f64 v[39:40], v[45:46], v[33:34]
	v_add_f64 v[33:34], v[39:40], -v[33:34]
	v_cmp_le_f64_e64 s[6:7], 0.5, v[39:40]
	v_add_f64 v[33:34], v[45:46], -v[33:34]
	v_addc_co_u32_e64 v105, s[8:9], 0, v18, s[6:7]
	v_cndmask_b32_e64 v18, 0, v94, s[6:7]
	v_add_f64 v[31:32], v[31:32], v[33:34]
	v_add_f64 v[33:34], v[39:40], -v[17:18]
	v_add_f64 v[39:40], v[33:34], v[31:32]
	v_add_f64 v[33:34], v[39:40], -v[33:34]
	v_add_f64 v[31:32], v[31:32], -v[33:34]
	v_mul_f64 v[33:34], v[39:40], s[84:85]
	v_fma_f64 v[41:42], v[39:40], s[84:85], -v[33:34]
	v_fma_f64 v[39:40], v[39:40], s[88:89], v[41:42]
	v_fma_f64 v[31:32], v[31:32], s[84:85], v[39:40]
	v_add_f64 v[61:62], v[33:34], v[31:32]
	v_add_f64 v[33:34], v[61:62], -v[33:34]
	v_add_f64 v[67:68], v[31:32], -v[33:34]
	s_andn2_saveexec_b64 s[6:7], s[50:51]
	s_cbranch_execnz .LBB143_88
	s_branch .LBB143_89
.LBB143_87:                             ;   in Loop: Header=BB143_57 Depth=1
	s_andn2_saveexec_b64 s[6:7], s[50:51]
	s_cbranch_execz .LBB143_89
.LBB143_88:                             ;   in Loop: Header=BB143_57 Depth=1
	v_mul_f64 v[31:32], |v[11:12]|, s[20:21]
	s_mov_b32 s86, s22
	v_rndne_f64_e32 v[31:32], v[31:32]
	v_fma_f64 v[33:34], v[31:32], s[18:19], |v[11:12]|
	v_mul_f64 v[39:40], v[31:32], s[22:23]
	v_cvt_i32_f64_e32 v105, v[31:32]
	v_add_f64 v[41:42], v[33:34], v[39:40]
	v_add_f64 v[43:44], v[33:34], -v[41:42]
	v_fma_f64 v[33:34], v[31:32], s[22:23], v[33:34]
	v_add_f64 v[43:44], v[43:44], v[39:40]
	v_add_f64 v[41:42], v[41:42], -v[33:34]
	v_fma_f64 v[39:40], v[31:32], s[86:87], v[39:40]
	;; [unrolled: 3-line block ×3, first 2 shown]
	v_add_f64 v[61:62], v[33:34], v[39:40]
	v_add_f64 v[33:34], v[61:62], -v[33:34]
	v_add_f64 v[67:68], v[39:40], -v[33:34]
.LBB143_89:                             ;   in Loop: Header=BB143_57 Depth=1
	s_or_b64 exec, exec, s[6:7]
	v_mul_f64 v[33:34], v[7:8], 0.5
                                        ; implicit-def: $vgpr100
                                        ; implicit-def: $vgpr43_vgpr44
                                        ; implicit-def: $vgpr45_vgpr46
	v_cmp_nlt_f64_e64 s[6:7], |v[33:34]|, s[78:79]
	s_and_saveexec_b64 s[8:9], s[6:7]
	s_xor_b64 s[50:51], exec, s[8:9]
	s_cbranch_execz .LBB143_91
; %bb.90:                               ;   in Loop: Header=BB143_57 Depth=1
	v_trig_preop_f64 v[31:32], |v[33:34]|, 0
	v_cmp_ge_f64_e64 s[6:7], |v[33:34]|, s[80:81]
	v_ldexp_f64 v[41:42], |v[33:34]|, s68
	v_trig_preop_f64 v[39:40], |v[33:34]|, 1
	v_and_b32_e32 v18, 0x7fffffff, v34
	s_mov_b32 s84, s18
	s_mov_b32 s89, s87
	v_cndmask_b32_e64 v42, v18, v42, s[6:7]
	v_cndmask_b32_e64 v41, v33, v41, s[6:7]
	v_mul_f64 v[45:46], v[31:32], v[41:42]
	v_mul_f64 v[43:44], v[39:40], v[41:42]
	v_fma_f64 v[31:32], v[31:32], v[41:42], -v[45:46]
	v_fma_f64 v[39:40], v[39:40], v[41:42], -v[43:44]
	v_add_f64 v[55:56], v[43:44], v[31:32]
	v_add_f64 v[71:72], v[55:56], -v[43:44]
	v_add_f64 v[57:58], v[45:46], v[55:56]
	v_add_f64 v[31:32], v[31:32], -v[71:72]
	v_add_f64 v[71:72], v[55:56], -v[71:72]
	v_ldexp_f64 v[59:60], v[57:58], -2
	v_add_f64 v[45:46], v[57:58], -v[45:46]
	v_add_f64 v[71:72], v[43:44], -v[71:72]
	v_trig_preop_f64 v[43:44], |v[33:34]|, 2
	v_fract_f64_e32 v[63:64], v[59:60]
	v_add_f64 v[45:46], v[55:56], -v[45:46]
	v_cmp_neq_f64_e64 s[6:7], |v[59:60]|, s[82:83]
	v_add_f64 v[31:32], v[31:32], v[71:72]
	v_mul_f64 v[71:72], v[43:44], v[41:42]
	v_add_f64 v[73:74], v[71:72], v[39:40]
	v_add_f64 v[75:76], v[73:74], v[31:32]
	v_add_f64 v[57:58], v[75:76], -v[73:74]
	v_add_f64 v[55:56], v[45:46], v[75:76]
	v_add_f64 v[31:32], v[31:32], -v[57:58]
	v_add_f64 v[57:58], v[75:76], -v[57:58]
	;; [unrolled: 1-line block ×5, first 2 shown]
	v_add_f64 v[31:32], v[31:32], v[57:58]
	v_add_f64 v[57:58], v[73:74], -v[71:72]
	v_add_f64 v[39:40], v[39:40], -v[57:58]
	;; [unrolled: 1-line block ×4, first 2 shown]
	v_add_f64 v[39:40], v[39:40], v[57:58]
	v_add_f64 v[31:32], v[39:40], v[31:32]
	v_fma_f64 v[39:40], v[43:44], v[41:42], -v[71:72]
	v_add_f64 v[31:32], v[39:40], v[31:32]
	v_ldexp_f64 v[39:40], v[63:64], 2
	v_add_f64 v[31:32], v[45:46], v[31:32]
	v_cndmask_b32_e64 v40, 0, v40, s[6:7]
	v_cndmask_b32_e64 v39, 0, v39, s[6:7]
	v_add_f64 v[41:42], v[55:56], v[39:40]
	v_cmp_gt_f64_e64 s[6:7], 0, v[41:42]
	v_cndmask_b32_e64 v18, 0, v93, s[6:7]
	v_add_f64 v[39:40], v[39:40], v[17:18]
	v_add_f64 v[41:42], v[55:56], v[39:40]
	v_cvt_i32_f64_e32 v18, v[41:42]
	v_cvt_f64_i32_e32 v[41:42], v18
	v_add_f64 v[39:40], v[39:40], -v[41:42]
	v_add_f64 v[41:42], v[55:56], v[39:40]
	v_add_f64 v[39:40], v[41:42], -v[39:40]
	v_cmp_le_f64_e64 s[6:7], 0.5, v[41:42]
	v_add_f64 v[39:40], v[55:56], -v[39:40]
	v_addc_co_u32_e64 v100, s[8:9], 0, v18, s[6:7]
	v_cndmask_b32_e64 v18, 0, v94, s[6:7]
	v_add_f64 v[31:32], v[31:32], v[39:40]
	v_add_f64 v[39:40], v[41:42], -v[17:18]
	v_add_f64 v[41:42], v[39:40], v[31:32]
	v_add_f64 v[39:40], v[41:42], -v[39:40]
	v_add_f64 v[31:32], v[31:32], -v[39:40]
	v_mul_f64 v[39:40], v[41:42], s[84:85]
	v_fma_f64 v[43:44], v[41:42], s[84:85], -v[39:40]
	v_fma_f64 v[41:42], v[41:42], s[88:89], v[43:44]
	v_fma_f64 v[31:32], v[31:32], s[84:85], v[41:42]
	v_add_f64 v[43:44], v[39:40], v[31:32]
	v_add_f64 v[39:40], v[43:44], -v[39:40]
	v_add_f64 v[45:46], v[31:32], -v[39:40]
.LBB143_91:                             ;   in Loop: Header=BB143_57 Depth=1
	s_andn2_saveexec_b64 s[6:7], s[50:51]
	s_cbranch_execz .LBB143_93
; %bb.92:                               ;   in Loop: Header=BB143_57 Depth=1
	v_mul_f64 v[31:32], |v[33:34]|, s[20:21]
	s_mov_b32 s86, s22
	v_rndne_f64_e32 v[31:32], v[31:32]
	v_fma_f64 v[39:40], v[31:32], s[18:19], |v[33:34]|
	v_mul_f64 v[41:42], v[31:32], s[22:23]
	v_cvt_i32_f64_e32 v100, v[31:32]
	v_add_f64 v[43:44], v[39:40], v[41:42]
	v_add_f64 v[45:46], v[39:40], -v[43:44]
	v_fma_f64 v[39:40], v[31:32], s[22:23], v[39:40]
	v_add_f64 v[45:46], v[45:46], v[41:42]
	v_add_f64 v[43:44], v[43:44], -v[39:40]
	v_fma_f64 v[41:42], v[31:32], s[86:87], v[41:42]
	;; [unrolled: 3-line block ×3, first 2 shown]
	v_add_f64 v[43:44], v[39:40], v[41:42]
	v_add_f64 v[39:40], v[43:44], -v[39:40]
	v_add_f64 v[45:46], v[41:42], -v[39:40]
.LBB143_93:                             ;   in Loop: Header=BB143_57 Depth=1
	s_or_b64 exec, exec, s[6:7]
	v_cmp_nlt_f64_e64 s[60:61], |v[7:8]|, s[78:79]
                                        ; implicit-def: $vgpr108
                                        ; implicit-def: $vgpr75_vgpr76
                                        ; implicit-def: $vgpr77_vgpr78
	s_and_saveexec_b64 s[6:7], s[60:61]
	s_xor_b64 s[50:51], exec, s[6:7]
	s_cbranch_execz .LBB143_95
; %bb.94:                               ;   in Loop: Header=BB143_57 Depth=1
	v_trig_preop_f64 v[31:32], |v[7:8]|, 0
	v_cmp_ge_f64_e64 s[6:7], |v[7:8]|, s[80:81]
	v_ldexp_f64 v[41:42], |v[7:8]|, s68
	v_trig_preop_f64 v[39:40], |v[7:8]|, 1
	v_and_b32_e32 v18, 0x7fffffff, v8
	s_mov_b32 s84, s18
	s_mov_b32 s89, s87
	v_cndmask_b32_e64 v42, v18, v42, s[6:7]
	v_cndmask_b32_e64 v41, v7, v41, s[6:7]
	v_mul_f64 v[57:58], v[31:32], v[41:42]
	v_mul_f64 v[55:56], v[39:40], v[41:42]
	v_fma_f64 v[31:32], v[31:32], v[41:42], -v[57:58]
	v_fma_f64 v[39:40], v[39:40], v[41:42], -v[55:56]
	v_add_f64 v[59:60], v[55:56], v[31:32]
	v_add_f64 v[75:76], v[59:60], -v[55:56]
	v_add_f64 v[63:64], v[57:58], v[59:60]
	v_add_f64 v[31:32], v[31:32], -v[75:76]
	v_add_f64 v[75:76], v[59:60], -v[75:76]
	v_ldexp_f64 v[71:72], v[63:64], -2
	v_add_f64 v[57:58], v[63:64], -v[57:58]
	v_add_f64 v[75:76], v[55:56], -v[75:76]
	v_trig_preop_f64 v[55:56], |v[7:8]|, 2
	v_fract_f64_e32 v[73:74], v[71:72]
	v_add_f64 v[57:58], v[59:60], -v[57:58]
	v_cmp_neq_f64_e64 s[6:7], |v[71:72]|, s[82:83]
	v_add_f64 v[31:32], v[31:32], v[75:76]
	v_mul_f64 v[75:76], v[55:56], v[41:42]
	v_add_f64 v[77:78], v[75:76], v[39:40]
	v_add_f64 v[87:88], v[77:78], v[31:32]
	v_add_f64 v[63:64], v[87:88], -v[77:78]
	v_add_f64 v[59:60], v[57:58], v[87:88]
	v_add_f64 v[31:32], v[31:32], -v[63:64]
	v_add_f64 v[63:64], v[87:88], -v[63:64]
	;; [unrolled: 1-line block ×5, first 2 shown]
	v_add_f64 v[31:32], v[31:32], v[63:64]
	v_add_f64 v[63:64], v[77:78], -v[75:76]
	v_add_f64 v[39:40], v[39:40], -v[63:64]
	;; [unrolled: 1-line block ×4, first 2 shown]
	v_add_f64 v[39:40], v[39:40], v[63:64]
	v_add_f64 v[31:32], v[39:40], v[31:32]
	v_fma_f64 v[39:40], v[55:56], v[41:42], -v[75:76]
	v_add_f64 v[31:32], v[39:40], v[31:32]
	v_ldexp_f64 v[39:40], v[73:74], 2
	v_add_f64 v[31:32], v[57:58], v[31:32]
	v_cndmask_b32_e64 v40, 0, v40, s[6:7]
	v_cndmask_b32_e64 v39, 0, v39, s[6:7]
	v_add_f64 v[41:42], v[59:60], v[39:40]
	v_cmp_gt_f64_e64 s[6:7], 0, v[41:42]
	v_cndmask_b32_e64 v18, 0, v93, s[6:7]
	v_add_f64 v[39:40], v[39:40], v[17:18]
	v_add_f64 v[41:42], v[59:60], v[39:40]
	v_cvt_i32_f64_e32 v18, v[41:42]
	v_cvt_f64_i32_e32 v[41:42], v18
	v_add_f64 v[39:40], v[39:40], -v[41:42]
	v_add_f64 v[41:42], v[59:60], v[39:40]
	v_add_f64 v[39:40], v[41:42], -v[39:40]
	v_cmp_le_f64_e64 s[6:7], 0.5, v[41:42]
	v_add_f64 v[39:40], v[59:60], -v[39:40]
	v_addc_co_u32_e64 v108, s[8:9], 0, v18, s[6:7]
	v_cndmask_b32_e64 v18, 0, v94, s[6:7]
	v_add_f64 v[31:32], v[31:32], v[39:40]
	v_add_f64 v[39:40], v[41:42], -v[17:18]
	v_add_f64 v[41:42], v[39:40], v[31:32]
	v_add_f64 v[39:40], v[41:42], -v[39:40]
	v_add_f64 v[31:32], v[31:32], -v[39:40]
	v_mul_f64 v[39:40], v[41:42], s[84:85]
	v_fma_f64 v[55:56], v[41:42], s[84:85], -v[39:40]
	v_fma_f64 v[41:42], v[41:42], s[88:89], v[55:56]
	v_fma_f64 v[31:32], v[31:32], s[84:85], v[41:42]
	v_add_f64 v[75:76], v[39:40], v[31:32]
	v_add_f64 v[39:40], v[75:76], -v[39:40]
	v_add_f64 v[77:78], v[31:32], -v[39:40]
	s_andn2_saveexec_b64 s[6:7], s[50:51]
	s_cbranch_execz .LBB143_97
	s_branch .LBB143_96
.LBB143_95:                             ;   in Loop: Header=BB143_57 Depth=1
	s_andn2_saveexec_b64 s[6:7], s[50:51]
	s_cbranch_execz .LBB143_97
.LBB143_96:                             ;   in Loop: Header=BB143_57 Depth=1
	v_mul_f64 v[31:32], |v[7:8]|, s[20:21]
	s_mov_b32 s86, s22
	v_rndne_f64_e32 v[31:32], v[31:32]
	v_fma_f64 v[39:40], v[31:32], s[18:19], |v[7:8]|
	v_mul_f64 v[41:42], v[31:32], s[22:23]
	v_cvt_i32_f64_e32 v108, v[31:32]
	v_add_f64 v[55:56], v[39:40], v[41:42]
	v_add_f64 v[57:58], v[39:40], -v[55:56]
	v_fma_f64 v[39:40], v[31:32], s[22:23], v[39:40]
	v_add_f64 v[57:58], v[57:58], v[41:42]
	v_add_f64 v[55:56], v[55:56], -v[39:40]
	v_fma_f64 v[41:42], v[31:32], s[86:87], v[41:42]
	;; [unrolled: 3-line block ×3, first 2 shown]
	v_add_f64 v[75:76], v[39:40], v[41:42]
	v_add_f64 v[39:40], v[75:76], -v[39:40]
	v_add_f64 v[77:78], v[41:42], -v[39:40]
.LBB143_97:                             ;   in Loop: Header=BB143_57 Depth=1
	s_or_b64 exec, exec, s[6:7]
                                        ; implicit-def: $vgpr104
                                        ; implicit-def: $vgpr57_vgpr58
                                        ; implicit-def: $vgpr63_vgpr64
	s_and_saveexec_b64 s[6:7], s[60:61]
	s_xor_b64 s[50:51], exec, s[6:7]
	s_cbranch_execz .LBB143_99
; %bb.98:                               ;   in Loop: Header=BB143_57 Depth=1
	v_trig_preop_f64 v[31:32], |v[7:8]|, 0
	v_cmp_ge_f64_e64 s[6:7], |v[7:8]|, s[80:81]
	v_ldexp_f64 v[41:42], |v[7:8]|, s68
	v_trig_preop_f64 v[39:40], |v[7:8]|, 1
	v_and_b32_e32 v18, 0x7fffffff, v8
	s_mov_b32 s84, s18
	s_mov_b32 s89, s87
	v_cndmask_b32_e64 v42, v18, v42, s[6:7]
	v_cndmask_b32_e64 v41, v7, v41, s[6:7]
	v_mul_f64 v[57:58], v[31:32], v[41:42]
	v_mul_f64 v[55:56], v[39:40], v[41:42]
	v_fma_f64 v[31:32], v[31:32], v[41:42], -v[57:58]
	v_fma_f64 v[39:40], v[39:40], v[41:42], -v[55:56]
	v_add_f64 v[59:60], v[55:56], v[31:32]
	v_add_f64 v[87:88], v[59:60], -v[55:56]
	v_add_f64 v[63:64], v[57:58], v[59:60]
	v_add_f64 v[31:32], v[31:32], -v[87:88]
	v_add_f64 v[87:88], v[59:60], -v[87:88]
	v_ldexp_f64 v[71:72], v[63:64], -2
	v_add_f64 v[57:58], v[63:64], -v[57:58]
	v_add_f64 v[87:88], v[55:56], -v[87:88]
	v_trig_preop_f64 v[55:56], |v[7:8]|, 2
	v_fract_f64_e32 v[73:74], v[71:72]
	v_add_f64 v[57:58], v[59:60], -v[57:58]
	v_cmp_neq_f64_e64 s[6:7], |v[71:72]|, s[82:83]
	v_add_f64 v[31:32], v[31:32], v[87:88]
	v_mul_f64 v[87:88], v[55:56], v[41:42]
	v_add_f64 v[89:90], v[87:88], v[39:40]
	v_add_f64 v[91:92], v[89:90], v[31:32]
	v_add_f64 v[63:64], v[91:92], -v[89:90]
	v_add_f64 v[59:60], v[57:58], v[91:92]
	v_add_f64 v[31:32], v[31:32], -v[63:64]
	v_add_f64 v[63:64], v[91:92], -v[63:64]
	;; [unrolled: 1-line block ×5, first 2 shown]
	v_add_f64 v[31:32], v[31:32], v[63:64]
	v_add_f64 v[63:64], v[89:90], -v[87:88]
	v_add_f64 v[39:40], v[39:40], -v[63:64]
	;; [unrolled: 1-line block ×4, first 2 shown]
	v_add_f64 v[39:40], v[39:40], v[63:64]
	v_add_f64 v[31:32], v[39:40], v[31:32]
	v_fma_f64 v[39:40], v[55:56], v[41:42], -v[87:88]
	v_add_f64 v[31:32], v[39:40], v[31:32]
	v_ldexp_f64 v[39:40], v[73:74], 2
	v_add_f64 v[31:32], v[57:58], v[31:32]
	v_cndmask_b32_e64 v40, 0, v40, s[6:7]
	v_cndmask_b32_e64 v39, 0, v39, s[6:7]
	v_add_f64 v[41:42], v[59:60], v[39:40]
	v_cmp_gt_f64_e64 s[6:7], 0, v[41:42]
	v_cndmask_b32_e64 v18, 0, v93, s[6:7]
	v_add_f64 v[39:40], v[39:40], v[17:18]
	v_add_f64 v[41:42], v[59:60], v[39:40]
	v_cvt_i32_f64_e32 v18, v[41:42]
	v_cvt_f64_i32_e32 v[41:42], v18
	v_add_f64 v[39:40], v[39:40], -v[41:42]
	v_add_f64 v[41:42], v[59:60], v[39:40]
	v_add_f64 v[39:40], v[41:42], -v[39:40]
	v_cmp_le_f64_e64 s[6:7], 0.5, v[41:42]
	v_add_f64 v[39:40], v[59:60], -v[39:40]
	v_addc_co_u32_e64 v104, s[8:9], 0, v18, s[6:7]
	v_cndmask_b32_e64 v18, 0, v94, s[6:7]
	v_add_f64 v[31:32], v[31:32], v[39:40]
	v_add_f64 v[39:40], v[41:42], -v[17:18]
	v_add_f64 v[41:42], v[39:40], v[31:32]
	v_add_f64 v[39:40], v[41:42], -v[39:40]
	v_add_f64 v[31:32], v[31:32], -v[39:40]
	v_mul_f64 v[39:40], v[41:42], s[84:85]
	v_fma_f64 v[55:56], v[41:42], s[84:85], -v[39:40]
	v_fma_f64 v[41:42], v[41:42], s[88:89], v[55:56]
	v_fma_f64 v[31:32], v[31:32], s[84:85], v[41:42]
	v_add_f64 v[57:58], v[39:40], v[31:32]
	v_add_f64 v[39:40], v[57:58], -v[39:40]
	v_add_f64 v[63:64], v[31:32], -v[39:40]
	s_andn2_saveexec_b64 s[6:7], s[50:51]
	s_cbranch_execnz .LBB143_100
	s_branch .LBB143_101
.LBB143_99:                             ;   in Loop: Header=BB143_57 Depth=1
	s_andn2_saveexec_b64 s[6:7], s[50:51]
	s_cbranch_execz .LBB143_101
.LBB143_100:                            ;   in Loop: Header=BB143_57 Depth=1
	v_mul_f64 v[31:32], |v[7:8]|, s[20:21]
	s_mov_b32 s86, s22
	v_rndne_f64_e32 v[31:32], v[31:32]
	v_fma_f64 v[39:40], v[31:32], s[18:19], |v[7:8]|
	v_mul_f64 v[41:42], v[31:32], s[22:23]
	v_cvt_i32_f64_e32 v104, v[31:32]
	v_add_f64 v[55:56], v[39:40], v[41:42]
	v_add_f64 v[57:58], v[39:40], -v[55:56]
	v_fma_f64 v[39:40], v[31:32], s[22:23], v[39:40]
	v_add_f64 v[57:58], v[57:58], v[41:42]
	v_add_f64 v[55:56], v[55:56], -v[39:40]
	v_fma_f64 v[41:42], v[31:32], s[86:87], v[41:42]
	;; [unrolled: 3-line block ×3, first 2 shown]
	v_add_f64 v[57:58], v[39:40], v[41:42]
	v_add_f64 v[39:40], v[57:58], -v[39:40]
	v_add_f64 v[63:64], v[41:42], -v[39:40]
.LBB143_101:                            ;   in Loop: Header=BB143_57 Depth=1
	s_or_b64 exec, exec, s[6:7]
	v_mul_f64 v[31:32], v[3:4], 0.5
                                        ; implicit-def: $vgpr99
                                        ; implicit-def: $vgpr39_vgpr40
                                        ; implicit-def: $vgpr41_vgpr42
	v_cmp_nlt_f64_e64 s[6:7], |v[31:32]|, s[78:79]
	s_and_saveexec_b64 s[8:9], s[6:7]
	s_xor_b64 s[50:51], exec, s[8:9]
	s_cbranch_execz .LBB143_103
; %bb.102:                              ;   in Loop: Header=BB143_57 Depth=1
	v_trig_preop_f64 v[39:40], |v[31:32]|, 0
	v_cmp_ge_f64_e64 s[6:7], |v[31:32]|, s[80:81]
	v_ldexp_f64 v[55:56], |v[31:32]|, s68
	v_trig_preop_f64 v[41:42], |v[31:32]|, 1
	v_and_b32_e32 v18, 0x7fffffff, v32
	s_mov_b32 s84, s18
	s_mov_b32 s89, s87
	v_cndmask_b32_e64 v56, v18, v56, s[6:7]
	v_cndmask_b32_e64 v55, v31, v55, s[6:7]
	v_mul_f64 v[71:72], v[39:40], v[55:56]
	v_mul_f64 v[59:60], v[41:42], v[55:56]
	v_fma_f64 v[39:40], v[39:40], v[55:56], -v[71:72]
	v_fma_f64 v[41:42], v[41:42], v[55:56], -v[59:60]
	v_add_f64 v[73:74], v[59:60], v[39:40]
	v_add_f64 v[111:112], v[73:74], -v[59:60]
	v_add_f64 v[87:88], v[71:72], v[73:74]
	v_add_f64 v[39:40], v[39:40], -v[111:112]
	v_add_f64 v[111:112], v[73:74], -v[111:112]
	v_ldexp_f64 v[89:90], v[87:88], -2
	v_add_f64 v[71:72], v[87:88], -v[71:72]
	v_add_f64 v[111:112], v[59:60], -v[111:112]
	v_trig_preop_f64 v[59:60], |v[31:32]|, 2
	v_fract_f64_e32 v[91:92], v[89:90]
	v_add_f64 v[71:72], v[73:74], -v[71:72]
	v_cmp_neq_f64_e64 s[6:7], |v[89:90]|, s[82:83]
	v_add_f64 v[39:40], v[39:40], v[111:112]
	v_mul_f64 v[111:112], v[59:60], v[55:56]
	v_add_f64 v[113:114], v[111:112], v[41:42]
	v_add_f64 v[115:116], v[113:114], v[39:40]
	v_add_f64 v[87:88], v[115:116], -v[113:114]
	v_add_f64 v[73:74], v[71:72], v[115:116]
	v_add_f64 v[39:40], v[39:40], -v[87:88]
	v_add_f64 v[87:88], v[115:116], -v[87:88]
	;; [unrolled: 1-line block ×5, first 2 shown]
	v_add_f64 v[39:40], v[39:40], v[87:88]
	v_add_f64 v[87:88], v[113:114], -v[111:112]
	v_add_f64 v[41:42], v[41:42], -v[87:88]
	;; [unrolled: 1-line block ×4, first 2 shown]
	v_add_f64 v[41:42], v[41:42], v[87:88]
	v_add_f64 v[39:40], v[41:42], v[39:40]
	v_fma_f64 v[41:42], v[59:60], v[55:56], -v[111:112]
	v_add_f64 v[39:40], v[41:42], v[39:40]
	v_ldexp_f64 v[41:42], v[91:92], 2
	v_add_f64 v[39:40], v[71:72], v[39:40]
	v_cndmask_b32_e64 v42, 0, v42, s[6:7]
	v_cndmask_b32_e64 v41, 0, v41, s[6:7]
	v_add_f64 v[55:56], v[73:74], v[41:42]
	v_cmp_gt_f64_e64 s[6:7], 0, v[55:56]
	v_cndmask_b32_e64 v18, 0, v93, s[6:7]
	v_add_f64 v[41:42], v[41:42], v[17:18]
	v_add_f64 v[55:56], v[73:74], v[41:42]
	v_cvt_i32_f64_e32 v18, v[55:56]
	v_cvt_f64_i32_e32 v[55:56], v18
	v_add_f64 v[41:42], v[41:42], -v[55:56]
	v_add_f64 v[55:56], v[73:74], v[41:42]
	v_add_f64 v[41:42], v[55:56], -v[41:42]
	v_cmp_le_f64_e64 s[6:7], 0.5, v[55:56]
	v_add_f64 v[41:42], v[73:74], -v[41:42]
	v_addc_co_u32_e64 v99, s[8:9], 0, v18, s[6:7]
	v_cndmask_b32_e64 v18, 0, v94, s[6:7]
	v_add_f64 v[39:40], v[39:40], v[41:42]
	v_add_f64 v[41:42], v[55:56], -v[17:18]
	v_add_f64 v[55:56], v[41:42], v[39:40]
	v_add_f64 v[41:42], v[55:56], -v[41:42]
	v_add_f64 v[39:40], v[39:40], -v[41:42]
	v_mul_f64 v[41:42], v[55:56], s[84:85]
	v_fma_f64 v[59:60], v[55:56], s[84:85], -v[41:42]
	v_fma_f64 v[55:56], v[55:56], s[88:89], v[59:60]
	v_fma_f64 v[55:56], v[39:40], s[84:85], v[55:56]
	v_add_f64 v[39:40], v[41:42], v[55:56]
	v_add_f64 v[41:42], v[39:40], -v[41:42]
	v_add_f64 v[41:42], v[55:56], -v[41:42]
.LBB143_103:                            ;   in Loop: Header=BB143_57 Depth=1
	s_andn2_saveexec_b64 s[6:7], s[50:51]
	s_cbranch_execz .LBB143_105
; %bb.104:                              ;   in Loop: Header=BB143_57 Depth=1
	v_mul_f64 v[39:40], |v[31:32]|, s[20:21]
	s_mov_b32 s86, s22
	v_rndne_f64_e32 v[55:56], v[39:40]
	v_fma_f64 v[39:40], v[55:56], s[18:19], |v[31:32]|
	v_mul_f64 v[41:42], v[55:56], s[22:23]
	v_cvt_i32_f64_e32 v99, v[55:56]
	v_fma_f64 v[73:74], v[55:56], s[22:23], v[39:40]
	v_add_f64 v[59:60], v[39:40], v[41:42]
	v_add_f64 v[71:72], v[39:40], -v[59:60]
	v_add_f64 v[59:60], v[59:60], -v[73:74]
	v_add_f64 v[39:40], v[71:72], v[41:42]
	v_fma_f64 v[41:42], v[55:56], s[86:87], v[41:42]
	v_add_f64 v[39:40], v[59:60], v[39:40]
	v_add_f64 v[39:40], v[39:40], -v[41:42]
	v_fma_f64 v[41:42], v[55:56], s[24:25], v[39:40]
	v_add_f64 v[39:40], v[73:74], v[41:42]
	v_add_f64 v[59:60], v[39:40], -v[73:74]
	v_add_f64 v[41:42], v[41:42], -v[59:60]
.LBB143_105:                            ;   in Loop: Header=BB143_57 Depth=1
	s_or_b64 exec, exec, s[6:7]
	v_cmp_nlt_f64_e64 s[60:61], |v[3:4]|, s[78:79]
                                        ; implicit-def: $vgpr107
                                        ; implicit-def: $vgpr71_vgpr72
                                        ; implicit-def: $vgpr73_vgpr74
	s_and_saveexec_b64 s[6:7], s[60:61]
	s_xor_b64 s[50:51], exec, s[6:7]
	s_cbranch_execz .LBB143_107
; %bb.106:                              ;   in Loop: Header=BB143_57 Depth=1
	v_trig_preop_f64 v[55:56], |v[3:4]|, 0
	v_cmp_ge_f64_e64 s[6:7], |v[3:4]|, s[80:81]
	v_ldexp_f64 v[71:72], |v[3:4]|, s68
	v_trig_preop_f64 v[59:60], |v[3:4]|, 1
	v_and_b32_e32 v18, 0x7fffffff, v4
	s_mov_b32 s84, s18
	s_mov_b32 s89, s87
	v_cndmask_b32_e64 v72, v18, v72, s[6:7]
	v_cndmask_b32_e64 v71, v3, v71, s[6:7]
	v_mul_f64 v[87:88], v[55:56], v[71:72]
	v_mul_f64 v[73:74], v[59:60], v[71:72]
	v_fma_f64 v[55:56], v[55:56], v[71:72], -v[87:88]
	v_fma_f64 v[59:60], v[59:60], v[71:72], -v[73:74]
	v_add_f64 v[89:90], v[73:74], v[55:56]
	v_add_f64 v[115:116], v[89:90], -v[73:74]
	v_add_f64 v[91:92], v[87:88], v[89:90]
	v_add_f64 v[55:56], v[55:56], -v[115:116]
	v_add_f64 v[115:116], v[89:90], -v[115:116]
	v_ldexp_f64 v[111:112], v[91:92], -2
	v_add_f64 v[87:88], v[91:92], -v[87:88]
	v_add_f64 v[115:116], v[73:74], -v[115:116]
	v_trig_preop_f64 v[73:74], |v[3:4]|, 2
	v_fract_f64_e32 v[113:114], v[111:112]
	v_add_f64 v[87:88], v[89:90], -v[87:88]
	v_cmp_neq_f64_e64 s[6:7], |v[111:112]|, s[82:83]
	v_add_f64 v[55:56], v[55:56], v[115:116]
	v_mul_f64 v[115:116], v[73:74], v[71:72]
	v_add_f64 v[117:118], v[115:116], v[59:60]
	v_add_f64 v[119:120], v[117:118], v[55:56]
	v_add_f64 v[91:92], v[119:120], -v[117:118]
	v_add_f64 v[89:90], v[87:88], v[119:120]
	v_add_f64 v[55:56], v[55:56], -v[91:92]
	v_add_f64 v[91:92], v[119:120], -v[91:92]
	;; [unrolled: 1-line block ×5, first 2 shown]
	v_add_f64 v[55:56], v[55:56], v[91:92]
	v_add_f64 v[91:92], v[117:118], -v[115:116]
	v_add_f64 v[59:60], v[59:60], -v[91:92]
	;; [unrolled: 1-line block ×4, first 2 shown]
	v_add_f64 v[59:60], v[59:60], v[91:92]
	v_add_f64 v[55:56], v[59:60], v[55:56]
	v_fma_f64 v[59:60], v[73:74], v[71:72], -v[115:116]
	v_add_f64 v[55:56], v[59:60], v[55:56]
	v_ldexp_f64 v[59:60], v[113:114], 2
	v_add_f64 v[55:56], v[87:88], v[55:56]
	v_cndmask_b32_e64 v60, 0, v60, s[6:7]
	v_cndmask_b32_e64 v59, 0, v59, s[6:7]
	v_add_f64 v[71:72], v[89:90], v[59:60]
	v_cmp_gt_f64_e64 s[6:7], 0, v[71:72]
	v_cndmask_b32_e64 v18, 0, v93, s[6:7]
	v_add_f64 v[59:60], v[59:60], v[17:18]
	v_add_f64 v[71:72], v[89:90], v[59:60]
	v_cvt_i32_f64_e32 v18, v[71:72]
	v_cvt_f64_i32_e32 v[71:72], v18
	v_add_f64 v[59:60], v[59:60], -v[71:72]
	v_add_f64 v[71:72], v[89:90], v[59:60]
	v_add_f64 v[59:60], v[71:72], -v[59:60]
	v_cmp_le_f64_e64 s[6:7], 0.5, v[71:72]
	v_add_f64 v[59:60], v[89:90], -v[59:60]
	v_addc_co_u32_e64 v107, s[8:9], 0, v18, s[6:7]
	v_cndmask_b32_e64 v18, 0, v94, s[6:7]
	v_add_f64 v[55:56], v[55:56], v[59:60]
	v_add_f64 v[59:60], v[71:72], -v[17:18]
	v_add_f64 v[71:72], v[59:60], v[55:56]
	v_add_f64 v[59:60], v[71:72], -v[59:60]
	v_add_f64 v[55:56], v[55:56], -v[59:60]
	v_mul_f64 v[59:60], v[71:72], s[84:85]
	v_fma_f64 v[73:74], v[71:72], s[84:85], -v[59:60]
	v_fma_f64 v[71:72], v[71:72], s[88:89], v[73:74]
	v_fma_f64 v[55:56], v[55:56], s[84:85], v[71:72]
	v_add_f64 v[71:72], v[59:60], v[55:56]
	v_add_f64 v[59:60], v[71:72], -v[59:60]
	v_add_f64 v[73:74], v[55:56], -v[59:60]
	s_andn2_saveexec_b64 s[6:7], s[50:51]
	s_cbranch_execz .LBB143_109
	s_branch .LBB143_108
.LBB143_107:                            ;   in Loop: Header=BB143_57 Depth=1
	s_andn2_saveexec_b64 s[6:7], s[50:51]
	s_cbranch_execz .LBB143_109
.LBB143_108:                            ;   in Loop: Header=BB143_57 Depth=1
	v_mul_f64 v[55:56], |v[3:4]|, s[20:21]
	s_mov_b32 s86, s22
	v_rndne_f64_e32 v[55:56], v[55:56]
	v_fma_f64 v[59:60], v[55:56], s[18:19], |v[3:4]|
	v_mul_f64 v[71:72], v[55:56], s[22:23]
	v_cvt_i32_f64_e32 v107, v[55:56]
	v_add_f64 v[73:74], v[59:60], v[71:72]
	v_add_f64 v[87:88], v[59:60], -v[73:74]
	v_fma_f64 v[59:60], v[55:56], s[22:23], v[59:60]
	v_add_f64 v[87:88], v[87:88], v[71:72]
	v_add_f64 v[73:74], v[73:74], -v[59:60]
	v_fma_f64 v[71:72], v[55:56], s[86:87], v[71:72]
	;; [unrolled: 3-line block ×3, first 2 shown]
	v_add_f64 v[71:72], v[59:60], v[73:74]
	v_add_f64 v[59:60], v[71:72], -v[59:60]
	v_add_f64 v[73:74], v[73:74], -v[59:60]
.LBB143_109:                            ;   in Loop: Header=BB143_57 Depth=1
	s_or_b64 exec, exec, s[6:7]
                                        ; implicit-def: $vgpr103
                                        ; implicit-def: $vgpr55_vgpr56
                                        ; implicit-def: $vgpr59_vgpr60
	s_and_saveexec_b64 s[6:7], s[60:61]
	s_xor_b64 s[50:51], exec, s[6:7]
	s_cbranch_execz .LBB143_115
; %bb.110:                              ;   in Loop: Header=BB143_57 Depth=1
	v_trig_preop_f64 v[55:56], |v[3:4]|, 0
	v_cmp_ge_f64_e64 s[6:7], |v[3:4]|, s[80:81]
	v_ldexp_f64 v[87:88], |v[3:4]|, s68
	v_trig_preop_f64 v[59:60], |v[3:4]|, 1
	v_and_b32_e32 v18, 0x7fffffff, v4
	s_mov_b32 s84, s18
	s_mov_b32 s89, s87
	v_cndmask_b32_e64 v88, v18, v88, s[6:7]
	v_cndmask_b32_e64 v87, v3, v87, s[6:7]
	v_mul_f64 v[91:92], v[55:56], v[87:88]
	v_mul_f64 v[89:90], v[59:60], v[87:88]
	v_fma_f64 v[55:56], v[55:56], v[87:88], -v[91:92]
	v_fma_f64 v[59:60], v[59:60], v[87:88], -v[89:90]
	v_add_f64 v[111:112], v[89:90], v[55:56]
	v_add_f64 v[119:120], v[111:112], -v[89:90]
	v_add_f64 v[113:114], v[91:92], v[111:112]
	v_add_f64 v[55:56], v[55:56], -v[119:120]
	v_add_f64 v[119:120], v[111:112], -v[119:120]
	v_ldexp_f64 v[115:116], v[113:114], -2
	v_add_f64 v[91:92], v[113:114], -v[91:92]
	v_add_f64 v[119:120], v[89:90], -v[119:120]
	v_trig_preop_f64 v[89:90], |v[3:4]|, 2
	v_fract_f64_e32 v[117:118], v[115:116]
	v_add_f64 v[91:92], v[111:112], -v[91:92]
	v_cmp_neq_f64_e64 s[6:7], |v[115:116]|, s[82:83]
	v_add_f64 v[55:56], v[55:56], v[119:120]
	v_mul_f64 v[119:120], v[89:90], v[87:88]
	v_add_f64 v[121:122], v[119:120], v[59:60]
	v_add_f64 v[123:124], v[121:122], v[55:56]
	v_add_f64 v[113:114], v[123:124], -v[121:122]
	v_add_f64 v[111:112], v[91:92], v[123:124]
	v_add_f64 v[55:56], v[55:56], -v[113:114]
	v_add_f64 v[113:114], v[123:124], -v[113:114]
	;; [unrolled: 1-line block ×5, first 2 shown]
	v_add_f64 v[55:56], v[55:56], v[113:114]
	v_add_f64 v[113:114], v[121:122], -v[119:120]
	v_add_f64 v[59:60], v[59:60], -v[113:114]
	;; [unrolled: 1-line block ×4, first 2 shown]
	v_add_f64 v[59:60], v[59:60], v[113:114]
	v_add_f64 v[55:56], v[59:60], v[55:56]
	v_fma_f64 v[59:60], v[89:90], v[87:88], -v[119:120]
	v_add_f64 v[55:56], v[59:60], v[55:56]
	v_ldexp_f64 v[59:60], v[117:118], 2
	v_add_f64 v[55:56], v[91:92], v[55:56]
	v_cndmask_b32_e64 v60, 0, v60, s[6:7]
	v_cndmask_b32_e64 v59, 0, v59, s[6:7]
	v_add_f64 v[87:88], v[111:112], v[59:60]
	v_cmp_gt_f64_e64 s[6:7], 0, v[87:88]
	v_cndmask_b32_e64 v18, 0, v93, s[6:7]
	v_add_f64 v[59:60], v[59:60], v[17:18]
	v_add_f64 v[87:88], v[111:112], v[59:60]
	v_cvt_i32_f64_e32 v18, v[87:88]
	v_cvt_f64_i32_e32 v[87:88], v18
	v_add_f64 v[59:60], v[59:60], -v[87:88]
	v_add_f64 v[87:88], v[111:112], v[59:60]
	v_add_f64 v[59:60], v[87:88], -v[59:60]
	v_cmp_le_f64_e64 s[6:7], 0.5, v[87:88]
	v_add_f64 v[59:60], v[111:112], -v[59:60]
	v_addc_co_u32_e64 v103, s[8:9], 0, v18, s[6:7]
	v_cndmask_b32_e64 v18, 0, v94, s[6:7]
	v_add_f64 v[55:56], v[55:56], v[59:60]
	v_add_f64 v[59:60], v[87:88], -v[17:18]
	v_add_f64 v[87:88], v[59:60], v[55:56]
	v_add_f64 v[59:60], v[87:88], -v[59:60]
	v_add_f64 v[55:56], v[55:56], -v[59:60]
	v_mul_f64 v[59:60], v[87:88], s[84:85]
	v_fma_f64 v[89:90], v[87:88], s[84:85], -v[59:60]
	v_fma_f64 v[87:88], v[87:88], s[88:89], v[89:90]
	v_fma_f64 v[87:88], v[55:56], s[84:85], v[87:88]
	v_add_f64 v[55:56], v[59:60], v[87:88]
	v_add_f64 v[59:60], v[55:56], -v[59:60]
	v_add_f64 v[59:60], v[87:88], -v[59:60]
	s_andn2_saveexec_b64 s[6:7], s[50:51]
	s_cbranch_execnz .LBB143_116
.LBB143_111:                            ;   in Loop: Header=BB143_57 Depth=1
	s_or_b64 exec, exec, s[6:7]
	s_and_saveexec_b64 s[6:7], s[4:5]
	s_xor_b64 s[60:61], exec, s[6:7]
	s_cbranch_execz .LBB143_117
.LBB143_112:                            ;   in Loop: Header=BB143_57 Depth=1
	s_mov_b32 s4, 0x652b82fe
	s_mov_b32 s5, 0x3ff71547
	v_mul_f64 v[87:88], v[13:14], s[4:5]
	s_mov_b32 s4, 0x3b39803f
	s_mov_b32 s5, 0xbc7abc9e
	;; [unrolled: 1-line block ×4, first 2 shown]
	v_cmp_ngt_f64_e64 s[6:7], s[6:7], v[13:14]
	s_mov_b32 s95, s41
	s_mov_b32 s43, s27
	v_rndne_f64_e32 v[89:90], v[87:88]
	s_mov_b32 s45, s57
	s_mov_b32 s47, s55
	;; [unrolled: 1-line block ×7, first 2 shown]
	v_fma_f64 v[87:88], v[89:90], s[12:13], v[13:14]
	v_cvt_i32_f64_e32 v18, v[89:90]
	s_mov_b32 s35, s55
	s_mov_b32 s31, s57
	s_mov_b32 s92, s34
	v_lshlrev_b64 v[29:30], 4, v[29:30]
	v_fma_f64 v[91:92], v[89:90], s[4:5], v[87:88]
	s_mov_b32 s4, 0x6a5dcb37
	s_mov_b32 s5, 0x3e5ade15
	v_fma_f64 v[87:88], v[91:92], s[4:5], v[19:20]
	s_mov_b32 s4, 0x623fde64
	s_mov_b32 s5, 0x3ec71dee
	;; [unrolled: 3-line block ×4, first 2 shown]
	v_fma_f64 v[87:88], v[91:92], v[87:88], s[40:41]
	v_fma_f64 v[87:88], v[91:92], v[87:88], s[26:27]
	;; [unrolled: 1-line block ×6, first 2 shown]
	v_cmp_nlt_f64_e64 s[4:5], s[90:91], v[13:14]
	v_fma_f64 v[87:88], v[91:92], v[87:88], 1.0
	v_fma_f64 v[87:88], v[91:92], v[87:88], 1.0
	v_ldexp_f64 v[87:88], v[87:88], v18
	v_cndmask_b32_e64 v88, v95, v88, s[4:5]
	s_and_b64 s[4:5], s[6:7], s[4:5]
	v_cndmask_b32_e64 v88, 0, v88, s[6:7]
	s_mov_b32 s6, 0xa9d67f34
	s_mov_b32 s7, 0x3e21f32e
	v_fma_f64 v[111:112], v[91:92], s[6:7], v[21:22]
	s_mov_b32 s6, 0xe0ac05b
	s_mov_b32 s7, 0x3e927e50
	v_cndmask_b32_e64 v87, 0, v87, s[4:5]
	v_cmp_eq_f64_e64 s[4:5], s[90:91], v[89:90]
	v_ldexp_f64 v[89:90], 1.0, v18
	v_fma_f64 v[111:112], v[91:92], v[111:112], s[6:7]
	s_mov_b32 s6, 0x1b889c29
	s_mov_b32 s7, 0x3ec71de0
	v_cndmask_b32_e64 v90, v90, v96, s[4:5]
	v_cndmask_b32_e64 v89, v89, 0, s[4:5]
	v_fma_f64 v[111:112], v[91:92], v[111:112], s[6:7]
	s_mov_b32 s6, 0
	s_mov_b32 s7, 0xc0428000
	v_cmp_ngt_f64_e64 s[6:7], s[6:7], v[13:14]
	v_fma_f64 v[111:112], v[91:92], v[111:112], s[52:53]
	v_fma_f64 v[111:112], v[91:92], v[111:112], s[94:95]
	;; [unrolled: 1-line block ×6, first 2 shown]
	v_fma_f64 v[111:112], v[91:92], v[111:112], 0.5
	v_mul_f64 v[111:112], v[91:92], v[111:112]
	v_fma_f64 v[91:92], v[91:92], v[111:112], v[91:92]
	v_add_f64 v[111:112], v[89:90], -1.0
	v_fma_f64 v[89:90], v[89:90], v[91:92], v[111:112]
	v_mul_f64 v[111:112], v[83:84], v[83:84]
	v_add_f64 v[91:92], v[89:90], v[89:90]
	v_mul_f64 v[115:116], v[111:112], v[111:112]
	v_cndmask_b32_e64 v18, v89, v91, s[4:5]
	v_cndmask_b32_e64 v89, v90, v92, s[4:5]
	v_cmp_nlt_f64_e64 s[4:5], s[28:29], v[13:14]
	v_mul_f64 v[91:92], v[111:112], 0.5
	v_cndmask_b32_e64 v89, v95, v89, s[4:5]
	v_cndmask_b32_e64 v14, v97, v89, s[6:7]
	v_mov_b32_e32 v90, s9
	v_mov_b32_e32 v89, s8
	v_fma_f64 v[117:118], v[111:112], s[62:63], v[89:90]
	v_add_f64 v[113:114], -v[91:92], 1.0
	s_mov_b32 s8, 0xb42fdfa7
	s_mov_b32 s9, 0xbe5ae600
	s_and_b64 s[4:5], s[6:7], s[4:5]
	v_cndmask_b32_e64 v13, 0, v18, s[4:5]
	v_cmp_class_f64_e64 s[4:5], v[15:16], s69
	v_and_b32_e32 v15, 1, v110
	v_fma_f64 v[117:118], v[111:112], v[117:118], s[64:65]
	v_add_f64 v[119:120], -v[113:114], 1.0
	v_cmp_eq_u32_e64 s[6:7], 0, v15
	v_fma_f64 v[117:118], v[111:112], v[117:118], s[58:59]
	v_add_f64 v[91:92], v[119:120], -v[91:92]
	v_mul_f64 v[119:120], v[85:86], 0.5
	v_fma_f64 v[117:118], v[111:112], v[117:118], s[66:67]
	v_fma_f64 v[91:92], v[83:84], -v[85:86], v[91:92]
	v_fma_f64 v[117:118], v[111:112], v[117:118], s[34:35]
	v_fma_f64 v[91:92], v[115:116], v[117:118], v[91:92]
	v_mul_f64 v[115:116], v[83:84], -v[111:112]
	v_add_f64 v[113:114], v[113:114], v[91:92]
	v_mov_b32_e32 v92, s9
	v_mov_b32_e32 v91, s8
	v_fma_f64 v[117:118], v[111:112], s[70:71], v[91:92]
	v_fma_f64 v[117:118], v[111:112], v[117:118], s[72:73]
	v_fma_f64 v[117:118], v[111:112], v[117:118], s[74:75]
	v_fma_f64 v[117:118], v[111:112], v[117:118], s[30:31]
	v_fma_f64 v[117:118], v[115:116], v[117:118], v[119:120]
	v_fma_f64 v[85:86], v[111:112], v[117:118], -v[85:86]
	v_fma_f64 v[85:86], v[115:116], s[92:93], v[85:86]
	v_add_f64 v[83:84], v[83:84], -v[85:86]
	v_mul_f64 v[85:86], v[47:48], v[47:48]
	v_cndmask_b32_e64 v18, v83, v113, s[6:7]
	v_fma_f64 v[112:113], v[85:86], s[70:71], v[91:92]
	v_xor_b32_e32 v15, 0x80000000, v84
	v_cndmask_b32_e64 v15, v15, v114, s[6:7]
	v_lshlrev_b32_e32 v83, 30, v110
	v_mul_f64 v[110:111], v[47:48], -v[85:86]
	v_mul_f64 v[114:115], v[49:50], 0.5
	v_fma_f64 v[118:119], v[85:86], s[62:63], v[89:90]
	v_mul_f64 v[116:117], v[85:86], v[85:86]
	v_fma_f64 v[112:113], v[85:86], v[112:113], s[72:73]
	v_cmp_class_f64_e64 s[6:7], v[37:38], s69
	v_and_b32_e32 v83, 0x80000000, v83
	v_xor_b32_e32 v15, v15, v83
	v_cndmask_b32_e64 v84, v98, v15, s[4:5]
	v_and_b32_e32 v15, 1, v102
	v_fma_f64 v[118:119], v[85:86], v[118:119], s[64:65]
	v_lshlrev_b32_e32 v37, 30, v102
	v_fma_f64 v[112:113], v[85:86], v[112:113], s[74:75]
	v_cmp_eq_u32_e64 s[8:9], 0, v15
	v_xor_b32_e32 v37, v37, v38
	v_cndmask_b32_e64 v83, 0, v18, s[4:5]
	v_and_b32_e32 v37, 0x80000000, v37
	v_fma_f64 v[118:119], v[85:86], v[118:119], s[58:59]
	v_fma_f64 v[112:113], v[85:86], v[112:113], s[30:31]
	v_fma_f64 v[118:119], v[85:86], v[118:119], s[66:67]
	v_fma_f64 v[112:113], v[110:111], v[112:113], v[114:115]
	v_fma_f64 v[112:113], v[85:86], v[112:113], -v[49:50]
	v_fma_f64 v[110:111], v[110:111], s[92:93], v[112:113]
	v_mul_f64 v[112:113], v[85:86], 0.5
	v_fma_f64 v[85:86], v[85:86], v[118:119], s[34:35]
	v_add_f64 v[110:111], v[47:48], -v[110:111]
	v_add_f64 v[114:115], -v[112:113], 1.0
	v_add_f64 v[118:119], -v[114:115], 1.0
	v_add_f64 v[112:113], v[118:119], -v[112:113]
	v_fma_f64 v[47:48], v[47:48], -v[49:50], v[112:113]
	v_mul_f64 v[49:50], v[65:66], v[65:66]
	v_fma_f64 v[47:48], v[116:117], v[85:86], v[47:48]
	v_fma_f64 v[85:86], v[49:50], s[62:63], v[89:90]
	v_add_f64 v[47:48], v[114:115], v[47:48]
	v_fma_f64 v[85:86], v[49:50], v[85:86], s[64:65]
	v_cndmask_b32_e64 v18, v48, v111, s[8:9]
	v_cndmask_b32_e64 v15, v47, v110, s[8:9]
	v_xor_b32_e32 v18, v18, v37
	v_cndmask_b32_e64 v37, 0, v15, s[6:7]
	v_cndmask_b32_e64 v38, v98, v18, s[6:7]
	v_add_f64 v[47:48], v[37:38], v[37:38]
	v_fma_f64 v[85:86], v[49:50], v[85:86], s[58:59]
	v_and_b32_e32 v15, 1, v106
	v_cmp_eq_u32_e64 s[6:7], 0, v15
	v_mul_f64 v[37:38], v[47:48], v[37:38]
	v_fma_f64 v[85:86], v[49:50], v[85:86], s[66:67]
	v_fma_f64 v[13:14], v[13:14], v[83:84], -v[37:38]
	v_mul_f64 v[37:38], v[49:50], 0.5
	v_fma_f64 v[85:86], v[49:50], v[85:86], s[34:35]
	v_add_f64 v[47:48], -v[37:38], 1.0
	v_add_f64 v[83:84], -v[47:48], 1.0
	v_add_f64 v[37:38], v[83:84], -v[37:38]
	v_mul_f64 v[83:84], v[49:50], v[49:50]
	v_fma_f64 v[37:38], v[65:66], -v[69:70], v[37:38]
	v_fma_f64 v[37:38], v[83:84], v[85:86], v[37:38]
	v_mul_f64 v[85:86], v[69:70], 0.5
	v_add_f64 v[37:38], v[47:48], v[37:38]
	v_fma_f64 v[47:48], v[49:50], s[70:71], v[91:92]
	v_fma_f64 v[47:48], v[49:50], v[47:48], s[72:73]
	;; [unrolled: 1-line block ×4, first 2 shown]
	v_mul_f64 v[47:48], v[65:66], -v[49:50]
	v_fma_f64 v[83:84], v[47:48], v[83:84], v[85:86]
	v_fma_f64 v[49:50], v[49:50], v[83:84], -v[69:70]
	v_fma_f64 v[47:48], v[47:48], s[92:93], v[49:50]
	v_add_f64 v[47:48], v[65:66], -v[47:48]
	v_cndmask_b32_e64 v15, v37, v47, s[6:7]
	v_lshlrev_b32_e32 v37, 30, v106
	v_xor_b32_e32 v16, v37, v16
	v_cndmask_b32_e64 v18, v38, v48, s[6:7]
	v_and_b32_e32 v16, 0x80000000, v16
	v_xor_b32_e32 v16, v18, v16
	v_cndmask_b32_e64 v15, 0, v15, s[4:5]
	v_cndmask_b32_e64 v16, v98, v16, s[4:5]
	v_mul_f64 v[15:16], v[87:88], v[15:16]
	v_readlane_b32 s6, v125, 2
	v_readlane_b32 s7, v125, 3
	v_add_co_u32_e64 v29, s[4:5], s6, v29
	v_mov_b32_e32 v18, s7
	v_addc_co_u32_e64 v30, s[4:5], v18, v30, s[4:5]
	global_store_dwordx4 v[29:30], v[13:16], off
	s_or_b64 exec, exec, s[60:61]
	s_and_saveexec_b64 s[8:9], s[2:3]
	s_cbranch_execnz .LBB143_118
.LBB143_113:                            ;   in Loop: Header=BB143_57 Depth=1
	s_or_b64 exec, exec, s[8:9]
	s_and_saveexec_b64 s[6:7], s[0:1]
	s_cbranch_execz .LBB143_119
.LBB143_114:                            ;   in Loop: Header=BB143_57 Depth=1
	s_mov_b32 s0, 0x652b82fe
	s_mov_b32 s1, 0x3ff71547
	v_mul_f64 v[9:10], v[5:6], s[0:1]
	s_mov_b32 s0, 0x3b39803f
	s_mov_b32 s1, 0xbc7abc9e
	;; [unrolled: 1-line block ×4, first 2 shown]
	v_cmp_ngt_f64_e64 s[2:3], s[2:3], v[5:6]
	s_mov_b32 s95, s41
	s_mov_b32 s43, s27
	v_rndne_f64_e32 v[11:12], v[9:10]
	s_mov_b32 s45, s57
	s_mov_b32 s47, s55
	;; [unrolled: 1-line block ×7, first 2 shown]
	v_fma_f64 v[9:10], v[11:12], s[12:13], v[5:6]
	v_cvt_i32_f64_e32 v15, v[11:12]
	s_mov_b32 s35, s55
	s_mov_b32 s31, s57
	;; [unrolled: 1-line block ×3, first 2 shown]
	v_fma_f64 v[13:14], v[11:12], s[0:1], v[9:10]
	s_mov_b32 s0, 0x6a5dcb37
	s_mov_b32 s1, 0x3e5ade15
	v_fma_f64 v[9:10], v[13:14], s[0:1], v[19:20]
	s_mov_b32 s0, 0x623fde64
	s_mov_b32 s1, 0x3ec71dee
	;; [unrolled: 3-line block ×4, first 2 shown]
	v_fma_f64 v[9:10], v[13:14], v[9:10], s[40:41]
	v_fma_f64 v[9:10], v[13:14], v[9:10], s[26:27]
	;; [unrolled: 1-line block ×6, first 2 shown]
	v_cmp_nlt_f64_e64 s[0:1], s[90:91], v[5:6]
	v_fma_f64 v[9:10], v[13:14], v[9:10], 1.0
	v_fma_f64 v[9:10], v[13:14], v[9:10], 1.0
	v_ldexp_f64 v[9:10], v[9:10], v15
	v_cndmask_b32_e64 v10, v95, v10, s[0:1]
	s_and_b64 s[0:1], s[2:3], s[0:1]
	v_cndmask_b32_e64 v10, 0, v10, s[2:3]
	s_mov_b32 s2, 0xa9d67f34
	s_mov_b32 s3, 0x3e21f32e
	v_cndmask_b32_e64 v9, 0, v9, s[0:1]
	v_cmp_eq_f64_e64 s[0:1], s[90:91], v[11:12]
	v_ldexp_f64 v[11:12], 1.0, v15
	v_fma_f64 v[15:16], v[13:14], s[2:3], v[21:22]
	s_mov_b32 s2, 0xe0ac05b
	s_mov_b32 s3, 0x3e927e50
	v_cndmask_b32_e64 v12, v12, v96, s[0:1]
	v_fma_f64 v[15:16], v[13:14], v[15:16], s[2:3]
	s_mov_b32 s2, 0x1b889c29
	s_mov_b32 s3, 0x3ec71de0
	v_cndmask_b32_e64 v11, v11, 0, s[0:1]
	v_fma_f64 v[15:16], v[13:14], v[15:16], s[2:3]
	s_mov_b32 s2, 0
	s_mov_b32 s3, 0xc0428000
	v_cmp_ngt_f64_e64 s[2:3], s[2:3], v[5:6]
	v_fma_f64 v[15:16], v[13:14], v[15:16], s[52:53]
	v_fma_f64 v[15:16], v[13:14], v[15:16], s[94:95]
	;; [unrolled: 1-line block ×6, first 2 shown]
	v_fma_f64 v[15:16], v[13:14], v[15:16], 0.5
	v_mul_f64 v[15:16], v[13:14], v[15:16]
	v_fma_f64 v[13:14], v[13:14], v[15:16], v[13:14]
	v_add_f64 v[15:16], v[11:12], -1.0
	v_fma_f64 v[11:12], v[11:12], v[13:14], v[15:16]
	v_mul_f64 v[15:16], v[75:76], v[75:76]
	v_add_f64 v[13:14], v[11:12], v[11:12]
	v_mul_f64 v[29:30], v[15:16], v[15:16]
	v_cndmask_b32_e64 v11, v11, v13, s[0:1]
	v_cndmask_b32_e64 v12, v12, v14, s[0:1]
	v_cmp_nlt_f64_e64 s[0:1], s[28:29], v[5:6]
	v_mul_f64 v[13:14], v[15:16], 0.5
	v_cndmask_b32_e64 v12, v95, v12, s[0:1]
	s_and_b64 s[0:1], s[2:3], s[0:1]
	v_cndmask_b32_e64 v5, 0, v11, s[0:1]
	v_cndmask_b32_e64 v6, v97, v12, s[2:3]
	v_mov_b32_e32 v12, s5
	v_mov_b32_e32 v11, s4
	v_fma_f64 v[35:36], v[15:16], s[62:63], v[11:12]
	v_add_f64 v[27:28], -v[13:14], 1.0
	s_mov_b32 s4, 0xb42fdfa7
	s_mov_b32 s5, 0xbe5ae600
	v_cmp_class_f64_e64 s[0:1], v[7:8], s69
	v_and_b32_e32 v7, 1, v108
	v_cmp_eq_u32_e64 s[2:3], 0, v7
	v_fma_f64 v[35:36], v[15:16], v[35:36], s[64:65]
	v_add_f64 v[37:38], -v[27:28], 1.0
	v_fma_f64 v[35:36], v[15:16], v[35:36], s[58:59]
	v_add_f64 v[13:14], v[37:38], -v[13:14]
	v_mul_f64 v[37:38], v[77:78], 0.5
	v_fma_f64 v[35:36], v[15:16], v[35:36], s[66:67]
	v_fma_f64 v[13:14], v[75:76], -v[77:78], v[13:14]
	v_fma_f64 v[35:36], v[15:16], v[35:36], s[34:35]
	v_fma_f64 v[13:14], v[29:30], v[35:36], v[13:14]
	v_mul_f64 v[29:30], v[75:76], -v[15:16]
	v_add_f64 v[27:28], v[27:28], v[13:14]
	v_mov_b32_e32 v14, s5
	v_mov_b32_e32 v13, s4
	v_fma_f64 v[35:36], v[15:16], s[70:71], v[13:14]
	v_fma_f64 v[35:36], v[15:16], v[35:36], s[72:73]
	;; [unrolled: 1-line block ×5, first 2 shown]
	v_mul_f64 v[37:38], v[45:46], 0.5
	v_fma_f64 v[15:16], v[15:16], v[35:36], -v[77:78]
	v_fma_f64 v[15:16], v[29:30], s[92:93], v[15:16]
	v_add_f64 v[15:16], v[75:76], -v[15:16]
	v_xor_b32_e32 v7, 0x80000000, v16
	v_cndmask_b32_e64 v15, v15, v27, s[2:3]
	v_cndmask_b32_e64 v7, v7, v28, s[2:3]
	v_mul_f64 v[27:28], v[43:44], v[43:44]
	v_lshlrev_b32_e32 v16, 30, v108
	v_and_b32_e32 v16, 0x80000000, v16
	v_cmp_class_f64_e64 s[2:3], v[33:34], s69
	v_xor_b32_e32 v7, v7, v16
	v_cndmask_b32_e64 v16, v98, v7, s[0:1]
	v_and_b32_e32 v7, 1, v100
	v_cmp_eq_u32_e64 s[4:5], 0, v7
	v_fma_f64 v[35:36], v[27:28], s[70:71], v[13:14]
	v_mul_f64 v[29:30], v[43:44], -v[27:28]
	v_fma_f64 v[49:50], v[27:28], s[62:63], v[11:12]
	v_mul_f64 v[47:48], v[27:28], v[27:28]
	v_cndmask_b32_e64 v15, 0, v15, s[0:1]
	v_fma_f64 v[35:36], v[27:28], v[35:36], s[72:73]
	v_fma_f64 v[49:50], v[27:28], v[49:50], s[64:65]
	;; [unrolled: 1-line block ×7, first 2 shown]
	v_fma_f64 v[35:36], v[27:28], v[35:36], -v[45:46]
	v_fma_f64 v[29:30], v[29:30], s[92:93], v[35:36]
	v_mul_f64 v[35:36], v[27:28], 0.5
	v_fma_f64 v[27:28], v[27:28], v[49:50], s[34:35]
	v_add_f64 v[29:30], v[43:44], -v[29:30]
	v_add_f64 v[37:38], -v[35:36], 1.0
	v_add_f64 v[49:50], -v[37:38], 1.0
	v_add_f64 v[35:36], v[49:50], -v[35:36]
	v_fma_f64 v[35:36], v[43:44], -v[45:46], v[35:36]
	v_fma_f64 v[27:28], v[47:48], v[27:28], v[35:36]
	v_add_f64 v[27:28], v[37:38], v[27:28]
	v_cndmask_b32_e64 v7, v27, v29, s[4:5]
	v_lshlrev_b32_e32 v27, 30, v100
	v_xor_b32_e32 v27, v27, v34
	v_cndmask_b32_e64 v18, v28, v30, s[4:5]
	v_and_b32_e32 v27, 0x80000000, v27
	v_xor_b32_e32 v18, v18, v27
	v_cndmask_b32_e64 v27, 0, v7, s[2:3]
	v_cndmask_b32_e64 v28, v98, v18, s[2:3]
	v_add_f64 v[29:30], v[27:28], v[27:28]
	v_and_b32_e32 v7, 1, v104
	v_cmp_eq_u32_e64 s[2:3], 0, v7
	v_mul_f64 v[27:28], v[29:30], v[27:28]
	v_fma_f64 v[5:6], v[5:6], v[15:16], -v[27:28]
	v_mul_f64 v[15:16], v[57:58], v[57:58]
	v_mul_f64 v[27:28], v[15:16], 0.5
	v_fma_f64 v[11:12], v[15:16], s[62:63], v[11:12]
	v_fma_f64 v[13:14], v[15:16], s[70:71], v[13:14]
	v_add_f64 v[29:30], -v[27:28], 1.0
	v_fma_f64 v[11:12], v[15:16], v[11:12], s[64:65]
	v_fma_f64 v[13:14], v[15:16], v[13:14], s[72:73]
	v_add_f64 v[33:34], -v[29:30], 1.0
	v_fma_f64 v[11:12], v[15:16], v[11:12], s[58:59]
	v_fma_f64 v[13:14], v[15:16], v[13:14], s[74:75]
	v_add_f64 v[27:28], v[33:34], -v[27:28]
	v_fma_f64 v[11:12], v[15:16], v[11:12], s[66:67]
	v_mul_f64 v[33:34], v[15:16], v[15:16]
	v_fma_f64 v[27:28], v[57:58], -v[63:64], v[27:28]
	v_fma_f64 v[11:12], v[15:16], v[11:12], s[34:35]
	v_fma_f64 v[11:12], v[33:34], v[11:12], v[27:28]
	;; [unrolled: 1-line block ×3, first 2 shown]
	v_mul_f64 v[13:14], v[57:58], -v[15:16]
	v_add_f64 v[11:12], v[29:30], v[11:12]
	v_mul_f64 v[29:30], v[63:64], 0.5
	v_fma_f64 v[27:28], v[13:14], v[27:28], v[29:30]
	v_fma_f64 v[15:16], v[15:16], v[27:28], -v[63:64]
	v_fma_f64 v[13:14], v[13:14], s[92:93], v[15:16]
	v_add_f64 v[13:14], v[57:58], -v[13:14]
	v_cndmask_b32_e64 v7, v11, v13, s[2:3]
	v_cndmask_b32_e64 v11, v12, v14, s[2:3]
	v_lshlrev_b32_e32 v12, 30, v104
	v_xor_b32_e32 v8, v12, v8
	v_and_b32_e32 v8, 0x80000000, v8
	v_xor_b32_e32 v8, v11, v8
	v_cndmask_b32_e64 v7, 0, v7, s[0:1]
	v_cndmask_b32_e64 v8, v98, v8, s[0:1]
	v_mul_f64 v[7:8], v[9:10], v[7:8]
	v_lshlrev_b64 v[9:10], 4, v[25:26]
	v_readlane_b32 s2, v125, 2
	v_readlane_b32 s3, v125, 3
	v_add_co_u32_e64 v9, s[0:1], s2, v9
	v_mov_b32_e32 v11, s3
	v_addc_co_u32_e64 v10, s[0:1], v11, v10, s[0:1]
	global_store_dwordx4 v[9:10], v[5:8], off
	s_or_b64 exec, exec, s[6:7]
	s_and_saveexec_b64 s[4:5], vcc
	s_cbranch_execz .LBB143_56
	s_branch .LBB143_120
.LBB143_115:                            ;   in Loop: Header=BB143_57 Depth=1
	s_andn2_saveexec_b64 s[6:7], s[50:51]
	s_cbranch_execz .LBB143_111
.LBB143_116:                            ;   in Loop: Header=BB143_57 Depth=1
	v_mul_f64 v[55:56], |v[3:4]|, s[20:21]
	s_mov_b32 s86, s22
	v_rndne_f64_e32 v[87:88], v[55:56]
	v_fma_f64 v[55:56], v[87:88], s[18:19], |v[3:4]|
	v_mul_f64 v[59:60], v[87:88], s[22:23]
	v_cvt_i32_f64_e32 v103, v[87:88]
	v_fma_f64 v[111:112], v[87:88], s[22:23], v[55:56]
	v_add_f64 v[89:90], v[55:56], v[59:60]
	v_add_f64 v[91:92], v[55:56], -v[89:90]
	v_add_f64 v[89:90], v[89:90], -v[111:112]
	v_add_f64 v[55:56], v[91:92], v[59:60]
	v_fma_f64 v[59:60], v[87:88], s[86:87], v[59:60]
	v_add_f64 v[55:56], v[89:90], v[55:56]
	v_add_f64 v[55:56], v[55:56], -v[59:60]
	v_fma_f64 v[59:60], v[87:88], s[24:25], v[55:56]
	v_add_f64 v[55:56], v[111:112], v[59:60]
	v_add_f64 v[89:90], v[55:56], -v[111:112]
	v_add_f64 v[59:60], v[59:60], -v[89:90]
	s_or_b64 exec, exec, s[6:7]
	s_and_saveexec_b64 s[6:7], s[4:5]
	s_xor_b64 s[60:61], exec, s[6:7]
	s_cbranch_execnz .LBB143_112
.LBB143_117:                            ;   in Loop: Header=BB143_57 Depth=1
	s_or_b64 exec, exec, s[60:61]
	s_and_saveexec_b64 s[8:9], s[2:3]
	s_cbranch_execz .LBB143_113
.LBB143_118:                            ;   in Loop: Header=BB143_57 Depth=1
	s_mov_b32 s2, 0x652b82fe
	s_mov_b32 s3, 0x3ff71547
	v_mul_f64 v[13:14], v[9:10], s[2:3]
	s_mov_b32 s2, 0x3b39803f
	s_mov_b32 s3, 0xbc7abc9e
	;; [unrolled: 1-line block ×4, first 2 shown]
	v_cmp_ngt_f64_e64 s[4:5], s[4:5], v[9:10]
	s_mov_b32 s95, s41
	s_mov_b32 s43, s27
	v_rndne_f64_e32 v[15:16], v[13:14]
	s_mov_b32 s45, s57
	s_mov_b32 s47, s55
	s_mov_b32 s49, s11
	s_mov_b32 s28, s12
	s_mov_b32 s6, 0x9037ab78
	s_mov_b32 s7, 0x3e21eeb6
	s_mov_b32 s59, s53
	v_fma_f64 v[13:14], v[15:16], s[12:13], v[9:10]
	v_cvt_i32_f64_e32 v18, v[15:16]
	s_mov_b32 s35, s55
	s_mov_b32 s31, s57
	;; [unrolled: 1-line block ×3, first 2 shown]
	v_fma_f64 v[29:30], v[15:16], s[2:3], v[13:14]
	s_mov_b32 s2, 0x6a5dcb37
	s_mov_b32 s3, 0x3e5ade15
	v_fma_f64 v[13:14], v[29:30], s[2:3], v[19:20]
	s_mov_b32 s2, 0x623fde64
	s_mov_b32 s3, 0x3ec71dee
	;; [unrolled: 3-line block ×4, first 2 shown]
	v_fma_f64 v[13:14], v[29:30], v[13:14], s[40:41]
	v_fma_f64 v[13:14], v[29:30], v[13:14], s[26:27]
	;; [unrolled: 1-line block ×6, first 2 shown]
	v_cmp_nlt_f64_e64 s[2:3], s[90:91], v[9:10]
	v_fma_f64 v[13:14], v[29:30], v[13:14], 1.0
	v_fma_f64 v[13:14], v[29:30], v[13:14], 1.0
	v_ldexp_f64 v[13:14], v[13:14], v18
	v_cndmask_b32_e64 v14, v95, v14, s[2:3]
	s_and_b64 s[2:3], s[4:5], s[2:3]
	v_cndmask_b32_e64 v14, 0, v14, s[4:5]
	s_mov_b32 s4, 0xa9d67f34
	s_mov_b32 s5, 0x3e21f32e
	v_fma_f64 v[37:38], v[29:30], s[4:5], v[21:22]
	s_mov_b32 s4, 0xe0ac05b
	s_mov_b32 s5, 0x3e927e50
	v_cndmask_b32_e64 v13, 0, v13, s[2:3]
	v_cmp_eq_f64_e64 s[2:3], s[90:91], v[15:16]
	v_ldexp_f64 v[15:16], 1.0, v18
	v_fma_f64 v[37:38], v[29:30], v[37:38], s[4:5]
	s_mov_b32 s4, 0x1b889c29
	s_mov_b32 s5, 0x3ec71de0
	v_cndmask_b32_e64 v16, v16, v96, s[2:3]
	v_cndmask_b32_e64 v15, v15, 0, s[2:3]
	v_fma_f64 v[37:38], v[29:30], v[37:38], s[4:5]
	s_mov_b32 s4, 0
	s_mov_b32 s5, 0xc0428000
	v_cmp_ngt_f64_e64 s[4:5], s[4:5], v[9:10]
	v_fma_f64 v[37:38], v[29:30], v[37:38], s[52:53]
	v_fma_f64 v[37:38], v[29:30], v[37:38], s[94:95]
	v_fma_f64 v[37:38], v[29:30], v[37:38], s[42:43]
	v_fma_f64 v[37:38], v[29:30], v[37:38], s[44:45]
	v_fma_f64 v[37:38], v[29:30], v[37:38], s[46:47]
	v_fma_f64 v[37:38], v[29:30], v[37:38], s[48:49]
	v_fma_f64 v[37:38], v[29:30], v[37:38], 0.5
	v_mul_f64 v[37:38], v[29:30], v[37:38]
	v_fma_f64 v[29:30], v[29:30], v[37:38], v[29:30]
	v_add_f64 v[37:38], v[15:16], -1.0
	v_fma_f64 v[15:16], v[15:16], v[29:30], v[37:38]
	v_mul_f64 v[37:38], v[79:80], v[79:80]
	v_add_f64 v[29:30], v[15:16], v[15:16]
	v_mul_f64 v[49:50], v[37:38], v[37:38]
	v_cndmask_b32_e64 v15, v15, v29, s[2:3]
	v_cndmask_b32_e64 v16, v16, v30, s[2:3]
	v_cmp_nlt_f64_e64 s[2:3], s[28:29], v[9:10]
	v_mul_f64 v[29:30], v[37:38], 0.5
	v_cndmask_b32_e64 v16, v95, v16, s[2:3]
	s_and_b64 s[2:3], s[4:5], s[2:3]
	v_cndmask_b32_e64 v9, 0, v15, s[2:3]
	v_cndmask_b32_e64 v10, v97, v16, s[4:5]
	v_mov_b32_e32 v16, s7
	v_mov_b32_e32 v15, s6
	v_fma_f64 v[65:66], v[37:38], s[62:63], v[15:16]
	v_add_f64 v[47:48], -v[29:30], 1.0
	s_mov_b32 s6, 0xb42fdfa7
	s_mov_b32 s7, 0xbe5ae600
	v_cmp_class_f64_e64 s[2:3], v[11:12], s69
	v_and_b32_e32 v11, 1, v109
	v_cmp_eq_u32_e64 s[4:5], 0, v11
	v_fma_f64 v[65:66], v[37:38], v[65:66], s[64:65]
	v_add_f64 v[69:70], -v[47:48], 1.0
	v_fma_f64 v[65:66], v[37:38], v[65:66], s[58:59]
	v_add_f64 v[29:30], v[69:70], -v[29:30]
	v_mul_f64 v[69:70], v[81:82], 0.5
	v_fma_f64 v[65:66], v[37:38], v[65:66], s[66:67]
	v_fma_f64 v[29:30], v[79:80], -v[81:82], v[29:30]
	v_fma_f64 v[65:66], v[37:38], v[65:66], s[34:35]
	v_fma_f64 v[29:30], v[49:50], v[65:66], v[29:30]
	v_mul_f64 v[49:50], v[79:80], -v[37:38]
	v_add_f64 v[47:48], v[47:48], v[29:30]
	v_mov_b32_e32 v30, s7
	v_mov_b32_e32 v29, s6
	v_fma_f64 v[65:66], v[37:38], s[70:71], v[29:30]
	v_fma_f64 v[65:66], v[37:38], v[65:66], s[72:73]
	;; [unrolled: 1-line block ×5, first 2 shown]
	v_mul_f64 v[69:70], v[53:54], 0.5
	v_fma_f64 v[37:38], v[37:38], v[65:66], -v[81:82]
	v_fma_f64 v[37:38], v[49:50], s[92:93], v[37:38]
	v_add_f64 v[37:38], v[79:80], -v[37:38]
	v_xor_b32_e32 v11, 0x80000000, v38
	v_cndmask_b32_e64 v18, v37, v47, s[4:5]
	v_cndmask_b32_e64 v11, v11, v48, s[4:5]
	v_mul_f64 v[47:48], v[51:52], v[51:52]
	v_cmp_class_f64_e64 s[4:5], v[35:36], s69
	v_lshlrev_b32_e32 v37, 30, v109
	v_and_b32_e32 v37, 0x80000000, v37
	v_xor_b32_e32 v11, v11, v37
	v_cndmask_b32_e64 v38, v98, v11, s[2:3]
	v_and_b32_e32 v11, 1, v101
	v_lshlrev_b32_e32 v35, 30, v101
	v_fma_f64 v[65:66], v[47:48], s[70:71], v[29:30]
	v_mul_f64 v[49:50], v[51:52], -v[47:48]
	v_fma_f64 v[81:82], v[47:48], s[62:63], v[15:16]
	v_mul_f64 v[79:80], v[47:48], v[47:48]
	v_cmp_eq_u32_e64 s[6:7], 0, v11
	v_xor_b32_e32 v35, v35, v36
	v_cndmask_b32_e64 v37, 0, v18, s[2:3]
	v_and_b32_e32 v35, 0x80000000, v35
	v_fma_f64 v[65:66], v[47:48], v[65:66], s[72:73]
	v_fma_f64 v[81:82], v[47:48], v[81:82], s[64:65]
	;; [unrolled: 1-line block ×7, first 2 shown]
	v_fma_f64 v[65:66], v[47:48], v[65:66], -v[53:54]
	v_fma_f64 v[49:50], v[49:50], s[92:93], v[65:66]
	v_mul_f64 v[65:66], v[47:48], 0.5
	v_fma_f64 v[47:48], v[47:48], v[81:82], s[34:35]
	v_add_f64 v[49:50], v[51:52], -v[49:50]
	v_add_f64 v[69:70], -v[65:66], 1.0
	v_add_f64 v[81:82], -v[69:70], 1.0
	v_add_f64 v[65:66], v[81:82], -v[65:66]
	v_fma_f64 v[51:52], v[51:52], -v[53:54], v[65:66]
	v_fma_f64 v[47:48], v[79:80], v[47:48], v[51:52]
	v_add_f64 v[47:48], v[69:70], v[47:48]
	v_cndmask_b32_e64 v18, v48, v50, s[6:7]
	v_cndmask_b32_e64 v11, v47, v49, s[6:7]
	v_xor_b32_e32 v18, v18, v35
	v_cndmask_b32_e64 v35, 0, v11, s[4:5]
	v_cndmask_b32_e64 v36, v98, v18, s[4:5]
	v_add_f64 v[47:48], v[35:36], v[35:36]
	v_and_b32_e32 v11, 1, v105
	v_cmp_eq_u32_e64 s[4:5], 0, v11
	v_mul_f64 v[35:36], v[47:48], v[35:36]
	v_fma_f64 v[9:10], v[9:10], v[37:38], -v[35:36]
	v_mul_f64 v[35:36], v[61:62], v[61:62]
	v_mul_f64 v[37:38], v[35:36], 0.5
	v_fma_f64 v[15:16], v[35:36], s[62:63], v[15:16]
	v_fma_f64 v[29:30], v[35:36], s[70:71], v[29:30]
	v_add_f64 v[47:48], -v[37:38], 1.0
	v_fma_f64 v[15:16], v[35:36], v[15:16], s[64:65]
	v_fma_f64 v[29:30], v[35:36], v[29:30], s[72:73]
	v_add_f64 v[49:50], -v[47:48], 1.0
	v_fma_f64 v[15:16], v[35:36], v[15:16], s[58:59]
	v_fma_f64 v[29:30], v[35:36], v[29:30], s[74:75]
	v_add_f64 v[37:38], v[49:50], -v[37:38]
	v_fma_f64 v[15:16], v[35:36], v[15:16], s[66:67]
	v_mul_f64 v[49:50], v[35:36], v[35:36]
	v_fma_f64 v[37:38], v[61:62], -v[67:68], v[37:38]
	v_fma_f64 v[15:16], v[35:36], v[15:16], s[34:35]
	v_fma_f64 v[15:16], v[49:50], v[15:16], v[37:38]
	;; [unrolled: 1-line block ×3, first 2 shown]
	v_mul_f64 v[29:30], v[61:62], -v[35:36]
	v_add_f64 v[15:16], v[47:48], v[15:16]
	v_mul_f64 v[47:48], v[67:68], 0.5
	v_fma_f64 v[37:38], v[29:30], v[37:38], v[47:48]
	v_fma_f64 v[35:36], v[35:36], v[37:38], -v[67:68]
	v_fma_f64 v[29:30], v[29:30], s[92:93], v[35:36]
	v_add_f64 v[29:30], v[61:62], -v[29:30]
	v_cndmask_b32_e64 v11, v15, v29, s[4:5]
	v_cndmask_b32_e64 v15, v16, v30, s[4:5]
	v_lshlrev_b32_e32 v16, 30, v105
	v_xor_b32_e32 v12, v16, v12
	v_and_b32_e32 v12, 0x80000000, v12
	v_xor_b32_e32 v12, v15, v12
	v_cndmask_b32_e64 v11, 0, v11, s[2:3]
	v_cndmask_b32_e64 v12, v98, v12, s[2:3]
	v_mul_f64 v[11:12], v[13:14], v[11:12]
	v_lshlrev_b64 v[13:14], 4, v[27:28]
	v_readlane_b32 s4, v125, 2
	v_readlane_b32 s5, v125, 3
	v_add_co_u32_e64 v13, s[2:3], s4, v13
	v_mov_b32_e32 v15, s5
	v_addc_co_u32_e64 v14, s[2:3], v15, v14, s[2:3]
	global_store_dwordx4 v[13:14], v[9:12], off
	s_or_b64 exec, exec, s[8:9]
	s_and_saveexec_b64 s[6:7], s[0:1]
	s_cbranch_execnz .LBB143_114
.LBB143_119:                            ;   in Loop: Header=BB143_57 Depth=1
	s_or_b64 exec, exec, s[6:7]
	s_and_saveexec_b64 s[4:5], vcc
	s_cbranch_execz .LBB143_56
.LBB143_120:                            ;   in Loop: Header=BB143_57 Depth=1
	s_mov_b32 s0, 0x652b82fe
	s_mov_b32 s1, 0x3ff71547
	v_mul_f64 v[5:6], v[1:2], s[0:1]
	s_mov_b32 s0, 0x3b39803f
	s_mov_b32 s1, 0xbc7abc9e
	v_cmp_nlt_f64_e32 vcc, s[90:91], v[1:2]
	s_mov_b32 s95, s41
	s_mov_b32 s43, s27
	;; [unrolled: 1-line block ×4, first 2 shown]
	v_rndne_f64_e32 v[7:8], v[5:6]
	s_mov_b32 s49, s11
	s_mov_b32 s28, s12
	;; [unrolled: 1-line block ×7, first 2 shown]
	v_fma_f64 v[5:6], v[7:8], s[12:13], v[1:2]
	v_cvt_i32_f64_e32 v11, v[7:8]
	s_mov_b32 s92, s34
	v_fma_f64 v[9:10], v[7:8], s[0:1], v[5:6]
	s_mov_b32 s0, 0x6a5dcb37
	s_mov_b32 s1, 0x3e5ade15
	v_fma_f64 v[5:6], v[9:10], s[0:1], v[19:20]
	s_mov_b32 s0, 0x623fde64
	;; [unrolled: 3-line block ×4, first 2 shown]
	s_mov_b32 s1, 0x3fe00000
	v_fma_f64 v[5:6], v[9:10], v[5:6], s[40:41]
	v_fma_f64 v[5:6], v[9:10], v[5:6], s[26:27]
	;; [unrolled: 1-line block ×6, first 2 shown]
	s_mov_b32 s0, 0
	s_mov_b32 s1, 0xc090cc00
	v_cmp_ngt_f64_e64 s[0:1], s[0:1], v[1:2]
	v_fma_f64 v[5:6], v[9:10], v[5:6], 1.0
	v_fma_f64 v[5:6], v[9:10], v[5:6], 1.0
	v_ldexp_f64 v[5:6], v[5:6], v11
	v_cndmask_b32_e32 v6, v95, v6, vcc
	s_and_b64 vcc, s[0:1], vcc
	v_cndmask_b32_e64 v6, 0, v6, s[0:1]
	s_mov_b32 s0, 0xa9d67f34
	s_mov_b32 s1, 0x3e21f32e
	v_cndmask_b32_e32 v5, 0, v5, vcc
	v_cmp_eq_f64_e32 vcc, s[90:91], v[7:8]
	v_ldexp_f64 v[7:8], 1.0, v11
	v_fma_f64 v[11:12], v[9:10], s[0:1], v[21:22]
	s_mov_b32 s0, 0xe0ac05b
	s_mov_b32 s1, 0x3e927e50
	v_cndmask_b32_e32 v8, v8, v96, vcc
	v_fma_f64 v[11:12], v[9:10], v[11:12], s[0:1]
	s_mov_b32 s0, 0x1b889c29
	s_mov_b32 s1, 0x3ec71de0
	v_cndmask_b32_e64 v7, v7, 0, vcc
	v_fma_f64 v[11:12], v[9:10], v[11:12], s[0:1]
	s_mov_b32 s0, 0
	s_mov_b32 s1, 0xc0428000
	v_cmp_ngt_f64_e64 s[0:1], s[0:1], v[1:2]
	v_fma_f64 v[11:12], v[9:10], v[11:12], s[52:53]
	v_fma_f64 v[11:12], v[9:10], v[11:12], s[94:95]
	;; [unrolled: 1-line block ×6, first 2 shown]
	v_fma_f64 v[11:12], v[9:10], v[11:12], 0.5
	v_mul_f64 v[11:12], v[9:10], v[11:12]
	v_fma_f64 v[9:10], v[9:10], v[11:12], v[9:10]
	v_add_f64 v[11:12], v[7:8], -1.0
	v_fma_f64 v[7:8], v[7:8], v[9:10], v[11:12]
	v_mul_f64 v[11:12], v[71:72], v[71:72]
	v_add_f64 v[9:10], v[7:8], v[7:8]
	v_mul_f64 v[15:16], v[11:12], v[11:12]
	v_cndmask_b32_e32 v7, v7, v9, vcc
	v_cndmask_b32_e32 v8, v8, v10, vcc
	v_cmp_nlt_f64_e32 vcc, s[28:29], v[1:2]
	v_mul_f64 v[9:10], v[11:12], 0.5
	v_cndmask_b32_e32 v8, v95, v8, vcc
	s_and_b64 vcc, s[0:1], vcc
	v_cndmask_b32_e32 v1, 0, v7, vcc
	v_cndmask_b32_e64 v2, v97, v8, s[0:1]
	v_mov_b32_e32 v8, s3
	v_mov_b32_e32 v7, s2
	v_fma_f64 v[25:26], v[11:12], s[62:63], v[7:8]
	v_add_f64 v[13:14], -v[9:10], 1.0
	s_mov_b32 s2, 0xb42fdfa7
	s_mov_b32 s3, 0xbe5ae600
	v_cmp_class_f64_e64 vcc, v[3:4], s69
	v_and_b32_e32 v3, 1, v107
	v_cmp_eq_u32_e64 s[0:1], 0, v3
	v_fma_f64 v[25:26], v[11:12], v[25:26], s[64:65]
	v_add_f64 v[27:28], -v[13:14], 1.0
	v_fma_f64 v[25:26], v[11:12], v[25:26], s[58:59]
	v_add_f64 v[9:10], v[27:28], -v[9:10]
	v_mul_f64 v[27:28], v[73:74], 0.5
	v_fma_f64 v[25:26], v[11:12], v[25:26], s[66:67]
	v_fma_f64 v[9:10], v[71:72], -v[73:74], v[9:10]
	v_fma_f64 v[25:26], v[11:12], v[25:26], s[34:35]
	v_fma_f64 v[9:10], v[15:16], v[25:26], v[9:10]
	v_mul_f64 v[15:16], v[71:72], -v[11:12]
	v_add_f64 v[13:14], v[13:14], v[9:10]
	v_mov_b32_e32 v10, s3
	v_mov_b32_e32 v9, s2
	v_fma_f64 v[25:26], v[11:12], s[70:71], v[9:10]
	v_fma_f64 v[25:26], v[11:12], v[25:26], s[72:73]
	;; [unrolled: 1-line block ×5, first 2 shown]
	v_mul_f64 v[27:28], v[41:42], 0.5
	v_fma_f64 v[11:12], v[11:12], v[25:26], -v[73:74]
	v_fma_f64 v[11:12], v[15:16], s[92:93], v[11:12]
	v_add_f64 v[11:12], v[71:72], -v[11:12]
	v_xor_b32_e32 v3, 0x80000000, v12
	v_cndmask_b32_e64 v11, v11, v13, s[0:1]
	v_cndmask_b32_e64 v3, v3, v14, s[0:1]
	v_mul_f64 v[13:14], v[39:40], v[39:40]
	v_lshlrev_b32_e32 v12, 30, v107
	v_and_b32_e32 v12, 0x80000000, v12
	v_cmp_class_f64_e64 s[0:1], v[31:32], s69
	v_xor_b32_e32 v3, v3, v12
	v_cndmask_b32_e32 v12, v98, v3, vcc
	v_and_b32_e32 v3, 1, v99
	v_cmp_eq_u32_e64 s[2:3], 0, v3
	v_fma_f64 v[25:26], v[13:14], s[70:71], v[9:10]
	v_mul_f64 v[15:16], v[39:40], -v[13:14]
	v_fma_f64 v[33:34], v[13:14], s[62:63], v[7:8]
	v_mul_f64 v[29:30], v[13:14], v[13:14]
	v_cndmask_b32_e32 v11, 0, v11, vcc
	v_fma_f64 v[25:26], v[13:14], v[25:26], s[72:73]
	v_fma_f64 v[33:34], v[13:14], v[33:34], s[64:65]
	;; [unrolled: 1-line block ×7, first 2 shown]
	v_fma_f64 v[25:26], v[13:14], v[25:26], -v[41:42]
	v_fma_f64 v[15:16], v[15:16], s[92:93], v[25:26]
	v_mul_f64 v[25:26], v[13:14], 0.5
	v_fma_f64 v[13:14], v[13:14], v[33:34], s[34:35]
	v_add_f64 v[15:16], v[39:40], -v[15:16]
	v_add_f64 v[27:28], -v[25:26], 1.0
	v_add_f64 v[33:34], -v[27:28], 1.0
	v_add_f64 v[25:26], v[33:34], -v[25:26]
	v_fma_f64 v[25:26], v[39:40], -v[41:42], v[25:26]
	v_fma_f64 v[13:14], v[29:30], v[13:14], v[25:26]
	v_add_f64 v[13:14], v[27:28], v[13:14]
	v_cndmask_b32_e64 v3, v13, v15, s[2:3]
	v_cndmask_b32_e64 v13, v14, v16, s[2:3]
	v_lshlrev_b32_e32 v14, 30, v99
	v_xor_b32_e32 v14, v14, v32
	v_and_b32_e32 v14, 0x80000000, v14
	v_xor_b32_e32 v14, v13, v14
	v_cndmask_b32_e64 v13, 0, v3, s[0:1]
	v_cndmask_b32_e64 v14, v98, v14, s[0:1]
	v_add_f64 v[15:16], v[13:14], v[13:14]
	v_and_b32_e32 v3, 1, v103
	v_cmp_eq_u32_e64 s[0:1], 0, v3
	v_mul_f64 v[13:14], v[15:16], v[13:14]
	v_fma_f64 v[1:2], v[1:2], v[11:12], -v[13:14]
	v_mul_f64 v[11:12], v[55:56], v[55:56]
	v_mul_f64 v[13:14], v[11:12], 0.5
	v_fma_f64 v[7:8], v[11:12], s[62:63], v[7:8]
	v_fma_f64 v[9:10], v[11:12], s[70:71], v[9:10]
	v_add_f64 v[15:16], -v[13:14], 1.0
	v_fma_f64 v[7:8], v[11:12], v[7:8], s[64:65]
	v_fma_f64 v[9:10], v[11:12], v[9:10], s[72:73]
	v_add_f64 v[25:26], -v[15:16], 1.0
	v_fma_f64 v[7:8], v[11:12], v[7:8], s[58:59]
	v_fma_f64 v[9:10], v[11:12], v[9:10], s[74:75]
	v_add_f64 v[13:14], v[25:26], -v[13:14]
	v_fma_f64 v[7:8], v[11:12], v[7:8], s[66:67]
	v_mul_f64 v[25:26], v[11:12], v[11:12]
	v_fma_f64 v[13:14], v[55:56], -v[59:60], v[13:14]
	v_fma_f64 v[7:8], v[11:12], v[7:8], s[34:35]
	v_fma_f64 v[7:8], v[25:26], v[7:8], v[13:14]
	;; [unrolled: 1-line block ×3, first 2 shown]
	v_mul_f64 v[9:10], v[55:56], -v[11:12]
	v_add_f64 v[7:8], v[15:16], v[7:8]
	v_mul_f64 v[15:16], v[59:60], 0.5
	v_fma_f64 v[13:14], v[9:10], v[13:14], v[15:16]
	v_fma_f64 v[11:12], v[11:12], v[13:14], -v[59:60]
	v_fma_f64 v[9:10], v[9:10], s[92:93], v[11:12]
	v_add_f64 v[9:10], v[55:56], -v[9:10]
	v_cndmask_b32_e64 v3, v7, v9, s[0:1]
	v_cndmask_b32_e64 v7, v8, v10, s[0:1]
	v_lshlrev_b32_e32 v8, 30, v103
	v_xor_b32_e32 v4, v8, v4
	v_and_b32_e32 v4, 0x80000000, v4
	v_xor_b32_e32 v4, v7, v4
	v_cndmask_b32_e32 v3, 0, v3, vcc
	v_cndmask_b32_e32 v4, v98, v4, vcc
	v_mul_f64 v[3:4], v[5:6], v[3:4]
	v_lshlrev_b64 v[5:6], 4, v[23:24]
	v_readlane_b32 s0, v125, 2
	v_readlane_b32 s1, v125, 3
	v_add_co_u32_e32 v5, vcc, s0, v5
	v_mov_b32_e32 v7, s1
	v_addc_co_u32_e32 v6, vcc, v7, v6, vcc
	global_store_dwordx4 v[5:6], v[1:4], off
	s_branch .LBB143_56
.LBB143_121:
	s_endpgm
	.section	.rodata,"a",@progbits
	.p2align	6, 0x0
	.amdhsa_kernel _ZN2at6native12_GLOBAL__N_125multi_tensor_apply_kernelINS1_18TensorListMetadataILi2EEENS1_14UnaryOpFunctorIN3c107complexIdEELi2ELi1ELi1EEEJNS0_5Expm1IS8_EEEEEvT_T0_DpT1_
		.amdhsa_group_segment_fixed_size 0
		.amdhsa_private_segment_fixed_size 0
		.amdhsa_kernarg_size 3408
		.amdhsa_user_sgpr_count 6
		.amdhsa_user_sgpr_private_segment_buffer 1
		.amdhsa_user_sgpr_dispatch_ptr 0
		.amdhsa_user_sgpr_queue_ptr 0
		.amdhsa_user_sgpr_kernarg_segment_ptr 1
		.amdhsa_user_sgpr_dispatch_id 0
		.amdhsa_user_sgpr_flat_scratch_init 0
		.amdhsa_user_sgpr_private_segment_size 0
		.amdhsa_uses_dynamic_stack 0
		.amdhsa_system_sgpr_private_segment_wavefront_offset 0
		.amdhsa_system_sgpr_workgroup_id_x 1
		.amdhsa_system_sgpr_workgroup_id_y 0
		.amdhsa_system_sgpr_workgroup_id_z 0
		.amdhsa_system_sgpr_workgroup_info 0
		.amdhsa_system_vgpr_workitem_id 0
		.amdhsa_next_free_vgpr 126
		.amdhsa_next_free_sgpr 96
		.amdhsa_reserve_vcc 1
		.amdhsa_reserve_flat_scratch 0
		.amdhsa_float_round_mode_32 0
		.amdhsa_float_round_mode_16_64 0
		.amdhsa_float_denorm_mode_32 3
		.amdhsa_float_denorm_mode_16_64 3
		.amdhsa_dx10_clamp 1
		.amdhsa_ieee_mode 1
		.amdhsa_fp16_overflow 0
		.amdhsa_exception_fp_ieee_invalid_op 0
		.amdhsa_exception_fp_denorm_src 0
		.amdhsa_exception_fp_ieee_div_zero 0
		.amdhsa_exception_fp_ieee_overflow 0
		.amdhsa_exception_fp_ieee_underflow 0
		.amdhsa_exception_fp_ieee_inexact 0
		.amdhsa_exception_int_div_zero 0
	.end_amdhsa_kernel
	.section	.text._ZN2at6native12_GLOBAL__N_125multi_tensor_apply_kernelINS1_18TensorListMetadataILi2EEENS1_14UnaryOpFunctorIN3c107complexIdEELi2ELi1ELi1EEEJNS0_5Expm1IS8_EEEEEvT_T0_DpT1_,"axG",@progbits,_ZN2at6native12_GLOBAL__N_125multi_tensor_apply_kernelINS1_18TensorListMetadataILi2EEENS1_14UnaryOpFunctorIN3c107complexIdEELi2ELi1ELi1EEEJNS0_5Expm1IS8_EEEEEvT_T0_DpT1_,comdat
.Lfunc_end143:
	.size	_ZN2at6native12_GLOBAL__N_125multi_tensor_apply_kernelINS1_18TensorListMetadataILi2EEENS1_14UnaryOpFunctorIN3c107complexIdEELi2ELi1ELi1EEEJNS0_5Expm1IS8_EEEEEvT_T0_DpT1_, .Lfunc_end143-_ZN2at6native12_GLOBAL__N_125multi_tensor_apply_kernelINS1_18TensorListMetadataILi2EEENS1_14UnaryOpFunctorIN3c107complexIdEELi2ELi1ELi1EEEJNS0_5Expm1IS8_EEEEEvT_T0_DpT1_
                                        ; -- End function
	.set _ZN2at6native12_GLOBAL__N_125multi_tensor_apply_kernelINS1_18TensorListMetadataILi2EEENS1_14UnaryOpFunctorIN3c107complexIdEELi2ELi1ELi1EEEJNS0_5Expm1IS8_EEEEEvT_T0_DpT1_.num_vgpr, 126
	.set _ZN2at6native12_GLOBAL__N_125multi_tensor_apply_kernelINS1_18TensorListMetadataILi2EEENS1_14UnaryOpFunctorIN3c107complexIdEELi2ELi1ELi1EEEJNS0_5Expm1IS8_EEEEEvT_T0_DpT1_.num_agpr, 0
	.set _ZN2at6native12_GLOBAL__N_125multi_tensor_apply_kernelINS1_18TensorListMetadataILi2EEENS1_14UnaryOpFunctorIN3c107complexIdEELi2ELi1ELi1EEEJNS0_5Expm1IS8_EEEEEvT_T0_DpT1_.numbered_sgpr, 96
	.set _ZN2at6native12_GLOBAL__N_125multi_tensor_apply_kernelINS1_18TensorListMetadataILi2EEENS1_14UnaryOpFunctorIN3c107complexIdEELi2ELi1ELi1EEEJNS0_5Expm1IS8_EEEEEvT_T0_DpT1_.num_named_barrier, 0
	.set _ZN2at6native12_GLOBAL__N_125multi_tensor_apply_kernelINS1_18TensorListMetadataILi2EEENS1_14UnaryOpFunctorIN3c107complexIdEELi2ELi1ELi1EEEJNS0_5Expm1IS8_EEEEEvT_T0_DpT1_.private_seg_size, 0
	.set _ZN2at6native12_GLOBAL__N_125multi_tensor_apply_kernelINS1_18TensorListMetadataILi2EEENS1_14UnaryOpFunctorIN3c107complexIdEELi2ELi1ELi1EEEJNS0_5Expm1IS8_EEEEEvT_T0_DpT1_.uses_vcc, 1
	.set _ZN2at6native12_GLOBAL__N_125multi_tensor_apply_kernelINS1_18TensorListMetadataILi2EEENS1_14UnaryOpFunctorIN3c107complexIdEELi2ELi1ELi1EEEJNS0_5Expm1IS8_EEEEEvT_T0_DpT1_.uses_flat_scratch, 0
	.set _ZN2at6native12_GLOBAL__N_125multi_tensor_apply_kernelINS1_18TensorListMetadataILi2EEENS1_14UnaryOpFunctorIN3c107complexIdEELi2ELi1ELi1EEEJNS0_5Expm1IS8_EEEEEvT_T0_DpT1_.has_dyn_sized_stack, 0
	.set _ZN2at6native12_GLOBAL__N_125multi_tensor_apply_kernelINS1_18TensorListMetadataILi2EEENS1_14UnaryOpFunctorIN3c107complexIdEELi2ELi1ELi1EEEJNS0_5Expm1IS8_EEEEEvT_T0_DpT1_.has_recursion, 0
	.set _ZN2at6native12_GLOBAL__N_125multi_tensor_apply_kernelINS1_18TensorListMetadataILi2EEENS1_14UnaryOpFunctorIN3c107complexIdEELi2ELi1ELi1EEEJNS0_5Expm1IS8_EEEEEvT_T0_DpT1_.has_indirect_call, 0
	.section	.AMDGPU.csdata,"",@progbits
; Kernel info:
; codeLenInByte = 31168
; TotalNumSgprs: 100
; NumVgprs: 126
; ScratchSize: 0
; MemoryBound: 1
; FloatMode: 240
; IeeeMode: 1
; LDSByteSize: 0 bytes/workgroup (compile time only)
; SGPRBlocks: 12
; VGPRBlocks: 31
; NumSGPRsForWavesPerEU: 100
; NumVGPRsForWavesPerEU: 126
; Occupancy: 2
; WaveLimiterHint : 0
; COMPUTE_PGM_RSRC2:SCRATCH_EN: 0
; COMPUTE_PGM_RSRC2:USER_SGPR: 6
; COMPUTE_PGM_RSRC2:TRAP_HANDLER: 0
; COMPUTE_PGM_RSRC2:TGID_X_EN: 1
; COMPUTE_PGM_RSRC2:TGID_Y_EN: 0
; COMPUTE_PGM_RSRC2:TGID_Z_EN: 0
; COMPUTE_PGM_RSRC2:TIDIG_COMP_CNT: 0
	.section	.text._ZN2at6native12_GLOBAL__N_125multi_tensor_apply_kernelINS1_18TensorListMetadataILi2EEENS1_14UnaryOpFunctorIN3c107complexIfEELi2ELi1ELi1EEEJNS0_5Expm1IS8_EEEEEvT_T0_DpT1_,"axG",@progbits,_ZN2at6native12_GLOBAL__N_125multi_tensor_apply_kernelINS1_18TensorListMetadataILi2EEENS1_14UnaryOpFunctorIN3c107complexIfEELi2ELi1ELi1EEEJNS0_5Expm1IS8_EEEEEvT_T0_DpT1_,comdat
	.globl	_ZN2at6native12_GLOBAL__N_125multi_tensor_apply_kernelINS1_18TensorListMetadataILi2EEENS1_14UnaryOpFunctorIN3c107complexIfEELi2ELi1ELi1EEEJNS0_5Expm1IS8_EEEEEvT_T0_DpT1_ ; -- Begin function _ZN2at6native12_GLOBAL__N_125multi_tensor_apply_kernelINS1_18TensorListMetadataILi2EEENS1_14UnaryOpFunctorIN3c107complexIfEELi2ELi1ELi1EEEJNS0_5Expm1IS8_EEEEEvT_T0_DpT1_
	.p2align	8
	.type	_ZN2at6native12_GLOBAL__N_125multi_tensor_apply_kernelINS1_18TensorListMetadataILi2EEENS1_14UnaryOpFunctorIN3c107complexIfEELi2ELi1ELi1EEEJNS0_5Expm1IS8_EEEEEvT_T0_DpT1_,@function
_ZN2at6native12_GLOBAL__N_125multi_tensor_apply_kernelINS1_18TensorListMetadataILi2EEENS1_14UnaryOpFunctorIN3c107complexIfEELi2ELi1ELi1EEEJNS0_5Expm1IS8_EEEEEvT_T0_DpT1_: ; @_ZN2at6native12_GLOBAL__N_125multi_tensor_apply_kernelINS1_18TensorListMetadataILi2EEENS1_14UnaryOpFunctorIN3c107complexIfEELi2ELi1ELi1EEEJNS0_5Expm1IS8_EEEEEvT_T0_DpT1_
; %bb.0:
	v_mov_b32_e32 v1, s6
	global_load_ubyte v1, v1, s[4:5] offset:1536
	s_add_u32 s0, s4, s6
	s_mul_hi_u32 s2, s6, 3
	s_mul_i32 s6, s6, 3
	s_addc_u32 s7, s5, 0
	s_add_u32 s6, s0, s6
	s_addc_u32 s7, s7, s2
	s_load_dword s6, s[6:7], 0x740
	s_mov_b32 s1, 0
	s_mov_b32 s3, s1
	s_waitcnt lgkmcnt(0)
	s_ashr_i32 s7, s6, 31
	s_lshl_b64 s[16:17], s[6:7], 19
	s_waitcnt vmcnt(0)
	v_readfirstlane_b32 s0, v1
	s_lshl_b32 s0, s0, 3
	s_load_dwordx2 s[8:9], s[4:5], s0 offset:0x0
	s_load_dwordx2 s[10:11], s[4:5], s0 offset:0x400
	;; [unrolled: 1-line block ×3, first 2 shown]
	s_waitcnt lgkmcnt(0)
	s_add_u32 s14, s8, s16
	s_addc_u32 s15, s9, s17
	s_and_b32 s0, s14, 31
	s_add_u32 s16, s12, s16
	s_addc_u32 s17, s13, s17
	s_lshl_b64 s[6:7], s[6:7], 16
	s_and_b32 s2, s16, 31
	s_sub_u32 s8, s10, s6
	s_subb_u32 s9, s11, s7
	s_and_b32 s6, s10, 3
	s_mov_b32 s7, s1
	s_or_b64 s[2:3], s[2:3], s[6:7]
	s_or_b64 s[0:1], s[2:3], s[0:1]
	s_cmp_eq_u64 s[0:1], 0
	s_mov_b64 s[0:1], -1
	s_cbranch_scc0 .LBB144_53
; %bb.1:
	v_mov_b32_e32 v1, 0x10000
	v_mov_b32_e32 v2, 0
	v_cmp_lt_i64_e32 vcc, s[8:9], v[1:2]
	v_mov_b32_e32 v10, 0
	s_and_b64 s[0:1], vcc, exec
	s_cselect_b32 s11, s9, 0
	s_cselect_b32 s10, s8, 0x10000
	v_lshlrev_b32_e32 v9, 2, v0
	v_cmp_gt_i64_e32 vcc, s[10:11], v[9:10]
	s_and_saveexec_b64 s[12:13], vcc
	s_cbranch_execz .LBB144_52
; %bb.2:
	s_load_dword s0, s[4:5], 0xc5c
	v_mov_b32_e32 v1, v10
	v_mov_b32_e32 v12, v1
	v_lshlrev_b32_e32 v13, 5, v0
	s_mov_b64 s[18:19], 0
	s_waitcnt lgkmcnt(0)
	s_and_b32 s29, s0, 0xffff
	s_brev_b32 s28, 18
	s_lshl_b32 s30, s29, 5
	s_mov_b32 s31, 0xfe5163ab
	s_mov_b32 s33, 0x3c439041
	;; [unrolled: 1-line block ×14, first 2 shown]
	v_mov_b32_e32 v14, 0x3c0887f9
	v_mov_b32_e32 v15, 0x3d2aaa81
	;; [unrolled: 1-line block ×3, first 2 shown]
	s_mov_b32 s46, 0x42b17217
	s_mov_b32 s47, 0xc1880000
	s_movk_i32 s48, 0x1f8
	v_mov_b32_e32 v17, 0x3d2aabf7
	v_mov_b32_e32 v18, 0xbf000004
	v_mov_b32_e32 v19, 0xbe2aaa9d
	v_not_b32_e32 v20, 63
	v_not_b32_e32 v21, 31
	v_mov_b32_e32 v22, 0x7f800000
	v_mov_b32_e32 v23, 0x7f000000
	;; [unrolled: 1-line block ×3, first 2 shown]
	s_mov_b64 s[20:21], s[14:15]
	s_mov_b64 s[22:23], s[16:17]
	v_mov_b32_e32 v11, v0
	s_branch .LBB144_4
.LBB144_3:                              ;   in Loop: Header=BB144_4 Depth=1
	s_or_b64 exec, exec, s[0:1]
	v_mul_f32_e32 v60, 0x3fb8aa3b, v1
	v_rndne_f32_e32 v61, v60
	v_sub_f32_e32 v62, v60, v61
	v_fma_f32 v60, v1, s42, -v60
	v_fmac_f32_e32 v60, 0x32a5705f, v1
	v_add_f32_e32 v60, v62, v60
	v_cvt_i32_f32_e32 v62, v61
	v_exp_f32_e32 v60, v60
	v_cmp_ngt_f32_e32 vcc, s43, v1
	v_mov_b32_e32 v63, v1
	v_fmac_f32_e32 v63, 0xbf317218, v61
	v_ldexp_f32 v60, v60, v62
	v_cndmask_b32_e32 v60, 0, v60, vcc
	v_cmp_nlt_f32_e32 vcc, s44, v1
	v_cndmask_b32_e32 v60, v22, v60, vcc
	v_cmp_eq_f32_e32 vcc, s45, v61
	v_fmac_f32_e32 v63, 0x3102e308, v61
	v_mov_b32_e32 v61, 0x3ab69700
	v_fmac_f32_e32 v61, 0x395133b1, v63
	v_fma_f32 v61, v63, v61, v14
	v_fma_f32 v61, v63, v61, v15
	;; [unrolled: 1-line block ×3, first 2 shown]
	v_ldexp_f32 v62, 1.0, v62
	v_fma_f32 v61, v63, v61, 0.5
	v_cndmask_b32_e32 v62, v62, v23, vcc
	v_mul_f32_e32 v61, v63, v61
	v_fmac_f32_e32 v63, v63, v61
	v_add_f32_e32 v61, -1.0, v62
	v_fmac_f32_e32 v61, v62, v63
	v_add_f32_e32 v62, v61, v61
	v_cndmask_b32_e32 v61, v61, v62, vcc
	v_mul_f32_e32 v62, v53, v53
	v_mov_b32_e32 v63, 0xbab64f3b
	v_fmac_f32_e32 v63, 0x37d75334, v62
	v_mov_b32_e32 v64, 0x3c0881c4
	v_cmp_nlt_f32_e32 vcc, s46, v1
	v_fma_f32 v63, v62, v63, v17
	v_fmac_f32_e32 v64, 0xb94c1982, v62
	v_cndmask_b32_e32 v61, v22, v61, vcc
	v_cmp_ngt_f32_e32 vcc, s47, v1
	v_fma_f32 v63, v62, v63, v18
	v_fma_f32 v64, v62, v64, v19
	v_cndmask_b32_e32 v1, -1.0, v61, vcc
	v_lshlrev_b32_e32 v61, 30, v54
	v_and_b32_e32 v54, 1, v54
	v_fma_f32 v63, v62, v63, 1.0
	v_mul_f32_e32 v62, v62, v64
	v_fmac_f32_e32 v53, v53, v62
	v_cmp_eq_u32_e32 vcc, 0, v54
	v_lshlrev_b32_e32 v54, 30, v47
	v_and_b32_e32 v61, 0x80000000, v61
	v_cndmask_b32_e64 v53, -v53, v63, vcc
	v_xor_b32_e32 v44, v44, v43
	v_and_b32_e32 v54, 0x80000000, v54
	v_xor_b32_e32 v53, v61, v53
	v_xor_b32_e32 v44, v44, v54
	v_mul_f32_e32 v54, v45, v45
	v_mov_b32_e32 v61, 0x3c0881c4
	v_fmac_f32_e32 v61, 0xb94c1982, v54
	v_fma_f32 v61, v54, v61, v19
	v_mul_f32_e32 v61, v54, v61
	v_fmac_f32_e32 v45, v45, v61
	v_mov_b32_e32 v61, 0xbab64f3b
	v_fmac_f32_e32 v61, 0x37d75334, v54
	v_fma_f32 v61, v54, v61, v17
	v_and_b32_e32 v47, 1, v47
	v_fma_f32 v61, v54, v61, v18
	v_fma_f32 v54, v54, v61, 1.0
	v_cmp_eq_u32_e64 s[0:1], 0, v47
	v_cndmask_b32_e64 v45, v54, v45, s[0:1]
	v_xor_b32_e32 v44, v44, v45
	v_cmp_class_f32_e64 s[0:1], v43, s48
	v_cndmask_b32_e64 v43, v24, v44, s[0:1]
	v_cmp_class_f32_e64 vcc, v2, s48
	v_add_f32_e32 v44, v43, v43
	v_cndmask_b32_e32 v53, v24, v53, vcc
	v_mul_f32_e32 v43, v43, v44
	v_fma_f32 v1, v1, v53, -v43
	v_mul_f32_e32 v43, v56, v56
	v_mov_b32_e32 v44, 0x3c0881c4
	v_fmac_f32_e32 v44, 0xb94c1982, v43
	v_fma_f32 v44, v43, v44, v19
	v_mul_f32_e32 v44, v43, v44
	v_fmac_f32_e32 v56, v56, v44
	v_mov_b32_e32 v44, 0xbab64f3b
	v_fmac_f32_e32 v44, 0x37d75334, v43
	v_fma_f32 v44, v43, v44, v17
	v_fma_f32 v44, v43, v44, v18
	v_fma_f32 v43, v43, v44, 1.0
	v_and_b32_e32 v44, 1, v55
	v_cmp_eq_u32_e64 s[0:1], 0, v44
	v_lshlrev_b32_e32 v44, 30, v55
	v_and_b32_e32 v44, 0x80000000, v44
	v_xor_b32_e32 v2, v48, v2
	v_xor_b32_e32 v2, v2, v44
	v_mul_f32_e32 v44, 0x3fb8aa3b, v7
	v_rndne_f32_e32 v45, v44
	v_sub_f32_e32 v47, v44, v45
	v_fma_f32 v44, v7, s42, -v44
	v_fmac_f32_e32 v44, 0x32a5705f, v7
	v_add_f32_e32 v44, v47, v44
	v_exp_f32_e32 v44, v44
	v_cvt_i32_f32_e32 v47, v45
	v_cndmask_b32_e64 v43, v43, v56, s[0:1]
	v_xor_b32_e32 v2, v2, v43
	v_cndmask_b32_e32 v2, v24, v2, vcc
	v_ldexp_f32 v43, v44, v47
	v_cmp_ngt_f32_e32 vcc, s43, v7
	v_ldexp_f32 v44, 1.0, v47
	v_mov_b32_e32 v47, v7
	v_cndmask_b32_e32 v43, 0, v43, vcc
	v_cmp_nlt_f32_e32 vcc, s44, v7
	v_fmac_f32_e32 v47, 0xbf317218, v45
	v_cndmask_b32_e32 v43, v22, v43, vcc
	v_cmp_eq_f32_e32 vcc, s45, v45
	v_fmac_f32_e32 v47, 0x3102e308, v45
	v_mov_b32_e32 v45, 0x3ab69700
	v_fmac_f32_e32 v45, 0x395133b1, v47
	v_fma_f32 v45, v47, v45, v14
	v_fma_f32 v45, v47, v45, v15
	;; [unrolled: 1-line block ×3, first 2 shown]
	v_fma_f32 v45, v47, v45, 0.5
	v_cndmask_b32_e32 v44, v44, v23, vcc
	v_mul_f32_e32 v45, v47, v45
	v_fmac_f32_e32 v47, v47, v45
	v_add_f32_e32 v45, -1.0, v44
	v_fmac_f32_e32 v45, v44, v47
	v_add_f32_e32 v44, v45, v45
	v_cndmask_b32_e32 v44, v45, v44, vcc
	v_mul_f32_e32 v45, v39, v39
	v_mov_b32_e32 v47, 0xbab64f3b
	v_fmac_f32_e32 v47, 0x37d75334, v45
	v_mov_b32_e32 v48, 0x3c0881c4
	v_cmp_nlt_f32_e32 vcc, s46, v7
	v_fma_f32 v47, v45, v47, v17
	v_fmac_f32_e32 v48, 0xb94c1982, v45
	v_cndmask_b32_e32 v44, v22, v44, vcc
	v_cmp_ngt_f32_e32 vcc, s47, v7
	v_fma_f32 v47, v45, v47, v18
	v_fma_f32 v48, v45, v48, v19
	v_cndmask_b32_e32 v7, -1.0, v44, vcc
	v_lshlrev_b32_e32 v44, 30, v40
	v_and_b32_e32 v40, 1, v40
	v_fma_f32 v47, v45, v47, 1.0
	v_mul_f32_e32 v45, v45, v48
	v_fmac_f32_e32 v39, v39, v45
	v_cmp_eq_u32_e32 vcc, 0, v40
	v_lshlrev_b32_e32 v40, 30, v37
	v_and_b32_e32 v44, 0x80000000, v44
	v_cndmask_b32_e64 v39, -v39, v47, vcc
	v_xor_b32_e32 v35, v35, v34
	v_and_b32_e32 v40, 0x80000000, v40
	v_xor_b32_e32 v39, v44, v39
	v_xor_b32_e32 v35, v35, v40
	v_mul_f32_e32 v40, v36, v36
	v_mov_b32_e32 v44, 0x3c0881c4
	v_fmac_f32_e32 v44, 0xb94c1982, v40
	v_fma_f32 v44, v40, v44, v19
	v_mul_f32_e32 v44, v40, v44
	v_fmac_f32_e32 v36, v36, v44
	v_mov_b32_e32 v44, 0xbab64f3b
	v_fmac_f32_e32 v44, 0x37d75334, v40
	v_fma_f32 v44, v40, v44, v17
	v_and_b32_e32 v37, 1, v37
	v_fma_f32 v44, v40, v44, v18
	v_fma_f32 v40, v40, v44, 1.0
	v_cmp_eq_u32_e64 s[0:1], 0, v37
	v_cndmask_b32_e64 v36, v40, v36, s[0:1]
	v_xor_b32_e32 v35, v35, v36
	v_cmp_class_f32_e64 s[0:1], v34, s48
	v_cndmask_b32_e64 v34, v24, v35, s[0:1]
	v_cmp_class_f32_e64 vcc, v8, s48
	v_add_f32_e32 v35, v34, v34
	v_cndmask_b32_e32 v39, v24, v39, vcc
	v_mul_f32_e32 v34, v34, v35
	v_fma_f32 v7, v7, v39, -v34
	v_mul_f32_e32 v34, v42, v42
	v_mov_b32_e32 v35, 0x3c0881c4
	v_fmac_f32_e32 v35, 0xb94c1982, v34
	v_fma_f32 v35, v34, v35, v19
	v_mul_f32_e32 v35, v34, v35
	v_fmac_f32_e32 v42, v42, v35
	v_mov_b32_e32 v35, 0xbab64f3b
	v_fmac_f32_e32 v35, 0x37d75334, v34
	v_fma_f32 v35, v34, v35, v17
	v_fma_f32 v35, v34, v35, v18
	v_fma_f32 v34, v34, v35, 1.0
	v_and_b32_e32 v35, 1, v41
	v_cmp_eq_u32_e64 s[0:1], 0, v35
	v_lshlrev_b32_e32 v35, 30, v41
	v_and_b32_e32 v35, 0x80000000, v35
	v_xor_b32_e32 v8, v38, v8
	v_xor_b32_e32 v8, v8, v35
	v_mul_f32_e32 v35, 0x3fb8aa3b, v5
	v_rndne_f32_e32 v36, v35
	v_sub_f32_e32 v37, v35, v36
	v_fma_f32 v35, v5, s42, -v35
	v_fmac_f32_e32 v35, 0x32a5705f, v5
	v_add_f32_e32 v35, v37, v35
	v_exp_f32_e32 v35, v35
	v_cvt_i32_f32_e32 v37, v36
	v_cndmask_b32_e64 v34, v34, v42, s[0:1]
	v_xor_b32_e32 v8, v8, v34
	v_cndmask_b32_e32 v8, v24, v8, vcc
	v_ldexp_f32 v34, v35, v37
	v_cmp_ngt_f32_e32 vcc, s43, v5
	v_ldexp_f32 v35, 1.0, v37
	v_mov_b32_e32 v37, v5
	v_cndmask_b32_e32 v34, 0, v34, vcc
	v_cmp_nlt_f32_e32 vcc, s44, v5
	v_fmac_f32_e32 v37, 0xbf317218, v36
	v_cndmask_b32_e32 v34, v22, v34, vcc
	v_cmp_eq_f32_e32 vcc, s45, v36
	v_fmac_f32_e32 v37, 0x3102e308, v36
	v_mov_b32_e32 v36, 0x3ab69700
	v_fmac_f32_e32 v36, 0x395133b1, v37
	v_fma_f32 v36, v37, v36, v14
	v_fma_f32 v36, v37, v36, v15
	;; [unrolled: 1-line block ×3, first 2 shown]
	v_fma_f32 v36, v37, v36, 0.5
	v_cndmask_b32_e32 v35, v35, v23, vcc
	v_mul_f32_e32 v36, v37, v36
	v_fmac_f32_e32 v37, v37, v36
	v_add_f32_e32 v36, -1.0, v35
	v_fmac_f32_e32 v36, v35, v37
	v_add_f32_e32 v35, v36, v36
	v_cndmask_b32_e32 v35, v36, v35, vcc
	v_mul_f32_e32 v36, v30, v30
	v_mov_b32_e32 v37, 0xbab64f3b
	v_fmac_f32_e32 v37, 0x37d75334, v36
	v_mov_b32_e32 v38, 0x3c0881c4
	v_cmp_nlt_f32_e32 vcc, s46, v5
	v_fma_f32 v37, v36, v37, v17
	v_fmac_f32_e32 v38, 0xb94c1982, v36
	v_cndmask_b32_e32 v35, v22, v35, vcc
	v_cmp_ngt_f32_e32 vcc, s47, v5
	v_fma_f32 v37, v36, v37, v18
	v_fma_f32 v38, v36, v38, v19
	v_cndmask_b32_e32 v5, -1.0, v35, vcc
	v_lshlrev_b32_e32 v35, 30, v31
	v_and_b32_e32 v31, 1, v31
	v_fma_f32 v37, v36, v37, 1.0
	v_mul_f32_e32 v36, v36, v38
	v_fmac_f32_e32 v30, v30, v36
	v_cmp_eq_u32_e32 vcc, 0, v31
	v_lshlrev_b32_e32 v31, 30, v28
	v_and_b32_e32 v35, 0x80000000, v35
	v_cndmask_b32_e64 v30, -v30, v37, vcc
	v_xor_b32_e32 v26, v26, v25
	v_and_b32_e32 v31, 0x80000000, v31
	v_xor_b32_e32 v30, v35, v30
	v_xor_b32_e32 v26, v26, v31
	v_mul_f32_e32 v31, v27, v27
	v_mov_b32_e32 v35, 0x3c0881c4
	v_fmac_f32_e32 v35, 0xb94c1982, v31
	v_fma_f32 v35, v31, v35, v19
	v_mul_f32_e32 v35, v31, v35
	v_fmac_f32_e32 v27, v27, v35
	v_mov_b32_e32 v35, 0xbab64f3b
	v_fmac_f32_e32 v35, 0x37d75334, v31
	v_fma_f32 v35, v31, v35, v17
	v_and_b32_e32 v28, 1, v28
	v_fma_f32 v35, v31, v35, v18
	v_fma_f32 v31, v31, v35, 1.0
	v_cmp_eq_u32_e64 s[0:1], 0, v28
	v_cndmask_b32_e64 v27, v31, v27, s[0:1]
	v_xor_b32_e32 v26, v26, v27
	v_cmp_class_f32_e64 s[0:1], v25, s48
	v_cndmask_b32_e64 v25, v24, v26, s[0:1]
	v_cmp_class_f32_e64 vcc, v6, s48
	v_add_f32_e32 v26, v25, v25
	v_cndmask_b32_e32 v30, v24, v30, vcc
	v_mul_f32_e32 v25, v25, v26
	v_fma_f32 v5, v5, v30, -v25
	v_mul_f32_e32 v25, v33, v33
	v_mov_b32_e32 v26, 0x3c0881c4
	v_fmac_f32_e32 v26, 0xb94c1982, v25
	v_fma_f32 v26, v25, v26, v19
	v_mul_f32_e32 v26, v25, v26
	v_fmac_f32_e32 v33, v33, v26
	v_mov_b32_e32 v26, 0xbab64f3b
	v_fmac_f32_e32 v26, 0x37d75334, v25
	v_fma_f32 v26, v25, v26, v17
	v_fma_f32 v26, v25, v26, v18
	v_fma_f32 v25, v25, v26, 1.0
	v_and_b32_e32 v26, 1, v32
	v_cmp_eq_u32_e64 s[0:1], 0, v26
	v_lshlrev_b32_e32 v26, 30, v32
	v_and_b32_e32 v26, 0x80000000, v26
	v_xor_b32_e32 v6, v29, v6
	v_xor_b32_e32 v6, v6, v26
	v_mul_f32_e32 v26, 0x3fb8aa3b, v3
	v_rndne_f32_e32 v27, v26
	v_sub_f32_e32 v28, v26, v27
	v_fma_f32 v26, v3, s42, -v26
	v_fmac_f32_e32 v26, 0x32a5705f, v3
	v_add_f32_e32 v26, v28, v26
	v_exp_f32_e32 v26, v26
	v_cvt_i32_f32_e32 v28, v27
	v_cndmask_b32_e64 v25, v25, v33, s[0:1]
	v_xor_b32_e32 v6, v6, v25
	v_cndmask_b32_e32 v6, v24, v6, vcc
	v_ldexp_f32 v25, v26, v28
	v_cmp_ngt_f32_e32 vcc, s43, v3
	v_ldexp_f32 v26, 1.0, v28
	v_mov_b32_e32 v28, v3
	v_cndmask_b32_e32 v25, 0, v25, vcc
	v_cmp_nlt_f32_e32 vcc, s44, v3
	v_fmac_f32_e32 v28, 0xbf317218, v27
	v_cndmask_b32_e32 v25, v22, v25, vcc
	v_cmp_eq_f32_e32 vcc, s45, v27
	v_fmac_f32_e32 v28, 0x3102e308, v27
	v_mov_b32_e32 v27, 0x3ab69700
	v_fmac_f32_e32 v27, 0x395133b1, v28
	v_fma_f32 v27, v28, v27, v14
	v_fma_f32 v27, v28, v27, v15
	;; [unrolled: 1-line block ×3, first 2 shown]
	v_fma_f32 v27, v28, v27, 0.5
	v_cndmask_b32_e32 v26, v26, v23, vcc
	v_mul_f32_e32 v27, v28, v27
	v_fmac_f32_e32 v28, v28, v27
	v_add_f32_e32 v27, -1.0, v26
	v_fmac_f32_e32 v27, v26, v28
	v_mul_f32_e32 v28, v57, v57
	v_mov_b32_e32 v29, 0xbab64f3b
	v_fmac_f32_e32 v29, 0x37d75334, v28
	v_mov_b32_e32 v30, 0x3c0881c4
	v_add_f32_e32 v26, v27, v27
	v_fma_f32 v29, v28, v29, v17
	v_fmac_f32_e32 v30, 0xb94c1982, v28
	v_cndmask_b32_e32 v26, v27, v26, vcc
	v_cmp_nlt_f32_e32 vcc, s46, v3
	v_fma_f32 v29, v28, v29, v18
	v_fma_f32 v30, v28, v30, v19
	v_cndmask_b32_e32 v26, v22, v26, vcc
	v_cmp_ngt_f32_e32 vcc, s47, v3
	v_and_b32_e32 v27, 1, v58
	v_fma_f32 v29, v28, v29, 1.0
	v_mul_f32_e32 v28, v28, v30
	v_cndmask_b32_e32 v3, -1.0, v26, vcc
	v_fmac_f32_e32 v57, v57, v28
	v_cmp_eq_u32_e32 vcc, 0, v27
	v_cndmask_b32_e64 v27, -v57, v29, vcc
	v_mul_f32_e32 v29, v50, v50
	v_mov_b32_e32 v30, 0x3c0881c4
	v_fmac_f32_e32 v30, 0xb94c1982, v29
	v_fma_f32 v30, v29, v30, v19
	v_mul_f32_e32 v30, v29, v30
	v_lshlrev_b32_e32 v26, 30, v58
	v_fmac_f32_e32 v50, v50, v30
	v_mov_b32_e32 v30, 0xbab64f3b
	v_and_b32_e32 v26, 0x80000000, v26
	v_lshlrev_b32_e32 v28, 30, v51
	v_fmac_f32_e32 v30, 0x37d75334, v29
	v_xor_b32_e32 v26, v26, v27
	v_xor_b32_e32 v27, v49, v46
	v_and_b32_e32 v28, 0x80000000, v28
	v_fma_f32 v30, v29, v30, v17
	v_xor_b32_e32 v27, v27, v28
	v_and_b32_e32 v28, 1, v51
	v_fma_f32 v30, v29, v30, v18
	v_fma_f32 v29, v29, v30, 1.0
	v_cmp_eq_u32_e64 s[0:1], 0, v28
	v_cndmask_b32_e64 v28, v29, v50, s[0:1]
	v_xor_b32_e32 v27, v27, v28
	v_cmp_class_f32_e64 s[0:1], v46, s48
	v_cndmask_b32_e64 v27, v24, v27, s[0:1]
	v_cmp_class_f32_e64 vcc, v4, s48
	v_add_f32_e32 v28, v27, v27
	v_cndmask_b32_e32 v26, v24, v26, vcc
	v_mul_f32_e32 v27, v27, v28
	v_fma_f32 v3, v3, v26, -v27
	v_mul_f32_e32 v26, v59, v59
	v_mov_b32_e32 v27, 0x3c0881c4
	v_fmac_f32_e32 v27, 0xb94c1982, v26
	v_fma_f32 v27, v26, v27, v19
	v_mul_f32_e32 v27, v26, v27
	v_fmac_f32_e32 v59, v59, v27
	v_mov_b32_e32 v27, 0xbab64f3b
	v_fmac_f32_e32 v27, 0x37d75334, v26
	v_fma_f32 v27, v26, v27, v17
	v_fma_f32 v27, v26, v27, v18
	v_fma_f32 v26, v26, v27, 1.0
	v_and_b32_e32 v27, 1, v9
	v_lshlrev_b32_e32 v9, 30, v9
	v_cmp_eq_u32_e64 s[0:1], 0, v27
	v_and_b32_e32 v9, 0x80000000, v9
	v_xor_b32_e32 v4, v52, v4
	v_cndmask_b32_e64 v26, v26, v59, s[0:1]
	v_xor_b32_e32 v4, v4, v9
	v_xor_b32_e32 v4, v4, v26
	v_cndmask_b32_e32 v4, v24, v4, vcc
	v_mul_f32_e32 v4, v25, v4
	v_mov_b32_e32 v9, s23
	v_add_co_u32_e32 v25, vcc, s22, v13
	v_addc_co_u32_e32 v26, vcc, 0, v9, vcc
	v_add_co_u32_e32 v11, vcc, s29, v11
	v_mul_f32_e32 v8, v43, v8
	v_mul_f32_e32 v6, v34, v6
	v_addc_co_u32_e32 v12, vcc, 0, v12, vcc
	global_store_dwordx4 v[25:26], v[5:8], off
	s_add_u32 s22, s22, s30
	v_lshlrev_b64 v[5:6], 2, v[11:12]
	s_addc_u32 s23, s23, 0
	s_add_u32 s20, s20, s30
	v_cmp_le_i64_e32 vcc, s[10:11], v[5:6]
	s_addc_u32 s21, s21, 0
	v_mul_f32_e32 v2, v60, v2
	s_or_b64 s[18:19], vcc, s[18:19]
	global_store_dwordx4 v[25:26], v[1:4], off offset:16
	s_andn2_b64 exec, exec, s[18:19]
	s_cbranch_execz .LBB144_52
.LBB144_4:                              ; =>This Inner Loop Header: Depth=1
	v_mov_b32_e32 v1, s21
	v_add_co_u32_e32 v25, vcc, s20, v13
	v_addc_co_u32_e32 v26, vcc, 0, v1, vcc
	global_load_dwordx4 v[5:8], v[25:26], off
	global_load_dwordx4 v[1:4], v[25:26], off offset:16
                                        ; implicit-def: $vgpr28
                                        ; implicit-def: $vgpr27
	s_waitcnt vmcnt(1)
	v_mul_f32_e32 v25, 0.5, v6
	v_and_b32_e32 v26, 0x7fffffff, v25
	v_cmp_nlt_f32_e64 s[0:1], |v25|, s28
	s_and_saveexec_b64 s[2:3], s[0:1]
	s_xor_b64 s[24:25], exec, s[2:3]
	s_cbranch_execz .LBB144_6
; %bb.5:                                ;   in Loop: Header=BB144_4 Depth=1
	v_and_b32_e32 v9, 0x7fffff, v26
	v_or_b32_e32 v34, 0x800000, v9
	v_mad_u64_u32 v[27:28], s[0:1], v34, s31, 0
	v_mov_b32_e32 v9, v28
	v_mad_u64_u32 v[28:29], s[0:1], v34, s33, v[9:10]
	v_mov_b32_e32 v9, v29
	;; [unrolled: 2-line block ×3, first 2 shown]
	v_mad_u64_u32 v[30:31], s[0:1], v34, s35, v[9:10]
	v_lshrrev_b32_e32 v9, 23, v26
	v_add_u32_e32 v33, 0xffffff88, v9
	v_mov_b32_e32 v9, v31
	v_mad_u64_u32 v[31:32], s[0:1], v34, s36, v[9:10]
	v_cmp_lt_u32_e32 vcc, 63, v33
	v_cndmask_b32_e32 v9, 0, v20, vcc
	v_add_u32_e32 v35, v9, v33
	v_mov_b32_e32 v9, v32
	v_mad_u64_u32 v[32:33], s[0:1], v34, s37, v[9:10]
	v_cmp_lt_u32_e64 s[0:1], 31, v35
	v_cndmask_b32_e64 v9, 0, v21, s[0:1]
	v_add_u32_e32 v35, v9, v35
	v_mov_b32_e32 v9, v33
	v_mad_u64_u32 v[33:34], s[2:3], v34, s38, v[9:10]
	v_cmp_lt_u32_e64 s[2:3], 31, v35
	v_cndmask_b32_e64 v9, 0, v21, s[2:3]
	v_add_u32_e32 v9, v9, v35
	v_cndmask_b32_e32 v35, v32, v30, vcc
	v_cndmask_b32_e32 v33, v33, v31, vcc
	;; [unrolled: 1-line block ×4, first 2 shown]
	v_cndmask_b32_e64 v34, v33, v35, s[0:1]
	v_cndmask_b32_e64 v32, v32, v33, s[0:1]
	;; [unrolled: 1-line block ×3, first 2 shown]
	v_cndmask_b32_e32 v28, v30, v28, vcc
	v_cndmask_b32_e64 v32, v32, v34, s[2:3]
	v_cndmask_b32_e64 v34, v34, v33, s[2:3]
	v_sub_u32_e32 v35, 32, v9
	v_cndmask_b32_e64 v30, v31, v28, s[0:1]
	v_alignbit_b32 v36, v32, v34, v35
	v_cmp_eq_u32_e64 s[6:7], 0, v9
	v_cndmask_b32_e64 v31, v33, v30, s[2:3]
	v_cndmask_b32_e64 v9, v36, v32, s[6:7]
	v_alignbit_b32 v32, v34, v31, v35
	v_cndmask_b32_e32 v27, v29, v27, vcc
	v_cndmask_b32_e64 v32, v32, v34, s[6:7]
	v_bfe_u32 v36, v9, 29, 1
	v_cndmask_b32_e64 v27, v28, v27, s[0:1]
	v_alignbit_b32 v33, v9, v32, 30
	v_sub_u32_e32 v37, 0, v36
	v_cndmask_b32_e64 v27, v30, v27, s[2:3]
	v_xor_b32_e32 v33, v33, v37
	v_alignbit_b32 v28, v31, v27, v35
	v_cndmask_b32_e64 v28, v28, v31, s[6:7]
	v_ffbh_u32_e32 v30, v33
	v_alignbit_b32 v29, v32, v28, 30
	v_min_u32_e32 v30, 32, v30
	v_alignbit_b32 v27, v28, v27, 30
	v_xor_b32_e32 v29, v29, v37
	v_sub_u32_e32 v31, 31, v30
	v_xor_b32_e32 v27, v27, v37
	v_alignbit_b32 v32, v33, v29, v31
	v_alignbit_b32 v27, v29, v27, v31
	;; [unrolled: 1-line block ×3, first 2 shown]
	v_ffbh_u32_e32 v29, v28
	v_min_u32_e32 v29, 32, v29
	v_lshrrev_b32_e32 v34, 29, v9
	v_not_b32_e32 v31, v29
	v_alignbit_b32 v27, v28, v27, v31
	v_lshlrev_b32_e32 v28, 31, v34
	v_or_b32_e32 v31, 0x33000000, v28
	v_add_lshl_u32 v29, v29, v30, 23
	v_lshrrev_b32_e32 v27, 9, v27
	v_sub_u32_e32 v29, v31, v29
	v_or_b32_e32 v28, 0.5, v28
	v_lshlrev_b32_e32 v30, 23, v30
	v_or_b32_e32 v27, v29, v27
	v_lshrrev_b32_e32 v29, 9, v32
	v_sub_u32_e32 v28, v28, v30
	v_or_b32_e32 v28, v29, v28
	v_mul_f32_e32 v29, 0x3fc90fda, v28
	v_fma_f32 v30, v28, s39, -v29
	v_fmac_f32_e32 v30, 0x33a22168, v28
	v_fmac_f32_e32 v30, 0x3fc90fda, v27
	v_lshrrev_b32_e32 v9, 30, v9
	v_add_f32_e32 v27, v29, v30
	v_add_u32_e32 v28, v36, v9
.LBB144_6:                              ;   in Loop: Header=BB144_4 Depth=1
	s_andn2_saveexec_b64 s[0:1], s[24:25]
; %bb.7:                                ;   in Loop: Header=BB144_4 Depth=1
	v_mul_f32_e64 v9, |v25|, s40
	v_rndne_f32_e32 v9, v9
	v_cvt_i32_f32_e32 v28, v9
	v_fma_f32 v27, v9, s41, |v25|
	v_fmac_f32_e32 v27, 0xb3a22168, v9
	v_fmac_f32_e32 v27, 0xa7c234c4, v9
; %bb.8:                                ;   in Loop: Header=BB144_4 Depth=1
	s_or_b64 exec, exec, s[0:1]
	v_and_b32_e32 v29, 0x7fffffff, v6
	v_cmp_nlt_f32_e64 s[24:25], |v6|, s28
                                        ; implicit-def: $vgpr31
                                        ; implicit-def: $vgpr30
	s_and_saveexec_b64 s[0:1], s[24:25]
	s_xor_b64 s[26:27], exec, s[0:1]
	s_cbranch_execz .LBB144_10
; %bb.9:                                ;   in Loop: Header=BB144_4 Depth=1
	v_and_b32_e32 v9, 0x7fffff, v29
	v_or_b32_e32 v37, 0x800000, v9
	v_mad_u64_u32 v[30:31], s[0:1], v37, s31, 0
	v_mov_b32_e32 v9, v31
	v_mad_u64_u32 v[31:32], s[0:1], v37, s33, v[9:10]
	v_mov_b32_e32 v9, v32
	;; [unrolled: 2-line block ×3, first 2 shown]
	v_mad_u64_u32 v[33:34], s[0:1], v37, s35, v[9:10]
	v_lshrrev_b32_e32 v9, 23, v29
	v_add_u32_e32 v36, 0xffffff88, v9
	v_mov_b32_e32 v9, v34
	v_mad_u64_u32 v[34:35], s[0:1], v37, s36, v[9:10]
	v_cmp_lt_u32_e32 vcc, 63, v36
	v_cndmask_b32_e32 v9, 0, v20, vcc
	v_add_u32_e32 v38, v9, v36
	v_mov_b32_e32 v9, v35
	v_mad_u64_u32 v[35:36], s[0:1], v37, s37, v[9:10]
	v_cmp_lt_u32_e64 s[0:1], 31, v38
	v_cndmask_b32_e64 v9, 0, v21, s[0:1]
	v_add_u32_e32 v38, v9, v38
	v_mov_b32_e32 v9, v36
	v_mad_u64_u32 v[36:37], s[2:3], v37, s38, v[9:10]
	v_cmp_lt_u32_e64 s[2:3], 31, v38
	v_cndmask_b32_e64 v9, 0, v21, s[2:3]
	v_add_u32_e32 v9, v9, v38
	v_cndmask_b32_e32 v38, v35, v33, vcc
	v_cndmask_b32_e32 v36, v36, v34, vcc
	;; [unrolled: 1-line block ×4, first 2 shown]
	v_cndmask_b32_e64 v37, v36, v38, s[0:1]
	v_cndmask_b32_e64 v35, v35, v36, s[0:1]
	;; [unrolled: 1-line block ×3, first 2 shown]
	v_cndmask_b32_e32 v31, v33, v31, vcc
	v_cndmask_b32_e64 v35, v35, v37, s[2:3]
	v_cndmask_b32_e64 v37, v37, v36, s[2:3]
	v_sub_u32_e32 v38, 32, v9
	v_cndmask_b32_e64 v33, v34, v31, s[0:1]
	v_alignbit_b32 v39, v35, v37, v38
	v_cmp_eq_u32_e64 s[6:7], 0, v9
	v_cndmask_b32_e64 v34, v36, v33, s[2:3]
	v_cndmask_b32_e64 v9, v39, v35, s[6:7]
	v_alignbit_b32 v35, v37, v34, v38
	v_cndmask_b32_e32 v30, v32, v30, vcc
	v_cndmask_b32_e64 v35, v35, v37, s[6:7]
	v_bfe_u32 v39, v9, 29, 1
	v_cndmask_b32_e64 v30, v31, v30, s[0:1]
	v_alignbit_b32 v36, v9, v35, 30
	v_sub_u32_e32 v40, 0, v39
	v_cndmask_b32_e64 v30, v33, v30, s[2:3]
	v_xor_b32_e32 v36, v36, v40
	v_alignbit_b32 v31, v34, v30, v38
	v_cndmask_b32_e64 v31, v31, v34, s[6:7]
	v_ffbh_u32_e32 v33, v36
	v_alignbit_b32 v32, v35, v31, 30
	v_min_u32_e32 v33, 32, v33
	v_alignbit_b32 v30, v31, v30, 30
	v_xor_b32_e32 v32, v32, v40
	v_sub_u32_e32 v34, 31, v33
	v_xor_b32_e32 v30, v30, v40
	v_alignbit_b32 v35, v36, v32, v34
	v_alignbit_b32 v30, v32, v30, v34
	;; [unrolled: 1-line block ×3, first 2 shown]
	v_ffbh_u32_e32 v32, v31
	v_min_u32_e32 v32, 32, v32
	v_lshrrev_b32_e32 v37, 29, v9
	v_not_b32_e32 v34, v32
	v_alignbit_b32 v30, v31, v30, v34
	v_lshlrev_b32_e32 v31, 31, v37
	v_or_b32_e32 v34, 0x33000000, v31
	v_add_lshl_u32 v32, v32, v33, 23
	v_lshrrev_b32_e32 v30, 9, v30
	v_sub_u32_e32 v32, v34, v32
	v_or_b32_e32 v31, 0.5, v31
	v_lshlrev_b32_e32 v33, 23, v33
	v_or_b32_e32 v30, v32, v30
	v_lshrrev_b32_e32 v32, 9, v35
	v_sub_u32_e32 v31, v31, v33
	v_or_b32_e32 v31, v32, v31
	v_mul_f32_e32 v32, 0x3fc90fda, v31
	v_fma_f32 v33, v31, s39, -v32
	v_fmac_f32_e32 v33, 0x33a22168, v31
	v_fmac_f32_e32 v33, 0x3fc90fda, v30
	v_lshrrev_b32_e32 v9, 30, v9
	v_add_f32_e32 v30, v32, v33
	v_add_u32_e32 v31, v39, v9
	s_andn2_saveexec_b64 s[0:1], s[26:27]
	s_branch .LBB144_11
.LBB144_10:                             ;   in Loop: Header=BB144_4 Depth=1
	s_andn2_saveexec_b64 s[0:1], s[26:27]
.LBB144_11:                             ;   in Loop: Header=BB144_4 Depth=1
	v_mul_f32_e64 v9, |v6|, s40
	v_rndne_f32_e32 v9, v9
	v_cvt_i32_f32_e32 v31, v9
	v_fma_f32 v30, v9, s41, |v6|
	v_fmac_f32_e32 v30, 0xb3a22168, v9
	v_fmac_f32_e32 v30, 0xa7c234c4, v9
; %bb.12:                               ;   in Loop: Header=BB144_4 Depth=1
	s_or_b64 exec, exec, s[0:1]
                                        ; implicit-def: $vgpr32
                                        ; implicit-def: $vgpr33
	s_and_saveexec_b64 s[0:1], s[24:25]
	s_xor_b64 s[24:25], exec, s[0:1]
	s_cbranch_execz .LBB144_14
; %bb.13:                               ;   in Loop: Header=BB144_4 Depth=1
	v_and_b32_e32 v9, 0x7fffff, v29
	v_or_b32_e32 v39, 0x800000, v9
	v_mad_u64_u32 v[32:33], s[0:1], v39, s31, 0
	v_mov_b32_e32 v9, v33
	v_mad_u64_u32 v[33:34], s[0:1], v39, s33, v[9:10]
	v_mov_b32_e32 v9, v34
	;; [unrolled: 2-line block ×3, first 2 shown]
	v_mad_u64_u32 v[35:36], s[0:1], v39, s35, v[9:10]
	v_lshrrev_b32_e32 v9, 23, v29
	v_add_u32_e32 v38, 0xffffff88, v9
	v_mov_b32_e32 v9, v36
	v_mad_u64_u32 v[36:37], s[0:1], v39, s36, v[9:10]
	v_cmp_lt_u32_e32 vcc, 63, v38
	v_cndmask_b32_e32 v9, 0, v20, vcc
	v_add_u32_e32 v40, v9, v38
	v_mov_b32_e32 v9, v37
	v_mad_u64_u32 v[37:38], s[0:1], v39, s37, v[9:10]
	v_cmp_lt_u32_e64 s[0:1], 31, v40
	v_cndmask_b32_e64 v9, 0, v21, s[0:1]
	v_add_u32_e32 v40, v9, v40
	v_mov_b32_e32 v9, v38
	v_mad_u64_u32 v[38:39], s[2:3], v39, s38, v[9:10]
	v_cmp_lt_u32_e64 s[2:3], 31, v40
	v_cndmask_b32_e64 v9, 0, v21, s[2:3]
	v_add_u32_e32 v9, v9, v40
	v_cndmask_b32_e32 v40, v37, v35, vcc
	v_cndmask_b32_e32 v38, v38, v36, vcc
	;; [unrolled: 1-line block ×4, first 2 shown]
	v_cndmask_b32_e64 v39, v38, v40, s[0:1]
	v_cndmask_b32_e64 v37, v37, v38, s[0:1]
	;; [unrolled: 1-line block ×3, first 2 shown]
	v_cndmask_b32_e32 v33, v35, v33, vcc
	v_cndmask_b32_e64 v37, v37, v39, s[2:3]
	v_cndmask_b32_e64 v39, v39, v38, s[2:3]
	v_sub_u32_e32 v40, 32, v9
	v_cndmask_b32_e64 v35, v36, v33, s[0:1]
	v_alignbit_b32 v41, v37, v39, v40
	v_cmp_eq_u32_e64 s[6:7], 0, v9
	v_cndmask_b32_e64 v36, v38, v35, s[2:3]
	v_cndmask_b32_e64 v9, v41, v37, s[6:7]
	v_alignbit_b32 v37, v39, v36, v40
	v_cndmask_b32_e32 v32, v34, v32, vcc
	v_cndmask_b32_e64 v37, v37, v39, s[6:7]
	v_bfe_u32 v41, v9, 29, 1
	v_cndmask_b32_e64 v32, v33, v32, s[0:1]
	v_alignbit_b32 v38, v9, v37, 30
	v_sub_u32_e32 v42, 0, v41
	v_cndmask_b32_e64 v32, v35, v32, s[2:3]
	v_xor_b32_e32 v38, v38, v42
	v_alignbit_b32 v33, v36, v32, v40
	v_cndmask_b32_e64 v33, v33, v36, s[6:7]
	v_ffbh_u32_e32 v35, v38
	v_alignbit_b32 v34, v37, v33, 30
	v_min_u32_e32 v35, 32, v35
	v_alignbit_b32 v32, v33, v32, 30
	v_xor_b32_e32 v34, v34, v42
	v_sub_u32_e32 v36, 31, v35
	v_xor_b32_e32 v32, v32, v42
	v_alignbit_b32 v37, v38, v34, v36
	v_alignbit_b32 v32, v34, v32, v36
	;; [unrolled: 1-line block ×3, first 2 shown]
	v_ffbh_u32_e32 v34, v33
	v_min_u32_e32 v34, 32, v34
	v_lshrrev_b32_e32 v39, 29, v9
	v_not_b32_e32 v36, v34
	v_alignbit_b32 v32, v33, v32, v36
	v_lshlrev_b32_e32 v33, 31, v39
	v_or_b32_e32 v36, 0x33000000, v33
	v_add_lshl_u32 v34, v34, v35, 23
	v_lshrrev_b32_e32 v32, 9, v32
	v_sub_u32_e32 v34, v36, v34
	v_or_b32_e32 v33, 0.5, v33
	v_lshlrev_b32_e32 v35, 23, v35
	v_or_b32_e32 v32, v34, v32
	v_lshrrev_b32_e32 v34, 9, v37
	v_sub_u32_e32 v33, v33, v35
	v_or_b32_e32 v33, v34, v33
	v_mul_f32_e32 v34, 0x3fc90fda, v33
	v_fma_f32 v35, v33, s39, -v34
	v_fmac_f32_e32 v35, 0x33a22168, v33
	v_fmac_f32_e32 v35, 0x3fc90fda, v32
	v_lshrrev_b32_e32 v9, 30, v9
	v_add_f32_e32 v33, v34, v35
	v_add_u32_e32 v32, v41, v9
	s_andn2_saveexec_b64 s[0:1], s[24:25]
	s_cbranch_execnz .LBB144_15
	s_branch .LBB144_16
.LBB144_14:                             ;   in Loop: Header=BB144_4 Depth=1
	s_andn2_saveexec_b64 s[0:1], s[24:25]
.LBB144_15:                             ;   in Loop: Header=BB144_4 Depth=1
	v_mul_f32_e64 v9, |v6|, s40
	v_rndne_f32_e32 v9, v9
	v_cvt_i32_f32_e32 v32, v9
	v_fma_f32 v33, v9, s41, |v6|
	v_fmac_f32_e32 v33, 0xb3a22168, v9
	v_fmac_f32_e32 v33, 0xa7c234c4, v9
.LBB144_16:                             ;   in Loop: Header=BB144_4 Depth=1
	s_or_b64 exec, exec, s[0:1]
	v_mul_f32_e32 v34, 0.5, v8
	v_and_b32_e32 v35, 0x7fffffff, v34
	v_cmp_nlt_f32_e64 s[0:1], |v34|, s28
                                        ; implicit-def: $vgpr37
                                        ; implicit-def: $vgpr36
	s_and_saveexec_b64 s[2:3], s[0:1]
	s_xor_b64 s[24:25], exec, s[2:3]
	s_cbranch_execz .LBB144_18
; %bb.17:                               ;   in Loop: Header=BB144_4 Depth=1
	v_and_b32_e32 v9, 0x7fffff, v35
	v_or_b32_e32 v43, 0x800000, v9
	v_mad_u64_u32 v[36:37], s[0:1], v43, s31, 0
	v_mov_b32_e32 v9, v37
	v_mad_u64_u32 v[37:38], s[0:1], v43, s33, v[9:10]
	v_mov_b32_e32 v9, v38
	;; [unrolled: 2-line block ×3, first 2 shown]
	v_mad_u64_u32 v[39:40], s[0:1], v43, s35, v[9:10]
	v_lshrrev_b32_e32 v9, 23, v35
	v_add_u32_e32 v42, 0xffffff88, v9
	v_mov_b32_e32 v9, v40
	v_mad_u64_u32 v[40:41], s[0:1], v43, s36, v[9:10]
	v_cmp_lt_u32_e32 vcc, 63, v42
	v_cndmask_b32_e32 v9, 0, v20, vcc
	v_add_u32_e32 v44, v9, v42
	v_mov_b32_e32 v9, v41
	v_mad_u64_u32 v[41:42], s[0:1], v43, s37, v[9:10]
	v_cmp_lt_u32_e64 s[0:1], 31, v44
	v_cndmask_b32_e64 v9, 0, v21, s[0:1]
	v_add_u32_e32 v44, v9, v44
	v_mov_b32_e32 v9, v42
	v_mad_u64_u32 v[42:43], s[2:3], v43, s38, v[9:10]
	v_cmp_lt_u32_e64 s[2:3], 31, v44
	v_cndmask_b32_e64 v9, 0, v21, s[2:3]
	v_add_u32_e32 v9, v9, v44
	v_cndmask_b32_e32 v44, v41, v39, vcc
	v_cndmask_b32_e32 v42, v42, v40, vcc
	;; [unrolled: 1-line block ×4, first 2 shown]
	v_cndmask_b32_e64 v43, v42, v44, s[0:1]
	v_cndmask_b32_e64 v41, v41, v42, s[0:1]
	;; [unrolled: 1-line block ×3, first 2 shown]
	v_cndmask_b32_e32 v37, v39, v37, vcc
	v_cndmask_b32_e64 v41, v41, v43, s[2:3]
	v_cndmask_b32_e64 v43, v43, v42, s[2:3]
	v_sub_u32_e32 v44, 32, v9
	v_cndmask_b32_e64 v39, v40, v37, s[0:1]
	v_alignbit_b32 v45, v41, v43, v44
	v_cmp_eq_u32_e64 s[6:7], 0, v9
	v_cndmask_b32_e64 v40, v42, v39, s[2:3]
	v_cndmask_b32_e64 v9, v45, v41, s[6:7]
	v_alignbit_b32 v41, v43, v40, v44
	v_cndmask_b32_e32 v36, v38, v36, vcc
	v_cndmask_b32_e64 v41, v41, v43, s[6:7]
	v_bfe_u32 v45, v9, 29, 1
	v_cndmask_b32_e64 v36, v37, v36, s[0:1]
	v_alignbit_b32 v42, v9, v41, 30
	v_sub_u32_e32 v46, 0, v45
	v_cndmask_b32_e64 v36, v39, v36, s[2:3]
	v_xor_b32_e32 v42, v42, v46
	v_alignbit_b32 v37, v40, v36, v44
	v_cndmask_b32_e64 v37, v37, v40, s[6:7]
	v_ffbh_u32_e32 v39, v42
	v_alignbit_b32 v38, v41, v37, 30
	v_min_u32_e32 v39, 32, v39
	v_alignbit_b32 v36, v37, v36, 30
	v_xor_b32_e32 v38, v38, v46
	v_sub_u32_e32 v40, 31, v39
	v_xor_b32_e32 v36, v36, v46
	v_alignbit_b32 v41, v42, v38, v40
	v_alignbit_b32 v36, v38, v36, v40
	;; [unrolled: 1-line block ×3, first 2 shown]
	v_ffbh_u32_e32 v38, v37
	v_min_u32_e32 v38, 32, v38
	v_lshrrev_b32_e32 v43, 29, v9
	v_not_b32_e32 v40, v38
	v_alignbit_b32 v36, v37, v36, v40
	v_lshlrev_b32_e32 v37, 31, v43
	v_or_b32_e32 v40, 0x33000000, v37
	v_add_lshl_u32 v38, v38, v39, 23
	v_lshrrev_b32_e32 v36, 9, v36
	v_sub_u32_e32 v38, v40, v38
	v_or_b32_e32 v37, 0.5, v37
	v_lshlrev_b32_e32 v39, 23, v39
	v_or_b32_e32 v36, v38, v36
	v_lshrrev_b32_e32 v38, 9, v41
	v_sub_u32_e32 v37, v37, v39
	v_or_b32_e32 v37, v38, v37
	v_mul_f32_e32 v38, 0x3fc90fda, v37
	v_fma_f32 v39, v37, s39, -v38
	v_fmac_f32_e32 v39, 0x33a22168, v37
	v_fmac_f32_e32 v39, 0x3fc90fda, v36
	v_lshrrev_b32_e32 v9, 30, v9
	v_add_f32_e32 v36, v38, v39
	v_add_u32_e32 v37, v45, v9
.LBB144_18:                             ;   in Loop: Header=BB144_4 Depth=1
	s_andn2_saveexec_b64 s[0:1], s[24:25]
; %bb.19:                               ;   in Loop: Header=BB144_4 Depth=1
	v_mul_f32_e64 v9, |v34|, s40
	v_rndne_f32_e32 v9, v9
	v_cvt_i32_f32_e32 v37, v9
	v_fma_f32 v36, v9, s41, |v34|
	v_fmac_f32_e32 v36, 0xb3a22168, v9
	v_fmac_f32_e32 v36, 0xa7c234c4, v9
; %bb.20:                               ;   in Loop: Header=BB144_4 Depth=1
	s_or_b64 exec, exec, s[0:1]
	v_and_b32_e32 v38, 0x7fffffff, v8
	v_cmp_nlt_f32_e64 s[24:25], |v8|, s28
                                        ; implicit-def: $vgpr40
                                        ; implicit-def: $vgpr39
	s_and_saveexec_b64 s[0:1], s[24:25]
	s_xor_b64 s[26:27], exec, s[0:1]
	s_cbranch_execz .LBB144_22
; %bb.21:                               ;   in Loop: Header=BB144_4 Depth=1
	v_and_b32_e32 v9, 0x7fffff, v38
	v_or_b32_e32 v46, 0x800000, v9
	v_mad_u64_u32 v[39:40], s[0:1], v46, s31, 0
	v_mov_b32_e32 v9, v40
	v_mad_u64_u32 v[40:41], s[0:1], v46, s33, v[9:10]
	v_mov_b32_e32 v9, v41
	;; [unrolled: 2-line block ×3, first 2 shown]
	v_mad_u64_u32 v[42:43], s[0:1], v46, s35, v[9:10]
	v_lshrrev_b32_e32 v9, 23, v38
	v_add_u32_e32 v45, 0xffffff88, v9
	v_mov_b32_e32 v9, v43
	v_mad_u64_u32 v[43:44], s[0:1], v46, s36, v[9:10]
	v_cmp_lt_u32_e32 vcc, 63, v45
	v_cndmask_b32_e32 v9, 0, v20, vcc
	v_add_u32_e32 v47, v9, v45
	v_mov_b32_e32 v9, v44
	v_mad_u64_u32 v[44:45], s[0:1], v46, s37, v[9:10]
	v_cmp_lt_u32_e64 s[0:1], 31, v47
	v_cndmask_b32_e64 v9, 0, v21, s[0:1]
	v_add_u32_e32 v47, v9, v47
	v_mov_b32_e32 v9, v45
	v_mad_u64_u32 v[45:46], s[2:3], v46, s38, v[9:10]
	v_cmp_lt_u32_e64 s[2:3], 31, v47
	v_cndmask_b32_e64 v9, 0, v21, s[2:3]
	v_add_u32_e32 v9, v9, v47
	v_cndmask_b32_e32 v47, v44, v42, vcc
	v_cndmask_b32_e32 v45, v45, v43, vcc
	;; [unrolled: 1-line block ×4, first 2 shown]
	v_cndmask_b32_e64 v46, v45, v47, s[0:1]
	v_cndmask_b32_e64 v44, v44, v45, s[0:1]
	;; [unrolled: 1-line block ×3, first 2 shown]
	v_cndmask_b32_e32 v40, v42, v40, vcc
	v_cndmask_b32_e64 v44, v44, v46, s[2:3]
	v_cndmask_b32_e64 v46, v46, v45, s[2:3]
	v_sub_u32_e32 v47, 32, v9
	v_cndmask_b32_e64 v42, v43, v40, s[0:1]
	v_alignbit_b32 v48, v44, v46, v47
	v_cmp_eq_u32_e64 s[6:7], 0, v9
	v_cndmask_b32_e64 v43, v45, v42, s[2:3]
	v_cndmask_b32_e64 v9, v48, v44, s[6:7]
	v_alignbit_b32 v44, v46, v43, v47
	v_cndmask_b32_e32 v39, v41, v39, vcc
	v_cndmask_b32_e64 v44, v44, v46, s[6:7]
	v_bfe_u32 v48, v9, 29, 1
	v_cndmask_b32_e64 v39, v40, v39, s[0:1]
	v_alignbit_b32 v45, v9, v44, 30
	v_sub_u32_e32 v49, 0, v48
	v_cndmask_b32_e64 v39, v42, v39, s[2:3]
	v_xor_b32_e32 v45, v45, v49
	v_alignbit_b32 v40, v43, v39, v47
	v_cndmask_b32_e64 v40, v40, v43, s[6:7]
	v_ffbh_u32_e32 v42, v45
	v_alignbit_b32 v41, v44, v40, 30
	v_min_u32_e32 v42, 32, v42
	v_alignbit_b32 v39, v40, v39, 30
	v_xor_b32_e32 v41, v41, v49
	v_sub_u32_e32 v43, 31, v42
	v_xor_b32_e32 v39, v39, v49
	v_alignbit_b32 v44, v45, v41, v43
	v_alignbit_b32 v39, v41, v39, v43
	;; [unrolled: 1-line block ×3, first 2 shown]
	v_ffbh_u32_e32 v41, v40
	v_min_u32_e32 v41, 32, v41
	v_lshrrev_b32_e32 v46, 29, v9
	v_not_b32_e32 v43, v41
	v_alignbit_b32 v39, v40, v39, v43
	v_lshlrev_b32_e32 v40, 31, v46
	v_or_b32_e32 v43, 0x33000000, v40
	v_add_lshl_u32 v41, v41, v42, 23
	v_lshrrev_b32_e32 v39, 9, v39
	v_sub_u32_e32 v41, v43, v41
	v_or_b32_e32 v40, 0.5, v40
	v_lshlrev_b32_e32 v42, 23, v42
	v_or_b32_e32 v39, v41, v39
	v_lshrrev_b32_e32 v41, 9, v44
	v_sub_u32_e32 v40, v40, v42
	v_or_b32_e32 v40, v41, v40
	v_mul_f32_e32 v41, 0x3fc90fda, v40
	v_fma_f32 v42, v40, s39, -v41
	v_fmac_f32_e32 v42, 0x33a22168, v40
	v_fmac_f32_e32 v42, 0x3fc90fda, v39
	v_lshrrev_b32_e32 v9, 30, v9
	v_add_f32_e32 v39, v41, v42
	v_add_u32_e32 v40, v48, v9
	s_andn2_saveexec_b64 s[0:1], s[26:27]
	s_branch .LBB144_23
.LBB144_22:                             ;   in Loop: Header=BB144_4 Depth=1
	s_andn2_saveexec_b64 s[0:1], s[26:27]
.LBB144_23:                             ;   in Loop: Header=BB144_4 Depth=1
	v_mul_f32_e64 v9, |v8|, s40
	v_rndne_f32_e32 v9, v9
	v_cvt_i32_f32_e32 v40, v9
	v_fma_f32 v39, v9, s41, |v8|
	v_fmac_f32_e32 v39, 0xb3a22168, v9
	v_fmac_f32_e32 v39, 0xa7c234c4, v9
; %bb.24:                               ;   in Loop: Header=BB144_4 Depth=1
	s_or_b64 exec, exec, s[0:1]
                                        ; implicit-def: $vgpr41
                                        ; implicit-def: $vgpr42
	s_and_saveexec_b64 s[0:1], s[24:25]
	s_xor_b64 s[24:25], exec, s[0:1]
	s_cbranch_execz .LBB144_26
; %bb.25:                               ;   in Loop: Header=BB144_4 Depth=1
	v_and_b32_e32 v9, 0x7fffff, v38
	v_or_b32_e32 v48, 0x800000, v9
	v_mad_u64_u32 v[41:42], s[0:1], v48, s31, 0
	v_mov_b32_e32 v9, v42
	v_mad_u64_u32 v[42:43], s[0:1], v48, s33, v[9:10]
	v_mov_b32_e32 v9, v43
	;; [unrolled: 2-line block ×3, first 2 shown]
	v_mad_u64_u32 v[44:45], s[0:1], v48, s35, v[9:10]
	v_lshrrev_b32_e32 v9, 23, v38
	v_add_u32_e32 v47, 0xffffff88, v9
	v_mov_b32_e32 v9, v45
	v_mad_u64_u32 v[45:46], s[0:1], v48, s36, v[9:10]
	v_cmp_lt_u32_e32 vcc, 63, v47
	v_cndmask_b32_e32 v9, 0, v20, vcc
	v_add_u32_e32 v49, v9, v47
	v_mov_b32_e32 v9, v46
	v_mad_u64_u32 v[46:47], s[0:1], v48, s37, v[9:10]
	v_cmp_lt_u32_e64 s[0:1], 31, v49
	v_cndmask_b32_e64 v9, 0, v21, s[0:1]
	v_add_u32_e32 v49, v9, v49
	v_mov_b32_e32 v9, v47
	v_mad_u64_u32 v[47:48], s[2:3], v48, s38, v[9:10]
	v_cmp_lt_u32_e64 s[2:3], 31, v49
	v_cndmask_b32_e64 v9, 0, v21, s[2:3]
	v_add_u32_e32 v9, v9, v49
	v_cndmask_b32_e32 v49, v46, v44, vcc
	v_cndmask_b32_e32 v47, v47, v45, vcc
	;; [unrolled: 1-line block ×4, first 2 shown]
	v_cndmask_b32_e64 v48, v47, v49, s[0:1]
	v_cndmask_b32_e64 v46, v46, v47, s[0:1]
	;; [unrolled: 1-line block ×3, first 2 shown]
	v_cndmask_b32_e32 v42, v44, v42, vcc
	v_cndmask_b32_e64 v46, v46, v48, s[2:3]
	v_cndmask_b32_e64 v48, v48, v47, s[2:3]
	v_sub_u32_e32 v49, 32, v9
	v_cndmask_b32_e64 v44, v45, v42, s[0:1]
	v_alignbit_b32 v50, v46, v48, v49
	v_cmp_eq_u32_e64 s[6:7], 0, v9
	v_cndmask_b32_e64 v45, v47, v44, s[2:3]
	v_cndmask_b32_e64 v9, v50, v46, s[6:7]
	v_alignbit_b32 v46, v48, v45, v49
	v_cndmask_b32_e32 v41, v43, v41, vcc
	v_cndmask_b32_e64 v46, v46, v48, s[6:7]
	v_bfe_u32 v50, v9, 29, 1
	v_cndmask_b32_e64 v41, v42, v41, s[0:1]
	v_alignbit_b32 v47, v9, v46, 30
	v_sub_u32_e32 v51, 0, v50
	v_cndmask_b32_e64 v41, v44, v41, s[2:3]
	v_xor_b32_e32 v47, v47, v51
	v_alignbit_b32 v42, v45, v41, v49
	v_cndmask_b32_e64 v42, v42, v45, s[6:7]
	v_ffbh_u32_e32 v44, v47
	v_alignbit_b32 v43, v46, v42, 30
	v_min_u32_e32 v44, 32, v44
	v_alignbit_b32 v41, v42, v41, 30
	v_xor_b32_e32 v43, v43, v51
	v_sub_u32_e32 v45, 31, v44
	v_xor_b32_e32 v41, v41, v51
	v_alignbit_b32 v46, v47, v43, v45
	v_alignbit_b32 v41, v43, v41, v45
	;; [unrolled: 1-line block ×3, first 2 shown]
	v_ffbh_u32_e32 v43, v42
	v_min_u32_e32 v43, 32, v43
	v_lshrrev_b32_e32 v48, 29, v9
	v_not_b32_e32 v45, v43
	v_alignbit_b32 v41, v42, v41, v45
	v_lshlrev_b32_e32 v42, 31, v48
	v_or_b32_e32 v45, 0x33000000, v42
	v_add_lshl_u32 v43, v43, v44, 23
	v_lshrrev_b32_e32 v41, 9, v41
	v_sub_u32_e32 v43, v45, v43
	v_or_b32_e32 v42, 0.5, v42
	v_lshlrev_b32_e32 v44, 23, v44
	v_or_b32_e32 v41, v43, v41
	v_lshrrev_b32_e32 v43, 9, v46
	v_sub_u32_e32 v42, v42, v44
	v_or_b32_e32 v42, v43, v42
	v_mul_f32_e32 v43, 0x3fc90fda, v42
	v_fma_f32 v44, v42, s39, -v43
	v_fmac_f32_e32 v44, 0x33a22168, v42
	v_fmac_f32_e32 v44, 0x3fc90fda, v41
	v_lshrrev_b32_e32 v9, 30, v9
	v_add_f32_e32 v42, v43, v44
	v_add_u32_e32 v41, v50, v9
	s_andn2_saveexec_b64 s[0:1], s[24:25]
	s_cbranch_execnz .LBB144_27
	s_branch .LBB144_28
.LBB144_26:                             ;   in Loop: Header=BB144_4 Depth=1
	s_andn2_saveexec_b64 s[0:1], s[24:25]
.LBB144_27:                             ;   in Loop: Header=BB144_4 Depth=1
	v_mul_f32_e64 v9, |v8|, s40
	v_rndne_f32_e32 v9, v9
	v_cvt_i32_f32_e32 v41, v9
	v_fma_f32 v42, v9, s41, |v8|
	v_fmac_f32_e32 v42, 0xb3a22168, v9
	v_fmac_f32_e32 v42, 0xa7c234c4, v9
.LBB144_28:                             ;   in Loop: Header=BB144_4 Depth=1
	s_or_b64 exec, exec, s[0:1]
	s_waitcnt vmcnt(0)
	v_mul_f32_e32 v43, 0.5, v2
	v_and_b32_e32 v44, 0x7fffffff, v43
	v_cmp_nlt_f32_e64 s[0:1], |v43|, s28
                                        ; implicit-def: $vgpr47
                                        ; implicit-def: $vgpr45
	s_and_saveexec_b64 s[2:3], s[0:1]
	s_xor_b64 s[24:25], exec, s[2:3]
	s_cbranch_execz .LBB144_30
; %bb.29:                               ;   in Loop: Header=BB144_4 Depth=1
	v_and_b32_e32 v9, 0x7fffff, v44
	v_or_b32_e32 v52, 0x800000, v9
	v_mad_u64_u32 v[45:46], s[0:1], v52, s31, 0
	v_mov_b32_e32 v9, v46
	v_mad_u64_u32 v[46:47], s[0:1], v52, s33, v[9:10]
	v_mov_b32_e32 v9, v47
	;; [unrolled: 2-line block ×3, first 2 shown]
	v_mad_u64_u32 v[48:49], s[0:1], v52, s35, v[9:10]
	v_lshrrev_b32_e32 v9, 23, v44
	v_add_u32_e32 v51, 0xffffff88, v9
	v_mov_b32_e32 v9, v49
	v_mad_u64_u32 v[49:50], s[0:1], v52, s36, v[9:10]
	v_cmp_lt_u32_e32 vcc, 63, v51
	v_cndmask_b32_e32 v9, 0, v20, vcc
	v_add_u32_e32 v53, v9, v51
	v_mov_b32_e32 v9, v50
	v_mad_u64_u32 v[50:51], s[0:1], v52, s37, v[9:10]
	v_cmp_lt_u32_e64 s[0:1], 31, v53
	v_cndmask_b32_e64 v9, 0, v21, s[0:1]
	v_add_u32_e32 v53, v9, v53
	v_mov_b32_e32 v9, v51
	v_mad_u64_u32 v[51:52], s[2:3], v52, s38, v[9:10]
	v_cmp_lt_u32_e64 s[2:3], 31, v53
	v_cndmask_b32_e64 v9, 0, v21, s[2:3]
	v_add_u32_e32 v9, v9, v53
	v_cndmask_b32_e32 v53, v50, v48, vcc
	v_cndmask_b32_e32 v51, v51, v49, vcc
	;; [unrolled: 1-line block ×4, first 2 shown]
	v_cndmask_b32_e64 v52, v51, v53, s[0:1]
	v_cndmask_b32_e64 v50, v50, v51, s[0:1]
	;; [unrolled: 1-line block ×3, first 2 shown]
	v_cndmask_b32_e32 v46, v48, v46, vcc
	v_cndmask_b32_e64 v50, v50, v52, s[2:3]
	v_cndmask_b32_e64 v52, v52, v51, s[2:3]
	v_sub_u32_e32 v53, 32, v9
	v_cndmask_b32_e64 v48, v49, v46, s[0:1]
	v_alignbit_b32 v54, v50, v52, v53
	v_cmp_eq_u32_e64 s[6:7], 0, v9
	v_cndmask_b32_e64 v49, v51, v48, s[2:3]
	v_cndmask_b32_e64 v9, v54, v50, s[6:7]
	v_alignbit_b32 v50, v52, v49, v53
	v_cndmask_b32_e32 v45, v47, v45, vcc
	v_cndmask_b32_e64 v50, v50, v52, s[6:7]
	v_bfe_u32 v54, v9, 29, 1
	v_cndmask_b32_e64 v45, v46, v45, s[0:1]
	v_alignbit_b32 v51, v9, v50, 30
	v_sub_u32_e32 v55, 0, v54
	v_cndmask_b32_e64 v45, v48, v45, s[2:3]
	v_xor_b32_e32 v51, v51, v55
	v_alignbit_b32 v46, v49, v45, v53
	v_cndmask_b32_e64 v46, v46, v49, s[6:7]
	v_ffbh_u32_e32 v48, v51
	v_alignbit_b32 v47, v50, v46, 30
	v_min_u32_e32 v48, 32, v48
	v_alignbit_b32 v45, v46, v45, 30
	v_xor_b32_e32 v47, v47, v55
	v_sub_u32_e32 v49, 31, v48
	v_xor_b32_e32 v45, v45, v55
	v_alignbit_b32 v50, v51, v47, v49
	v_alignbit_b32 v45, v47, v45, v49
	;; [unrolled: 1-line block ×3, first 2 shown]
	v_ffbh_u32_e32 v47, v46
	v_min_u32_e32 v47, 32, v47
	v_lshrrev_b32_e32 v52, 29, v9
	v_not_b32_e32 v49, v47
	v_alignbit_b32 v45, v46, v45, v49
	v_lshlrev_b32_e32 v46, 31, v52
	v_or_b32_e32 v49, 0x33000000, v46
	v_add_lshl_u32 v47, v47, v48, 23
	v_lshrrev_b32_e32 v45, 9, v45
	v_sub_u32_e32 v47, v49, v47
	v_or_b32_e32 v46, 0.5, v46
	v_lshlrev_b32_e32 v48, 23, v48
	v_or_b32_e32 v45, v47, v45
	v_lshrrev_b32_e32 v47, 9, v50
	v_sub_u32_e32 v46, v46, v48
	v_or_b32_e32 v46, v47, v46
	v_mul_f32_e32 v47, 0x3fc90fda, v46
	v_fma_f32 v48, v46, s39, -v47
	v_fmac_f32_e32 v48, 0x33a22168, v46
	v_fmac_f32_e32 v48, 0x3fc90fda, v45
	v_lshrrev_b32_e32 v9, 30, v9
	v_add_f32_e32 v45, v47, v48
	v_add_u32_e32 v47, v54, v9
.LBB144_30:                             ;   in Loop: Header=BB144_4 Depth=1
	s_andn2_saveexec_b64 s[0:1], s[24:25]
; %bb.31:                               ;   in Loop: Header=BB144_4 Depth=1
	v_mul_f32_e64 v9, |v43|, s40
	v_rndne_f32_e32 v9, v9
	v_cvt_i32_f32_e32 v47, v9
	v_fma_f32 v45, v9, s41, |v43|
	v_fmac_f32_e32 v45, 0xb3a22168, v9
	v_fmac_f32_e32 v45, 0xa7c234c4, v9
; %bb.32:                               ;   in Loop: Header=BB144_4 Depth=1
	s_or_b64 exec, exec, s[0:1]
	v_and_b32_e32 v48, 0x7fffffff, v2
	v_cmp_nlt_f32_e64 s[24:25], |v2|, s28
                                        ; implicit-def: $vgpr54
                                        ; implicit-def: $vgpr53
	s_and_saveexec_b64 s[0:1], s[24:25]
	s_xor_b64 s[26:27], exec, s[0:1]
	s_cbranch_execz .LBB144_34
; %bb.33:                               ;   in Loop: Header=BB144_4 Depth=1
	v_and_b32_e32 v9, 0x7fffff, v48
	v_or_b32_e32 v46, 0x800000, v9
	v_mad_u64_u32 v[49:50], s[0:1], v46, s31, 0
	v_mov_b32_e32 v9, v50
	v_mad_u64_u32 v[50:51], s[0:1], v46, s33, v[9:10]
	v_mov_b32_e32 v9, v51
	;; [unrolled: 2-line block ×3, first 2 shown]
	v_mad_u64_u32 v[52:53], s[0:1], v46, s35, v[9:10]
	v_lshrrev_b32_e32 v9, 23, v48
	v_add_u32_e32 v55, 0xffffff88, v9
	v_mov_b32_e32 v9, v53
	v_mad_u64_u32 v[53:54], s[0:1], v46, s36, v[9:10]
	v_cmp_lt_u32_e32 vcc, 63, v55
	v_cndmask_b32_e32 v9, 0, v20, vcc
	v_add_u32_e32 v56, v9, v55
	v_mov_b32_e32 v9, v54
	v_mad_u64_u32 v[54:55], s[0:1], v46, s37, v[9:10]
	v_cmp_lt_u32_e64 s[0:1], 31, v56
	v_cndmask_b32_e64 v9, 0, v21, s[0:1]
	v_add_u32_e32 v57, v9, v56
	v_mov_b32_e32 v9, v55
	v_mad_u64_u32 v[55:56], s[2:3], v46, s38, v[9:10]
	v_cmp_lt_u32_e64 s[2:3], 31, v57
	v_cndmask_b32_e64 v9, 0, v21, s[2:3]
	v_cndmask_b32_e32 v46, v54, v52, vcc
	v_cndmask_b32_e32 v55, v55, v53, vcc
	;; [unrolled: 1-line block ×4, first 2 shown]
	v_add_u32_e32 v9, v9, v57
	v_cndmask_b32_e64 v56, v55, v46, s[0:1]
	v_cndmask_b32_e64 v54, v54, v55, s[0:1]
	;; [unrolled: 1-line block ×3, first 2 shown]
	v_cndmask_b32_e32 v50, v52, v50, vcc
	v_cndmask_b32_e64 v54, v54, v56, s[2:3]
	v_cndmask_b32_e64 v55, v56, v46, s[2:3]
	v_sub_u32_e32 v56, 32, v9
	v_cndmask_b32_e64 v52, v53, v50, s[0:1]
	v_alignbit_b32 v57, v54, v55, v56
	v_cmp_eq_u32_e64 s[6:7], 0, v9
	v_cndmask_b32_e64 v46, v46, v52, s[2:3]
	v_cndmask_b32_e64 v9, v57, v54, s[6:7]
	v_alignbit_b32 v53, v55, v46, v56
	v_cndmask_b32_e32 v49, v51, v49, vcc
	v_cndmask_b32_e64 v53, v53, v55, s[6:7]
	v_bfe_u32 v57, v9, 29, 1
	v_cndmask_b32_e64 v49, v50, v49, s[0:1]
	v_alignbit_b32 v54, v9, v53, 30
	v_sub_u32_e32 v58, 0, v57
	v_cndmask_b32_e64 v49, v52, v49, s[2:3]
	v_xor_b32_e32 v54, v54, v58
	v_alignbit_b32 v50, v46, v49, v56
	v_cndmask_b32_e64 v46, v50, v46, s[6:7]
	v_ffbh_u32_e32 v51, v54
	v_alignbit_b32 v50, v53, v46, 30
	v_min_u32_e32 v51, 32, v51
	v_alignbit_b32 v46, v46, v49, 30
	v_xor_b32_e32 v50, v50, v58
	v_sub_u32_e32 v52, 31, v51
	v_xor_b32_e32 v46, v46, v58
	v_alignbit_b32 v53, v54, v50, v52
	v_alignbit_b32 v46, v50, v46, v52
	;; [unrolled: 1-line block ×3, first 2 shown]
	v_ffbh_u32_e32 v50, v49
	v_min_u32_e32 v50, 32, v50
	v_lshrrev_b32_e32 v55, 29, v9
	v_not_b32_e32 v52, v50
	v_alignbit_b32 v46, v49, v46, v52
	v_lshlrev_b32_e32 v49, 31, v55
	v_or_b32_e32 v52, 0x33000000, v49
	v_add_lshl_u32 v50, v50, v51, 23
	v_lshrrev_b32_e32 v46, 9, v46
	v_sub_u32_e32 v50, v52, v50
	v_or_b32_e32 v49, 0.5, v49
	v_lshlrev_b32_e32 v51, 23, v51
	v_or_b32_e32 v46, v50, v46
	v_lshrrev_b32_e32 v50, 9, v53
	v_sub_u32_e32 v49, v49, v51
	v_or_b32_e32 v49, v50, v49
	v_mul_f32_e32 v50, 0x3fc90fda, v49
	v_fma_f32 v51, v49, s39, -v50
	v_fmac_f32_e32 v51, 0x33a22168, v49
	v_fmac_f32_e32 v51, 0x3fc90fda, v46
	v_lshrrev_b32_e32 v9, 30, v9
	v_add_f32_e32 v53, v50, v51
	v_add_u32_e32 v54, v57, v9
	s_andn2_saveexec_b64 s[0:1], s[26:27]
	s_branch .LBB144_35
.LBB144_34:                             ;   in Loop: Header=BB144_4 Depth=1
	s_andn2_saveexec_b64 s[0:1], s[26:27]
.LBB144_35:                             ;   in Loop: Header=BB144_4 Depth=1
	v_mul_f32_e64 v9, |v2|, s40
	v_rndne_f32_e32 v9, v9
	v_cvt_i32_f32_e32 v54, v9
	v_fma_f32 v53, v9, s41, |v2|
	v_fmac_f32_e32 v53, 0xb3a22168, v9
	v_fmac_f32_e32 v53, 0xa7c234c4, v9
; %bb.36:                               ;   in Loop: Header=BB144_4 Depth=1
	s_or_b64 exec, exec, s[0:1]
                                        ; implicit-def: $vgpr55
                                        ; implicit-def: $vgpr56
	s_and_saveexec_b64 s[0:1], s[24:25]
	s_xor_b64 s[24:25], exec, s[0:1]
	s_cbranch_execz .LBB144_38
; %bb.37:                               ;   in Loop: Header=BB144_4 Depth=1
	v_and_b32_e32 v9, 0x7fffff, v48
	v_or_b32_e32 v46, 0x800000, v9
	v_mad_u64_u32 v[49:50], s[0:1], v46, s31, 0
	v_mov_b32_e32 v9, v50
	v_mad_u64_u32 v[50:51], s[0:1], v46, s33, v[9:10]
	v_mov_b32_e32 v9, v51
	;; [unrolled: 2-line block ×3, first 2 shown]
	v_mad_u64_u32 v[55:56], s[0:1], v46, s35, v[9:10]
	v_lshrrev_b32_e32 v9, 23, v48
	v_add_u32_e32 v52, 0xffffff88, v9
	v_mov_b32_e32 v9, v56
	v_mad_u64_u32 v[56:57], s[0:1], v46, s36, v[9:10]
	v_cmp_lt_u32_e32 vcc, 63, v52
	v_cndmask_b32_e32 v9, 0, v20, vcc
	v_add_u32_e32 v52, v9, v52
	v_mov_b32_e32 v9, v57
	v_mad_u64_u32 v[57:58], s[0:1], v46, s37, v[9:10]
	v_cmp_lt_u32_e64 s[0:1], 31, v52
	v_cndmask_b32_e64 v9, 0, v21, s[0:1]
	v_add_u32_e32 v52, v9, v52
	v_mov_b32_e32 v9, v58
	v_mad_u64_u32 v[58:59], s[2:3], v46, s38, v[9:10]
	v_cmp_lt_u32_e64 s[2:3], 31, v52
	v_cndmask_b32_e64 v9, 0, v21, s[2:3]
	v_add_u32_e32 v9, v9, v52
	v_cndmask_b32_e32 v46, v57, v55, vcc
	v_cndmask_b32_e32 v52, v58, v56, vcc
	;; [unrolled: 1-line block ×4, first 2 shown]
	v_cndmask_b32_e64 v58, v52, v46, s[0:1]
	v_cndmask_b32_e64 v52, v57, v52, s[0:1]
	;; [unrolled: 1-line block ×5, first 2 shown]
	v_sub_u32_e32 v58, 32, v9
	v_alignbit_b32 v59, v52, v57, v58
	v_cmp_eq_u32_e64 s[6:7], 0, v9
	v_cndmask_b32_e32 v50, v55, v50, vcc
	v_cndmask_b32_e64 v9, v59, v52, s[6:7]
	v_cndmask_b32_e64 v52, v56, v50, s[0:1]
	;; [unrolled: 1-line block ×3, first 2 shown]
	v_alignbit_b32 v55, v57, v46, v58
	v_cndmask_b32_e32 v49, v51, v49, vcc
	v_cndmask_b32_e64 v55, v55, v57, s[6:7]
	v_bfe_u32 v59, v9, 29, 1
	v_cndmask_b32_e64 v49, v50, v49, s[0:1]
	v_alignbit_b32 v56, v9, v55, 30
	v_sub_u32_e32 v60, 0, v59
	v_cndmask_b32_e64 v49, v52, v49, s[2:3]
	v_xor_b32_e32 v56, v56, v60
	v_alignbit_b32 v50, v46, v49, v58
	v_cndmask_b32_e64 v46, v50, v46, s[6:7]
	v_ffbh_u32_e32 v51, v56
	v_alignbit_b32 v50, v55, v46, 30
	v_min_u32_e32 v51, 32, v51
	v_alignbit_b32 v46, v46, v49, 30
	v_xor_b32_e32 v50, v50, v60
	v_sub_u32_e32 v52, 31, v51
	v_xor_b32_e32 v46, v46, v60
	v_alignbit_b32 v55, v56, v50, v52
	v_alignbit_b32 v46, v50, v46, v52
	;; [unrolled: 1-line block ×3, first 2 shown]
	v_ffbh_u32_e32 v50, v49
	v_min_u32_e32 v50, 32, v50
	v_lshrrev_b32_e32 v57, 29, v9
	v_not_b32_e32 v52, v50
	v_alignbit_b32 v46, v49, v46, v52
	v_lshlrev_b32_e32 v49, 31, v57
	v_or_b32_e32 v52, 0x33000000, v49
	v_add_lshl_u32 v50, v50, v51, 23
	v_lshrrev_b32_e32 v46, 9, v46
	v_sub_u32_e32 v50, v52, v50
	v_or_b32_e32 v49, 0.5, v49
	v_lshlrev_b32_e32 v51, 23, v51
	v_or_b32_e32 v46, v50, v46
	v_lshrrev_b32_e32 v50, 9, v55
	v_sub_u32_e32 v49, v49, v51
	v_or_b32_e32 v49, v50, v49
	v_mul_f32_e32 v50, 0x3fc90fda, v49
	v_fma_f32 v51, v49, s39, -v50
	v_fmac_f32_e32 v51, 0x33a22168, v49
	v_fmac_f32_e32 v51, 0x3fc90fda, v46
	v_lshrrev_b32_e32 v9, 30, v9
	v_add_f32_e32 v56, v50, v51
	v_add_u32_e32 v55, v59, v9
	s_andn2_saveexec_b64 s[0:1], s[24:25]
	s_cbranch_execnz .LBB144_39
	s_branch .LBB144_40
.LBB144_38:                             ;   in Loop: Header=BB144_4 Depth=1
	s_andn2_saveexec_b64 s[0:1], s[24:25]
.LBB144_39:                             ;   in Loop: Header=BB144_4 Depth=1
	v_mul_f32_e64 v9, |v2|, s40
	v_rndne_f32_e32 v9, v9
	v_cvt_i32_f32_e32 v55, v9
	v_fma_f32 v56, v9, s41, |v2|
	v_fmac_f32_e32 v56, 0xb3a22168, v9
	v_fmac_f32_e32 v56, 0xa7c234c4, v9
.LBB144_40:                             ;   in Loop: Header=BB144_4 Depth=1
	s_or_b64 exec, exec, s[0:1]
	v_mul_f32_e32 v46, 0.5, v4
	v_and_b32_e32 v49, 0x7fffffff, v46
	v_cmp_nlt_f32_e64 s[0:1], |v46|, s28
                                        ; implicit-def: $vgpr51
                                        ; implicit-def: $vgpr50
	s_and_saveexec_b64 s[2:3], s[0:1]
	s_xor_b64 s[24:25], exec, s[2:3]
	s_cbranch_execz .LBB144_42
; %bb.41:                               ;   in Loop: Header=BB144_4 Depth=1
	v_and_b32_e32 v9, 0x7fffff, v49
	v_or_b32_e32 v62, 0x800000, v9
	v_mad_u64_u32 v[50:51], s[0:1], v62, s31, 0
	v_mov_b32_e32 v9, v51
	v_mad_u64_u32 v[51:52], s[0:1], v62, s33, v[9:10]
	v_mov_b32_e32 v9, v52
	;; [unrolled: 2-line block ×3, first 2 shown]
	v_mad_u64_u32 v[58:59], s[0:1], v62, s35, v[9:10]
	v_lshrrev_b32_e32 v9, 23, v49
	v_add_u32_e32 v52, 0xffffff88, v9
	v_mov_b32_e32 v9, v59
	v_mad_u64_u32 v[59:60], s[0:1], v62, s36, v[9:10]
	v_cmp_lt_u32_e32 vcc, 63, v52
	v_cndmask_b32_e32 v9, 0, v20, vcc
	v_add_u32_e32 v52, v9, v52
	v_mov_b32_e32 v9, v60
	v_mad_u64_u32 v[60:61], s[0:1], v62, s37, v[9:10]
	v_cmp_lt_u32_e64 s[0:1], 31, v52
	v_cndmask_b32_e64 v9, 0, v21, s[0:1]
	v_add_u32_e32 v52, v9, v52
	v_mov_b32_e32 v9, v61
	v_mad_u64_u32 v[61:62], s[2:3], v62, s38, v[9:10]
	v_cmp_lt_u32_e64 s[2:3], 31, v52
	v_cndmask_b32_e64 v9, 0, v21, s[2:3]
	v_add_u32_e32 v9, v9, v52
	v_cndmask_b32_e32 v52, v60, v58, vcc
	v_cndmask_b32_e32 v61, v61, v59, vcc
	v_cndmask_b32_e32 v60, v62, v60, vcc
	v_cndmask_b32_e32 v59, v59, v57, vcc
	v_cndmask_b32_e64 v62, v61, v52, s[0:1]
	v_cndmask_b32_e64 v60, v60, v61, s[0:1]
	;; [unrolled: 1-line block ×3, first 2 shown]
	v_cndmask_b32_e32 v51, v58, v51, vcc
	v_cndmask_b32_e64 v60, v60, v62, s[2:3]
	v_cndmask_b32_e64 v61, v62, v52, s[2:3]
	v_sub_u32_e32 v62, 32, v9
	v_cndmask_b32_e64 v58, v59, v51, s[0:1]
	v_alignbit_b32 v63, v60, v61, v62
	v_cmp_eq_u32_e64 s[6:7], 0, v9
	v_cndmask_b32_e64 v52, v52, v58, s[2:3]
	v_cndmask_b32_e64 v9, v63, v60, s[6:7]
	v_alignbit_b32 v59, v61, v52, v62
	v_cndmask_b32_e32 v50, v57, v50, vcc
	v_cndmask_b32_e64 v59, v59, v61, s[6:7]
	v_bfe_u32 v63, v9, 29, 1
	v_cndmask_b32_e64 v50, v51, v50, s[0:1]
	v_alignbit_b32 v60, v9, v59, 30
	v_sub_u32_e32 v64, 0, v63
	v_cndmask_b32_e64 v50, v58, v50, s[2:3]
	v_xor_b32_e32 v60, v60, v64
	v_alignbit_b32 v51, v52, v50, v62
	v_cndmask_b32_e64 v51, v51, v52, s[6:7]
	v_ffbh_u32_e32 v57, v60
	v_alignbit_b32 v52, v59, v51, 30
	v_min_u32_e32 v57, 32, v57
	v_alignbit_b32 v50, v51, v50, 30
	v_xor_b32_e32 v52, v52, v64
	v_sub_u32_e32 v58, 31, v57
	v_xor_b32_e32 v50, v50, v64
	v_alignbit_b32 v59, v60, v52, v58
	v_alignbit_b32 v50, v52, v50, v58
	;; [unrolled: 1-line block ×3, first 2 shown]
	v_ffbh_u32_e32 v52, v51
	v_min_u32_e32 v52, 32, v52
	v_lshrrev_b32_e32 v61, 29, v9
	v_not_b32_e32 v58, v52
	v_alignbit_b32 v50, v51, v50, v58
	v_lshlrev_b32_e32 v51, 31, v61
	v_or_b32_e32 v58, 0x33000000, v51
	v_add_lshl_u32 v52, v52, v57, 23
	v_lshrrev_b32_e32 v50, 9, v50
	v_sub_u32_e32 v52, v58, v52
	v_or_b32_e32 v51, 0.5, v51
	v_lshlrev_b32_e32 v57, 23, v57
	v_or_b32_e32 v50, v52, v50
	v_lshrrev_b32_e32 v52, 9, v59
	v_sub_u32_e32 v51, v51, v57
	v_or_b32_e32 v51, v52, v51
	v_mul_f32_e32 v52, 0x3fc90fda, v51
	v_fma_f32 v57, v51, s39, -v52
	v_fmac_f32_e32 v57, 0x33a22168, v51
	v_fmac_f32_e32 v57, 0x3fc90fda, v50
	v_lshrrev_b32_e32 v9, 30, v9
	v_add_f32_e32 v50, v52, v57
	v_add_u32_e32 v51, v63, v9
.LBB144_42:                             ;   in Loop: Header=BB144_4 Depth=1
	s_andn2_saveexec_b64 s[0:1], s[24:25]
; %bb.43:                               ;   in Loop: Header=BB144_4 Depth=1
	v_mul_f32_e64 v9, |v46|, s40
	v_rndne_f32_e32 v9, v9
	v_cvt_i32_f32_e32 v51, v9
	v_fma_f32 v50, v9, s41, |v46|
	v_fmac_f32_e32 v50, 0xb3a22168, v9
	v_fmac_f32_e32 v50, 0xa7c234c4, v9
; %bb.44:                               ;   in Loop: Header=BB144_4 Depth=1
	s_or_b64 exec, exec, s[0:1]
	v_and_b32_e32 v52, 0x7fffffff, v4
	v_cmp_nlt_f32_e64 s[24:25], |v4|, s28
                                        ; implicit-def: $vgpr58
                                        ; implicit-def: $vgpr57
	s_and_saveexec_b64 s[0:1], s[24:25]
	s_xor_b64 s[26:27], exec, s[0:1]
	s_cbranch_execz .LBB144_46
; %bb.45:                               ;   in Loop: Header=BB144_4 Depth=1
	v_and_b32_e32 v9, 0x7fffff, v52
	v_or_b32_e32 v64, 0x800000, v9
	v_mad_u64_u32 v[57:58], s[0:1], v64, s31, 0
	v_mov_b32_e32 v9, v58
	v_mad_u64_u32 v[58:59], s[0:1], v64, s33, v[9:10]
	v_mov_b32_e32 v9, v59
	v_mad_u64_u32 v[59:60], s[0:1], v64, s34, v[9:10]
	v_mov_b32_e32 v9, v60
	v_mad_u64_u32 v[60:61], s[0:1], v64, s35, v[9:10]
	v_lshrrev_b32_e32 v9, 23, v52
	v_add_u32_e32 v63, 0xffffff88, v9
	v_mov_b32_e32 v9, v61
	v_mad_u64_u32 v[61:62], s[0:1], v64, s36, v[9:10]
	v_cmp_lt_u32_e32 vcc, 63, v63
	v_cndmask_b32_e32 v9, 0, v20, vcc
	v_add_u32_e32 v65, v9, v63
	v_mov_b32_e32 v9, v62
	v_mad_u64_u32 v[62:63], s[0:1], v64, s37, v[9:10]
	v_cmp_lt_u32_e64 s[0:1], 31, v65
	v_cndmask_b32_e64 v9, 0, v21, s[0:1]
	v_add_u32_e32 v65, v9, v65
	v_mov_b32_e32 v9, v63
	v_mad_u64_u32 v[63:64], s[2:3], v64, s38, v[9:10]
	v_cmp_lt_u32_e64 s[2:3], 31, v65
	v_cndmask_b32_e64 v9, 0, v21, s[2:3]
	v_add_u32_e32 v9, v9, v65
	v_cndmask_b32_e32 v65, v62, v60, vcc
	v_cndmask_b32_e32 v63, v63, v61, vcc
	;; [unrolled: 1-line block ×4, first 2 shown]
	v_cndmask_b32_e64 v64, v63, v65, s[0:1]
	v_cndmask_b32_e64 v62, v62, v63, s[0:1]
	;; [unrolled: 1-line block ×3, first 2 shown]
	v_cndmask_b32_e32 v58, v60, v58, vcc
	v_cndmask_b32_e64 v62, v62, v64, s[2:3]
	v_cndmask_b32_e64 v64, v64, v63, s[2:3]
	v_sub_u32_e32 v65, 32, v9
	v_cndmask_b32_e64 v60, v61, v58, s[0:1]
	v_alignbit_b32 v66, v62, v64, v65
	v_cmp_eq_u32_e64 s[6:7], 0, v9
	v_cndmask_b32_e64 v61, v63, v60, s[2:3]
	v_cndmask_b32_e64 v9, v66, v62, s[6:7]
	v_alignbit_b32 v62, v64, v61, v65
	v_cndmask_b32_e32 v57, v59, v57, vcc
	v_cndmask_b32_e64 v62, v62, v64, s[6:7]
	v_bfe_u32 v66, v9, 29, 1
	v_cndmask_b32_e64 v57, v58, v57, s[0:1]
	v_alignbit_b32 v63, v9, v62, 30
	v_sub_u32_e32 v67, 0, v66
	v_cndmask_b32_e64 v57, v60, v57, s[2:3]
	v_xor_b32_e32 v63, v63, v67
	v_alignbit_b32 v58, v61, v57, v65
	v_cndmask_b32_e64 v58, v58, v61, s[6:7]
	v_ffbh_u32_e32 v60, v63
	v_alignbit_b32 v59, v62, v58, 30
	v_min_u32_e32 v60, 32, v60
	v_alignbit_b32 v57, v58, v57, 30
	v_xor_b32_e32 v59, v59, v67
	v_sub_u32_e32 v61, 31, v60
	v_xor_b32_e32 v57, v57, v67
	v_alignbit_b32 v62, v63, v59, v61
	v_alignbit_b32 v57, v59, v57, v61
	;; [unrolled: 1-line block ×3, first 2 shown]
	v_ffbh_u32_e32 v59, v58
	v_min_u32_e32 v59, 32, v59
	v_lshrrev_b32_e32 v64, 29, v9
	v_not_b32_e32 v61, v59
	v_alignbit_b32 v57, v58, v57, v61
	v_lshlrev_b32_e32 v58, 31, v64
	v_or_b32_e32 v61, 0x33000000, v58
	v_add_lshl_u32 v59, v59, v60, 23
	v_lshrrev_b32_e32 v57, 9, v57
	v_sub_u32_e32 v59, v61, v59
	v_or_b32_e32 v58, 0.5, v58
	v_lshlrev_b32_e32 v60, 23, v60
	v_or_b32_e32 v57, v59, v57
	v_lshrrev_b32_e32 v59, 9, v62
	v_sub_u32_e32 v58, v58, v60
	v_or_b32_e32 v58, v59, v58
	v_mul_f32_e32 v59, 0x3fc90fda, v58
	v_fma_f32 v60, v58, s39, -v59
	v_fmac_f32_e32 v60, 0x33a22168, v58
	v_fmac_f32_e32 v60, 0x3fc90fda, v57
	v_lshrrev_b32_e32 v9, 30, v9
	v_add_f32_e32 v57, v59, v60
	v_add_u32_e32 v58, v66, v9
	s_andn2_saveexec_b64 s[0:1], s[26:27]
	s_branch .LBB144_47
.LBB144_46:                             ;   in Loop: Header=BB144_4 Depth=1
	s_andn2_saveexec_b64 s[0:1], s[26:27]
.LBB144_47:                             ;   in Loop: Header=BB144_4 Depth=1
	v_mul_f32_e64 v9, |v4|, s40
	v_rndne_f32_e32 v9, v9
	v_cvt_i32_f32_e32 v58, v9
	v_fma_f32 v57, v9, s41, |v4|
	v_fmac_f32_e32 v57, 0xb3a22168, v9
	v_fmac_f32_e32 v57, 0xa7c234c4, v9
; %bb.48:                               ;   in Loop: Header=BB144_4 Depth=1
	s_or_b64 exec, exec, s[0:1]
                                        ; implicit-def: $vgpr9
                                        ; implicit-def: $vgpr59
	s_and_saveexec_b64 s[0:1], s[24:25]
	s_xor_b64 s[24:25], exec, s[0:1]
	s_cbranch_execz .LBB144_50
; %bb.49:                               ;   in Loop: Header=BB144_4 Depth=1
	v_and_b32_e32 v9, 0x7fffff, v52
	v_or_b32_e32 v66, 0x800000, v9
	v_mad_u64_u32 v[59:60], s[0:1], v66, s31, 0
	v_mov_b32_e32 v9, v60
	v_mad_u64_u32 v[60:61], s[0:1], v66, s33, v[9:10]
	v_mov_b32_e32 v9, v61
	;; [unrolled: 2-line block ×3, first 2 shown]
	v_mad_u64_u32 v[62:63], s[0:1], v66, s35, v[9:10]
	v_lshrrev_b32_e32 v9, 23, v52
	v_add_u32_e32 v65, 0xffffff88, v9
	v_mov_b32_e32 v9, v63
	v_mad_u64_u32 v[63:64], s[0:1], v66, s36, v[9:10]
	v_cmp_lt_u32_e32 vcc, 63, v65
	v_cndmask_b32_e32 v9, 0, v20, vcc
	v_add_u32_e32 v67, v9, v65
	v_mov_b32_e32 v9, v64
	v_mad_u64_u32 v[64:65], s[0:1], v66, s37, v[9:10]
	v_cmp_lt_u32_e64 s[0:1], 31, v67
	v_cndmask_b32_e64 v9, 0, v21, s[0:1]
	v_add_u32_e32 v67, v9, v67
	v_mov_b32_e32 v9, v65
	v_mad_u64_u32 v[65:66], s[2:3], v66, s38, v[9:10]
	v_cmp_lt_u32_e64 s[2:3], 31, v67
	v_cndmask_b32_e64 v9, 0, v21, s[2:3]
	v_add_u32_e32 v9, v9, v67
	v_cndmask_b32_e32 v67, v64, v62, vcc
	v_cndmask_b32_e32 v65, v65, v63, vcc
	;; [unrolled: 1-line block ×4, first 2 shown]
	v_cndmask_b32_e64 v66, v65, v67, s[0:1]
	v_cndmask_b32_e64 v64, v64, v65, s[0:1]
	v_cndmask_b32_e64 v65, v67, v63, s[0:1]
	v_cndmask_b32_e32 v60, v62, v60, vcc
	v_cndmask_b32_e64 v64, v64, v66, s[2:3]
	v_cndmask_b32_e64 v66, v66, v65, s[2:3]
	v_sub_u32_e32 v67, 32, v9
	v_cndmask_b32_e64 v62, v63, v60, s[0:1]
	v_alignbit_b32 v68, v64, v66, v67
	v_cmp_eq_u32_e64 s[6:7], 0, v9
	v_cndmask_b32_e64 v63, v65, v62, s[2:3]
	v_cndmask_b32_e64 v9, v68, v64, s[6:7]
	v_alignbit_b32 v64, v66, v63, v67
	v_cndmask_b32_e32 v59, v61, v59, vcc
	v_cndmask_b32_e64 v64, v64, v66, s[6:7]
	v_bfe_u32 v68, v9, 29, 1
	v_cndmask_b32_e64 v59, v60, v59, s[0:1]
	v_alignbit_b32 v65, v9, v64, 30
	v_sub_u32_e32 v69, 0, v68
	v_cndmask_b32_e64 v59, v62, v59, s[2:3]
	v_xor_b32_e32 v65, v65, v69
	v_alignbit_b32 v60, v63, v59, v67
	v_cndmask_b32_e64 v60, v60, v63, s[6:7]
	v_ffbh_u32_e32 v62, v65
	v_alignbit_b32 v61, v64, v60, 30
	v_min_u32_e32 v62, 32, v62
	v_alignbit_b32 v59, v60, v59, 30
	v_xor_b32_e32 v61, v61, v69
	v_sub_u32_e32 v63, 31, v62
	v_xor_b32_e32 v59, v59, v69
	v_alignbit_b32 v64, v65, v61, v63
	v_alignbit_b32 v59, v61, v59, v63
	v_alignbit_b32 v60, v64, v59, 9
	v_ffbh_u32_e32 v61, v60
	v_min_u32_e32 v61, 32, v61
	v_lshrrev_b32_e32 v66, 29, v9
	v_not_b32_e32 v63, v61
	v_alignbit_b32 v59, v60, v59, v63
	v_lshlrev_b32_e32 v60, 31, v66
	v_or_b32_e32 v63, 0x33000000, v60
	v_add_lshl_u32 v61, v61, v62, 23
	v_lshrrev_b32_e32 v59, 9, v59
	v_sub_u32_e32 v61, v63, v61
	v_or_b32_e32 v60, 0.5, v60
	v_lshlrev_b32_e32 v62, 23, v62
	v_or_b32_e32 v59, v61, v59
	v_lshrrev_b32_e32 v61, 9, v64
	v_sub_u32_e32 v60, v60, v62
	v_or_b32_e32 v60, v61, v60
	v_mul_f32_e32 v61, 0x3fc90fda, v60
	v_fma_f32 v62, v60, s39, -v61
	v_fmac_f32_e32 v62, 0x33a22168, v60
	v_fmac_f32_e32 v62, 0x3fc90fda, v59
	v_lshrrev_b32_e32 v9, 30, v9
	v_add_f32_e32 v59, v61, v62
	v_add_u32_e32 v9, v68, v9
	s_andn2_saveexec_b64 s[0:1], s[24:25]
	s_cbranch_execz .LBB144_3
	s_branch .LBB144_51
.LBB144_50:                             ;   in Loop: Header=BB144_4 Depth=1
	s_andn2_saveexec_b64 s[0:1], s[24:25]
	s_cbranch_execz .LBB144_3
.LBB144_51:                             ;   in Loop: Header=BB144_4 Depth=1
	v_mul_f32_e64 v9, |v4|, s40
	v_rndne_f32_e32 v60, v9
	v_cvt_i32_f32_e32 v9, v60
	v_fma_f32 v59, v60, s41, |v4|
	v_fmac_f32_e32 v59, 0xb3a22168, v60
	v_fmac_f32_e32 v59, 0xa7c234c4, v60
	s_branch .LBB144_3
.LBB144_52:
	s_or_b64 exec, exec, s[12:13]
	s_mov_b64 s[0:1], 0
.LBB144_53:
	s_andn2_b64 vcc, exec, s[0:1]
	s_cbranch_vccnz .LBB144_121
; %bb.54:
	v_cmp_lt_i64_e64 s[0:1], s[8:9], 1
	s_and_b64 vcc, exec, s[0:1]
	s_cbranch_vccnz .LBB144_121
; %bb.55:
	v_mov_b32_e32 v3, 0x10000
	s_load_dword s2, s[4:5], 0xc5c
	v_mov_b32_e32 v4, 0
	v_cmp_lt_i64_e32 vcc, s[8:9], v[3:4]
	v_mov_b32_e32 v2, 0
	s_and_b64 s[0:1], vcc, exec
	v_cmp_lt_u64_e32 vcc, s[8:9], v[3:4]
	s_cselect_b32 s19, s9, 0
	s_cselect_b32 s18, s8, 0x10000
	s_waitcnt lgkmcnt(0)
	s_and_b32 s28, s2, 0xffff
	s_and_b64 s[0:1], vcc, exec
	s_cselect_b32 s21, s9, 0
	s_cselect_b32 s20, s8, 0x10000
	s_lshl_b32 s29, s28, 1
	s_mul_i32 s30, s28, 3
	s_lshl_b32 s31, s28, 2
	s_mov_b64 s[22:23], 0
	s_brev_b32 s33, 18
	s_mov_b32 s34, 0xfe5163ab
	s_mov_b32 s35, 0x3c439041
	;; [unrolled: 1-line block ×14, first 2 shown]
	v_mov_b32_e32 v19, 0x3c0887f9
	v_mov_b32_e32 v20, 0x3d2aaa81
	;; [unrolled: 1-line block ×3, first 2 shown]
	s_mov_b32 s48, 0x42b17217
	s_mov_b32 s49, 0xc1880000
	s_movk_i32 s50, 0x1f8
	v_mov_b32_e32 v22, 0x3d2aabf7
	v_mov_b32_e32 v23, 0xbf000004
	;; [unrolled: 1-line block ×3, first 2 shown]
	v_not_b32_e32 v25, 63
	v_not_b32_e32 v26, 31
	v_mov_b32_e32 v27, 0x7f800000
	v_mov_b32_e32 v28, 0x7f000000
	;; [unrolled: 1-line block ×3, first 2 shown]
	s_branch .LBB144_57
.LBB144_56:                             ;   in Loop: Header=BB144_57 Depth=1
	s_or_b64 exec, exec, s[2:3]
	s_add_u32 s22, s22, s31
	v_mov_b32_e32 v3, s18
	s_addc_u32 s23, s23, 0
	v_mov_b32_e32 v4, s19
	v_cmp_ge_i64_e32 vcc, s[22:23], v[3:4]
	s_cbranch_vccnz .LBB144_121
.LBB144_57:                             ; =>This Inner Loop Header: Depth=1
	v_mov_b32_e32 v1, s23
	v_add_co_u32_e32 v15, vcc, s22, v0
	v_addc_co_u32_e32 v16, vcc, 0, v1, vcc
	v_cmp_gt_u64_e64 s[4:5], s[20:21], v[15:16]
	v_mov_b32_e32 v18, 0
	v_mov_b32_e32 v17, 0
	s_and_saveexec_b64 s[0:1], s[4:5]
	s_cbranch_execz .LBB144_59
; %bb.58:                               ;   in Loop: Header=BB144_57 Depth=1
	v_lshlrev_b64 v[3:4], 3, v[15:16]
	v_mov_b32_e32 v1, s15
	v_add_co_u32_e32 v3, vcc, s14, v3
	v_addc_co_u32_e32 v4, vcc, v1, v4, vcc
	global_load_dwordx2 v[17:18], v[3:4], off
.LBB144_59:                             ;   in Loop: Header=BB144_57 Depth=1
	s_or_b64 exec, exec, s[0:1]
	v_add_co_u32_e32 v11, vcc, s28, v15
	v_addc_co_u32_e32 v12, vcc, 0, v16, vcc
	v_cmp_gt_u64_e64 s[2:3], s[20:21], v[11:12]
	v_mov_b32_e32 v8, 0
	v_mov_b32_e32 v14, 0
	;; [unrolled: 1-line block ×3, first 2 shown]
	s_and_saveexec_b64 s[0:1], s[2:3]
	s_cbranch_execz .LBB144_61
; %bb.60:                               ;   in Loop: Header=BB144_57 Depth=1
	v_lshlrev_b64 v[3:4], 3, v[11:12]
	v_mov_b32_e32 v1, s15
	v_add_co_u32_e32 v3, vcc, s14, v3
	v_addc_co_u32_e32 v4, vcc, v1, v4, vcc
	global_load_dwordx2 v[13:14], v[3:4], off
.LBB144_61:                             ;   in Loop: Header=BB144_57 Depth=1
	s_or_b64 exec, exec, s[0:1]
	v_add_co_u32_e32 v9, vcc, s29, v15
	v_addc_co_u32_e32 v10, vcc, 0, v16, vcc
	v_cmp_gt_u64_e64 s[0:1], s[20:21], v[9:10]
	v_mov_b32_e32 v7, 0
	s_and_saveexec_b64 s[6:7], s[0:1]
	s_cbranch_execz .LBB144_63
; %bb.62:                               ;   in Loop: Header=BB144_57 Depth=1
	v_lshlrev_b64 v[3:4], 3, v[9:10]
	v_mov_b32_e32 v1, s15
	v_add_co_u32_e32 v3, vcc, s14, v3
	v_addc_co_u32_e32 v4, vcc, v1, v4, vcc
	global_load_dwordx2 v[7:8], v[3:4], off
.LBB144_63:                             ;   in Loop: Header=BB144_57 Depth=1
	s_or_b64 exec, exec, s[6:7]
	v_add_co_u32_e32 v3, vcc, s30, v15
	v_addc_co_u32_e32 v4, vcc, 0, v16, vcc
	v_cmp_gt_u64_e32 vcc, s[20:21], v[3:4]
	v_mov_b32_e32 v6, 0
	v_mov_b32_e32 v5, 0
	s_and_saveexec_b64 s[8:9], vcc
	s_cbranch_execz .LBB144_65
; %bb.64:                               ;   in Loop: Header=BB144_57 Depth=1
	v_lshlrev_b64 v[5:6], 3, v[3:4]
	v_mov_b32_e32 v1, s15
	v_add_co_u32_e64 v5, s[6:7], s14, v5
	v_addc_co_u32_e64 v6, s[6:7], v1, v6, s[6:7]
	global_load_dwordx2 v[5:6], v[5:6], off
.LBB144_65:                             ;   in Loop: Header=BB144_57 Depth=1
	s_or_b64 exec, exec, s[8:9]
	s_waitcnt vmcnt(0)
	v_mul_f32_e32 v30, 0.5, v18
	v_and_b32_e32 v31, 0x7fffffff, v30
	v_cmp_nlt_f32_e64 s[6:7], |v30|, s33
                                        ; implicit-def: $vgpr33
                                        ; implicit-def: $vgpr32
	s_and_saveexec_b64 s[8:9], s[6:7]
	s_xor_b64 s[24:25], exec, s[8:9]
	s_cbranch_execz .LBB144_67
; %bb.66:                               ;   in Loop: Header=BB144_57 Depth=1
	v_and_b32_e32 v1, 0x7fffff, v31
	v_or_b32_e32 v39, 0x800000, v1
	v_mad_u64_u32 v[32:33], s[6:7], v39, s34, 0
	v_mov_b32_e32 v1, v33
	v_mad_u64_u32 v[33:34], s[6:7], v39, s35, v[1:2]
	v_mov_b32_e32 v1, v34
	;; [unrolled: 2-line block ×3, first 2 shown]
	v_mad_u64_u32 v[35:36], s[6:7], v39, s37, v[1:2]
	v_lshrrev_b32_e32 v1, 23, v31
	v_add_u32_e32 v38, 0xffffff88, v1
	v_mov_b32_e32 v1, v36
	v_mad_u64_u32 v[36:37], s[6:7], v39, s38, v[1:2]
	v_cmp_lt_u32_e64 s[6:7], 63, v38
	v_cndmask_b32_e64 v1, 0, v25, s[6:7]
	v_add_u32_e32 v40, v1, v38
	v_mov_b32_e32 v1, v37
	v_mad_u64_u32 v[37:38], s[8:9], v39, s39, v[1:2]
	v_cmp_lt_u32_e64 s[8:9], 31, v40
	v_cndmask_b32_e64 v1, 0, v26, s[8:9]
	;; [unrolled: 5-line block ×3, first 2 shown]
	v_add_u32_e32 v1, v1, v40
	v_cndmask_b32_e64 v40, v37, v35, s[6:7]
	v_cndmask_b32_e64 v38, v38, v36, s[6:7]
	;; [unrolled: 1-line block ×10, first 2 shown]
	v_sub_u32_e32 v40, 32, v1
	v_cndmask_b32_e64 v35, v36, v33, s[8:9]
	v_alignbit_b32 v41, v37, v39, v40
	v_cmp_eq_u32_e64 s[12:13], 0, v1
	v_cndmask_b32_e64 v36, v38, v35, s[10:11]
	v_cndmask_b32_e64 v1, v41, v37, s[12:13]
	v_alignbit_b32 v37, v39, v36, v40
	v_cndmask_b32_e64 v32, v34, v32, s[6:7]
	v_cndmask_b32_e64 v37, v37, v39, s[12:13]
	v_bfe_u32 v41, v1, 29, 1
	v_cndmask_b32_e64 v32, v33, v32, s[8:9]
	v_alignbit_b32 v38, v1, v37, 30
	v_sub_u32_e32 v42, 0, v41
	v_cndmask_b32_e64 v32, v35, v32, s[10:11]
	v_xor_b32_e32 v38, v38, v42
	v_alignbit_b32 v33, v36, v32, v40
	v_cndmask_b32_e64 v33, v33, v36, s[12:13]
	v_ffbh_u32_e32 v35, v38
	v_alignbit_b32 v34, v37, v33, 30
	v_min_u32_e32 v35, 32, v35
	v_alignbit_b32 v32, v33, v32, 30
	v_xor_b32_e32 v34, v34, v42
	v_sub_u32_e32 v36, 31, v35
	v_xor_b32_e32 v32, v32, v42
	v_alignbit_b32 v37, v38, v34, v36
	v_alignbit_b32 v32, v34, v32, v36
	;; [unrolled: 1-line block ×3, first 2 shown]
	v_ffbh_u32_e32 v34, v33
	v_min_u32_e32 v34, 32, v34
	v_lshrrev_b32_e32 v39, 29, v1
	v_not_b32_e32 v36, v34
	v_alignbit_b32 v32, v33, v32, v36
	v_lshlrev_b32_e32 v33, 31, v39
	v_or_b32_e32 v36, 0x33000000, v33
	v_add_lshl_u32 v34, v34, v35, 23
	v_lshrrev_b32_e32 v32, 9, v32
	v_sub_u32_e32 v34, v36, v34
	v_or_b32_e32 v33, 0.5, v33
	v_lshlrev_b32_e32 v35, 23, v35
	v_or_b32_e32 v32, v34, v32
	v_lshrrev_b32_e32 v34, 9, v37
	v_sub_u32_e32 v33, v33, v35
	v_or_b32_e32 v33, v34, v33
	v_mul_f32_e32 v34, 0x3fc90fda, v33
	v_fma_f32 v35, v33, s41, -v34
	v_fmac_f32_e32 v35, 0x33a22168, v33
	v_fmac_f32_e32 v35, 0x3fc90fda, v32
	v_lshrrev_b32_e32 v1, 30, v1
	v_add_f32_e32 v32, v34, v35
	v_add_u32_e32 v33, v41, v1
.LBB144_67:                             ;   in Loop: Header=BB144_57 Depth=1
	s_andn2_saveexec_b64 s[6:7], s[24:25]
; %bb.68:                               ;   in Loop: Header=BB144_57 Depth=1
	v_mul_f32_e64 v1, |v30|, s42
	v_rndne_f32_e32 v1, v1
	v_cvt_i32_f32_e32 v33, v1
	v_fma_f32 v32, v1, s43, |v30|
	v_fmac_f32_e32 v32, 0xb3a22168, v1
	v_fmac_f32_e32 v32, 0xa7c234c4, v1
; %bb.69:                               ;   in Loop: Header=BB144_57 Depth=1
	s_or_b64 exec, exec, s[6:7]
	v_and_b32_e32 v34, 0x7fffffff, v18
	v_cmp_nlt_f32_e64 s[24:25], |v18|, s33
                                        ; implicit-def: $vgpr36
                                        ; implicit-def: $vgpr35
	s_and_saveexec_b64 s[6:7], s[24:25]
	s_xor_b64 s[26:27], exec, s[6:7]
	s_cbranch_execz .LBB144_71
; %bb.70:                               ;   in Loop: Header=BB144_57 Depth=1
	v_and_b32_e32 v1, 0x7fffff, v34
	v_or_b32_e32 v42, 0x800000, v1
	v_mad_u64_u32 v[35:36], s[6:7], v42, s34, 0
	v_mov_b32_e32 v1, v36
	v_mad_u64_u32 v[36:37], s[6:7], v42, s35, v[1:2]
	v_mov_b32_e32 v1, v37
	;; [unrolled: 2-line block ×3, first 2 shown]
	v_mad_u64_u32 v[38:39], s[6:7], v42, s37, v[1:2]
	v_lshrrev_b32_e32 v1, 23, v34
	v_add_u32_e32 v41, 0xffffff88, v1
	v_mov_b32_e32 v1, v39
	v_mad_u64_u32 v[39:40], s[6:7], v42, s38, v[1:2]
	v_cmp_lt_u32_e64 s[6:7], 63, v41
	v_cndmask_b32_e64 v1, 0, v25, s[6:7]
	v_add_u32_e32 v43, v1, v41
	v_mov_b32_e32 v1, v40
	v_mad_u64_u32 v[40:41], s[8:9], v42, s39, v[1:2]
	v_cmp_lt_u32_e64 s[8:9], 31, v43
	v_cndmask_b32_e64 v1, 0, v26, s[8:9]
	;; [unrolled: 5-line block ×3, first 2 shown]
	v_add_u32_e32 v1, v1, v43
	v_cndmask_b32_e64 v43, v40, v38, s[6:7]
	v_cndmask_b32_e64 v41, v41, v39, s[6:7]
	;; [unrolled: 1-line block ×10, first 2 shown]
	v_sub_u32_e32 v43, 32, v1
	v_cndmask_b32_e64 v38, v39, v36, s[8:9]
	v_alignbit_b32 v44, v40, v42, v43
	v_cmp_eq_u32_e64 s[12:13], 0, v1
	v_cndmask_b32_e64 v39, v41, v38, s[10:11]
	v_cndmask_b32_e64 v1, v44, v40, s[12:13]
	v_alignbit_b32 v40, v42, v39, v43
	v_cndmask_b32_e64 v35, v37, v35, s[6:7]
	v_cndmask_b32_e64 v40, v40, v42, s[12:13]
	v_bfe_u32 v44, v1, 29, 1
	v_cndmask_b32_e64 v35, v36, v35, s[8:9]
	v_alignbit_b32 v41, v1, v40, 30
	v_sub_u32_e32 v45, 0, v44
	v_cndmask_b32_e64 v35, v38, v35, s[10:11]
	v_xor_b32_e32 v41, v41, v45
	v_alignbit_b32 v36, v39, v35, v43
	v_cndmask_b32_e64 v36, v36, v39, s[12:13]
	v_ffbh_u32_e32 v38, v41
	v_alignbit_b32 v37, v40, v36, 30
	v_min_u32_e32 v38, 32, v38
	v_alignbit_b32 v35, v36, v35, 30
	v_xor_b32_e32 v37, v37, v45
	v_sub_u32_e32 v39, 31, v38
	v_xor_b32_e32 v35, v35, v45
	v_alignbit_b32 v40, v41, v37, v39
	v_alignbit_b32 v35, v37, v35, v39
	;; [unrolled: 1-line block ×3, first 2 shown]
	v_ffbh_u32_e32 v37, v36
	v_min_u32_e32 v37, 32, v37
	v_lshrrev_b32_e32 v42, 29, v1
	v_not_b32_e32 v39, v37
	v_alignbit_b32 v35, v36, v35, v39
	v_lshlrev_b32_e32 v36, 31, v42
	v_or_b32_e32 v39, 0x33000000, v36
	v_add_lshl_u32 v37, v37, v38, 23
	v_lshrrev_b32_e32 v35, 9, v35
	v_sub_u32_e32 v37, v39, v37
	v_or_b32_e32 v36, 0.5, v36
	v_lshlrev_b32_e32 v38, 23, v38
	v_or_b32_e32 v35, v37, v35
	v_lshrrev_b32_e32 v37, 9, v40
	v_sub_u32_e32 v36, v36, v38
	v_or_b32_e32 v36, v37, v36
	v_mul_f32_e32 v37, 0x3fc90fda, v36
	v_fma_f32 v38, v36, s41, -v37
	v_fmac_f32_e32 v38, 0x33a22168, v36
	v_fmac_f32_e32 v38, 0x3fc90fda, v35
	v_lshrrev_b32_e32 v1, 30, v1
	v_add_f32_e32 v35, v37, v38
	v_add_u32_e32 v36, v44, v1
	s_andn2_saveexec_b64 s[6:7], s[26:27]
	s_branch .LBB144_72
.LBB144_71:                             ;   in Loop: Header=BB144_57 Depth=1
	s_andn2_saveexec_b64 s[6:7], s[26:27]
.LBB144_72:                             ;   in Loop: Header=BB144_57 Depth=1
	v_mul_f32_e64 v1, |v18|, s42
	v_rndne_f32_e32 v1, v1
	v_cvt_i32_f32_e32 v36, v1
	v_fma_f32 v35, v1, s43, |v18|
	v_fmac_f32_e32 v35, 0xb3a22168, v1
	v_fmac_f32_e32 v35, 0xa7c234c4, v1
; %bb.73:                               ;   in Loop: Header=BB144_57 Depth=1
	s_or_b64 exec, exec, s[6:7]
                                        ; implicit-def: $vgpr39
                                        ; implicit-def: $vgpr40
	s_and_saveexec_b64 s[6:7], s[24:25]
	s_xor_b64 s[24:25], exec, s[6:7]
	s_cbranch_execz .LBB144_75
; %bb.74:                               ;   in Loop: Header=BB144_57 Depth=1
	v_and_b32_e32 v1, 0x7fffff, v34
	v_or_b32_e32 v44, 0x800000, v1
	v_mad_u64_u32 v[37:38], s[6:7], v44, s34, 0
	v_mov_b32_e32 v1, v38
	v_mad_u64_u32 v[38:39], s[6:7], v44, s35, v[1:2]
	v_mov_b32_e32 v1, v39
	;; [unrolled: 2-line block ×3, first 2 shown]
	v_mad_u64_u32 v[40:41], s[6:7], v44, s37, v[1:2]
	v_lshrrev_b32_e32 v1, 23, v34
	v_add_u32_e32 v43, 0xffffff88, v1
	v_mov_b32_e32 v1, v41
	v_mad_u64_u32 v[41:42], s[6:7], v44, s38, v[1:2]
	v_cmp_lt_u32_e64 s[6:7], 63, v43
	v_cndmask_b32_e64 v1, 0, v25, s[6:7]
	v_add_u32_e32 v45, v1, v43
	v_mov_b32_e32 v1, v42
	v_mad_u64_u32 v[42:43], s[8:9], v44, s39, v[1:2]
	v_cmp_lt_u32_e64 s[8:9], 31, v45
	v_cndmask_b32_e64 v1, 0, v26, s[8:9]
	;; [unrolled: 5-line block ×3, first 2 shown]
	v_add_u32_e32 v1, v1, v45
	v_cndmask_b32_e64 v45, v42, v40, s[6:7]
	v_cndmask_b32_e64 v43, v43, v41, s[6:7]
	;; [unrolled: 1-line block ×10, first 2 shown]
	v_sub_u32_e32 v45, 32, v1
	v_cndmask_b32_e64 v40, v41, v38, s[8:9]
	v_alignbit_b32 v46, v42, v44, v45
	v_cmp_eq_u32_e64 s[12:13], 0, v1
	v_cndmask_b32_e64 v41, v43, v40, s[10:11]
	v_cndmask_b32_e64 v1, v46, v42, s[12:13]
	v_alignbit_b32 v42, v44, v41, v45
	v_cndmask_b32_e64 v37, v39, v37, s[6:7]
	v_cndmask_b32_e64 v42, v42, v44, s[12:13]
	v_bfe_u32 v46, v1, 29, 1
	v_cndmask_b32_e64 v37, v38, v37, s[8:9]
	v_alignbit_b32 v43, v1, v42, 30
	v_sub_u32_e32 v47, 0, v46
	v_cndmask_b32_e64 v37, v40, v37, s[10:11]
	v_xor_b32_e32 v43, v43, v47
	v_alignbit_b32 v38, v41, v37, v45
	v_cndmask_b32_e64 v38, v38, v41, s[12:13]
	v_ffbh_u32_e32 v40, v43
	v_alignbit_b32 v39, v42, v38, 30
	v_min_u32_e32 v40, 32, v40
	v_alignbit_b32 v37, v38, v37, 30
	v_xor_b32_e32 v39, v39, v47
	v_sub_u32_e32 v41, 31, v40
	v_xor_b32_e32 v37, v37, v47
	v_alignbit_b32 v42, v43, v39, v41
	v_alignbit_b32 v37, v39, v37, v41
	;; [unrolled: 1-line block ×3, first 2 shown]
	v_ffbh_u32_e32 v39, v38
	v_min_u32_e32 v39, 32, v39
	v_lshrrev_b32_e32 v44, 29, v1
	v_not_b32_e32 v41, v39
	v_alignbit_b32 v37, v38, v37, v41
	v_lshlrev_b32_e32 v38, 31, v44
	v_or_b32_e32 v41, 0x33000000, v38
	v_add_lshl_u32 v39, v39, v40, 23
	v_lshrrev_b32_e32 v37, 9, v37
	v_sub_u32_e32 v39, v41, v39
	v_or_b32_e32 v38, 0.5, v38
	v_lshlrev_b32_e32 v40, 23, v40
	v_or_b32_e32 v37, v39, v37
	v_lshrrev_b32_e32 v39, 9, v42
	v_sub_u32_e32 v38, v38, v40
	v_or_b32_e32 v38, v39, v38
	v_mul_f32_e32 v39, 0x3fc90fda, v38
	v_fma_f32 v40, v38, s41, -v39
	v_fmac_f32_e32 v40, 0x33a22168, v38
	v_fmac_f32_e32 v40, 0x3fc90fda, v37
	v_lshrrev_b32_e32 v1, 30, v1
	v_add_f32_e32 v40, v39, v40
	v_add_u32_e32 v39, v46, v1
	s_andn2_saveexec_b64 s[6:7], s[24:25]
	s_cbranch_execnz .LBB144_76
	s_branch .LBB144_77
.LBB144_75:                             ;   in Loop: Header=BB144_57 Depth=1
	s_andn2_saveexec_b64 s[6:7], s[24:25]
.LBB144_76:                             ;   in Loop: Header=BB144_57 Depth=1
	v_mul_f32_e64 v1, |v18|, s42
	v_rndne_f32_e32 v1, v1
	v_cvt_i32_f32_e32 v39, v1
	v_fma_f32 v40, v1, s43, |v18|
	v_fmac_f32_e32 v40, 0xb3a22168, v1
	v_fmac_f32_e32 v40, 0xa7c234c4, v1
.LBB144_77:                             ;   in Loop: Header=BB144_57 Depth=1
	s_or_b64 exec, exec, s[6:7]
	v_mul_f32_e32 v37, 0.5, v14
	v_and_b32_e32 v38, 0x7fffffff, v37
	v_cmp_nlt_f32_e64 s[6:7], |v37|, s33
                                        ; implicit-def: $vgpr42
                                        ; implicit-def: $vgpr41
	s_and_saveexec_b64 s[8:9], s[6:7]
	s_xor_b64 s[24:25], exec, s[8:9]
	s_cbranch_execz .LBB144_79
; %bb.78:                               ;   in Loop: Header=BB144_57 Depth=1
	v_and_b32_e32 v1, 0x7fffff, v38
	v_or_b32_e32 v48, 0x800000, v1
	v_mad_u64_u32 v[41:42], s[6:7], v48, s34, 0
	v_mov_b32_e32 v1, v42
	v_mad_u64_u32 v[42:43], s[6:7], v48, s35, v[1:2]
	v_mov_b32_e32 v1, v43
	v_mad_u64_u32 v[43:44], s[6:7], v48, s36, v[1:2]
	v_mov_b32_e32 v1, v44
	v_mad_u64_u32 v[44:45], s[6:7], v48, s37, v[1:2]
	v_lshrrev_b32_e32 v1, 23, v38
	v_add_u32_e32 v47, 0xffffff88, v1
	v_mov_b32_e32 v1, v45
	v_mad_u64_u32 v[45:46], s[6:7], v48, s38, v[1:2]
	v_cmp_lt_u32_e64 s[6:7], 63, v47
	v_cndmask_b32_e64 v1, 0, v25, s[6:7]
	v_add_u32_e32 v49, v1, v47
	v_mov_b32_e32 v1, v46
	v_mad_u64_u32 v[46:47], s[8:9], v48, s39, v[1:2]
	v_cmp_lt_u32_e64 s[8:9], 31, v49
	v_cndmask_b32_e64 v1, 0, v26, s[8:9]
	;; [unrolled: 5-line block ×3, first 2 shown]
	v_add_u32_e32 v1, v1, v49
	v_cndmask_b32_e64 v49, v46, v44, s[6:7]
	v_cndmask_b32_e64 v47, v47, v45, s[6:7]
	;; [unrolled: 1-line block ×10, first 2 shown]
	v_sub_u32_e32 v49, 32, v1
	v_cndmask_b32_e64 v44, v45, v42, s[8:9]
	v_alignbit_b32 v50, v46, v48, v49
	v_cmp_eq_u32_e64 s[12:13], 0, v1
	v_cndmask_b32_e64 v45, v47, v44, s[10:11]
	v_cndmask_b32_e64 v1, v50, v46, s[12:13]
	v_alignbit_b32 v46, v48, v45, v49
	v_cndmask_b32_e64 v41, v43, v41, s[6:7]
	v_cndmask_b32_e64 v46, v46, v48, s[12:13]
	v_bfe_u32 v50, v1, 29, 1
	v_cndmask_b32_e64 v41, v42, v41, s[8:9]
	v_alignbit_b32 v47, v1, v46, 30
	v_sub_u32_e32 v51, 0, v50
	v_cndmask_b32_e64 v41, v44, v41, s[10:11]
	v_xor_b32_e32 v47, v47, v51
	v_alignbit_b32 v42, v45, v41, v49
	v_cndmask_b32_e64 v42, v42, v45, s[12:13]
	v_ffbh_u32_e32 v44, v47
	v_alignbit_b32 v43, v46, v42, 30
	v_min_u32_e32 v44, 32, v44
	v_alignbit_b32 v41, v42, v41, 30
	v_xor_b32_e32 v43, v43, v51
	v_sub_u32_e32 v45, 31, v44
	v_xor_b32_e32 v41, v41, v51
	v_alignbit_b32 v46, v47, v43, v45
	v_alignbit_b32 v41, v43, v41, v45
	v_alignbit_b32 v42, v46, v41, 9
	v_ffbh_u32_e32 v43, v42
	v_min_u32_e32 v43, 32, v43
	v_lshrrev_b32_e32 v48, 29, v1
	v_not_b32_e32 v45, v43
	v_alignbit_b32 v41, v42, v41, v45
	v_lshlrev_b32_e32 v42, 31, v48
	v_or_b32_e32 v45, 0x33000000, v42
	v_add_lshl_u32 v43, v43, v44, 23
	v_lshrrev_b32_e32 v41, 9, v41
	v_sub_u32_e32 v43, v45, v43
	v_or_b32_e32 v42, 0.5, v42
	v_lshlrev_b32_e32 v44, 23, v44
	v_or_b32_e32 v41, v43, v41
	v_lshrrev_b32_e32 v43, 9, v46
	v_sub_u32_e32 v42, v42, v44
	v_or_b32_e32 v42, v43, v42
	v_mul_f32_e32 v43, 0x3fc90fda, v42
	v_fma_f32 v44, v42, s41, -v43
	v_fmac_f32_e32 v44, 0x33a22168, v42
	v_fmac_f32_e32 v44, 0x3fc90fda, v41
	v_lshrrev_b32_e32 v1, 30, v1
	v_add_f32_e32 v41, v43, v44
	v_add_u32_e32 v42, v50, v1
.LBB144_79:                             ;   in Loop: Header=BB144_57 Depth=1
	s_andn2_saveexec_b64 s[6:7], s[24:25]
; %bb.80:                               ;   in Loop: Header=BB144_57 Depth=1
	v_mul_f32_e64 v1, |v37|, s42
	v_rndne_f32_e32 v1, v1
	v_cvt_i32_f32_e32 v42, v1
	v_fma_f32 v41, v1, s43, |v37|
	v_fmac_f32_e32 v41, 0xb3a22168, v1
	v_fmac_f32_e32 v41, 0xa7c234c4, v1
; %bb.81:                               ;   in Loop: Header=BB144_57 Depth=1
	s_or_b64 exec, exec, s[6:7]
	v_and_b32_e32 v43, 0x7fffffff, v14
	v_cmp_nlt_f32_e64 s[24:25], |v14|, s33
                                        ; implicit-def: $vgpr45
                                        ; implicit-def: $vgpr44
	s_and_saveexec_b64 s[6:7], s[24:25]
	s_xor_b64 s[26:27], exec, s[6:7]
	s_cbranch_execz .LBB144_83
; %bb.82:                               ;   in Loop: Header=BB144_57 Depth=1
	v_and_b32_e32 v1, 0x7fffff, v43
	v_or_b32_e32 v51, 0x800000, v1
	v_mad_u64_u32 v[44:45], s[6:7], v51, s34, 0
	v_mov_b32_e32 v1, v45
	v_mad_u64_u32 v[45:46], s[6:7], v51, s35, v[1:2]
	v_mov_b32_e32 v1, v46
	;; [unrolled: 2-line block ×3, first 2 shown]
	v_mad_u64_u32 v[47:48], s[6:7], v51, s37, v[1:2]
	v_lshrrev_b32_e32 v1, 23, v43
	v_add_u32_e32 v50, 0xffffff88, v1
	v_mov_b32_e32 v1, v48
	v_mad_u64_u32 v[48:49], s[6:7], v51, s38, v[1:2]
	v_cmp_lt_u32_e64 s[6:7], 63, v50
	v_cndmask_b32_e64 v1, 0, v25, s[6:7]
	v_add_u32_e32 v52, v1, v50
	v_mov_b32_e32 v1, v49
	v_mad_u64_u32 v[49:50], s[8:9], v51, s39, v[1:2]
	v_cmp_lt_u32_e64 s[8:9], 31, v52
	v_cndmask_b32_e64 v1, 0, v26, s[8:9]
	;; [unrolled: 5-line block ×3, first 2 shown]
	v_add_u32_e32 v1, v1, v52
	v_cndmask_b32_e64 v52, v49, v47, s[6:7]
	v_cndmask_b32_e64 v50, v50, v48, s[6:7]
	;; [unrolled: 1-line block ×10, first 2 shown]
	v_sub_u32_e32 v52, 32, v1
	v_cndmask_b32_e64 v47, v48, v45, s[8:9]
	v_alignbit_b32 v53, v49, v51, v52
	v_cmp_eq_u32_e64 s[12:13], 0, v1
	v_cndmask_b32_e64 v48, v50, v47, s[10:11]
	v_cndmask_b32_e64 v1, v53, v49, s[12:13]
	v_alignbit_b32 v49, v51, v48, v52
	v_cndmask_b32_e64 v44, v46, v44, s[6:7]
	v_cndmask_b32_e64 v49, v49, v51, s[12:13]
	v_bfe_u32 v53, v1, 29, 1
	v_cndmask_b32_e64 v44, v45, v44, s[8:9]
	v_alignbit_b32 v50, v1, v49, 30
	v_sub_u32_e32 v54, 0, v53
	v_cndmask_b32_e64 v44, v47, v44, s[10:11]
	v_xor_b32_e32 v50, v50, v54
	v_alignbit_b32 v45, v48, v44, v52
	v_cndmask_b32_e64 v45, v45, v48, s[12:13]
	v_ffbh_u32_e32 v47, v50
	v_alignbit_b32 v46, v49, v45, 30
	v_min_u32_e32 v47, 32, v47
	v_alignbit_b32 v44, v45, v44, 30
	v_xor_b32_e32 v46, v46, v54
	v_sub_u32_e32 v48, 31, v47
	v_xor_b32_e32 v44, v44, v54
	v_alignbit_b32 v49, v50, v46, v48
	v_alignbit_b32 v44, v46, v44, v48
	;; [unrolled: 1-line block ×3, first 2 shown]
	v_ffbh_u32_e32 v46, v45
	v_min_u32_e32 v46, 32, v46
	v_lshrrev_b32_e32 v51, 29, v1
	v_not_b32_e32 v48, v46
	v_alignbit_b32 v44, v45, v44, v48
	v_lshlrev_b32_e32 v45, 31, v51
	v_or_b32_e32 v48, 0x33000000, v45
	v_add_lshl_u32 v46, v46, v47, 23
	v_lshrrev_b32_e32 v44, 9, v44
	v_sub_u32_e32 v46, v48, v46
	v_or_b32_e32 v45, 0.5, v45
	v_lshlrev_b32_e32 v47, 23, v47
	v_or_b32_e32 v44, v46, v44
	v_lshrrev_b32_e32 v46, 9, v49
	v_sub_u32_e32 v45, v45, v47
	v_or_b32_e32 v45, v46, v45
	v_mul_f32_e32 v46, 0x3fc90fda, v45
	v_fma_f32 v47, v45, s41, -v46
	v_fmac_f32_e32 v47, 0x33a22168, v45
	v_fmac_f32_e32 v47, 0x3fc90fda, v44
	v_lshrrev_b32_e32 v1, 30, v1
	v_add_f32_e32 v44, v46, v47
	v_add_u32_e32 v45, v53, v1
	s_andn2_saveexec_b64 s[6:7], s[26:27]
	s_branch .LBB144_84
.LBB144_83:                             ;   in Loop: Header=BB144_57 Depth=1
	s_andn2_saveexec_b64 s[6:7], s[26:27]
.LBB144_84:                             ;   in Loop: Header=BB144_57 Depth=1
	v_mul_f32_e64 v1, |v14|, s42
	v_rndne_f32_e32 v1, v1
	v_cvt_i32_f32_e32 v45, v1
	v_fma_f32 v44, v1, s43, |v14|
	v_fmac_f32_e32 v44, 0xb3a22168, v1
	v_fmac_f32_e32 v44, 0xa7c234c4, v1
; %bb.85:                               ;   in Loop: Header=BB144_57 Depth=1
	s_or_b64 exec, exec, s[6:7]
                                        ; implicit-def: $vgpr48
                                        ; implicit-def: $vgpr49
	s_and_saveexec_b64 s[6:7], s[24:25]
	s_xor_b64 s[24:25], exec, s[6:7]
	s_cbranch_execz .LBB144_87
; %bb.86:                               ;   in Loop: Header=BB144_57 Depth=1
	v_and_b32_e32 v1, 0x7fffff, v43
	v_or_b32_e32 v53, 0x800000, v1
	v_mad_u64_u32 v[46:47], s[6:7], v53, s34, 0
	v_mov_b32_e32 v1, v47
	v_mad_u64_u32 v[47:48], s[6:7], v53, s35, v[1:2]
	v_mov_b32_e32 v1, v48
	;; [unrolled: 2-line block ×3, first 2 shown]
	v_mad_u64_u32 v[49:50], s[6:7], v53, s37, v[1:2]
	v_lshrrev_b32_e32 v1, 23, v43
	v_add_u32_e32 v52, 0xffffff88, v1
	v_mov_b32_e32 v1, v50
	v_mad_u64_u32 v[50:51], s[6:7], v53, s38, v[1:2]
	v_cmp_lt_u32_e64 s[6:7], 63, v52
	v_cndmask_b32_e64 v1, 0, v25, s[6:7]
	v_add_u32_e32 v54, v1, v52
	v_mov_b32_e32 v1, v51
	v_mad_u64_u32 v[51:52], s[8:9], v53, s39, v[1:2]
	v_cmp_lt_u32_e64 s[8:9], 31, v54
	v_cndmask_b32_e64 v1, 0, v26, s[8:9]
	;; [unrolled: 5-line block ×3, first 2 shown]
	v_add_u32_e32 v1, v1, v54
	v_cndmask_b32_e64 v54, v51, v49, s[6:7]
	v_cndmask_b32_e64 v52, v52, v50, s[6:7]
	;; [unrolled: 1-line block ×10, first 2 shown]
	v_sub_u32_e32 v54, 32, v1
	v_cndmask_b32_e64 v49, v50, v47, s[8:9]
	v_alignbit_b32 v55, v51, v53, v54
	v_cmp_eq_u32_e64 s[12:13], 0, v1
	v_cndmask_b32_e64 v50, v52, v49, s[10:11]
	v_cndmask_b32_e64 v1, v55, v51, s[12:13]
	v_alignbit_b32 v51, v53, v50, v54
	v_cndmask_b32_e64 v46, v48, v46, s[6:7]
	v_cndmask_b32_e64 v51, v51, v53, s[12:13]
	v_bfe_u32 v55, v1, 29, 1
	v_cndmask_b32_e64 v46, v47, v46, s[8:9]
	v_alignbit_b32 v52, v1, v51, 30
	v_sub_u32_e32 v56, 0, v55
	v_cndmask_b32_e64 v46, v49, v46, s[10:11]
	v_xor_b32_e32 v52, v52, v56
	v_alignbit_b32 v47, v50, v46, v54
	v_cndmask_b32_e64 v47, v47, v50, s[12:13]
	v_ffbh_u32_e32 v49, v52
	v_alignbit_b32 v48, v51, v47, 30
	v_min_u32_e32 v49, 32, v49
	v_alignbit_b32 v46, v47, v46, 30
	v_xor_b32_e32 v48, v48, v56
	v_sub_u32_e32 v50, 31, v49
	v_xor_b32_e32 v46, v46, v56
	v_alignbit_b32 v51, v52, v48, v50
	v_alignbit_b32 v46, v48, v46, v50
	;; [unrolled: 1-line block ×3, first 2 shown]
	v_ffbh_u32_e32 v48, v47
	v_min_u32_e32 v48, 32, v48
	v_lshrrev_b32_e32 v53, 29, v1
	v_not_b32_e32 v50, v48
	v_alignbit_b32 v46, v47, v46, v50
	v_lshlrev_b32_e32 v47, 31, v53
	v_or_b32_e32 v50, 0x33000000, v47
	v_add_lshl_u32 v48, v48, v49, 23
	v_lshrrev_b32_e32 v46, 9, v46
	v_sub_u32_e32 v48, v50, v48
	v_or_b32_e32 v47, 0.5, v47
	v_lshlrev_b32_e32 v49, 23, v49
	v_or_b32_e32 v46, v48, v46
	v_lshrrev_b32_e32 v48, 9, v51
	v_sub_u32_e32 v47, v47, v49
	v_or_b32_e32 v47, v48, v47
	v_mul_f32_e32 v48, 0x3fc90fda, v47
	v_fma_f32 v49, v47, s41, -v48
	v_fmac_f32_e32 v49, 0x33a22168, v47
	v_fmac_f32_e32 v49, 0x3fc90fda, v46
	v_lshrrev_b32_e32 v1, 30, v1
	v_add_f32_e32 v49, v48, v49
	v_add_u32_e32 v48, v55, v1
	s_andn2_saveexec_b64 s[6:7], s[24:25]
	s_cbranch_execnz .LBB144_88
	s_branch .LBB144_89
.LBB144_87:                             ;   in Loop: Header=BB144_57 Depth=1
	s_andn2_saveexec_b64 s[6:7], s[24:25]
.LBB144_88:                             ;   in Loop: Header=BB144_57 Depth=1
	v_mul_f32_e64 v1, |v14|, s42
	v_rndne_f32_e32 v1, v1
	v_cvt_i32_f32_e32 v48, v1
	v_fma_f32 v49, v1, s43, |v14|
	v_fmac_f32_e32 v49, 0xb3a22168, v1
	v_fmac_f32_e32 v49, 0xa7c234c4, v1
.LBB144_89:                             ;   in Loop: Header=BB144_57 Depth=1
	s_or_b64 exec, exec, s[6:7]
	v_mul_f32_e32 v46, 0.5, v8
	v_and_b32_e32 v47, 0x7fffffff, v46
	v_cmp_nlt_f32_e64 s[6:7], |v46|, s33
                                        ; implicit-def: $vgpr51
                                        ; implicit-def: $vgpr50
	s_and_saveexec_b64 s[8:9], s[6:7]
	s_xor_b64 s[24:25], exec, s[8:9]
	s_cbranch_execz .LBB144_91
; %bb.90:                               ;   in Loop: Header=BB144_57 Depth=1
	v_and_b32_e32 v1, 0x7fffff, v47
	v_or_b32_e32 v57, 0x800000, v1
	v_mad_u64_u32 v[50:51], s[6:7], v57, s34, 0
	v_mov_b32_e32 v1, v51
	v_mad_u64_u32 v[51:52], s[6:7], v57, s35, v[1:2]
	v_mov_b32_e32 v1, v52
	;; [unrolled: 2-line block ×3, first 2 shown]
	v_mad_u64_u32 v[53:54], s[6:7], v57, s37, v[1:2]
	v_lshrrev_b32_e32 v1, 23, v47
	v_add_u32_e32 v56, 0xffffff88, v1
	v_mov_b32_e32 v1, v54
	v_mad_u64_u32 v[54:55], s[6:7], v57, s38, v[1:2]
	v_cmp_lt_u32_e64 s[6:7], 63, v56
	v_cndmask_b32_e64 v1, 0, v25, s[6:7]
	v_add_u32_e32 v58, v1, v56
	v_mov_b32_e32 v1, v55
	v_mad_u64_u32 v[55:56], s[8:9], v57, s39, v[1:2]
	v_cmp_lt_u32_e64 s[8:9], 31, v58
	v_cndmask_b32_e64 v1, 0, v26, s[8:9]
	;; [unrolled: 5-line block ×3, first 2 shown]
	v_add_u32_e32 v1, v1, v58
	v_cndmask_b32_e64 v58, v55, v53, s[6:7]
	v_cndmask_b32_e64 v56, v56, v54, s[6:7]
	;; [unrolled: 1-line block ×10, first 2 shown]
	v_sub_u32_e32 v58, 32, v1
	v_cndmask_b32_e64 v53, v54, v51, s[8:9]
	v_alignbit_b32 v59, v55, v57, v58
	v_cmp_eq_u32_e64 s[12:13], 0, v1
	v_cndmask_b32_e64 v54, v56, v53, s[10:11]
	v_cndmask_b32_e64 v1, v59, v55, s[12:13]
	v_alignbit_b32 v55, v57, v54, v58
	v_cndmask_b32_e64 v50, v52, v50, s[6:7]
	v_cndmask_b32_e64 v55, v55, v57, s[12:13]
	v_bfe_u32 v59, v1, 29, 1
	v_cndmask_b32_e64 v50, v51, v50, s[8:9]
	v_alignbit_b32 v56, v1, v55, 30
	v_sub_u32_e32 v60, 0, v59
	v_cndmask_b32_e64 v50, v53, v50, s[10:11]
	v_xor_b32_e32 v56, v56, v60
	v_alignbit_b32 v51, v54, v50, v58
	v_cndmask_b32_e64 v51, v51, v54, s[12:13]
	v_ffbh_u32_e32 v53, v56
	v_alignbit_b32 v52, v55, v51, 30
	v_min_u32_e32 v53, 32, v53
	v_alignbit_b32 v50, v51, v50, 30
	v_xor_b32_e32 v52, v52, v60
	v_sub_u32_e32 v54, 31, v53
	v_xor_b32_e32 v50, v50, v60
	v_alignbit_b32 v55, v56, v52, v54
	v_alignbit_b32 v50, v52, v50, v54
	;; [unrolled: 1-line block ×3, first 2 shown]
	v_ffbh_u32_e32 v52, v51
	v_min_u32_e32 v52, 32, v52
	v_lshrrev_b32_e32 v57, 29, v1
	v_not_b32_e32 v54, v52
	v_alignbit_b32 v50, v51, v50, v54
	v_lshlrev_b32_e32 v51, 31, v57
	v_or_b32_e32 v54, 0x33000000, v51
	v_add_lshl_u32 v52, v52, v53, 23
	v_lshrrev_b32_e32 v50, 9, v50
	v_sub_u32_e32 v52, v54, v52
	v_or_b32_e32 v51, 0.5, v51
	v_lshlrev_b32_e32 v53, 23, v53
	v_or_b32_e32 v50, v52, v50
	v_lshrrev_b32_e32 v52, 9, v55
	v_sub_u32_e32 v51, v51, v53
	v_or_b32_e32 v51, v52, v51
	v_mul_f32_e32 v52, 0x3fc90fda, v51
	v_fma_f32 v53, v51, s41, -v52
	v_fmac_f32_e32 v53, 0x33a22168, v51
	v_fmac_f32_e32 v53, 0x3fc90fda, v50
	v_lshrrev_b32_e32 v1, 30, v1
	v_add_f32_e32 v50, v52, v53
	v_add_u32_e32 v51, v59, v1
.LBB144_91:                             ;   in Loop: Header=BB144_57 Depth=1
	s_andn2_saveexec_b64 s[6:7], s[24:25]
; %bb.92:                               ;   in Loop: Header=BB144_57 Depth=1
	v_mul_f32_e64 v1, |v46|, s42
	v_rndne_f32_e32 v1, v1
	v_cvt_i32_f32_e32 v51, v1
	v_fma_f32 v50, v1, s43, |v46|
	v_fmac_f32_e32 v50, 0xb3a22168, v1
	v_fmac_f32_e32 v50, 0xa7c234c4, v1
; %bb.93:                               ;   in Loop: Header=BB144_57 Depth=1
	s_or_b64 exec, exec, s[6:7]
	v_and_b32_e32 v52, 0x7fffffff, v8
	v_cmp_nlt_f32_e64 s[24:25], |v8|, s33
                                        ; implicit-def: $vgpr54
                                        ; implicit-def: $vgpr53
	s_and_saveexec_b64 s[6:7], s[24:25]
	s_xor_b64 s[26:27], exec, s[6:7]
	s_cbranch_execz .LBB144_95
; %bb.94:                               ;   in Loop: Header=BB144_57 Depth=1
	v_and_b32_e32 v1, 0x7fffff, v52
	v_or_b32_e32 v60, 0x800000, v1
	v_mad_u64_u32 v[53:54], s[6:7], v60, s34, 0
	v_mov_b32_e32 v1, v54
	v_mad_u64_u32 v[54:55], s[6:7], v60, s35, v[1:2]
	v_mov_b32_e32 v1, v55
	;; [unrolled: 2-line block ×3, first 2 shown]
	v_mad_u64_u32 v[56:57], s[6:7], v60, s37, v[1:2]
	v_lshrrev_b32_e32 v1, 23, v52
	v_add_u32_e32 v59, 0xffffff88, v1
	v_mov_b32_e32 v1, v57
	v_mad_u64_u32 v[57:58], s[6:7], v60, s38, v[1:2]
	v_cmp_lt_u32_e64 s[6:7], 63, v59
	v_cndmask_b32_e64 v1, 0, v25, s[6:7]
	v_add_u32_e32 v61, v1, v59
	v_mov_b32_e32 v1, v58
	v_mad_u64_u32 v[58:59], s[8:9], v60, s39, v[1:2]
	v_cmp_lt_u32_e64 s[8:9], 31, v61
	v_cndmask_b32_e64 v1, 0, v26, s[8:9]
	;; [unrolled: 5-line block ×3, first 2 shown]
	v_add_u32_e32 v1, v1, v61
	v_cndmask_b32_e64 v61, v58, v56, s[6:7]
	v_cndmask_b32_e64 v59, v59, v57, s[6:7]
	;; [unrolled: 1-line block ×10, first 2 shown]
	v_sub_u32_e32 v61, 32, v1
	v_cndmask_b32_e64 v56, v57, v54, s[8:9]
	v_alignbit_b32 v62, v58, v60, v61
	v_cmp_eq_u32_e64 s[12:13], 0, v1
	v_cndmask_b32_e64 v57, v59, v56, s[10:11]
	v_cndmask_b32_e64 v1, v62, v58, s[12:13]
	v_alignbit_b32 v58, v60, v57, v61
	v_cndmask_b32_e64 v53, v55, v53, s[6:7]
	v_cndmask_b32_e64 v58, v58, v60, s[12:13]
	v_bfe_u32 v62, v1, 29, 1
	v_cndmask_b32_e64 v53, v54, v53, s[8:9]
	v_alignbit_b32 v59, v1, v58, 30
	v_sub_u32_e32 v63, 0, v62
	v_cndmask_b32_e64 v53, v56, v53, s[10:11]
	v_xor_b32_e32 v59, v59, v63
	v_alignbit_b32 v54, v57, v53, v61
	v_cndmask_b32_e64 v54, v54, v57, s[12:13]
	v_ffbh_u32_e32 v56, v59
	v_alignbit_b32 v55, v58, v54, 30
	v_min_u32_e32 v56, 32, v56
	v_alignbit_b32 v53, v54, v53, 30
	v_xor_b32_e32 v55, v55, v63
	v_sub_u32_e32 v57, 31, v56
	v_xor_b32_e32 v53, v53, v63
	v_alignbit_b32 v58, v59, v55, v57
	v_alignbit_b32 v53, v55, v53, v57
	v_alignbit_b32 v54, v58, v53, 9
	v_ffbh_u32_e32 v55, v54
	v_min_u32_e32 v55, 32, v55
	v_lshrrev_b32_e32 v60, 29, v1
	v_not_b32_e32 v57, v55
	v_alignbit_b32 v53, v54, v53, v57
	v_lshlrev_b32_e32 v54, 31, v60
	v_or_b32_e32 v57, 0x33000000, v54
	v_add_lshl_u32 v55, v55, v56, 23
	v_lshrrev_b32_e32 v53, 9, v53
	v_sub_u32_e32 v55, v57, v55
	v_or_b32_e32 v54, 0.5, v54
	v_lshlrev_b32_e32 v56, 23, v56
	v_or_b32_e32 v53, v55, v53
	v_lshrrev_b32_e32 v55, 9, v58
	v_sub_u32_e32 v54, v54, v56
	v_or_b32_e32 v54, v55, v54
	v_mul_f32_e32 v55, 0x3fc90fda, v54
	v_fma_f32 v56, v54, s41, -v55
	v_fmac_f32_e32 v56, 0x33a22168, v54
	v_fmac_f32_e32 v56, 0x3fc90fda, v53
	v_lshrrev_b32_e32 v1, 30, v1
	v_add_f32_e32 v53, v55, v56
	v_add_u32_e32 v54, v62, v1
	s_andn2_saveexec_b64 s[6:7], s[26:27]
	s_branch .LBB144_96
.LBB144_95:                             ;   in Loop: Header=BB144_57 Depth=1
	s_andn2_saveexec_b64 s[6:7], s[26:27]
.LBB144_96:                             ;   in Loop: Header=BB144_57 Depth=1
	v_mul_f32_e64 v1, |v8|, s42
	v_rndne_f32_e32 v1, v1
	v_cvt_i32_f32_e32 v54, v1
	v_fma_f32 v53, v1, s43, |v8|
	v_fmac_f32_e32 v53, 0xb3a22168, v1
	v_fmac_f32_e32 v53, 0xa7c234c4, v1
; %bb.97:                               ;   in Loop: Header=BB144_57 Depth=1
	s_or_b64 exec, exec, s[6:7]
                                        ; implicit-def: $vgpr57
                                        ; implicit-def: $vgpr58
	s_and_saveexec_b64 s[6:7], s[24:25]
	s_xor_b64 s[24:25], exec, s[6:7]
	s_cbranch_execz .LBB144_99
; %bb.98:                               ;   in Loop: Header=BB144_57 Depth=1
	v_and_b32_e32 v1, 0x7fffff, v52
	v_or_b32_e32 v62, 0x800000, v1
	v_mad_u64_u32 v[55:56], s[6:7], v62, s34, 0
	v_mov_b32_e32 v1, v56
	v_mad_u64_u32 v[56:57], s[6:7], v62, s35, v[1:2]
	v_mov_b32_e32 v1, v57
	;; [unrolled: 2-line block ×3, first 2 shown]
	v_mad_u64_u32 v[58:59], s[6:7], v62, s37, v[1:2]
	v_lshrrev_b32_e32 v1, 23, v52
	v_add_u32_e32 v61, 0xffffff88, v1
	v_mov_b32_e32 v1, v59
	v_mad_u64_u32 v[59:60], s[6:7], v62, s38, v[1:2]
	v_cmp_lt_u32_e64 s[6:7], 63, v61
	v_cndmask_b32_e64 v1, 0, v25, s[6:7]
	v_add_u32_e32 v63, v1, v61
	v_mov_b32_e32 v1, v60
	v_mad_u64_u32 v[60:61], s[8:9], v62, s39, v[1:2]
	v_cmp_lt_u32_e64 s[8:9], 31, v63
	v_cndmask_b32_e64 v1, 0, v26, s[8:9]
	v_add_u32_e32 v63, v1, v63
	v_mov_b32_e32 v1, v61
	v_mad_u64_u32 v[61:62], s[10:11], v62, s40, v[1:2]
	v_cmp_lt_u32_e64 s[10:11], 31, v63
	v_cndmask_b32_e64 v1, 0, v26, s[10:11]
	v_add_u32_e32 v1, v1, v63
	v_cndmask_b32_e64 v63, v60, v58, s[6:7]
	v_cndmask_b32_e64 v61, v61, v59, s[6:7]
	;; [unrolled: 1-line block ×10, first 2 shown]
	v_sub_u32_e32 v63, 32, v1
	v_cndmask_b32_e64 v58, v59, v56, s[8:9]
	v_alignbit_b32 v64, v60, v62, v63
	v_cmp_eq_u32_e64 s[12:13], 0, v1
	v_cndmask_b32_e64 v59, v61, v58, s[10:11]
	v_cndmask_b32_e64 v1, v64, v60, s[12:13]
	v_alignbit_b32 v60, v62, v59, v63
	v_cndmask_b32_e64 v55, v57, v55, s[6:7]
	v_cndmask_b32_e64 v60, v60, v62, s[12:13]
	v_bfe_u32 v64, v1, 29, 1
	v_cndmask_b32_e64 v55, v56, v55, s[8:9]
	v_alignbit_b32 v61, v1, v60, 30
	v_sub_u32_e32 v65, 0, v64
	v_cndmask_b32_e64 v55, v58, v55, s[10:11]
	v_xor_b32_e32 v61, v61, v65
	v_alignbit_b32 v56, v59, v55, v63
	v_cndmask_b32_e64 v56, v56, v59, s[12:13]
	v_ffbh_u32_e32 v58, v61
	v_alignbit_b32 v57, v60, v56, 30
	v_min_u32_e32 v58, 32, v58
	v_alignbit_b32 v55, v56, v55, 30
	v_xor_b32_e32 v57, v57, v65
	v_sub_u32_e32 v59, 31, v58
	v_xor_b32_e32 v55, v55, v65
	v_alignbit_b32 v60, v61, v57, v59
	v_alignbit_b32 v55, v57, v55, v59
	;; [unrolled: 1-line block ×3, first 2 shown]
	v_ffbh_u32_e32 v57, v56
	v_min_u32_e32 v57, 32, v57
	v_lshrrev_b32_e32 v62, 29, v1
	v_not_b32_e32 v59, v57
	v_alignbit_b32 v55, v56, v55, v59
	v_lshlrev_b32_e32 v56, 31, v62
	v_or_b32_e32 v59, 0x33000000, v56
	v_add_lshl_u32 v57, v57, v58, 23
	v_lshrrev_b32_e32 v55, 9, v55
	v_sub_u32_e32 v57, v59, v57
	v_or_b32_e32 v56, 0.5, v56
	v_lshlrev_b32_e32 v58, 23, v58
	v_or_b32_e32 v55, v57, v55
	v_lshrrev_b32_e32 v57, 9, v60
	v_sub_u32_e32 v56, v56, v58
	v_or_b32_e32 v56, v57, v56
	v_mul_f32_e32 v57, 0x3fc90fda, v56
	v_fma_f32 v58, v56, s41, -v57
	v_fmac_f32_e32 v58, 0x33a22168, v56
	v_fmac_f32_e32 v58, 0x3fc90fda, v55
	v_lshrrev_b32_e32 v1, 30, v1
	v_add_f32_e32 v58, v57, v58
	v_add_u32_e32 v57, v64, v1
	s_andn2_saveexec_b64 s[6:7], s[24:25]
	s_cbranch_execnz .LBB144_100
	s_branch .LBB144_101
.LBB144_99:                             ;   in Loop: Header=BB144_57 Depth=1
	s_andn2_saveexec_b64 s[6:7], s[24:25]
.LBB144_100:                            ;   in Loop: Header=BB144_57 Depth=1
	v_mul_f32_e64 v1, |v8|, s42
	v_rndne_f32_e32 v1, v1
	v_cvt_i32_f32_e32 v57, v1
	v_fma_f32 v58, v1, s43, |v8|
	v_fmac_f32_e32 v58, 0xb3a22168, v1
	v_fmac_f32_e32 v58, 0xa7c234c4, v1
.LBB144_101:                            ;   in Loop: Header=BB144_57 Depth=1
	s_or_b64 exec, exec, s[6:7]
	v_mul_f32_e32 v55, 0.5, v6
	v_and_b32_e32 v56, 0x7fffffff, v55
	v_cmp_nlt_f32_e64 s[6:7], |v55|, s33
                                        ; implicit-def: $vgpr60
                                        ; implicit-def: $vgpr59
	s_and_saveexec_b64 s[8:9], s[6:7]
	s_xor_b64 s[24:25], exec, s[8:9]
	s_cbranch_execz .LBB144_103
; %bb.102:                              ;   in Loop: Header=BB144_57 Depth=1
	v_and_b32_e32 v1, 0x7fffff, v56
	v_or_b32_e32 v66, 0x800000, v1
	v_mad_u64_u32 v[59:60], s[6:7], v66, s34, 0
	v_mov_b32_e32 v1, v60
	v_mad_u64_u32 v[60:61], s[6:7], v66, s35, v[1:2]
	v_mov_b32_e32 v1, v61
	;; [unrolled: 2-line block ×3, first 2 shown]
	v_mad_u64_u32 v[62:63], s[6:7], v66, s37, v[1:2]
	v_lshrrev_b32_e32 v1, 23, v56
	v_add_u32_e32 v65, 0xffffff88, v1
	v_mov_b32_e32 v1, v63
	v_mad_u64_u32 v[63:64], s[6:7], v66, s38, v[1:2]
	v_cmp_lt_u32_e64 s[6:7], 63, v65
	v_cndmask_b32_e64 v1, 0, v25, s[6:7]
	v_add_u32_e32 v67, v1, v65
	v_mov_b32_e32 v1, v64
	v_mad_u64_u32 v[64:65], s[8:9], v66, s39, v[1:2]
	v_cmp_lt_u32_e64 s[8:9], 31, v67
	v_cndmask_b32_e64 v1, 0, v26, s[8:9]
	;; [unrolled: 5-line block ×3, first 2 shown]
	v_add_u32_e32 v1, v1, v67
	v_cndmask_b32_e64 v67, v64, v62, s[6:7]
	v_cndmask_b32_e64 v65, v65, v63, s[6:7]
	;; [unrolled: 1-line block ×10, first 2 shown]
	v_sub_u32_e32 v67, 32, v1
	v_cndmask_b32_e64 v62, v63, v60, s[8:9]
	v_alignbit_b32 v68, v64, v66, v67
	v_cmp_eq_u32_e64 s[12:13], 0, v1
	v_cndmask_b32_e64 v63, v65, v62, s[10:11]
	v_cndmask_b32_e64 v1, v68, v64, s[12:13]
	v_alignbit_b32 v64, v66, v63, v67
	v_cndmask_b32_e64 v59, v61, v59, s[6:7]
	v_cndmask_b32_e64 v64, v64, v66, s[12:13]
	v_bfe_u32 v68, v1, 29, 1
	v_cndmask_b32_e64 v59, v60, v59, s[8:9]
	v_alignbit_b32 v65, v1, v64, 30
	v_sub_u32_e32 v69, 0, v68
	v_cndmask_b32_e64 v59, v62, v59, s[10:11]
	v_xor_b32_e32 v65, v65, v69
	v_alignbit_b32 v60, v63, v59, v67
	v_cndmask_b32_e64 v60, v60, v63, s[12:13]
	v_ffbh_u32_e32 v62, v65
	v_alignbit_b32 v61, v64, v60, 30
	v_min_u32_e32 v62, 32, v62
	v_alignbit_b32 v59, v60, v59, 30
	v_xor_b32_e32 v61, v61, v69
	v_sub_u32_e32 v63, 31, v62
	v_xor_b32_e32 v59, v59, v69
	v_alignbit_b32 v64, v65, v61, v63
	v_alignbit_b32 v59, v61, v59, v63
	v_alignbit_b32 v60, v64, v59, 9
	v_ffbh_u32_e32 v61, v60
	v_min_u32_e32 v61, 32, v61
	v_lshrrev_b32_e32 v66, 29, v1
	v_not_b32_e32 v63, v61
	v_alignbit_b32 v59, v60, v59, v63
	v_lshlrev_b32_e32 v60, 31, v66
	v_or_b32_e32 v63, 0x33000000, v60
	v_add_lshl_u32 v61, v61, v62, 23
	v_lshrrev_b32_e32 v59, 9, v59
	v_sub_u32_e32 v61, v63, v61
	v_or_b32_e32 v60, 0.5, v60
	v_lshlrev_b32_e32 v62, 23, v62
	v_or_b32_e32 v59, v61, v59
	v_lshrrev_b32_e32 v61, 9, v64
	v_sub_u32_e32 v60, v60, v62
	v_or_b32_e32 v60, v61, v60
	v_mul_f32_e32 v61, 0x3fc90fda, v60
	v_fma_f32 v62, v60, s41, -v61
	v_fmac_f32_e32 v62, 0x33a22168, v60
	v_fmac_f32_e32 v62, 0x3fc90fda, v59
	v_lshrrev_b32_e32 v1, 30, v1
	v_add_f32_e32 v59, v61, v62
	v_add_u32_e32 v60, v68, v1
.LBB144_103:                            ;   in Loop: Header=BB144_57 Depth=1
	s_andn2_saveexec_b64 s[6:7], s[24:25]
; %bb.104:                              ;   in Loop: Header=BB144_57 Depth=1
	v_mul_f32_e64 v1, |v55|, s42
	v_rndne_f32_e32 v1, v1
	v_cvt_i32_f32_e32 v60, v1
	v_fma_f32 v59, v1, s43, |v55|
	v_fmac_f32_e32 v59, 0xb3a22168, v1
	v_fmac_f32_e32 v59, 0xa7c234c4, v1
; %bb.105:                              ;   in Loop: Header=BB144_57 Depth=1
	s_or_b64 exec, exec, s[6:7]
	v_and_b32_e32 v61, 0x7fffffff, v6
	v_cmp_nlt_f32_e64 s[24:25], |v6|, s33
                                        ; implicit-def: $vgpr63
                                        ; implicit-def: $vgpr62
	s_and_saveexec_b64 s[6:7], s[24:25]
	s_xor_b64 s[26:27], exec, s[6:7]
	s_cbranch_execz .LBB144_107
; %bb.106:                              ;   in Loop: Header=BB144_57 Depth=1
	v_and_b32_e32 v1, 0x7fffff, v61
	v_or_b32_e32 v69, 0x800000, v1
	v_mad_u64_u32 v[62:63], s[6:7], v69, s34, 0
	v_mov_b32_e32 v1, v63
	v_mad_u64_u32 v[63:64], s[6:7], v69, s35, v[1:2]
	v_mov_b32_e32 v1, v64
	;; [unrolled: 2-line block ×3, first 2 shown]
	v_mad_u64_u32 v[65:66], s[6:7], v69, s37, v[1:2]
	v_lshrrev_b32_e32 v1, 23, v61
	v_add_u32_e32 v68, 0xffffff88, v1
	v_mov_b32_e32 v1, v66
	v_mad_u64_u32 v[66:67], s[6:7], v69, s38, v[1:2]
	v_cmp_lt_u32_e64 s[6:7], 63, v68
	v_cndmask_b32_e64 v1, 0, v25, s[6:7]
	v_add_u32_e32 v70, v1, v68
	v_mov_b32_e32 v1, v67
	v_mad_u64_u32 v[67:68], s[8:9], v69, s39, v[1:2]
	v_cmp_lt_u32_e64 s[8:9], 31, v70
	v_cndmask_b32_e64 v1, 0, v26, s[8:9]
	;; [unrolled: 5-line block ×3, first 2 shown]
	v_add_u32_e32 v1, v1, v70
	v_cndmask_b32_e64 v70, v67, v65, s[6:7]
	v_cndmask_b32_e64 v68, v68, v66, s[6:7]
	;; [unrolled: 1-line block ×10, first 2 shown]
	v_sub_u32_e32 v70, 32, v1
	v_cndmask_b32_e64 v65, v66, v63, s[8:9]
	v_alignbit_b32 v71, v67, v69, v70
	v_cmp_eq_u32_e64 s[12:13], 0, v1
	v_cndmask_b32_e64 v66, v68, v65, s[10:11]
	v_cndmask_b32_e64 v1, v71, v67, s[12:13]
	v_alignbit_b32 v67, v69, v66, v70
	v_cndmask_b32_e64 v62, v64, v62, s[6:7]
	v_cndmask_b32_e64 v67, v67, v69, s[12:13]
	v_bfe_u32 v71, v1, 29, 1
	v_cndmask_b32_e64 v62, v63, v62, s[8:9]
	v_alignbit_b32 v68, v1, v67, 30
	v_sub_u32_e32 v72, 0, v71
	v_cndmask_b32_e64 v62, v65, v62, s[10:11]
	v_xor_b32_e32 v68, v68, v72
	v_alignbit_b32 v63, v66, v62, v70
	v_cndmask_b32_e64 v63, v63, v66, s[12:13]
	v_ffbh_u32_e32 v65, v68
	v_alignbit_b32 v64, v67, v63, 30
	v_min_u32_e32 v65, 32, v65
	v_alignbit_b32 v62, v63, v62, 30
	v_xor_b32_e32 v64, v64, v72
	v_sub_u32_e32 v66, 31, v65
	v_xor_b32_e32 v62, v62, v72
	v_alignbit_b32 v67, v68, v64, v66
	v_alignbit_b32 v62, v64, v62, v66
	;; [unrolled: 1-line block ×3, first 2 shown]
	v_ffbh_u32_e32 v64, v63
	v_min_u32_e32 v64, 32, v64
	v_lshrrev_b32_e32 v69, 29, v1
	v_not_b32_e32 v66, v64
	v_alignbit_b32 v62, v63, v62, v66
	v_lshlrev_b32_e32 v63, 31, v69
	v_or_b32_e32 v66, 0x33000000, v63
	v_add_lshl_u32 v64, v64, v65, 23
	v_lshrrev_b32_e32 v62, 9, v62
	v_sub_u32_e32 v64, v66, v64
	v_or_b32_e32 v63, 0.5, v63
	v_lshlrev_b32_e32 v65, 23, v65
	v_or_b32_e32 v62, v64, v62
	v_lshrrev_b32_e32 v64, 9, v67
	v_sub_u32_e32 v63, v63, v65
	v_or_b32_e32 v63, v64, v63
	v_mul_f32_e32 v64, 0x3fc90fda, v63
	v_fma_f32 v65, v63, s41, -v64
	v_fmac_f32_e32 v65, 0x33a22168, v63
	v_fmac_f32_e32 v65, 0x3fc90fda, v62
	v_lshrrev_b32_e32 v1, 30, v1
	v_add_f32_e32 v62, v64, v65
	v_add_u32_e32 v63, v71, v1
	s_andn2_saveexec_b64 s[6:7], s[26:27]
	s_branch .LBB144_108
.LBB144_107:                            ;   in Loop: Header=BB144_57 Depth=1
	s_andn2_saveexec_b64 s[6:7], s[26:27]
.LBB144_108:                            ;   in Loop: Header=BB144_57 Depth=1
	v_mul_f32_e64 v1, |v6|, s42
	v_rndne_f32_e32 v1, v1
	v_cvt_i32_f32_e32 v63, v1
	v_fma_f32 v62, v1, s43, |v6|
	v_fmac_f32_e32 v62, 0xb3a22168, v1
	v_fmac_f32_e32 v62, 0xa7c234c4, v1
; %bb.109:                              ;   in Loop: Header=BB144_57 Depth=1
	s_or_b64 exec, exec, s[6:7]
                                        ; implicit-def: $vgpr1
                                        ; implicit-def: $vgpr64
	s_and_saveexec_b64 s[6:7], s[24:25]
	s_xor_b64 s[24:25], exec, s[6:7]
	s_cbranch_execz .LBB144_115
; %bb.110:                              ;   in Loop: Header=BB144_57 Depth=1
	v_and_b32_e32 v1, 0x7fffff, v61
	v_or_b32_e32 v71, 0x800000, v1
	v_mad_u64_u32 v[64:65], s[6:7], v71, s34, 0
	v_mov_b32_e32 v1, v65
	v_mad_u64_u32 v[65:66], s[6:7], v71, s35, v[1:2]
	v_mov_b32_e32 v1, v66
	;; [unrolled: 2-line block ×3, first 2 shown]
	v_mad_u64_u32 v[67:68], s[6:7], v71, s37, v[1:2]
	v_lshrrev_b32_e32 v1, 23, v61
	v_add_u32_e32 v70, 0xffffff88, v1
	v_mov_b32_e32 v1, v68
	v_mad_u64_u32 v[68:69], s[6:7], v71, s38, v[1:2]
	v_cmp_lt_u32_e64 s[6:7], 63, v70
	v_cndmask_b32_e64 v1, 0, v25, s[6:7]
	v_add_u32_e32 v72, v1, v70
	v_mov_b32_e32 v1, v69
	v_mad_u64_u32 v[69:70], s[8:9], v71, s39, v[1:2]
	v_cmp_lt_u32_e64 s[8:9], 31, v72
	v_cndmask_b32_e64 v1, 0, v26, s[8:9]
	;; [unrolled: 5-line block ×3, first 2 shown]
	v_add_u32_e32 v1, v1, v72
	v_cndmask_b32_e64 v72, v69, v67, s[6:7]
	v_cndmask_b32_e64 v70, v70, v68, s[6:7]
	;; [unrolled: 1-line block ×10, first 2 shown]
	v_sub_u32_e32 v72, 32, v1
	v_cndmask_b32_e64 v67, v68, v65, s[8:9]
	v_alignbit_b32 v73, v69, v71, v72
	v_cmp_eq_u32_e64 s[12:13], 0, v1
	v_cndmask_b32_e64 v68, v70, v67, s[10:11]
	v_cndmask_b32_e64 v1, v73, v69, s[12:13]
	v_alignbit_b32 v69, v71, v68, v72
	v_cndmask_b32_e64 v64, v66, v64, s[6:7]
	v_cndmask_b32_e64 v69, v69, v71, s[12:13]
	v_bfe_u32 v73, v1, 29, 1
	v_cndmask_b32_e64 v64, v65, v64, s[8:9]
	v_alignbit_b32 v70, v1, v69, 30
	v_sub_u32_e32 v74, 0, v73
	v_cndmask_b32_e64 v64, v67, v64, s[10:11]
	v_xor_b32_e32 v70, v70, v74
	v_alignbit_b32 v65, v68, v64, v72
	v_cndmask_b32_e64 v65, v65, v68, s[12:13]
	v_ffbh_u32_e32 v67, v70
	v_alignbit_b32 v66, v69, v65, 30
	v_min_u32_e32 v67, 32, v67
	v_alignbit_b32 v64, v65, v64, 30
	v_xor_b32_e32 v66, v66, v74
	v_sub_u32_e32 v68, 31, v67
	v_xor_b32_e32 v64, v64, v74
	v_alignbit_b32 v69, v70, v66, v68
	v_alignbit_b32 v64, v66, v64, v68
	;; [unrolled: 1-line block ×3, first 2 shown]
	v_ffbh_u32_e32 v66, v65
	v_min_u32_e32 v66, 32, v66
	v_lshrrev_b32_e32 v71, 29, v1
	v_not_b32_e32 v68, v66
	v_alignbit_b32 v64, v65, v64, v68
	v_lshlrev_b32_e32 v65, 31, v71
	v_or_b32_e32 v68, 0x33000000, v65
	v_add_lshl_u32 v66, v66, v67, 23
	v_lshrrev_b32_e32 v64, 9, v64
	v_sub_u32_e32 v66, v68, v66
	v_or_b32_e32 v65, 0.5, v65
	v_lshlrev_b32_e32 v67, 23, v67
	v_or_b32_e32 v64, v66, v64
	v_lshrrev_b32_e32 v66, 9, v69
	v_sub_u32_e32 v65, v65, v67
	v_or_b32_e32 v65, v66, v65
	v_mul_f32_e32 v66, 0x3fc90fda, v65
	v_fma_f32 v67, v65, s41, -v66
	v_fmac_f32_e32 v67, 0x33a22168, v65
	v_fmac_f32_e32 v67, 0x3fc90fda, v64
	v_lshrrev_b32_e32 v1, 30, v1
	v_add_f32_e32 v64, v66, v67
	v_add_u32_e32 v1, v73, v1
	s_andn2_saveexec_b64 s[6:7], s[24:25]
	s_cbranch_execnz .LBB144_116
.LBB144_111:                            ;   in Loop: Header=BB144_57 Depth=1
	s_or_b64 exec, exec, s[6:7]
	s_and_saveexec_b64 s[6:7], s[4:5]
	s_xor_b64 s[8:9], exec, s[6:7]
	s_cbranch_execz .LBB144_117
.LBB144_112:                            ;   in Loop: Header=BB144_57 Depth=1
	v_mul_f32_e32 v65, 0x3fb8aa3b, v17
	v_rndne_f32_e32 v66, v65
	v_sub_f32_e32 v67, v65, v66
	v_fma_f32 v65, v17, s44, -v65
	v_fmac_f32_e32 v65, 0x32a5705f, v17
	v_add_f32_e32 v65, v67, v65
	v_cvt_i32_f32_e32 v67, v66
	v_exp_f32_e32 v65, v65
	v_cmp_ngt_f32_e64 s[4:5], s45, v17
	v_mov_b32_e32 v68, v17
	v_fmac_f32_e32 v68, 0xbf317218, v66
	v_ldexp_f32 v65, v65, v67
	v_cndmask_b32_e64 v65, 0, v65, s[4:5]
	v_cmp_nlt_f32_e64 s[4:5], s46, v17
	v_cndmask_b32_e64 v65, v27, v65, s[4:5]
	v_cmp_eq_f32_e64 s[4:5], s47, v66
	v_fmac_f32_e32 v68, 0x3102e308, v66
	v_mov_b32_e32 v66, 0x3ab69700
	v_fmac_f32_e32 v66, 0x395133b1, v68
	v_fma_f32 v66, v68, v66, v19
	v_fma_f32 v66, v68, v66, v20
	;; [unrolled: 1-line block ×3, first 2 shown]
	v_ldexp_f32 v67, 1.0, v67
	v_fma_f32 v66, v68, v66, 0.5
	v_cndmask_b32_e64 v67, v67, v28, s[4:5]
	v_mul_f32_e32 v66, v68, v66
	v_fmac_f32_e32 v68, v68, v66
	v_add_f32_e32 v66, -1.0, v67
	v_fmac_f32_e32 v66, v67, v68
	v_add_f32_e32 v67, v66, v66
	v_cndmask_b32_e64 v66, v66, v67, s[4:5]
	v_mul_f32_e32 v67, v35, v35
	v_mov_b32_e32 v68, 0xbab64f3b
	v_fmac_f32_e32 v68, 0x37d75334, v67
	v_mov_b32_e32 v69, 0x3c0881c4
	v_cmp_nlt_f32_e64 s[4:5], s48, v17
	v_fma_f32 v68, v67, v68, v22
	v_fmac_f32_e32 v69, 0xb94c1982, v67
	v_cndmask_b32_e64 v66, v27, v66, s[4:5]
	v_cmp_ngt_f32_e64 s[4:5], s49, v17
	v_fma_f32 v68, v67, v68, v23
	v_fma_f32 v69, v67, v69, v24
	v_cndmask_b32_e64 v17, -1.0, v66, s[4:5]
	v_lshlrev_b32_e32 v66, 30, v36
	v_and_b32_e32 v36, 1, v36
	v_fma_f32 v68, v67, v68, 1.0
	v_mul_f32_e32 v67, v67, v69
	v_fmac_f32_e32 v35, v35, v67
	v_cmp_eq_u32_e64 s[4:5], 0, v36
	v_lshlrev_b32_e32 v36, 30, v33
	v_and_b32_e32 v66, 0x80000000, v66
	v_cndmask_b32_e64 v35, -v35, v68, s[4:5]
	v_xor_b32_e32 v31, v31, v30
	v_and_b32_e32 v36, 0x80000000, v36
	v_xor_b32_e32 v35, v66, v35
	v_xor_b32_e32 v31, v31, v36
	v_mul_f32_e32 v36, v32, v32
	v_mov_b32_e32 v66, 0x3c0881c4
	v_fmac_f32_e32 v66, 0xb94c1982, v36
	v_fma_f32 v66, v36, v66, v24
	v_mul_f32_e32 v66, v36, v66
	v_fmac_f32_e32 v32, v32, v66
	v_mov_b32_e32 v66, 0xbab64f3b
	v_fmac_f32_e32 v66, 0x37d75334, v36
	v_fma_f32 v66, v36, v66, v22
	v_and_b32_e32 v33, 1, v33
	v_fma_f32 v66, v36, v66, v23
	v_fma_f32 v36, v36, v66, 1.0
	v_cmp_eq_u32_e64 s[6:7], 0, v33
	v_cndmask_b32_e64 v32, v36, v32, s[6:7]
	v_xor_b32_e32 v31, v31, v32
	v_cmp_class_f32_e64 s[6:7], v30, s50
	v_cndmask_b32_e64 v30, v29, v31, s[6:7]
	v_cmp_class_f32_e64 s[4:5], v18, s50
	v_add_f32_e32 v31, v30, v30
	v_cndmask_b32_e64 v35, v29, v35, s[4:5]
	v_mul_f32_e32 v30, v30, v31
	v_fma_f32 v17, v17, v35, -v30
	v_mul_f32_e32 v30, v40, v40
	v_mov_b32_e32 v31, 0x3c0881c4
	v_fmac_f32_e32 v31, 0xb94c1982, v30
	v_fma_f32 v31, v30, v31, v24
	v_mul_f32_e32 v31, v30, v31
	v_fmac_f32_e32 v40, v40, v31
	v_mov_b32_e32 v31, 0xbab64f3b
	v_fmac_f32_e32 v31, 0x37d75334, v30
	v_fma_f32 v31, v30, v31, v22
	v_fma_f32 v31, v30, v31, v23
	v_fma_f32 v30, v30, v31, 1.0
	v_and_b32_e32 v31, 1, v39
	v_cmp_eq_u32_e64 s[6:7], 0, v31
	v_lshlrev_b32_e32 v31, 30, v39
	v_and_b32_e32 v31, 0x80000000, v31
	v_xor_b32_e32 v18, v34, v18
	v_cndmask_b32_e64 v30, v30, v40, s[6:7]
	v_xor_b32_e32 v18, v18, v31
	v_lshlrev_b64 v[15:16], 3, v[15:16]
	v_xor_b32_e32 v18, v18, v30
	v_cndmask_b32_e64 v18, v29, v18, s[4:5]
	v_mov_b32_e32 v30, s17
	v_add_co_u32_e64 v15, s[4:5], s16, v15
	v_mul_f32_e32 v18, v65, v18
	v_addc_co_u32_e64 v16, s[4:5], v30, v16, s[4:5]
	global_store_dwordx2 v[15:16], v[17:18], off
	s_or_b64 exec, exec, s[8:9]
	s_and_saveexec_b64 s[6:7], s[2:3]
	s_cbranch_execnz .LBB144_118
.LBB144_113:                            ;   in Loop: Header=BB144_57 Depth=1
	s_or_b64 exec, exec, s[6:7]
	s_and_saveexec_b64 s[4:5], s[0:1]
	s_cbranch_execz .LBB144_119
.LBB144_114:                            ;   in Loop: Header=BB144_57 Depth=1
	v_mul_f32_e32 v11, 0x3fb8aa3b, v7
	v_rndne_f32_e32 v12, v11
	v_sub_f32_e32 v13, v11, v12
	v_fma_f32 v11, v7, s44, -v11
	v_fmac_f32_e32 v11, 0x32a5705f, v7
	v_add_f32_e32 v11, v13, v11
	v_cvt_i32_f32_e32 v13, v12
	v_exp_f32_e32 v11, v11
	v_cmp_ngt_f32_e64 s[0:1], s45, v7
	v_mov_b32_e32 v14, v7
	v_fmac_f32_e32 v14, 0xbf317218, v12
	v_ldexp_f32 v11, v11, v13
	v_cndmask_b32_e64 v11, 0, v11, s[0:1]
	v_cmp_nlt_f32_e64 s[0:1], s46, v7
	v_cndmask_b32_e64 v11, v27, v11, s[0:1]
	v_cmp_eq_f32_e64 s[0:1], s47, v12
	v_fmac_f32_e32 v14, 0x3102e308, v12
	v_mov_b32_e32 v12, 0x3ab69700
	v_fmac_f32_e32 v12, 0x395133b1, v14
	v_fma_f32 v12, v14, v12, v19
	v_fma_f32 v12, v14, v12, v20
	;; [unrolled: 1-line block ×3, first 2 shown]
	v_ldexp_f32 v13, 1.0, v13
	v_fma_f32 v12, v14, v12, 0.5
	v_cndmask_b32_e64 v13, v13, v28, s[0:1]
	v_mul_f32_e32 v12, v14, v12
	v_fmac_f32_e32 v14, v14, v12
	v_add_f32_e32 v12, -1.0, v13
	v_fmac_f32_e32 v12, v13, v14
	v_mul_f32_e32 v14, v53, v53
	v_mov_b32_e32 v15, 0xbab64f3b
	v_fmac_f32_e32 v15, 0x37d75334, v14
	v_mov_b32_e32 v16, 0x3c0881c4
	v_add_f32_e32 v13, v12, v12
	v_fma_f32 v15, v14, v15, v22
	v_fmac_f32_e32 v16, 0xb94c1982, v14
	v_cndmask_b32_e64 v12, v12, v13, s[0:1]
	v_cmp_nlt_f32_e64 s[0:1], s48, v7
	v_fma_f32 v15, v14, v15, v23
	v_fma_f32 v16, v14, v16, v24
	v_cndmask_b32_e64 v12, v27, v12, s[0:1]
	v_cmp_ngt_f32_e64 s[0:1], s49, v7
	v_and_b32_e32 v13, 1, v54
	v_fma_f32 v15, v14, v15, 1.0
	v_mul_f32_e32 v14, v14, v16
	v_cndmask_b32_e64 v7, -1.0, v12, s[0:1]
	v_fmac_f32_e32 v53, v53, v14
	v_cmp_eq_u32_e64 s[0:1], 0, v13
	v_cndmask_b32_e64 v13, -v53, v15, s[0:1]
	v_mul_f32_e32 v15, v50, v50
	v_mov_b32_e32 v16, 0x3c0881c4
	v_fmac_f32_e32 v16, 0xb94c1982, v15
	v_fma_f32 v16, v15, v16, v24
	v_mul_f32_e32 v16, v15, v16
	v_lshlrev_b32_e32 v12, 30, v54
	v_fmac_f32_e32 v50, v50, v16
	v_mov_b32_e32 v16, 0xbab64f3b
	v_and_b32_e32 v12, 0x80000000, v12
	v_lshlrev_b32_e32 v14, 30, v51
	v_fmac_f32_e32 v16, 0x37d75334, v15
	v_xor_b32_e32 v12, v12, v13
	v_xor_b32_e32 v13, v47, v46
	v_and_b32_e32 v14, 0x80000000, v14
	v_fma_f32 v16, v15, v16, v22
	v_xor_b32_e32 v13, v13, v14
	v_and_b32_e32 v14, 1, v51
	v_fma_f32 v16, v15, v16, v23
	v_fma_f32 v15, v15, v16, 1.0
	v_cmp_eq_u32_e64 s[2:3], 0, v14
	v_cndmask_b32_e64 v14, v15, v50, s[2:3]
	v_xor_b32_e32 v13, v13, v14
	v_cmp_class_f32_e64 s[2:3], v46, s50
	v_cndmask_b32_e64 v13, v29, v13, s[2:3]
	v_cmp_class_f32_e64 s[0:1], v8, s50
	v_add_f32_e32 v14, v13, v13
	v_cndmask_b32_e64 v12, v29, v12, s[0:1]
	v_mul_f32_e32 v13, v13, v14
	v_fma_f32 v7, v7, v12, -v13
	v_mul_f32_e32 v12, v58, v58
	v_mov_b32_e32 v13, 0x3c0881c4
	v_fmac_f32_e32 v13, 0xb94c1982, v12
	v_fma_f32 v13, v12, v13, v24
	v_mul_f32_e32 v13, v12, v13
	v_fmac_f32_e32 v58, v58, v13
	v_mov_b32_e32 v13, 0xbab64f3b
	v_fmac_f32_e32 v13, 0x37d75334, v12
	v_fma_f32 v13, v12, v13, v22
	v_fma_f32 v13, v12, v13, v23
	v_fma_f32 v12, v12, v13, 1.0
	v_and_b32_e32 v13, 1, v57
	v_cmp_eq_u32_e64 s[2:3], 0, v13
	v_lshlrev_b32_e32 v13, 30, v57
	v_and_b32_e32 v13, 0x80000000, v13
	v_xor_b32_e32 v8, v52, v8
	v_cndmask_b32_e64 v12, v12, v58, s[2:3]
	v_xor_b32_e32 v8, v8, v13
	v_xor_b32_e32 v8, v8, v12
	v_lshlrev_b64 v[9:10], 3, v[9:10]
	v_cndmask_b32_e64 v8, v29, v8, s[0:1]
	v_mul_f32_e32 v8, v11, v8
	v_mov_b32_e32 v11, s17
	v_add_co_u32_e64 v9, s[0:1], s16, v9
	v_addc_co_u32_e64 v10, s[0:1], v11, v10, s[0:1]
	global_store_dwordx2 v[9:10], v[7:8], off
	s_or_b64 exec, exec, s[4:5]
	s_and_saveexec_b64 s[2:3], vcc
	s_cbranch_execz .LBB144_56
	s_branch .LBB144_120
.LBB144_115:                            ;   in Loop: Header=BB144_57 Depth=1
	s_andn2_saveexec_b64 s[6:7], s[24:25]
	s_cbranch_execz .LBB144_111
.LBB144_116:                            ;   in Loop: Header=BB144_57 Depth=1
	v_mul_f32_e64 v1, |v6|, s42
	v_rndne_f32_e32 v65, v1
	v_cvt_i32_f32_e32 v1, v65
	v_fma_f32 v64, v65, s43, |v6|
	v_fmac_f32_e32 v64, 0xb3a22168, v65
	v_fmac_f32_e32 v64, 0xa7c234c4, v65
	s_or_b64 exec, exec, s[6:7]
	s_and_saveexec_b64 s[6:7], s[4:5]
	s_xor_b64 s[8:9], exec, s[6:7]
	s_cbranch_execnz .LBB144_112
.LBB144_117:                            ;   in Loop: Header=BB144_57 Depth=1
	s_or_b64 exec, exec, s[8:9]
	s_and_saveexec_b64 s[6:7], s[2:3]
	s_cbranch_execz .LBB144_113
.LBB144_118:                            ;   in Loop: Header=BB144_57 Depth=1
	v_mul_f32_e32 v15, 0x3fb8aa3b, v13
	v_rndne_f32_e32 v16, v15
	v_sub_f32_e32 v17, v15, v16
	v_fma_f32 v15, v13, s44, -v15
	v_fmac_f32_e32 v15, 0x32a5705f, v13
	v_add_f32_e32 v15, v17, v15
	v_cvt_i32_f32_e32 v17, v16
	v_exp_f32_e32 v15, v15
	v_cmp_ngt_f32_e64 s[2:3], s45, v13
	v_mov_b32_e32 v18, v13
	v_fmac_f32_e32 v18, 0xbf317218, v16
	v_ldexp_f32 v15, v15, v17
	v_cndmask_b32_e64 v15, 0, v15, s[2:3]
	v_cmp_nlt_f32_e64 s[2:3], s46, v13
	v_cndmask_b32_e64 v15, v27, v15, s[2:3]
	v_cmp_eq_f32_e64 s[2:3], s47, v16
	v_fmac_f32_e32 v18, 0x3102e308, v16
	v_mov_b32_e32 v16, 0x3ab69700
	v_fmac_f32_e32 v16, 0x395133b1, v18
	v_fma_f32 v16, v18, v16, v19
	v_fma_f32 v16, v18, v16, v20
	;; [unrolled: 1-line block ×3, first 2 shown]
	v_ldexp_f32 v17, 1.0, v17
	v_fma_f32 v16, v18, v16, 0.5
	v_cndmask_b32_e64 v17, v17, v28, s[2:3]
	v_mul_f32_e32 v16, v18, v16
	v_fmac_f32_e32 v18, v18, v16
	v_add_f32_e32 v16, -1.0, v17
	v_fmac_f32_e32 v16, v17, v18
	v_mul_f32_e32 v18, v44, v44
	v_mov_b32_e32 v30, 0xbab64f3b
	v_fmac_f32_e32 v30, 0x37d75334, v18
	v_mov_b32_e32 v31, 0x3c0881c4
	v_add_f32_e32 v17, v16, v16
	v_fma_f32 v30, v18, v30, v22
	v_fmac_f32_e32 v31, 0xb94c1982, v18
	v_cndmask_b32_e64 v16, v16, v17, s[2:3]
	v_cmp_nlt_f32_e64 s[2:3], s48, v13
	v_fma_f32 v30, v18, v30, v23
	v_fma_f32 v31, v18, v31, v24
	v_cndmask_b32_e64 v16, v27, v16, s[2:3]
	v_cmp_ngt_f32_e64 s[2:3], s49, v13
	v_and_b32_e32 v17, 1, v45
	v_fma_f32 v30, v18, v30, 1.0
	v_mul_f32_e32 v18, v18, v31
	v_cndmask_b32_e64 v13, -1.0, v16, s[2:3]
	v_fmac_f32_e32 v44, v44, v18
	v_cmp_eq_u32_e64 s[2:3], 0, v17
	v_cndmask_b32_e64 v17, -v44, v30, s[2:3]
	v_mul_f32_e32 v30, v41, v41
	v_mov_b32_e32 v31, 0x3c0881c4
	v_fmac_f32_e32 v31, 0xb94c1982, v30
	v_fma_f32 v31, v30, v31, v24
	v_mul_f32_e32 v31, v30, v31
	v_lshlrev_b32_e32 v16, 30, v45
	v_fmac_f32_e32 v41, v41, v31
	v_mov_b32_e32 v31, 0xbab64f3b
	v_and_b32_e32 v16, 0x80000000, v16
	v_lshlrev_b32_e32 v18, 30, v42
	v_fmac_f32_e32 v31, 0x37d75334, v30
	v_xor_b32_e32 v16, v16, v17
	v_xor_b32_e32 v17, v38, v37
	v_and_b32_e32 v18, 0x80000000, v18
	v_fma_f32 v31, v30, v31, v22
	v_xor_b32_e32 v17, v17, v18
	v_and_b32_e32 v18, 1, v42
	v_fma_f32 v31, v30, v31, v23
	v_fma_f32 v30, v30, v31, 1.0
	v_cmp_eq_u32_e64 s[4:5], 0, v18
	v_cndmask_b32_e64 v18, v30, v41, s[4:5]
	v_xor_b32_e32 v17, v17, v18
	v_cmp_class_f32_e64 s[4:5], v37, s50
	v_cndmask_b32_e64 v17, v29, v17, s[4:5]
	v_cmp_class_f32_e64 s[2:3], v14, s50
	v_add_f32_e32 v18, v17, v17
	v_cndmask_b32_e64 v16, v29, v16, s[2:3]
	v_mul_f32_e32 v17, v17, v18
	v_fma_f32 v13, v13, v16, -v17
	v_mul_f32_e32 v16, v49, v49
	v_mov_b32_e32 v17, 0x3c0881c4
	v_fmac_f32_e32 v17, 0xb94c1982, v16
	v_fma_f32 v17, v16, v17, v24
	v_mul_f32_e32 v17, v16, v17
	v_fmac_f32_e32 v49, v49, v17
	v_mov_b32_e32 v17, 0xbab64f3b
	v_fmac_f32_e32 v17, 0x37d75334, v16
	v_fma_f32 v17, v16, v17, v22
	v_fma_f32 v17, v16, v17, v23
	v_fma_f32 v16, v16, v17, 1.0
	v_and_b32_e32 v17, 1, v48
	v_cmp_eq_u32_e64 s[4:5], 0, v17
	v_lshlrev_b32_e32 v17, 30, v48
	v_and_b32_e32 v17, 0x80000000, v17
	v_xor_b32_e32 v14, v43, v14
	v_cndmask_b32_e64 v16, v16, v49, s[4:5]
	v_xor_b32_e32 v14, v14, v17
	v_xor_b32_e32 v14, v14, v16
	v_lshlrev_b64 v[11:12], 3, v[11:12]
	v_cndmask_b32_e64 v14, v29, v14, s[2:3]
	v_mul_f32_e32 v14, v15, v14
	v_mov_b32_e32 v15, s17
	v_add_co_u32_e64 v11, s[2:3], s16, v11
	v_addc_co_u32_e64 v12, s[2:3], v15, v12, s[2:3]
	global_store_dwordx2 v[11:12], v[13:14], off
	s_or_b64 exec, exec, s[6:7]
	s_and_saveexec_b64 s[4:5], s[0:1]
	s_cbranch_execnz .LBB144_114
.LBB144_119:                            ;   in Loop: Header=BB144_57 Depth=1
	s_or_b64 exec, exec, s[4:5]
	s_and_saveexec_b64 s[2:3], vcc
	s_cbranch_execz .LBB144_56
.LBB144_120:                            ;   in Loop: Header=BB144_57 Depth=1
	v_mul_f32_e32 v7, 0x3fb8aa3b, v5
	v_rndne_f32_e32 v8, v7
	v_sub_f32_e32 v9, v7, v8
	v_fma_f32 v7, v5, s44, -v7
	v_fmac_f32_e32 v7, 0x32a5705f, v5
	v_add_f32_e32 v7, v9, v7
	v_cvt_i32_f32_e32 v9, v8
	v_exp_f32_e32 v7, v7
	v_cmp_ngt_f32_e32 vcc, s45, v5
	v_mov_b32_e32 v10, v5
	v_fmac_f32_e32 v10, 0xbf317218, v8
	v_ldexp_f32 v7, v7, v9
	v_cndmask_b32_e32 v7, 0, v7, vcc
	v_cmp_nlt_f32_e32 vcc, s46, v5
	v_cndmask_b32_e32 v7, v27, v7, vcc
	v_cmp_eq_f32_e32 vcc, s47, v8
	v_fmac_f32_e32 v10, 0x3102e308, v8
	v_mov_b32_e32 v8, 0x3ab69700
	v_fmac_f32_e32 v8, 0x395133b1, v10
	v_fma_f32 v8, v10, v8, v19
	v_fma_f32 v8, v10, v8, v20
	;; [unrolled: 1-line block ×3, first 2 shown]
	v_ldexp_f32 v9, 1.0, v9
	v_fma_f32 v8, v10, v8, 0.5
	v_cndmask_b32_e32 v9, v9, v28, vcc
	v_mul_f32_e32 v8, v10, v8
	v_fmac_f32_e32 v10, v10, v8
	v_add_f32_e32 v8, -1.0, v9
	v_fmac_f32_e32 v8, v9, v10
	v_mul_f32_e32 v10, v62, v62
	v_mov_b32_e32 v11, 0xbab64f3b
	v_fmac_f32_e32 v11, 0x37d75334, v10
	v_mov_b32_e32 v12, 0x3c0881c4
	v_add_f32_e32 v9, v8, v8
	v_fma_f32 v11, v10, v11, v22
	v_fmac_f32_e32 v12, 0xb94c1982, v10
	v_cndmask_b32_e32 v8, v8, v9, vcc
	v_cmp_nlt_f32_e32 vcc, s48, v5
	v_fma_f32 v11, v10, v11, v23
	v_fma_f32 v12, v10, v12, v24
	v_cndmask_b32_e32 v8, v27, v8, vcc
	v_cmp_ngt_f32_e32 vcc, s49, v5
	v_and_b32_e32 v9, 1, v63
	v_fma_f32 v11, v10, v11, 1.0
	v_mul_f32_e32 v10, v10, v12
	v_cndmask_b32_e32 v5, -1.0, v8, vcc
	v_fmac_f32_e32 v62, v62, v10
	v_cmp_eq_u32_e32 vcc, 0, v9
	v_cndmask_b32_e64 v9, -v62, v11, vcc
	v_mul_f32_e32 v11, v59, v59
	v_mov_b32_e32 v12, 0x3c0881c4
	v_fmac_f32_e32 v12, 0xb94c1982, v11
	v_fma_f32 v12, v11, v12, v24
	v_mul_f32_e32 v12, v11, v12
	v_lshlrev_b32_e32 v8, 30, v63
	v_fmac_f32_e32 v59, v59, v12
	v_mov_b32_e32 v12, 0xbab64f3b
	v_and_b32_e32 v8, 0x80000000, v8
	v_lshlrev_b32_e32 v10, 30, v60
	v_fmac_f32_e32 v12, 0x37d75334, v11
	v_xor_b32_e32 v8, v8, v9
	v_xor_b32_e32 v9, v56, v55
	v_and_b32_e32 v10, 0x80000000, v10
	v_fma_f32 v12, v11, v12, v22
	v_xor_b32_e32 v9, v9, v10
	v_and_b32_e32 v10, 1, v60
	v_fma_f32 v12, v11, v12, v23
	v_fma_f32 v11, v11, v12, 1.0
	v_cmp_eq_u32_e64 s[0:1], 0, v10
	v_cndmask_b32_e64 v10, v11, v59, s[0:1]
	v_xor_b32_e32 v9, v9, v10
	v_cmp_class_f32_e64 s[0:1], v55, s50
	v_cndmask_b32_e64 v9, v29, v9, s[0:1]
	v_cmp_class_f32_e64 vcc, v6, s50
	v_add_f32_e32 v10, v9, v9
	v_cndmask_b32_e32 v8, v29, v8, vcc
	v_mul_f32_e32 v9, v9, v10
	v_fma_f32 v5, v5, v8, -v9
	v_mul_f32_e32 v8, v64, v64
	v_mov_b32_e32 v9, 0x3c0881c4
	v_fmac_f32_e32 v9, 0xb94c1982, v8
	v_fma_f32 v9, v8, v9, v24
	v_mul_f32_e32 v9, v8, v9
	v_fmac_f32_e32 v64, v64, v9
	v_mov_b32_e32 v9, 0xbab64f3b
	v_fmac_f32_e32 v9, 0x37d75334, v8
	v_fma_f32 v9, v8, v9, v22
	v_fma_f32 v9, v8, v9, v23
	v_fma_f32 v8, v8, v9, 1.0
	v_and_b32_e32 v9, 1, v1
	v_lshlrev_b32_e32 v1, 30, v1
	v_cmp_eq_u32_e64 s[0:1], 0, v9
	v_and_b32_e32 v1, 0x80000000, v1
	v_xor_b32_e32 v6, v61, v6
	v_cndmask_b32_e64 v8, v8, v64, s[0:1]
	v_xor_b32_e32 v1, v6, v1
	v_xor_b32_e32 v1, v1, v8
	v_lshlrev_b64 v[3:4], 3, v[3:4]
	v_cndmask_b32_e32 v1, v29, v1, vcc
	v_mul_f32_e32 v6, v7, v1
	v_mov_b32_e32 v1, s17
	v_add_co_u32_e32 v3, vcc, s16, v3
	v_addc_co_u32_e32 v4, vcc, v1, v4, vcc
	global_store_dwordx2 v[3:4], v[5:6], off
	s_branch .LBB144_56
.LBB144_121:
	s_endpgm
	.section	.rodata,"a",@progbits
	.p2align	6, 0x0
	.amdhsa_kernel _ZN2at6native12_GLOBAL__N_125multi_tensor_apply_kernelINS1_18TensorListMetadataILi2EEENS1_14UnaryOpFunctorIN3c107complexIfEELi2ELi1ELi1EEEJNS0_5Expm1IS8_EEEEEvT_T0_DpT1_
		.amdhsa_group_segment_fixed_size 0
		.amdhsa_private_segment_fixed_size 0
		.amdhsa_kernarg_size 3408
		.amdhsa_user_sgpr_count 6
		.amdhsa_user_sgpr_private_segment_buffer 1
		.amdhsa_user_sgpr_dispatch_ptr 0
		.amdhsa_user_sgpr_queue_ptr 0
		.amdhsa_user_sgpr_kernarg_segment_ptr 1
		.amdhsa_user_sgpr_dispatch_id 0
		.amdhsa_user_sgpr_flat_scratch_init 0
		.amdhsa_user_sgpr_private_segment_size 0
		.amdhsa_uses_dynamic_stack 0
		.amdhsa_system_sgpr_private_segment_wavefront_offset 0
		.amdhsa_system_sgpr_workgroup_id_x 1
		.amdhsa_system_sgpr_workgroup_id_y 0
		.amdhsa_system_sgpr_workgroup_id_z 0
		.amdhsa_system_sgpr_workgroup_info 0
		.amdhsa_system_vgpr_workitem_id 0
		.amdhsa_next_free_vgpr 75
		.amdhsa_next_free_sgpr 51
		.amdhsa_reserve_vcc 1
		.amdhsa_reserve_flat_scratch 0
		.amdhsa_float_round_mode_32 0
		.amdhsa_float_round_mode_16_64 0
		.amdhsa_float_denorm_mode_32 3
		.amdhsa_float_denorm_mode_16_64 3
		.amdhsa_dx10_clamp 1
		.amdhsa_ieee_mode 1
		.amdhsa_fp16_overflow 0
		.amdhsa_exception_fp_ieee_invalid_op 0
		.amdhsa_exception_fp_denorm_src 0
		.amdhsa_exception_fp_ieee_div_zero 0
		.amdhsa_exception_fp_ieee_overflow 0
		.amdhsa_exception_fp_ieee_underflow 0
		.amdhsa_exception_fp_ieee_inexact 0
		.amdhsa_exception_int_div_zero 0
	.end_amdhsa_kernel
	.section	.text._ZN2at6native12_GLOBAL__N_125multi_tensor_apply_kernelINS1_18TensorListMetadataILi2EEENS1_14UnaryOpFunctorIN3c107complexIfEELi2ELi1ELi1EEEJNS0_5Expm1IS8_EEEEEvT_T0_DpT1_,"axG",@progbits,_ZN2at6native12_GLOBAL__N_125multi_tensor_apply_kernelINS1_18TensorListMetadataILi2EEENS1_14UnaryOpFunctorIN3c107complexIfEELi2ELi1ELi1EEEJNS0_5Expm1IS8_EEEEEvT_T0_DpT1_,comdat
.Lfunc_end144:
	.size	_ZN2at6native12_GLOBAL__N_125multi_tensor_apply_kernelINS1_18TensorListMetadataILi2EEENS1_14UnaryOpFunctorIN3c107complexIfEELi2ELi1ELi1EEEJNS0_5Expm1IS8_EEEEEvT_T0_DpT1_, .Lfunc_end144-_ZN2at6native12_GLOBAL__N_125multi_tensor_apply_kernelINS1_18TensorListMetadataILi2EEENS1_14UnaryOpFunctorIN3c107complexIfEELi2ELi1ELi1EEEJNS0_5Expm1IS8_EEEEEvT_T0_DpT1_
                                        ; -- End function
	.set _ZN2at6native12_GLOBAL__N_125multi_tensor_apply_kernelINS1_18TensorListMetadataILi2EEENS1_14UnaryOpFunctorIN3c107complexIfEELi2ELi1ELi1EEEJNS0_5Expm1IS8_EEEEEvT_T0_DpT1_.num_vgpr, 75
	.set _ZN2at6native12_GLOBAL__N_125multi_tensor_apply_kernelINS1_18TensorListMetadataILi2EEENS1_14UnaryOpFunctorIN3c107complexIfEELi2ELi1ELi1EEEJNS0_5Expm1IS8_EEEEEvT_T0_DpT1_.num_agpr, 0
	.set _ZN2at6native12_GLOBAL__N_125multi_tensor_apply_kernelINS1_18TensorListMetadataILi2EEENS1_14UnaryOpFunctorIN3c107complexIfEELi2ELi1ELi1EEEJNS0_5Expm1IS8_EEEEEvT_T0_DpT1_.numbered_sgpr, 51
	.set _ZN2at6native12_GLOBAL__N_125multi_tensor_apply_kernelINS1_18TensorListMetadataILi2EEENS1_14UnaryOpFunctorIN3c107complexIfEELi2ELi1ELi1EEEJNS0_5Expm1IS8_EEEEEvT_T0_DpT1_.num_named_barrier, 0
	.set _ZN2at6native12_GLOBAL__N_125multi_tensor_apply_kernelINS1_18TensorListMetadataILi2EEENS1_14UnaryOpFunctorIN3c107complexIfEELi2ELi1ELi1EEEJNS0_5Expm1IS8_EEEEEvT_T0_DpT1_.private_seg_size, 0
	.set _ZN2at6native12_GLOBAL__N_125multi_tensor_apply_kernelINS1_18TensorListMetadataILi2EEENS1_14UnaryOpFunctorIN3c107complexIfEELi2ELi1ELi1EEEJNS0_5Expm1IS8_EEEEEvT_T0_DpT1_.uses_vcc, 1
	.set _ZN2at6native12_GLOBAL__N_125multi_tensor_apply_kernelINS1_18TensorListMetadataILi2EEENS1_14UnaryOpFunctorIN3c107complexIfEELi2ELi1ELi1EEEJNS0_5Expm1IS8_EEEEEvT_T0_DpT1_.uses_flat_scratch, 0
	.set _ZN2at6native12_GLOBAL__N_125multi_tensor_apply_kernelINS1_18TensorListMetadataILi2EEENS1_14UnaryOpFunctorIN3c107complexIfEELi2ELi1ELi1EEEJNS0_5Expm1IS8_EEEEEvT_T0_DpT1_.has_dyn_sized_stack, 0
	.set _ZN2at6native12_GLOBAL__N_125multi_tensor_apply_kernelINS1_18TensorListMetadataILi2EEENS1_14UnaryOpFunctorIN3c107complexIfEELi2ELi1ELi1EEEJNS0_5Expm1IS8_EEEEEvT_T0_DpT1_.has_recursion, 0
	.set _ZN2at6native12_GLOBAL__N_125multi_tensor_apply_kernelINS1_18TensorListMetadataILi2EEENS1_14UnaryOpFunctorIN3c107complexIfEELi2ELi1ELi1EEEJNS0_5Expm1IS8_EEEEEvT_T0_DpT1_.has_indirect_call, 0
	.section	.AMDGPU.csdata,"",@progbits
; Kernel info:
; codeLenInByte = 21156
; TotalNumSgprs: 55
; NumVgprs: 75
; ScratchSize: 0
; MemoryBound: 1
; FloatMode: 240
; IeeeMode: 1
; LDSByteSize: 0 bytes/workgroup (compile time only)
; SGPRBlocks: 6
; VGPRBlocks: 18
; NumSGPRsForWavesPerEU: 55
; NumVGPRsForWavesPerEU: 75
; Occupancy: 3
; WaveLimiterHint : 0
; COMPUTE_PGM_RSRC2:SCRATCH_EN: 0
; COMPUTE_PGM_RSRC2:USER_SGPR: 6
; COMPUTE_PGM_RSRC2:TRAP_HANDLER: 0
; COMPUTE_PGM_RSRC2:TGID_X_EN: 1
; COMPUTE_PGM_RSRC2:TGID_Y_EN: 0
; COMPUTE_PGM_RSRC2:TGID_Z_EN: 0
; COMPUTE_PGM_RSRC2:TIDIG_COMP_CNT: 0
	.section	.text._ZN2at6native12_GLOBAL__N_125multi_tensor_apply_kernelINS1_18TensorListMetadataILi2EEENS1_14UnaryOpFunctorIN3c104HalfELi2ELi1ELi1EEEJNS0_5Expm1IfEEEEEvT_T0_DpT1_,"axG",@progbits,_ZN2at6native12_GLOBAL__N_125multi_tensor_apply_kernelINS1_18TensorListMetadataILi2EEENS1_14UnaryOpFunctorIN3c104HalfELi2ELi1ELi1EEEJNS0_5Expm1IfEEEEEvT_T0_DpT1_,comdat
	.globl	_ZN2at6native12_GLOBAL__N_125multi_tensor_apply_kernelINS1_18TensorListMetadataILi2EEENS1_14UnaryOpFunctorIN3c104HalfELi2ELi1ELi1EEEJNS0_5Expm1IfEEEEEvT_T0_DpT1_ ; -- Begin function _ZN2at6native12_GLOBAL__N_125multi_tensor_apply_kernelINS1_18TensorListMetadataILi2EEENS1_14UnaryOpFunctorIN3c104HalfELi2ELi1ELi1EEEJNS0_5Expm1IfEEEEEvT_T0_DpT1_
	.p2align	8
	.type	_ZN2at6native12_GLOBAL__N_125multi_tensor_apply_kernelINS1_18TensorListMetadataILi2EEENS1_14UnaryOpFunctorIN3c104HalfELi2ELi1ELi1EEEJNS0_5Expm1IfEEEEEvT_T0_DpT1_,@function
_ZN2at6native12_GLOBAL__N_125multi_tensor_apply_kernelINS1_18TensorListMetadataILi2EEENS1_14UnaryOpFunctorIN3c104HalfELi2ELi1ELi1EEEJNS0_5Expm1IfEEEEEvT_T0_DpT1_: ; @_ZN2at6native12_GLOBAL__N_125multi_tensor_apply_kernelINS1_18TensorListMetadataILi2EEENS1_14UnaryOpFunctorIN3c104HalfELi2ELi1ELi1EEEJNS0_5Expm1IfEEEEEvT_T0_DpT1_
; %bb.0:
	v_mov_b32_e32 v1, s6
	global_load_ubyte v1, v1, s[4:5] offset:1536
	s_add_u32 s0, s4, s6
	s_mul_hi_u32 s2, s6, 3
	s_mul_i32 s6, s6, 3
	s_addc_u32 s7, s5, 0
	s_add_u32 s6, s0, s6
	s_addc_u32 s7, s7, s2
	s_load_dword s6, s[6:7], 0x740
	s_mov_b32 s1, 0
	s_mov_b32 s3, s1
	s_waitcnt lgkmcnt(0)
	s_ashr_i32 s7, s6, 31
	s_lshl_b64 s[8:9], s[6:7], 17
	s_lshl_b64 s[6:7], s[6:7], 16
	s_waitcnt vmcnt(0)
	v_readfirstlane_b32 s0, v1
	s_lshl_b32 s0, s0, 3
	s_load_dwordx2 s[12:13], s[4:5], s0 offset:0x400
	s_load_dwordx2 s[14:15], s[4:5], s0 offset:0x0
	;; [unrolled: 1-line block ×3, first 2 shown]
	s_waitcnt lgkmcnt(0)
	s_add_u32 s0, s14, s8
	s_and_b32 s2, s10, 7
	s_and_b32 s0, s0, 7
	s_sub_u32 s16, s12, s6
	s_subb_u32 s17, s13, s7
	s_and_b32 s6, s12, 3
	s_mov_b32 s7, s1
	s_or_b64 s[2:3], s[2:3], s[6:7]
	s_or_b64 s[0:1], s[2:3], s[0:1]
	s_cmp_eq_u64 s[0:1], 0
	s_mov_b64 s[0:1], -1
	s_cbranch_scc0 .LBB145_5
; %bb.1:
	v_mov_b32_e32 v1, 0x10000
	v_mov_b32_e32 v2, 0
	v_cmp_lt_i64_e32 vcc, s[16:17], v[1:2]
	v_mov_b32_e32 v2, 0
	s_and_b64 s[0:1], vcc, exec
	s_cselect_b32 s13, s17, 0
	s_cselect_b32 s12, s16, 0x10000
	v_lshlrev_b32_e32 v1, 2, v0
	v_cmp_gt_i64_e32 vcc, s[12:13], v[1:2]
	s_and_saveexec_b64 s[18:19], vcc
	s_cbranch_execz .LBB145_4
; %bb.2:
	s_load_dword s0, s[4:5], 0xc5c
	v_mov_b32_e32 v1, v2
	v_lshlrev_b32_e32 v2, 3, v0
	v_mov_b32_e32 v4, s9
	v_add_co_u32_e32 v3, vcc, s8, v2
	s_waitcnt lgkmcnt(0)
	s_and_b32 s22, s0, 0xffff
	v_mov_b32_e32 v2, v1
	v_addc_co_u32_e32 v4, vcc, 0, v4, vcc
	s_lshl_b32 s23, s22, 3
	s_mov_b64 s[20:21], 0
	v_mov_b32_e32 v5, s15
	s_mov_b32 s24, 0xbf317218
	v_mov_b32_e32 v6, 0x3c0887f9
	v_mov_b32_e32 v7, 0x3d2aaa81
	;; [unrolled: 1-line block ×3, first 2 shown]
	s_mov_b32 s25, 0x43000000
	v_mov_b32_e32 v9, 0x7f000000
	s_mov_b32 s26, 0x42b17217
	v_mov_b32_e32 v10, 0x7f800000
	s_mov_b32 s27, 0xcc40
	v_mov_b32_e32 v11, 0xbc00
	v_mov_b32_e32 v12, s11
	v_mov_b32_e32 v1, v0
.LBB145_3:                              ; =>This Inner Loop Header: Depth=1
	v_add_co_u32_e32 v13, vcc, s14, v3
	v_addc_co_u32_e32 v14, vcc, v5, v4, vcc
	global_load_dwordx2 v[13:14], v[13:14], off
	v_add_co_u32_e32 v1, vcc, s22, v1
	v_addc_co_u32_e32 v2, vcc, 0, v2, vcc
	v_add_co_u32_e32 v15, vcc, s10, v3
	v_addc_co_u32_e32 v16, vcc, v12, v4, vcc
	v_add_co_u32_e32 v3, vcc, s23, v3
	v_lshlrev_b64 v[17:18], 2, v[1:2]
	v_addc_co_u32_e32 v4, vcc, 0, v4, vcc
	v_cmp_le_i64_e32 vcc, s[12:13], v[17:18]
	v_mov_b32_e32 v19, 0x3ab69700
	v_mov_b32_e32 v20, 0x3ab69700
	;; [unrolled: 1-line block ×4, first 2 shown]
	s_or_b64 s[20:21], vcc, s[20:21]
	s_waitcnt vmcnt(0)
	v_cvt_f32_f16_e32 v17, v13
	v_cvt_f32_f16_sdwa v18, v13 dst_sel:DWORD dst_unused:UNUSED_PAD src0_sel:WORD_1
	v_cvt_f32_f16_e32 v23, v14
	v_cvt_f32_f16_sdwa v24, v14 dst_sel:DWORD dst_unused:UNUSED_PAD src0_sel:WORD_1
	v_mul_f32_e32 v25, 0x3fb8aa3b, v17
	v_mul_f32_e32 v26, 0x3fb8aa3b, v18
	;; [unrolled: 1-line block ×4, first 2 shown]
	v_rndne_f32_e32 v25, v25
	v_rndne_f32_e32 v26, v26
	;; [unrolled: 1-line block ×4, first 2 shown]
	v_fma_mix_f32 v30, v25, s24, v13 op_sel_hi:[0,0,1]
	v_fma_mix_f32 v31, v26, s24, v13 op_sel:[0,0,1] op_sel_hi:[0,0,1]
	v_fma_mix_f32 v33, v27, s24, v14 op_sel_hi:[0,0,1]
	v_fma_mix_f32 v36, v28, s24, v14 op_sel:[0,0,1] op_sel_hi:[0,0,1]
	v_fmac_f32_e32 v30, 0x3102e308, v25
	v_fmac_f32_e32 v31, 0x3102e308, v26
	;; [unrolled: 1-line block ×4, first 2 shown]
	v_cvt_i32_f32_e32 v29, v25
	v_cvt_i32_f32_e32 v32, v26
	;; [unrolled: 1-line block ×4, first 2 shown]
	v_fmac_f32_e32 v19, 0x395133b1, v30
	v_fmac_f32_e32 v20, 0x395133b1, v31
	;; [unrolled: 1-line block ×4, first 2 shown]
	v_fma_f32 v19, v30, v19, v6
	v_fma_f32 v20, v31, v20, v6
	;; [unrolled: 1-line block ×12, first 2 shown]
	v_ldexp_f32 v29, 1.0, v29
	v_cmp_eq_f32_e32 vcc, s25, v25
	v_ldexp_f32 v25, 1.0, v32
	v_cmp_eq_f32_e64 s[0:1], s25, v26
	v_ldexp_f32 v26, 1.0, v34
	v_cmp_eq_f32_e64 s[2:3], s25, v27
	;; [unrolled: 2-line block ×3, first 2 shown]
	v_fma_f32 v19, v30, v19, 0.5
	v_fma_f32 v20, v31, v20, 0.5
	;; [unrolled: 1-line block ×4, first 2 shown]
	v_cndmask_b32_e32 v28, v29, v9, vcc
	v_cndmask_b32_e64 v25, v25, v9, s[0:1]
	v_cndmask_b32_e64 v26, v26, v9, s[2:3]
	;; [unrolled: 1-line block ×3, first 2 shown]
	v_mul_f32_e32 v19, v30, v19
	v_mul_f32_e32 v20, v31, v20
	;; [unrolled: 1-line block ×4, first 2 shown]
	v_add_f32_e32 v29, -1.0, v28
	v_add_f32_e32 v32, -1.0, v25
	;; [unrolled: 1-line block ×4, first 2 shown]
	v_fmac_f32_e32 v30, v30, v19
	v_fmac_f32_e32 v31, v31, v20
	;; [unrolled: 1-line block ×8, first 2 shown]
	v_add_f32_e32 v19, v29, v29
	v_add_f32_e32 v20, v32, v32
	;; [unrolled: 1-line block ×4, first 2 shown]
	v_cndmask_b32_e32 v19, v29, v19, vcc
	v_cndmask_b32_e64 v20, v32, v20, s[0:1]
	v_cmp_nlt_f32_e32 vcc, s26, v18
	v_cndmask_b32_e64 v18, v34, v21, s[2:3]
	v_cmp_nlt_f32_e64 s[0:1], s26, v23
	v_cndmask_b32_e64 v21, v35, v22, s[6:7]
	v_cmp_nlt_f32_e64 s[2:3], s26, v24
	v_cmp_nlt_f32_e64 s[6:7], s26, v17
	v_cndmask_b32_e64 v17, v10, v19, s[6:7]
	v_cndmask_b32_e32 v19, v10, v20, vcc
	v_cndmask_b32_e64 v18, v10, v18, s[0:1]
	v_cndmask_b32_e64 v20, v10, v21, s[2:3]
	v_cvt_f16_f32_e32 v17, v17
	v_cvt_f16_f32_e32 v19, v19
	;; [unrolled: 1-line block ×4, first 2 shown]
	v_cmp_nlt_f16_sdwa vcc, v13, s27 src0_sel:WORD_1 src1_sel:DWORD
	v_cmp_ngt_f16_e64 s[0:1], s27, v14
	v_cmp_nlt_f16_sdwa s[2:3], v14, s27 src0_sel:WORD_1 src1_sel:DWORD
	v_cmp_ngt_f16_e64 s[6:7], s27, v13
	v_cndmask_b32_e64 v13, v11, v17, s[6:7]
	v_cndmask_b32_e32 v17, v11, v19, vcc
	v_cndmask_b32_e64 v14, v11, v18, s[0:1]
	v_cndmask_b32_e64 v18, v11, v20, s[2:3]
	v_pack_b32_f16 v14, v14, v18
	v_pack_b32_f16 v13, v13, v17
	global_store_dwordx2 v[15:16], v[13:14], off
	s_andn2_b64 exec, exec, s[20:21]
	s_cbranch_execnz .LBB145_3
.LBB145_4:
	s_or_b64 exec, exec, s[18:19]
	s_mov_b64 s[0:1], 0
.LBB145_5:
	s_andn2_b64 vcc, exec, s[0:1]
	s_cbranch_vccnz .LBB145_25
; %bb.6:
	v_cmp_lt_i64_e64 s[0:1], s[16:17], 1
	s_and_b64 vcc, exec, s[0:1]
	s_cbranch_vccnz .LBB145_25
; %bb.7:
	v_mov_b32_e32 v1, 0x10000
	s_load_dword s2, s[4:5], 0xc5c
	v_mov_b32_e32 v2, 0
	v_cmp_lt_i64_e32 vcc, s[16:17], v[1:2]
	v_mov_b32_e32 v10, 0
	s_and_b64 s[0:1], vcc, exec
	v_cmp_lt_u64_e32 vcc, s[16:17], v[1:2]
	s_cselect_b32 s13, s17, 0
	s_cselect_b32 s12, s16, 0x10000
	s_waitcnt lgkmcnt(0)
	s_and_b32 s2, s2, 0xffff
	v_lshlrev_b32_e32 v9, 1, v0
	s_and_b64 s[0:1], vcc, exec
	v_mov_b32_e32 v2, s15
	v_add_co_u32_e32 v1, vcc, s14, v9
	v_mad_u64_u32 v[7:8], s[0:1], s2, 6, v[9:10]
	v_addc_co_u32_e32 v2, vcc, 0, v2, vcc
	v_mov_b32_e32 v4, s11
	v_add_co_u32_e32 v3, vcc, s10, v9
	v_addc_co_u32_e32 v4, vcc, 0, v4, vcc
	v_mov_b32_e32 v6, s15
	v_add_co_u32_e32 v5, vcc, s14, v7
	;; [unrolled: 3-line block ×3, first 2 shown]
	s_cselect_b32 s17, s17, 0
	s_cselect_b32 s16, s16, 0x10000
	s_lshl_b32 s18, s2, 2
	v_addc_co_u32_e32 v8, vcc, v10, v8, vcc
	v_add_co_u32_e32 v11, vcc, s18, v9
	v_addc_co_u32_e64 v12, s[0:1], 0, 0, vcc
	v_mov_b32_e32 v10, s15
	v_add_co_u32_e32 v9, vcc, s14, v11
	v_addc_co_u32_e32 v10, vcc, v10, v12, vcc
	v_mov_b32_e32 v13, s11
	v_add_co_u32_e32 v11, vcc, s10, v11
	v_addc_co_u32_e32 v12, vcc, v13, v12, vcc
	v_add_co_u32_e32 v13, vcc, s2, v0
	v_lshlrev_b32_e32 v17, 1, v13
	v_addc_co_u32_e64 v14, s[0:1], 0, 0, vcc
	v_mov_b32_e32 v16, s15
	v_add_co_u32_e32 v15, vcc, s14, v17
	v_addc_co_u32_e32 v16, vcc, 0, v16, vcc
	v_mov_b32_e32 v18, s11
	v_add_co_u32_e32 v17, vcc, s10, v17
	s_mul_i32 s4, s2, 3
	v_addc_co_u32_e32 v18, vcc, 0, v18, vcc
	s_lshl_b32 s3, s2, 1
	v_add_co_u32_e32 v19, vcc, s4, v0
	v_addc_co_u32_e64 v20, s[0:1], 0, 0, vcc
	v_add_co_u32_e32 v21, vcc, s3, v0
	s_lshl_b32 s19, s2, 3
	s_mov_b64 s[10:11], 0
	s_mov_b32 s20, 0x43000000
	s_mov_b32 s21, 0xbf317218
	s_mov_b32 s22, 0x42b17217
	s_mov_b32 s23, 0xcc40
	v_addc_co_u32_e64 v22, s[0:1], 0, 0, vcc
	v_mov_b32_e32 v23, 0x3c0887f9
	v_mov_b32_e32 v24, 0x3d2aaa81
	;; [unrolled: 1-line block ×6, first 2 shown]
	s_branch .LBB145_9
.LBB145_8:                              ;   in Loop: Header=BB145_9 Depth=1
	s_or_b64 exec, exec, s[0:1]
	v_add_co_u32_e32 v1, vcc, s19, v1
	v_addc_co_u32_e32 v2, vcc, 0, v2, vcc
	v_add_co_u32_e32 v3, vcc, s19, v3
	v_addc_co_u32_e32 v4, vcc, 0, v4, vcc
	;; [unrolled: 2-line block ×6, first 2 shown]
	s_add_u32 s10, s10, s18
	v_add_co_u32_e32 v15, vcc, s19, v15
	s_waitcnt vmcnt(0)
	v_mov_b32_e32 v30, s13
	s_addc_u32 s11, s11, 0
	v_addc_co_u32_e32 v16, vcc, 0, v16, vcc
	v_mov_b32_e32 v29, s12
	v_cmp_ge_i64_e32 vcc, s[10:11], v[29:30]
	v_add_co_u32_e64 v17, s[0:1], s19, v17
	v_addc_co_u32_e64 v18, s[0:1], 0, v18, s[0:1]
	s_cbranch_vccnz .LBB145_25
.LBB145_9:                              ; =>This Inner Loop Header: Depth=1
	v_mov_b32_e32 v30, s11
	v_add_co_u32_e32 v29, vcc, s10, v0
	v_addc_co_u32_e32 v30, vcc, 0, v30, vcc
	v_cmp_gt_u64_e64 s[4:5], s[16:17], v[29:30]
	v_mov_b32_e32 v32, 0
	s_and_saveexec_b64 s[0:1], s[4:5]
	s_cbranch_execz .LBB145_11
; %bb.10:                               ;   in Loop: Header=BB145_9 Depth=1
	v_mov_b32_e32 v30, s9
	v_add_co_u32_e32 v29, vcc, s8, v1
	v_addc_co_u32_e32 v30, vcc, v2, v30, vcc
	global_load_ushort v32, v[29:30], off
.LBB145_11:                             ;   in Loop: Header=BB145_9 Depth=1
	s_or_b64 exec, exec, s[0:1]
	v_mov_b32_e32 v30, s11
	v_add_co_u32_e32 v29, vcc, s10, v13
	v_addc_co_u32_e32 v30, vcc, v14, v30, vcc
	v_cmp_gt_u64_e64 s[2:3], s[16:17], v[29:30]
	v_mov_b32_e32 v30, 0
	v_mov_b32_e32 v31, 0
	s_and_saveexec_b64 s[0:1], s[2:3]
	s_cbranch_execz .LBB145_13
; %bb.12:                               ;   in Loop: Header=BB145_9 Depth=1
	v_mov_b32_e32 v29, s9
	v_add_co_u32_e32 v33, vcc, s8, v15
	v_addc_co_u32_e32 v34, vcc, v16, v29, vcc
	global_load_ushort v31, v[33:34], off
.LBB145_13:                             ;   in Loop: Header=BB145_9 Depth=1
	s_or_b64 exec, exec, s[0:1]
	v_mov_b32_e32 v29, s11
	v_add_co_u32_e32 v33, vcc, s10, v21
	v_addc_co_u32_e32 v34, vcc, v22, v29, vcc
	v_cmp_gt_u64_e64 s[0:1], s[16:17], v[33:34]
	s_and_saveexec_b64 s[6:7], s[0:1]
	s_cbranch_execz .LBB145_15
; %bb.14:                               ;   in Loop: Header=BB145_9 Depth=1
	v_mov_b32_e32 v30, s9
	v_add_co_u32_e32 v29, vcc, s8, v9
	v_addc_co_u32_e32 v30, vcc, v10, v30, vcc
	global_load_ushort v30, v[29:30], off
.LBB145_15:                             ;   in Loop: Header=BB145_9 Depth=1
	s_or_b64 exec, exec, s[6:7]
	v_mov_b32_e32 v29, s11
	v_add_co_u32_e32 v33, vcc, s10, v19
	v_addc_co_u32_e32 v34, vcc, v20, v29, vcc
	v_cmp_gt_u64_e32 vcc, s[16:17], v[33:34]
	v_mov_b32_e32 v29, 0
	s_and_saveexec_b64 s[14:15], vcc
	s_cbranch_execnz .LBB145_20
; %bb.16:                               ;   in Loop: Header=BB145_9 Depth=1
	s_or_b64 exec, exec, s[14:15]
	s_and_saveexec_b64 s[6:7], s[4:5]
	s_cbranch_execnz .LBB145_21
.LBB145_17:                             ;   in Loop: Header=BB145_9 Depth=1
	s_or_b64 exec, exec, s[6:7]
	s_and_saveexec_b64 s[4:5], s[2:3]
	s_cbranch_execnz .LBB145_22
.LBB145_18:                             ;   in Loop: Header=BB145_9 Depth=1
	s_or_b64 exec, exec, s[4:5]
	s_and_saveexec_b64 s[2:3], s[0:1]
	s_cbranch_execnz .LBB145_23
.LBB145_19:                             ;   in Loop: Header=BB145_9 Depth=1
	s_or_b64 exec, exec, s[2:3]
	s_and_saveexec_b64 s[0:1], vcc
	s_cbranch_execz .LBB145_8
	s_branch .LBB145_24
.LBB145_20:                             ;   in Loop: Header=BB145_9 Depth=1
	v_mov_b32_e32 v29, s9
	v_add_co_u32_e64 v33, s[6:7], s8, v5
	v_addc_co_u32_e64 v34, s[6:7], v6, v29, s[6:7]
	global_load_ushort v29, v[33:34], off
	s_or_b64 exec, exec, s[14:15]
	s_and_saveexec_b64 s[6:7], s[4:5]
	s_cbranch_execz .LBB145_17
.LBB145_21:                             ;   in Loop: Header=BB145_9 Depth=1
	s_waitcnt vmcnt(0)
	v_cvt_f32_f16_e32 v33, v32
	v_mov_b32_e32 v34, 0x3ab69700
	v_mul_f32_e32 v35, 0x3fb8aa3b, v33
	v_rndne_f32_e32 v35, v35
	v_fma_mix_f32 v37, v35, s21, v32 op_sel_hi:[0,0,1]
	v_fmac_f32_e32 v37, 0x3102e308, v35
	v_cvt_i32_f32_e32 v36, v35
	v_fmac_f32_e32 v34, 0x395133b1, v37
	v_fma_f32 v34, v37, v34, v23
	v_fma_f32 v34, v37, v34, v24
	;; [unrolled: 1-line block ×3, first 2 shown]
	v_cmp_eq_f32_e64 s[4:5], s20, v35
	v_ldexp_f32 v35, 1.0, v36
	v_fma_f32 v34, v37, v34, 0.5
	v_cndmask_b32_e64 v35, v35, v26, s[4:5]
	v_mul_f32_e32 v34, v37, v34
	v_fmac_f32_e32 v37, v37, v34
	v_add_f32_e32 v34, -1.0, v35
	v_fmac_f32_e32 v34, v35, v37
	v_add_f32_e32 v35, v34, v34
	v_cndmask_b32_e64 v34, v34, v35, s[4:5]
	v_cmp_nlt_f32_e64 s[4:5], s22, v33
	v_cndmask_b32_e64 v33, v27, v34, s[4:5]
	v_cvt_f16_f32_e32 v33, v33
	v_cmp_ngt_f16_e64 s[4:5], s23, v32
	v_cndmask_b32_e64 v34, v28, v33, s[4:5]
	v_mov_b32_e32 v33, s9
	v_add_co_u32_e64 v32, s[4:5], s8, v3
	v_addc_co_u32_e64 v33, s[4:5], v4, v33, s[4:5]
	global_store_short v[32:33], v34, off
	s_or_b64 exec, exec, s[6:7]
	s_and_saveexec_b64 s[4:5], s[2:3]
	s_cbranch_execz .LBB145_18
.LBB145_22:                             ;   in Loop: Header=BB145_9 Depth=1
	s_waitcnt vmcnt(0)
	v_cvt_f32_f16_e32 v32, v31
	v_mov_b32_e32 v33, 0x3ab69700
	v_mul_f32_e32 v34, 0x3fb8aa3b, v32
	v_rndne_f32_e32 v34, v34
	v_fma_mix_f32 v35, v34, s21, v31 op_sel_hi:[0,0,1]
	v_fmac_f32_e32 v35, 0x3102e308, v34
	v_fmac_f32_e32 v33, 0x395133b1, v35
	v_cvt_i32_f32_e32 v36, v34
	v_fma_f32 v33, v35, v33, v23
	v_fma_f32 v33, v35, v33, v24
	;; [unrolled: 1-line block ×3, first 2 shown]
	v_fma_f32 v33, v35, v33, 0.5
	v_ldexp_f32 v36, 1.0, v36
	v_mul_f32_e32 v33, v35, v33
	v_cmp_eq_f32_e64 s[2:3], s20, v34
	v_fmac_f32_e32 v35, v35, v33
	v_cndmask_b32_e64 v33, v36, v26, s[2:3]
	v_add_f32_e32 v34, -1.0, v33
	v_fmac_f32_e32 v34, v33, v35
	v_add_f32_e32 v33, v34, v34
	v_cndmask_b32_e64 v33, v34, v33, s[2:3]
	v_cmp_nlt_f32_e64 s[2:3], s22, v32
	v_cndmask_b32_e64 v32, v27, v33, s[2:3]
	v_cvt_f16_f32_e32 v32, v32
	v_cmp_ngt_f16_e64 s[2:3], s23, v31
	v_cndmask_b32_e64 v33, v28, v32, s[2:3]
	v_mov_b32_e32 v32, s9
	v_add_co_u32_e64 v31, s[2:3], s8, v17
	v_addc_co_u32_e64 v32, s[2:3], v18, v32, s[2:3]
	global_store_short v[31:32], v33, off
	s_or_b64 exec, exec, s[4:5]
	s_and_saveexec_b64 s[2:3], s[0:1]
	s_cbranch_execz .LBB145_19
.LBB145_23:                             ;   in Loop: Header=BB145_9 Depth=1
	s_waitcnt vmcnt(0)
	v_cvt_f32_f16_e32 v31, v30
	v_mov_b32_e32 v32, 0x3ab69700
	v_mul_f32_e32 v33, 0x3fb8aa3b, v31
	v_rndne_f32_e32 v33, v33
	v_fma_mix_f32 v34, v33, s21, v30 op_sel_hi:[0,0,1]
	v_fmac_f32_e32 v34, 0x3102e308, v33
	v_fmac_f32_e32 v32, 0x395133b1, v34
	v_cvt_i32_f32_e32 v35, v33
	v_fma_f32 v32, v34, v32, v23
	v_fma_f32 v32, v34, v32, v24
	;; [unrolled: 1-line block ×3, first 2 shown]
	v_fma_f32 v32, v34, v32, 0.5
	v_ldexp_f32 v35, 1.0, v35
	v_mul_f32_e32 v32, v34, v32
	v_cmp_eq_f32_e64 s[0:1], s20, v33
	v_fmac_f32_e32 v34, v34, v32
	v_cndmask_b32_e64 v32, v35, v26, s[0:1]
	v_add_f32_e32 v33, -1.0, v32
	v_fmac_f32_e32 v33, v32, v34
	v_add_f32_e32 v32, v33, v33
	v_cndmask_b32_e64 v32, v33, v32, s[0:1]
	v_cmp_nlt_f32_e64 s[0:1], s22, v31
	v_cndmask_b32_e64 v31, v27, v32, s[0:1]
	v_cvt_f16_f32_e32 v31, v31
	v_cmp_ngt_f16_e64 s[0:1], s23, v30
	v_cndmask_b32_e64 v32, v28, v31, s[0:1]
	v_mov_b32_e32 v31, s9
	v_add_co_u32_e64 v30, s[0:1], s8, v11
	v_addc_co_u32_e64 v31, s[0:1], v12, v31, s[0:1]
	global_store_short v[30:31], v32, off
	s_or_b64 exec, exec, s[2:3]
	s_and_saveexec_b64 s[0:1], vcc
	s_cbranch_execz .LBB145_8
.LBB145_24:                             ;   in Loop: Header=BB145_9 Depth=1
	s_waitcnt vmcnt(0)
	v_cvt_f32_f16_e32 v30, v29
	v_mov_b32_e32 v31, 0x3ab69700
	v_mul_f32_e32 v32, 0x3fb8aa3b, v30
	v_rndne_f32_e32 v32, v32
	v_fma_mix_f32 v33, v32, s21, v29 op_sel_hi:[0,0,1]
	v_fmac_f32_e32 v33, 0x3102e308, v32
	v_fmac_f32_e32 v31, 0x395133b1, v33
	v_cvt_i32_f32_e32 v34, v32
	v_fma_f32 v31, v33, v31, v23
	v_fma_f32 v31, v33, v31, v24
	;; [unrolled: 1-line block ×3, first 2 shown]
	v_fma_f32 v31, v33, v31, 0.5
	v_ldexp_f32 v34, 1.0, v34
	v_mul_f32_e32 v31, v33, v31
	v_cmp_eq_f32_e32 vcc, s20, v32
	v_fmac_f32_e32 v33, v33, v31
	v_cndmask_b32_e32 v31, v34, v26, vcc
	v_add_f32_e32 v32, -1.0, v31
	v_fmac_f32_e32 v32, v31, v33
	v_add_f32_e32 v31, v32, v32
	v_cndmask_b32_e32 v31, v32, v31, vcc
	v_cmp_nlt_f32_e32 vcc, s22, v30
	v_cndmask_b32_e32 v30, v27, v31, vcc
	v_cvt_f16_f32_e32 v30, v30
	v_cmp_ngt_f16_e32 vcc, s23, v29
	v_cndmask_b32_e32 v31, v28, v30, vcc
	v_mov_b32_e32 v30, s9
	v_add_co_u32_e32 v29, vcc, s8, v7
	v_addc_co_u32_e32 v30, vcc, v8, v30, vcc
	global_store_short v[29:30], v31, off
	s_branch .LBB145_8
.LBB145_25:
	s_endpgm
	.section	.rodata,"a",@progbits
	.p2align	6, 0x0
	.amdhsa_kernel _ZN2at6native12_GLOBAL__N_125multi_tensor_apply_kernelINS1_18TensorListMetadataILi2EEENS1_14UnaryOpFunctorIN3c104HalfELi2ELi1ELi1EEEJNS0_5Expm1IfEEEEEvT_T0_DpT1_
		.amdhsa_group_segment_fixed_size 0
		.amdhsa_private_segment_fixed_size 0
		.amdhsa_kernarg_size 3408
		.amdhsa_user_sgpr_count 6
		.amdhsa_user_sgpr_private_segment_buffer 1
		.amdhsa_user_sgpr_dispatch_ptr 0
		.amdhsa_user_sgpr_queue_ptr 0
		.amdhsa_user_sgpr_kernarg_segment_ptr 1
		.amdhsa_user_sgpr_dispatch_id 0
		.amdhsa_user_sgpr_flat_scratch_init 0
		.amdhsa_user_sgpr_private_segment_size 0
		.amdhsa_uses_dynamic_stack 0
		.amdhsa_system_sgpr_private_segment_wavefront_offset 0
		.amdhsa_system_sgpr_workgroup_id_x 1
		.amdhsa_system_sgpr_workgroup_id_y 0
		.amdhsa_system_sgpr_workgroup_id_z 0
		.amdhsa_system_sgpr_workgroup_info 0
		.amdhsa_system_vgpr_workitem_id 0
		.amdhsa_next_free_vgpr 38
		.amdhsa_next_free_sgpr 28
		.amdhsa_reserve_vcc 1
		.amdhsa_reserve_flat_scratch 0
		.amdhsa_float_round_mode_32 0
		.amdhsa_float_round_mode_16_64 0
		.amdhsa_float_denorm_mode_32 3
		.amdhsa_float_denorm_mode_16_64 3
		.amdhsa_dx10_clamp 1
		.amdhsa_ieee_mode 1
		.amdhsa_fp16_overflow 0
		.amdhsa_exception_fp_ieee_invalid_op 0
		.amdhsa_exception_fp_denorm_src 0
		.amdhsa_exception_fp_ieee_div_zero 0
		.amdhsa_exception_fp_ieee_overflow 0
		.amdhsa_exception_fp_ieee_underflow 0
		.amdhsa_exception_fp_ieee_inexact 0
		.amdhsa_exception_int_div_zero 0
	.end_amdhsa_kernel
	.section	.text._ZN2at6native12_GLOBAL__N_125multi_tensor_apply_kernelINS1_18TensorListMetadataILi2EEENS1_14UnaryOpFunctorIN3c104HalfELi2ELi1ELi1EEEJNS0_5Expm1IfEEEEEvT_T0_DpT1_,"axG",@progbits,_ZN2at6native12_GLOBAL__N_125multi_tensor_apply_kernelINS1_18TensorListMetadataILi2EEENS1_14UnaryOpFunctorIN3c104HalfELi2ELi1ELi1EEEJNS0_5Expm1IfEEEEEvT_T0_DpT1_,comdat
.Lfunc_end145:
	.size	_ZN2at6native12_GLOBAL__N_125multi_tensor_apply_kernelINS1_18TensorListMetadataILi2EEENS1_14UnaryOpFunctorIN3c104HalfELi2ELi1ELi1EEEJNS0_5Expm1IfEEEEEvT_T0_DpT1_, .Lfunc_end145-_ZN2at6native12_GLOBAL__N_125multi_tensor_apply_kernelINS1_18TensorListMetadataILi2EEENS1_14UnaryOpFunctorIN3c104HalfELi2ELi1ELi1EEEJNS0_5Expm1IfEEEEEvT_T0_DpT1_
                                        ; -- End function
	.set _ZN2at6native12_GLOBAL__N_125multi_tensor_apply_kernelINS1_18TensorListMetadataILi2EEENS1_14UnaryOpFunctorIN3c104HalfELi2ELi1ELi1EEEJNS0_5Expm1IfEEEEEvT_T0_DpT1_.num_vgpr, 38
	.set _ZN2at6native12_GLOBAL__N_125multi_tensor_apply_kernelINS1_18TensorListMetadataILi2EEENS1_14UnaryOpFunctorIN3c104HalfELi2ELi1ELi1EEEJNS0_5Expm1IfEEEEEvT_T0_DpT1_.num_agpr, 0
	.set _ZN2at6native12_GLOBAL__N_125multi_tensor_apply_kernelINS1_18TensorListMetadataILi2EEENS1_14UnaryOpFunctorIN3c104HalfELi2ELi1ELi1EEEJNS0_5Expm1IfEEEEEvT_T0_DpT1_.numbered_sgpr, 28
	.set _ZN2at6native12_GLOBAL__N_125multi_tensor_apply_kernelINS1_18TensorListMetadataILi2EEENS1_14UnaryOpFunctorIN3c104HalfELi2ELi1ELi1EEEJNS0_5Expm1IfEEEEEvT_T0_DpT1_.num_named_barrier, 0
	.set _ZN2at6native12_GLOBAL__N_125multi_tensor_apply_kernelINS1_18TensorListMetadataILi2EEENS1_14UnaryOpFunctorIN3c104HalfELi2ELi1ELi1EEEJNS0_5Expm1IfEEEEEvT_T0_DpT1_.private_seg_size, 0
	.set _ZN2at6native12_GLOBAL__N_125multi_tensor_apply_kernelINS1_18TensorListMetadataILi2EEENS1_14UnaryOpFunctorIN3c104HalfELi2ELi1ELi1EEEJNS0_5Expm1IfEEEEEvT_T0_DpT1_.uses_vcc, 1
	.set _ZN2at6native12_GLOBAL__N_125multi_tensor_apply_kernelINS1_18TensorListMetadataILi2EEENS1_14UnaryOpFunctorIN3c104HalfELi2ELi1ELi1EEEJNS0_5Expm1IfEEEEEvT_T0_DpT1_.uses_flat_scratch, 0
	.set _ZN2at6native12_GLOBAL__N_125multi_tensor_apply_kernelINS1_18TensorListMetadataILi2EEENS1_14UnaryOpFunctorIN3c104HalfELi2ELi1ELi1EEEJNS0_5Expm1IfEEEEEvT_T0_DpT1_.has_dyn_sized_stack, 0
	.set _ZN2at6native12_GLOBAL__N_125multi_tensor_apply_kernelINS1_18TensorListMetadataILi2EEENS1_14UnaryOpFunctorIN3c104HalfELi2ELi1ELi1EEEJNS0_5Expm1IfEEEEEvT_T0_DpT1_.has_recursion, 0
	.set _ZN2at6native12_GLOBAL__N_125multi_tensor_apply_kernelINS1_18TensorListMetadataILi2EEENS1_14UnaryOpFunctorIN3c104HalfELi2ELi1ELi1EEEJNS0_5Expm1IfEEEEEvT_T0_DpT1_.has_indirect_call, 0
	.section	.AMDGPU.csdata,"",@progbits
; Kernel info:
; codeLenInByte = 2704
; TotalNumSgprs: 32
; NumVgprs: 38
; ScratchSize: 0
; MemoryBound: 0
; FloatMode: 240
; IeeeMode: 1
; LDSByteSize: 0 bytes/workgroup (compile time only)
; SGPRBlocks: 3
; VGPRBlocks: 9
; NumSGPRsForWavesPerEU: 32
; NumVGPRsForWavesPerEU: 38
; Occupancy: 6
; WaveLimiterHint : 0
; COMPUTE_PGM_RSRC2:SCRATCH_EN: 0
; COMPUTE_PGM_RSRC2:USER_SGPR: 6
; COMPUTE_PGM_RSRC2:TRAP_HANDLER: 0
; COMPUTE_PGM_RSRC2:TGID_X_EN: 1
; COMPUTE_PGM_RSRC2:TGID_Y_EN: 0
; COMPUTE_PGM_RSRC2:TGID_Z_EN: 0
; COMPUTE_PGM_RSRC2:TIDIG_COMP_CNT: 0
	.section	.text._ZN2at6native12_GLOBAL__N_125multi_tensor_apply_kernelINS1_18TensorListMetadataILi2EEENS1_14UnaryOpFunctorIN3c108BFloat16ELi2ELi1ELi1EEEJNS0_5Expm1IfEEEEEvT_T0_DpT1_,"axG",@progbits,_ZN2at6native12_GLOBAL__N_125multi_tensor_apply_kernelINS1_18TensorListMetadataILi2EEENS1_14UnaryOpFunctorIN3c108BFloat16ELi2ELi1ELi1EEEJNS0_5Expm1IfEEEEEvT_T0_DpT1_,comdat
	.globl	_ZN2at6native12_GLOBAL__N_125multi_tensor_apply_kernelINS1_18TensorListMetadataILi2EEENS1_14UnaryOpFunctorIN3c108BFloat16ELi2ELi1ELi1EEEJNS0_5Expm1IfEEEEEvT_T0_DpT1_ ; -- Begin function _ZN2at6native12_GLOBAL__N_125multi_tensor_apply_kernelINS1_18TensorListMetadataILi2EEENS1_14UnaryOpFunctorIN3c108BFloat16ELi2ELi1ELi1EEEJNS0_5Expm1IfEEEEEvT_T0_DpT1_
	.p2align	8
	.type	_ZN2at6native12_GLOBAL__N_125multi_tensor_apply_kernelINS1_18TensorListMetadataILi2EEENS1_14UnaryOpFunctorIN3c108BFloat16ELi2ELi1ELi1EEEJNS0_5Expm1IfEEEEEvT_T0_DpT1_,@function
_ZN2at6native12_GLOBAL__N_125multi_tensor_apply_kernelINS1_18TensorListMetadataILi2EEENS1_14UnaryOpFunctorIN3c108BFloat16ELi2ELi1ELi1EEEJNS0_5Expm1IfEEEEEvT_T0_DpT1_: ; @_ZN2at6native12_GLOBAL__N_125multi_tensor_apply_kernelINS1_18TensorListMetadataILi2EEENS1_14UnaryOpFunctorIN3c108BFloat16ELi2ELi1ELi1EEEJNS0_5Expm1IfEEEEEvT_T0_DpT1_
; %bb.0:
	v_mov_b32_e32 v1, s6
	global_load_ubyte v1, v1, s[4:5] offset:1536
	s_add_u32 s0, s4, s6
	s_mul_hi_u32 s2, s6, 3
	s_mul_i32 s6, s6, 3
	s_addc_u32 s7, s5, 0
	s_add_u32 s6, s0, s6
	s_addc_u32 s7, s7, s2
	s_load_dword s6, s[6:7], 0x740
	s_mov_b32 s1, 0
	s_mov_b32 s3, s1
	s_waitcnt lgkmcnt(0)
	s_ashr_i32 s7, s6, 31
	s_lshl_b64 s[8:9], s[6:7], 17
	s_lshl_b64 s[6:7], s[6:7], 16
	s_waitcnt vmcnt(0)
	v_readfirstlane_b32 s0, v1
	s_lshl_b32 s0, s0, 3
	s_load_dwordx2 s[14:15], s[4:5], s0 offset:0x400
	s_load_dwordx2 s[12:13], s[4:5], s0 offset:0x0
	;; [unrolled: 1-line block ×3, first 2 shown]
	s_waitcnt lgkmcnt(0)
	s_add_u32 s0, s12, s8
	s_and_b32 s2, s10, 7
	s_and_b32 s0, s0, 7
	s_sub_u32 s16, s14, s6
	s_subb_u32 s17, s15, s7
	s_and_b32 s6, s14, 3
	s_mov_b32 s7, s1
	s_or_b64 s[2:3], s[2:3], s[6:7]
	s_or_b64 s[0:1], s[2:3], s[0:1]
	s_cmp_eq_u64 s[0:1], 0
	s_mov_b64 s[0:1], -1
	s_cbranch_scc0 .LBB146_5
; %bb.1:
	v_mov_b32_e32 v1, 0x10000
	v_mov_b32_e32 v2, 0
	v_cmp_lt_i64_e32 vcc, s[16:17], v[1:2]
	v_mov_b32_e32 v2, 0
	s_and_b64 s[0:1], vcc, exec
	s_cselect_b32 s15, s17, 0
	s_cselect_b32 s14, s16, 0x10000
	v_lshlrev_b32_e32 v1, 2, v0
	v_cmp_gt_i64_e32 vcc, s[14:15], v[1:2]
	s_and_saveexec_b64 s[18:19], vcc
	s_cbranch_execz .LBB146_4
; %bb.2:
	s_load_dword s0, s[4:5], 0xc5c
	v_mov_b32_e32 v1, v2
	v_lshlrev_b32_e32 v2, 3, v0
	v_mov_b32_e32 v4, s9
	v_add_co_u32_e32 v3, vcc, s8, v2
	s_waitcnt lgkmcnt(0)
	s_and_b32 s22, s0, 0xffff
	v_mov_b32_e32 v2, v1
	v_addc_co_u32_e32 v4, vcc, 0, v4, vcc
	s_lshl_b32 s23, s22, 3
	s_mov_b64 s[20:21], 0
	v_mov_b32_e32 v5, s13
	v_mov_b32_e32 v6, 0x3c0887f9
	v_mov_b32_e32 v7, 0x3d2aaa81
	v_mov_b32_e32 v8, 0x3e2aaaab
	s_mov_b32 s24, 0x43000000
	v_mov_b32_e32 v9, 0x7f000000
	s_mov_b32 s25, 0x42b17217
	v_mov_b32_e32 v10, 0x7f800000
	s_mov_b32 s26, 0xc1880000
	s_movk_i32 s27, 0x7fff
	v_mov_b32_e32 v11, s11
	v_mov_b32_e32 v12, 0x7fc00000
	;; [unrolled: 1-line block ×4, first 2 shown]
.LBB146_3:                              ; =>This Inner Loop Header: Depth=1
	v_add_co_u32_e32 v14, vcc, s12, v3
	v_addc_co_u32_e32 v15, vcc, v5, v4, vcc
	global_load_dwordx2 v[14:15], v[14:15], off
	v_add_co_u32_e32 v16, vcc, s10, v3
	v_addc_co_u32_e32 v17, vcc, v11, v4, vcc
	v_add_co_u32_e32 v1, vcc, s22, v1
	v_addc_co_u32_e32 v2, vcc, 0, v2, vcc
	v_add_co_u32_e32 v3, vcc, s23, v3
	v_lshlrev_b64 v[18:19], 2, v[1:2]
	v_addc_co_u32_e32 v4, vcc, 0, v4, vcc
	v_cmp_le_i64_e32 vcc, s[14:15], v[18:19]
	v_mov_b32_e32 v20, 0x3ab69700
	v_mov_b32_e32 v21, 0x3ab69700
	;; [unrolled: 1-line block ×4, first 2 shown]
	s_or_b64 s[20:21], vcc, s[20:21]
	s_waitcnt vmcnt(0)
	v_and_b32_e32 v18, 0xffff0000, v14
	v_lshlrev_b32_e32 v19, 16, v14
	v_alignbit_b32 v14, v15, v14, 16
	v_and_b32_e32 v15, 0xffff0000, v15
	v_mul_f32_e32 v24, 0x3fb8aa3b, v19
	v_mul_f32_e32 v26, 0x3fb8aa3b, v18
	v_and_b32_e32 v14, 0xffff0000, v14
	v_mul_f32_e32 v28, 0x3fb8aa3b, v15
	v_mov_b32_e32 v25, v19
	v_mov_b32_e32 v27, v18
	;; [unrolled: 1-line block ×3, first 2 shown]
	v_rndne_f32_e32 v24, v24
	v_rndne_f32_e32 v26, v26
	v_mul_f32_e32 v30, 0x3fb8aa3b, v14
	v_rndne_f32_e32 v28, v28
	v_mov_b32_e32 v31, v14
	v_fmac_f32_e32 v25, 0xbf317218, v24
	v_fmac_f32_e32 v27, 0xbf317218, v26
	v_rndne_f32_e32 v30, v30
	v_fmac_f32_e32 v29, 0xbf317218, v28
	v_fmac_f32_e32 v25, 0x3102e308, v24
	;; [unrolled: 1-line block ×5, first 2 shown]
	v_cvt_i32_f32_e32 v32, v24
	v_cvt_i32_f32_e32 v33, v26
	;; [unrolled: 1-line block ×3, first 2 shown]
	v_fmac_f32_e32 v20, 0x395133b1, v25
	v_fmac_f32_e32 v21, 0x395133b1, v27
	;; [unrolled: 1-line block ×4, first 2 shown]
	v_cvt_i32_f32_e32 v35, v30
	v_fma_f32 v20, v25, v20, v6
	v_fma_f32 v21, v27, v21, v6
	v_fmac_f32_e32 v22, 0x395133b1, v31
	v_fma_f32 v23, v29, v23, v6
	v_fma_f32 v20, v25, v20, v7
	;; [unrolled: 1-line block ×9, first 2 shown]
	v_ldexp_f32 v32, 1.0, v32
	v_cmp_eq_f32_e32 vcc, s24, v24
	v_ldexp_f32 v24, 1.0, v33
	v_cmp_eq_f32_e64 s[0:1], s24, v26
	v_ldexp_f32 v26, 1.0, v34
	v_cmp_eq_f32_e64 s[2:3], s24, v28
	v_fma_f32 v20, v25, v20, 0.5
	v_fma_f32 v21, v27, v21, 0.5
	v_fma_f32 v22, v31, v22, v8
	v_fma_f32 v23, v29, v23, 0.5
	v_cndmask_b32_e32 v28, v32, v9, vcc
	v_cndmask_b32_e64 v24, v24, v9, s[0:1]
	v_ldexp_f32 v32, 1.0, v35
	v_cmp_eq_f32_e64 s[6:7], s24, v30
	v_cndmask_b32_e64 v26, v26, v9, s[2:3]
	v_mul_f32_e32 v20, v25, v20
	v_mul_f32_e32 v21, v27, v21
	v_fma_f32 v22, v31, v22, 0.5
	v_mul_f32_e32 v23, v29, v23
	v_add_f32_e32 v30, -1.0, v28
	v_add_f32_e32 v33, -1.0, v24
	v_cndmask_b32_e64 v32, v32, v9, s[6:7]
	v_add_f32_e32 v34, -1.0, v26
	v_fmac_f32_e32 v25, v25, v20
	v_fmac_f32_e32 v27, v27, v21
	;; [unrolled: 1-line block ×3, first 2 shown]
	v_mul_f32_e32 v20, v31, v22
	v_add_f32_e32 v35, -1.0, v32
	v_fmac_f32_e32 v30, v28, v25
	v_fmac_f32_e32 v33, v24, v27
	v_fmac_f32_e32 v31, v31, v20
	v_fmac_f32_e32 v34, v26, v29
	v_add_f32_e32 v20, v30, v30
	v_add_f32_e32 v21, v33, v33
	v_fmac_f32_e32 v35, v32, v31
	v_add_f32_e32 v22, v34, v34
	v_cndmask_b32_e32 v20, v30, v20, vcc
	v_cndmask_b32_e64 v21, v33, v21, s[0:1]
	v_cmp_nlt_f32_e32 vcc, s25, v18
	v_add_f32_e32 v23, v35, v35
	v_cndmask_b32_e64 v22, v34, v22, s[2:3]
	v_cmp_nlt_f32_e64 s[0:1], s25, v15
	v_cmp_nlt_f32_e64 s[2:3], s25, v19
	v_cndmask_b32_e64 v20, v10, v20, s[2:3]
	v_cndmask_b32_e32 v21, v10, v21, vcc
	v_cmp_ngt_f32_e32 vcc, s26, v18
	v_cndmask_b32_e64 v18, v35, v23, s[6:7]
	v_cmp_nlt_f32_e64 s[2:3], s25, v14
	v_cndmask_b32_e64 v22, v10, v22, s[0:1]
	v_cmp_ngt_f32_e64 s[0:1], s26, v15
	v_cmp_ngt_f32_e64 s[6:7], s26, v19
	v_cndmask_b32_e64 v15, -1.0, v20, s[6:7]
	v_cndmask_b32_e32 v19, -1.0, v21, vcc
	v_cndmask_b32_e64 v18, v10, v18, s[2:3]
	v_cmp_ngt_f32_e32 vcc, s26, v14
	v_cndmask_b32_e64 v14, -1.0, v22, s[0:1]
	v_bfe_u32 v20, v15, 16, 1
	v_bfe_u32 v21, v19, 16, 1
	v_cndmask_b32_e32 v18, -1.0, v18, vcc
	v_bfe_u32 v22, v14, 16, 1
	v_add3_u32 v20, v15, v20, s27
	v_add3_u32 v21, v19, v21, s27
	v_bfe_u32 v23, v18, 16, 1
	v_add3_u32 v22, v14, v22, s27
	v_lshrrev_b32_e32 v20, 16, v20
	v_and_b32_e32 v21, 0xffff0000, v21
	v_add3_u32 v23, v18, v23, s27
	v_and_b32_e32 v22, 0xffff0000, v22
	v_cmp_o_f32_e32 vcc, v14, v14
	v_cmp_o_f32_e64 s[0:1], v19, v19
	v_cmp_o_f32_e64 s[2:3], v15, v15
	v_lshrrev_b32_e32 v14, 16, v23
	v_cndmask_b32_e32 v15, v12, v22, vcc
	v_cndmask_b32_e64 v19, v12, v21, s[0:1]
	v_cndmask_b32_e64 v20, v13, v20, s[2:3]
	v_cmp_o_f32_e32 vcc, v18, v18
	v_cndmask_b32_e32 v14, v13, v14, vcc
	v_or_b32_e32 v18, v20, v19
	v_or3_b32 v15, 0, v14, v15
	v_or3_b32 v14, v18, 0, 0
	global_store_dwordx2 v[16:17], v[14:15], off
	s_andn2_b64 exec, exec, s[20:21]
	s_cbranch_execnz .LBB146_3
.LBB146_4:
	s_or_b64 exec, exec, s[18:19]
	s_mov_b64 s[0:1], 0
.LBB146_5:
	s_andn2_b64 vcc, exec, s[0:1]
	s_cbranch_vccnz .LBB146_25
; %bb.6:
	v_cmp_lt_i64_e64 s[0:1], s[16:17], 1
	s_and_b64 vcc, exec, s[0:1]
	s_cbranch_vccnz .LBB146_25
; %bb.7:
	v_mov_b32_e32 v1, 0x10000
	s_load_dword s2, s[4:5], 0xc5c
	v_mov_b32_e32 v2, 0
	v_cmp_lt_i64_e32 vcc, s[16:17], v[1:2]
	v_mov_b32_e32 v10, 0
	s_and_b64 s[0:1], vcc, exec
	v_cmp_lt_u64_e32 vcc, s[16:17], v[1:2]
	s_cselect_b32 s15, s17, 0
	s_cselect_b32 s14, s16, 0x10000
	s_waitcnt lgkmcnt(0)
	s_and_b32 s2, s2, 0xffff
	v_lshlrev_b32_e32 v9, 1, v0
	s_and_b64 s[0:1], vcc, exec
	v_mov_b32_e32 v2, s13
	v_add_co_u32_e32 v1, vcc, s12, v9
	v_mad_u64_u32 v[7:8], s[0:1], s2, 6, v[9:10]
	v_addc_co_u32_e32 v2, vcc, 0, v2, vcc
	v_mov_b32_e32 v4, s11
	v_add_co_u32_e32 v3, vcc, s10, v9
	v_addc_co_u32_e32 v4, vcc, 0, v4, vcc
	v_mov_b32_e32 v6, s13
	v_add_co_u32_e32 v5, vcc, s12, v7
	;; [unrolled: 3-line block ×3, first 2 shown]
	s_cselect_b32 s17, s17, 0
	s_cselect_b32 s16, s16, 0x10000
	s_lshl_b32 s18, s2, 2
	v_addc_co_u32_e32 v8, vcc, v10, v8, vcc
	v_add_co_u32_e32 v11, vcc, s18, v9
	v_addc_co_u32_e64 v12, s[0:1], 0, 0, vcc
	v_mov_b32_e32 v10, s13
	v_add_co_u32_e32 v9, vcc, s12, v11
	v_addc_co_u32_e32 v10, vcc, v10, v12, vcc
	v_mov_b32_e32 v13, s11
	v_add_co_u32_e32 v11, vcc, s10, v11
	v_addc_co_u32_e32 v12, vcc, v13, v12, vcc
	v_add_co_u32_e32 v13, vcc, s2, v0
	v_lshlrev_b32_e32 v17, 1, v13
	v_addc_co_u32_e64 v14, s[0:1], 0, 0, vcc
	v_mov_b32_e32 v16, s13
	v_add_co_u32_e32 v15, vcc, s12, v17
	v_addc_co_u32_e32 v16, vcc, 0, v16, vcc
	v_mov_b32_e32 v18, s11
	v_add_co_u32_e32 v17, vcc, s10, v17
	s_mul_i32 s4, s2, 3
	v_addc_co_u32_e32 v18, vcc, 0, v18, vcc
	s_lshl_b32 s3, s2, 1
	v_add_co_u32_e32 v19, vcc, s4, v0
	v_addc_co_u32_e64 v20, s[0:1], 0, 0, vcc
	v_add_co_u32_e32 v21, vcc, s3, v0
	s_lshl_b32 s19, s2, 3
	s_mov_b64 s[10:11], 0
	s_mov_b32 s20, 0x43000000
	s_mov_b32 s21, 0x42b17217
	;; [unrolled: 1-line block ×3, first 2 shown]
	s_movk_i32 s23, 0x7fff
	v_addc_co_u32_e64 v22, s[0:1], 0, 0, vcc
	v_mov_b32_e32 v23, 0x3c0887f9
	v_mov_b32_e32 v24, 0x3d2aaa81
	;; [unrolled: 1-line block ×6, first 2 shown]
	s_branch .LBB146_9
.LBB146_8:                              ;   in Loop: Header=BB146_9 Depth=1
	s_or_b64 exec, exec, s[2:3]
	v_add_co_u32_e32 v1, vcc, s19, v1
	v_addc_co_u32_e32 v2, vcc, 0, v2, vcc
	v_add_co_u32_e32 v3, vcc, s19, v3
	v_addc_co_u32_e32 v4, vcc, 0, v4, vcc
	;; [unrolled: 2-line block ×6, first 2 shown]
	s_add_u32 s10, s10, s18
	v_add_co_u32_e32 v15, vcc, s19, v15
	v_mov_b32_e32 v30, s15
	s_addc_u32 s11, s11, 0
	v_addc_co_u32_e32 v16, vcc, 0, v16, vcc
	v_mov_b32_e32 v29, s14
	v_cmp_ge_i64_e32 vcc, s[10:11], v[29:30]
	v_add_co_u32_e64 v17, s[0:1], s19, v17
	v_addc_co_u32_e64 v18, s[0:1], 0, v18, s[0:1]
	s_cbranch_vccnz .LBB146_25
.LBB146_9:                              ; =>This Inner Loop Header: Depth=1
	v_mov_b32_e32 v30, s11
	v_add_co_u32_e32 v29, vcc, s10, v0
	v_addc_co_u32_e32 v30, vcc, 0, v30, vcc
	v_cmp_gt_u64_e32 vcc, s[16:17], v[29:30]
	v_mov_b32_e32 v32, 0
	s_and_saveexec_b64 s[2:3], vcc
	s_cbranch_execz .LBB146_11
; %bb.10:                               ;   in Loop: Header=BB146_9 Depth=1
	v_mov_b32_e32 v30, s9
	v_add_co_u32_e64 v29, s[0:1], s8, v1
	v_addc_co_u32_e64 v30, s[0:1], v2, v30, s[0:1]
	global_load_ushort v29, v[29:30], off
	s_waitcnt vmcnt(0)
	v_lshlrev_b32_e32 v32, 16, v29
.LBB146_11:                             ;   in Loop: Header=BB146_9 Depth=1
	s_or_b64 exec, exec, s[2:3]
	v_mov_b32_e32 v30, s11
	v_add_co_u32_e64 v29, s[0:1], s10, v13
	v_addc_co_u32_e64 v30, s[0:1], v14, v30, s[0:1]
	v_cmp_gt_u64_e64 s[4:5], s[16:17], v[29:30]
	v_mov_b32_e32 v29, 0
	v_mov_b32_e32 v31, 0
	s_and_saveexec_b64 s[2:3], s[4:5]
	s_cbranch_execz .LBB146_13
; %bb.12:                               ;   in Loop: Header=BB146_9 Depth=1
	v_mov_b32_e32 v31, s9
	v_add_co_u32_e64 v30, s[0:1], s8, v15
	v_addc_co_u32_e64 v31, s[0:1], v16, v31, s[0:1]
	global_load_ushort v30, v[30:31], off
	s_waitcnt vmcnt(0)
	v_lshlrev_b32_e32 v31, 16, v30
.LBB146_13:                             ;   in Loop: Header=BB146_9 Depth=1
	s_or_b64 exec, exec, s[2:3]
	v_mov_b32_e32 v30, s11
	v_add_co_u32_e64 v33, s[0:1], s10, v21
	v_addc_co_u32_e64 v34, s[0:1], v22, v30, s[0:1]
	v_cmp_gt_u64_e64 s[2:3], s[16:17], v[33:34]
	s_and_saveexec_b64 s[6:7], s[2:3]
	s_cbranch_execz .LBB146_15
; %bb.14:                               ;   in Loop: Header=BB146_9 Depth=1
	v_mov_b32_e32 v30, s9
	v_add_co_u32_e64 v29, s[0:1], s8, v9
	v_addc_co_u32_e64 v30, s[0:1], v10, v30, s[0:1]
	global_load_ushort v29, v[29:30], off
	s_waitcnt vmcnt(0)
	v_lshlrev_b32_e32 v29, 16, v29
.LBB146_15:                             ;   in Loop: Header=BB146_9 Depth=1
	s_or_b64 exec, exec, s[6:7]
	v_mov_b32_e32 v30, s11
	v_add_co_u32_e64 v33, s[0:1], s10, v19
	v_addc_co_u32_e64 v34, s[0:1], v20, v30, s[0:1]
	v_cmp_gt_u64_e64 s[0:1], s[16:17], v[33:34]
	v_mov_b32_e32 v30, 0
	s_and_saveexec_b64 s[12:13], s[0:1]
	s_cbranch_execnz .LBB146_20
; %bb.16:                               ;   in Loop: Header=BB146_9 Depth=1
	s_or_b64 exec, exec, s[12:13]
	s_and_saveexec_b64 s[6:7], vcc
	s_cbranch_execnz .LBB146_21
.LBB146_17:                             ;   in Loop: Header=BB146_9 Depth=1
	s_or_b64 exec, exec, s[6:7]
	s_and_saveexec_b64 s[6:7], s[4:5]
	s_cbranch_execnz .LBB146_22
.LBB146_18:                             ;   in Loop: Header=BB146_9 Depth=1
	s_or_b64 exec, exec, s[6:7]
	s_and_saveexec_b64 s[4:5], s[2:3]
	s_cbranch_execnz .LBB146_23
.LBB146_19:                             ;   in Loop: Header=BB146_9 Depth=1
	s_or_b64 exec, exec, s[4:5]
	s_and_saveexec_b64 s[2:3], s[0:1]
	s_cbranch_execz .LBB146_8
	s_branch .LBB146_24
.LBB146_20:                             ;   in Loop: Header=BB146_9 Depth=1
	v_mov_b32_e32 v30, s9
	v_add_co_u32_e64 v33, s[6:7], s8, v5
	v_addc_co_u32_e64 v34, s[6:7], v6, v30, s[6:7]
	global_load_ushort v30, v[33:34], off
	s_waitcnt vmcnt(0)
	v_lshlrev_b32_e32 v30, 16, v30
	s_or_b64 exec, exec, s[12:13]
	s_and_saveexec_b64 s[6:7], vcc
	s_cbranch_execz .LBB146_17
.LBB146_21:                             ;   in Loop: Header=BB146_9 Depth=1
	v_mul_f32_e32 v33, 0x3fb8aa3b, v32
	v_rndne_f32_e32 v33, v33
	v_mov_b32_e32 v35, v32
	v_fmac_f32_e32 v35, 0xbf317218, v33
	v_cvt_i32_f32_e32 v34, v33
	v_cmp_eq_f32_e32 vcc, s20, v33
	v_fmac_f32_e32 v35, 0x3102e308, v33
	v_mov_b32_e32 v33, 0x3ab69700
	v_fmac_f32_e32 v33, 0x395133b1, v35
	v_fma_f32 v33, v35, v33, v23
	v_fma_f32 v33, v35, v33, v24
	;; [unrolled: 1-line block ×3, first 2 shown]
	v_ldexp_f32 v34, 1.0, v34
	v_fma_f32 v33, v35, v33, 0.5
	v_cndmask_b32_e32 v34, v34, v26, vcc
	v_mul_f32_e32 v33, v35, v33
	v_fmac_f32_e32 v35, v35, v33
	v_add_f32_e32 v33, -1.0, v34
	v_fmac_f32_e32 v33, v34, v35
	v_add_f32_e32 v34, v33, v33
	v_cndmask_b32_e32 v33, v33, v34, vcc
	v_cmp_nlt_f32_e32 vcc, s21, v32
	v_cndmask_b32_e32 v33, v27, v33, vcc
	v_cmp_ngt_f32_e32 vcc, s22, v32
	v_cndmask_b32_e32 v32, -1.0, v33, vcc
	v_bfe_u32 v33, v32, 16, 1
	v_add3_u32 v33, v32, v33, s23
	v_cmp_o_f32_e32 vcc, v32, v32
	v_cndmask_b32_sdwa v34, v28, v33, vcc dst_sel:DWORD dst_unused:UNUSED_PAD src0_sel:DWORD src1_sel:WORD_1
	v_mov_b32_e32 v33, s9
	v_add_co_u32_e32 v32, vcc, s8, v3
	v_addc_co_u32_e32 v33, vcc, v4, v33, vcc
	global_store_short v[32:33], v34, off
	s_or_b64 exec, exec, s[6:7]
	s_and_saveexec_b64 s[6:7], s[4:5]
	s_cbranch_execz .LBB146_18
.LBB146_22:                             ;   in Loop: Header=BB146_9 Depth=1
	v_mul_f32_e32 v32, 0x3fb8aa3b, v31
	v_rndne_f32_e32 v32, v32
	v_mov_b32_e32 v33, v31
	v_fmac_f32_e32 v33, 0xbf317218, v32
	v_fmac_f32_e32 v33, 0x3102e308, v32
	v_mov_b32_e32 v34, 0x3ab69700
	v_fmac_f32_e32 v34, 0x395133b1, v33
	v_fma_f32 v34, v33, v34, v23
	v_fma_f32 v34, v33, v34, v24
	v_cvt_i32_f32_e32 v35, v32
	v_fma_f32 v34, v33, v34, v25
	v_fma_f32 v34, v33, v34, 0.5
	v_mul_f32_e32 v34, v33, v34
	v_fmac_f32_e32 v33, v33, v34
	v_ldexp_f32 v34, 1.0, v35
	v_cmp_eq_f32_e32 vcc, s20, v32
	v_cndmask_b32_e32 v32, v34, v26, vcc
	v_add_f32_e32 v34, -1.0, v32
	v_fmac_f32_e32 v34, v32, v33
	v_add_f32_e32 v32, v34, v34
	v_cndmask_b32_e32 v32, v34, v32, vcc
	v_cmp_nlt_f32_e32 vcc, s21, v31
	v_cndmask_b32_e32 v32, v27, v32, vcc
	v_cmp_ngt_f32_e32 vcc, s22, v31
	v_cndmask_b32_e32 v31, -1.0, v32, vcc
	v_bfe_u32 v32, v31, 16, 1
	v_add3_u32 v32, v31, v32, s23
	v_cmp_o_f32_e32 vcc, v31, v31
	v_cndmask_b32_sdwa v33, v28, v32, vcc dst_sel:DWORD dst_unused:UNUSED_PAD src0_sel:DWORD src1_sel:WORD_1
	v_mov_b32_e32 v32, s9
	v_add_co_u32_e32 v31, vcc, s8, v17
	v_addc_co_u32_e32 v32, vcc, v18, v32, vcc
	global_store_short v[31:32], v33, off
	s_or_b64 exec, exec, s[6:7]
	s_and_saveexec_b64 s[4:5], s[2:3]
	s_cbranch_execz .LBB146_19
.LBB146_23:                             ;   in Loop: Header=BB146_9 Depth=1
	v_mul_f32_e32 v31, 0x3fb8aa3b, v29
	v_rndne_f32_e32 v31, v31
	v_mov_b32_e32 v32, v29
	v_fmac_f32_e32 v32, 0xbf317218, v31
	v_fmac_f32_e32 v32, 0x3102e308, v31
	v_mov_b32_e32 v33, 0x3ab69700
	v_fmac_f32_e32 v33, 0x395133b1, v32
	v_fma_f32 v33, v32, v33, v23
	v_fma_f32 v33, v32, v33, v24
	v_cvt_i32_f32_e32 v34, v31
	v_fma_f32 v33, v32, v33, v25
	v_fma_f32 v33, v32, v33, 0.5
	v_mul_f32_e32 v33, v32, v33
	v_fmac_f32_e32 v32, v32, v33
	v_ldexp_f32 v33, 1.0, v34
	v_cmp_eq_f32_e32 vcc, s20, v31
	v_cndmask_b32_e32 v31, v33, v26, vcc
	v_add_f32_e32 v33, -1.0, v31
	v_fmac_f32_e32 v33, v31, v32
	v_add_f32_e32 v31, v33, v33
	v_cndmask_b32_e32 v31, v33, v31, vcc
	v_cmp_nlt_f32_e32 vcc, s21, v29
	v_cndmask_b32_e32 v31, v27, v31, vcc
	v_cmp_ngt_f32_e32 vcc, s22, v29
	v_cndmask_b32_e32 v29, -1.0, v31, vcc
	v_bfe_u32 v31, v29, 16, 1
	v_add3_u32 v31, v29, v31, s23
	v_cmp_o_f32_e32 vcc, v29, v29
	v_cndmask_b32_sdwa v29, v28, v31, vcc dst_sel:DWORD dst_unused:UNUSED_PAD src0_sel:DWORD src1_sel:WORD_1
	v_mov_b32_e32 v32, s9
	v_add_co_u32_e32 v31, vcc, s8, v11
	v_addc_co_u32_e32 v32, vcc, v12, v32, vcc
	global_store_short v[31:32], v29, off
	s_or_b64 exec, exec, s[4:5]
	s_and_saveexec_b64 s[2:3], s[0:1]
	s_cbranch_execz .LBB146_8
.LBB146_24:                             ;   in Loop: Header=BB146_9 Depth=1
	v_mul_f32_e32 v29, 0x3fb8aa3b, v30
	v_rndne_f32_e32 v29, v29
	v_mov_b32_e32 v31, v30
	v_fmac_f32_e32 v31, 0xbf317218, v29
	v_fmac_f32_e32 v31, 0x3102e308, v29
	v_mov_b32_e32 v32, 0x3ab69700
	v_fmac_f32_e32 v32, 0x395133b1, v31
	v_fma_f32 v32, v31, v32, v23
	v_fma_f32 v32, v31, v32, v24
	v_cvt_i32_f32_e32 v33, v29
	v_fma_f32 v32, v31, v32, v25
	v_fma_f32 v32, v31, v32, 0.5
	v_mul_f32_e32 v32, v31, v32
	v_fmac_f32_e32 v31, v31, v32
	v_ldexp_f32 v32, 1.0, v33
	v_cmp_eq_f32_e32 vcc, s20, v29
	v_cndmask_b32_e32 v29, v32, v26, vcc
	v_add_f32_e32 v32, -1.0, v29
	v_fmac_f32_e32 v32, v29, v31
	v_add_f32_e32 v29, v32, v32
	v_cndmask_b32_e32 v29, v32, v29, vcc
	v_cmp_nlt_f32_e32 vcc, s21, v30
	v_cndmask_b32_e32 v29, v27, v29, vcc
	v_cmp_ngt_f32_e32 vcc, s22, v30
	v_cndmask_b32_e32 v29, -1.0, v29, vcc
	v_bfe_u32 v30, v29, 16, 1
	v_add3_u32 v30, v29, v30, s23
	v_cmp_o_f32_e32 vcc, v29, v29
	v_cndmask_b32_sdwa v31, v28, v30, vcc dst_sel:DWORD dst_unused:UNUSED_PAD src0_sel:DWORD src1_sel:WORD_1
	v_mov_b32_e32 v30, s9
	v_add_co_u32_e32 v29, vcc, s8, v7
	v_addc_co_u32_e32 v30, vcc, v8, v30, vcc
	global_store_short v[29:30], v31, off
	s_branch .LBB146_8
.LBB146_25:
	s_endpgm
	.section	.rodata,"a",@progbits
	.p2align	6, 0x0
	.amdhsa_kernel _ZN2at6native12_GLOBAL__N_125multi_tensor_apply_kernelINS1_18TensorListMetadataILi2EEENS1_14UnaryOpFunctorIN3c108BFloat16ELi2ELi1ELi1EEEJNS0_5Expm1IfEEEEEvT_T0_DpT1_
		.amdhsa_group_segment_fixed_size 0
		.amdhsa_private_segment_fixed_size 0
		.amdhsa_kernarg_size 3408
		.amdhsa_user_sgpr_count 6
		.amdhsa_user_sgpr_private_segment_buffer 1
		.amdhsa_user_sgpr_dispatch_ptr 0
		.amdhsa_user_sgpr_queue_ptr 0
		.amdhsa_user_sgpr_kernarg_segment_ptr 1
		.amdhsa_user_sgpr_dispatch_id 0
		.amdhsa_user_sgpr_flat_scratch_init 0
		.amdhsa_user_sgpr_private_segment_size 0
		.amdhsa_uses_dynamic_stack 0
		.amdhsa_system_sgpr_private_segment_wavefront_offset 0
		.amdhsa_system_sgpr_workgroup_id_x 1
		.amdhsa_system_sgpr_workgroup_id_y 0
		.amdhsa_system_sgpr_workgroup_id_z 0
		.amdhsa_system_sgpr_workgroup_info 0
		.amdhsa_system_vgpr_workitem_id 0
		.amdhsa_next_free_vgpr 36
		.amdhsa_next_free_sgpr 28
		.amdhsa_reserve_vcc 1
		.amdhsa_reserve_flat_scratch 0
		.amdhsa_float_round_mode_32 0
		.amdhsa_float_round_mode_16_64 0
		.amdhsa_float_denorm_mode_32 3
		.amdhsa_float_denorm_mode_16_64 3
		.amdhsa_dx10_clamp 1
		.amdhsa_ieee_mode 1
		.amdhsa_fp16_overflow 0
		.amdhsa_exception_fp_ieee_invalid_op 0
		.amdhsa_exception_fp_denorm_src 0
		.amdhsa_exception_fp_ieee_div_zero 0
		.amdhsa_exception_fp_ieee_overflow 0
		.amdhsa_exception_fp_ieee_underflow 0
		.amdhsa_exception_fp_ieee_inexact 0
		.amdhsa_exception_int_div_zero 0
	.end_amdhsa_kernel
	.section	.text._ZN2at6native12_GLOBAL__N_125multi_tensor_apply_kernelINS1_18TensorListMetadataILi2EEENS1_14UnaryOpFunctorIN3c108BFloat16ELi2ELi1ELi1EEEJNS0_5Expm1IfEEEEEvT_T0_DpT1_,"axG",@progbits,_ZN2at6native12_GLOBAL__N_125multi_tensor_apply_kernelINS1_18TensorListMetadataILi2EEENS1_14UnaryOpFunctorIN3c108BFloat16ELi2ELi1ELi1EEEJNS0_5Expm1IfEEEEEvT_T0_DpT1_,comdat
.Lfunc_end146:
	.size	_ZN2at6native12_GLOBAL__N_125multi_tensor_apply_kernelINS1_18TensorListMetadataILi2EEENS1_14UnaryOpFunctorIN3c108BFloat16ELi2ELi1ELi1EEEJNS0_5Expm1IfEEEEEvT_T0_DpT1_, .Lfunc_end146-_ZN2at6native12_GLOBAL__N_125multi_tensor_apply_kernelINS1_18TensorListMetadataILi2EEENS1_14UnaryOpFunctorIN3c108BFloat16ELi2ELi1ELi1EEEJNS0_5Expm1IfEEEEEvT_T0_DpT1_
                                        ; -- End function
	.set _ZN2at6native12_GLOBAL__N_125multi_tensor_apply_kernelINS1_18TensorListMetadataILi2EEENS1_14UnaryOpFunctorIN3c108BFloat16ELi2ELi1ELi1EEEJNS0_5Expm1IfEEEEEvT_T0_DpT1_.num_vgpr, 36
	.set _ZN2at6native12_GLOBAL__N_125multi_tensor_apply_kernelINS1_18TensorListMetadataILi2EEENS1_14UnaryOpFunctorIN3c108BFloat16ELi2ELi1ELi1EEEJNS0_5Expm1IfEEEEEvT_T0_DpT1_.num_agpr, 0
	.set _ZN2at6native12_GLOBAL__N_125multi_tensor_apply_kernelINS1_18TensorListMetadataILi2EEENS1_14UnaryOpFunctorIN3c108BFloat16ELi2ELi1ELi1EEEJNS0_5Expm1IfEEEEEvT_T0_DpT1_.numbered_sgpr, 28
	.set _ZN2at6native12_GLOBAL__N_125multi_tensor_apply_kernelINS1_18TensorListMetadataILi2EEENS1_14UnaryOpFunctorIN3c108BFloat16ELi2ELi1ELi1EEEJNS0_5Expm1IfEEEEEvT_T0_DpT1_.num_named_barrier, 0
	.set _ZN2at6native12_GLOBAL__N_125multi_tensor_apply_kernelINS1_18TensorListMetadataILi2EEENS1_14UnaryOpFunctorIN3c108BFloat16ELi2ELi1ELi1EEEJNS0_5Expm1IfEEEEEvT_T0_DpT1_.private_seg_size, 0
	.set _ZN2at6native12_GLOBAL__N_125multi_tensor_apply_kernelINS1_18TensorListMetadataILi2EEENS1_14UnaryOpFunctorIN3c108BFloat16ELi2ELi1ELi1EEEJNS0_5Expm1IfEEEEEvT_T0_DpT1_.uses_vcc, 1
	.set _ZN2at6native12_GLOBAL__N_125multi_tensor_apply_kernelINS1_18TensorListMetadataILi2EEENS1_14UnaryOpFunctorIN3c108BFloat16ELi2ELi1ELi1EEEJNS0_5Expm1IfEEEEEvT_T0_DpT1_.uses_flat_scratch, 0
	.set _ZN2at6native12_GLOBAL__N_125multi_tensor_apply_kernelINS1_18TensorListMetadataILi2EEENS1_14UnaryOpFunctorIN3c108BFloat16ELi2ELi1ELi1EEEJNS0_5Expm1IfEEEEEvT_T0_DpT1_.has_dyn_sized_stack, 0
	.set _ZN2at6native12_GLOBAL__N_125multi_tensor_apply_kernelINS1_18TensorListMetadataILi2EEENS1_14UnaryOpFunctorIN3c108BFloat16ELi2ELi1ELi1EEEJNS0_5Expm1IfEEEEEvT_T0_DpT1_.has_recursion, 0
	.set _ZN2at6native12_GLOBAL__N_125multi_tensor_apply_kernelINS1_18TensorListMetadataILi2EEENS1_14UnaryOpFunctorIN3c108BFloat16ELi2ELi1ELi1EEEJNS0_5Expm1IfEEEEEvT_T0_DpT1_.has_indirect_call, 0
	.section	.AMDGPU.csdata,"",@progbits
; Kernel info:
; codeLenInByte = 2892
; TotalNumSgprs: 32
; NumVgprs: 36
; ScratchSize: 0
; MemoryBound: 0
; FloatMode: 240
; IeeeMode: 1
; LDSByteSize: 0 bytes/workgroup (compile time only)
; SGPRBlocks: 3
; VGPRBlocks: 8
; NumSGPRsForWavesPerEU: 32
; NumVGPRsForWavesPerEU: 36
; Occupancy: 7
; WaveLimiterHint : 0
; COMPUTE_PGM_RSRC2:SCRATCH_EN: 0
; COMPUTE_PGM_RSRC2:USER_SGPR: 6
; COMPUTE_PGM_RSRC2:TRAP_HANDLER: 0
; COMPUTE_PGM_RSRC2:TGID_X_EN: 1
; COMPUTE_PGM_RSRC2:TGID_Y_EN: 0
; COMPUTE_PGM_RSRC2:TGID_Z_EN: 0
; COMPUTE_PGM_RSRC2:TIDIG_COMP_CNT: 0
	.section	.text._ZN2at6native12_GLOBAL__N_125multi_tensor_apply_kernelINS1_18TensorListMetadataILi1EEENS1_14UnaryOpFunctorIdLi1ELi1ELi0EEEJNS0_5Expm1IdEEEEEvT_T0_DpT1_,"axG",@progbits,_ZN2at6native12_GLOBAL__N_125multi_tensor_apply_kernelINS1_18TensorListMetadataILi1EEENS1_14UnaryOpFunctorIdLi1ELi1ELi0EEEJNS0_5Expm1IdEEEEEvT_T0_DpT1_,comdat
	.globl	_ZN2at6native12_GLOBAL__N_125multi_tensor_apply_kernelINS1_18TensorListMetadataILi1EEENS1_14UnaryOpFunctorIdLi1ELi1ELi0EEEJNS0_5Expm1IdEEEEEvT_T0_DpT1_ ; -- Begin function _ZN2at6native12_GLOBAL__N_125multi_tensor_apply_kernelINS1_18TensorListMetadataILi1EEENS1_14UnaryOpFunctorIdLi1ELi1ELi0EEEJNS0_5Expm1IdEEEEEvT_T0_DpT1_
	.p2align	8
	.type	_ZN2at6native12_GLOBAL__N_125multi_tensor_apply_kernelINS1_18TensorListMetadataILi1EEENS1_14UnaryOpFunctorIdLi1ELi1ELi0EEEJNS0_5Expm1IdEEEEEvT_T0_DpT1_,@function
_ZN2at6native12_GLOBAL__N_125multi_tensor_apply_kernelINS1_18TensorListMetadataILi1EEENS1_14UnaryOpFunctorIdLi1ELi1ELi0EEEJNS0_5Expm1IdEEEEEvT_T0_DpT1_: ; @_ZN2at6native12_GLOBAL__N_125multi_tensor_apply_kernelINS1_18TensorListMetadataILi1EEENS1_14UnaryOpFunctorIdLi1ELi1ELi0EEEJNS0_5Expm1IdEEEEEvT_T0_DpT1_
; %bb.0:
	v_mov_b32_e32 v1, s6
	global_load_ubyte v1, v1, s[4:5] offset:1760
	s_add_u32 s0, s4, s6
	s_mul_hi_u32 s1, s6, 3
	s_mul_i32 s6, s6, 3
	s_addc_u32 s2, s5, 0
	s_add_u32 s0, s0, s6
	s_addc_u32 s1, s2, s1
	s_load_dword s0, s[0:1], 0x820
	s_mov_b32 s7, 0
	s_waitcnt vmcnt(0)
	v_readfirstlane_b32 s1, v1
	s_lshl_b32 s1, s1, 3
	s_load_dwordx2 s[2:3], s[4:5], s1 offset:0x370
	s_load_dwordx2 s[10:11], s[4:5], s1 offset:0x0
	s_waitcnt lgkmcnt(0)
	s_ashr_i32 s1, s0, 31
	s_lshl_b64 s[12:13], s[0:1], 19
	s_lshl_b64 s[0:1], s[0:1], 16
	s_and_b32 s6, s10, 31
	s_sub_u32 s14, s2, s0
	s_subb_u32 s15, s3, s1
	s_and_b32 s0, s2, 3
	s_mov_b32 s1, s7
	s_or_b64 s[0:1], s[6:7], s[0:1]
	s_cmp_eq_u64 s[0:1], 0
	s_cbranch_scc1 .LBB147_21
; %bb.1:
	v_cmp_lt_i64_e64 s[0:1], s[14:15], 1
	s_and_b64 vcc, exec, s[0:1]
	s_cbranch_vccnz .LBB147_20
; %bb.2:
	v_mov_b32_e32 v1, 0x10000
	s_load_dword s2, s[4:5], 0xd3c
	v_mov_b32_e32 v2, 0
	v_cmp_lt_i64_e32 vcc, s[14:15], v[1:2]
	s_mov_b32 s22, 0x652b82fe
	s_and_b64 s[0:1], vcc, exec
	v_cmp_lt_u64_e32 vcc, s[14:15], v[1:2]
	s_cselect_b32 s17, s15, 0
	s_cselect_b32 s16, s14, 0x10000
	s_waitcnt lgkmcnt(0)
	s_and_b32 s2, s2, 0xffff
	s_and_b64 s[0:1], vcc, exec
	s_cselect_b32 s19, s15, 0
	s_cselect_b32 s18, s14, 0x10000
	s_lshl_b32 s3, s2, 1
	s_lshl_b32 s33, s2, 2
	s_add_u32 s6, s10, s12
	v_lshlrev_b32_e32 v1, 3, v0
	s_addc_u32 s7, s11, s13
	v_mov_b32_e32 v2, s7
	v_add_co_u32_e32 v1, vcc, s6, v1
	s_mul_i32 s0, s2, 3
	v_addc_co_u32_e32 v2, vcc, 0, v2, vcc
	v_add_co_u32_e32 v15, vcc, s0, v0
	v_addc_co_u32_e64 v16, s[0:1], 0, 0, vcc
	v_add_co_u32_e32 v17, vcc, s3, v0
	v_addc_co_u32_e64 v18, s[0:1], 0, 0, vcc
	v_add_co_u32_e32 v19, vcc, s2, v0
	v_lshlrev_b32_e32 v3, 3, v19
	v_addc_co_u32_e64 v20, s[0:1], 0, 0, vcc
	v_mov_b32_e32 v4, s7
	v_add_co_u32_e32 v3, vcc, s6, v3
	s_mov_b32 s24, 0
	s_mov_b32 s26, 0xfefa39ef
	;; [unrolled: 1-line block ×13, first 2 shown]
	s_lshl_b32 s56, s2, 5
	s_mul_i32 s57, s2, 24
	s_lshl_b32 s58, s2, 4
	v_addc_co_u32_e32 v4, vcc, 0, v4, vcc
	s_mov_b64 s[20:21], 0
	s_mov_b32 s23, 0x3ff71547
	s_mov_b32 s25, 0x40900000
	;; [unrolled: 1-line block ×15, first 2 shown]
	v_mov_b32_e32 v21, 0x7fe00000
	v_mov_b32_e32 v5, 0x2a1b768b
	v_mov_b32_e32 v6, 0x3e5af4eb
	v_mov_b32_e32 v22, 0x7ff00000
	v_mov_b32_e32 v23, 0xbff00000
	s_branch .LBB147_4
.LBB147_3:                              ;   in Loop: Header=BB147_4 Depth=1
	s_or_b64 exec, exec, s[6:7]
	s_add_u32 s20, s20, s33
	v_add_co_u32_e32 v1, vcc, s56, v1
	s_waitcnt vmcnt(0)
	v_mov_b32_e32 v7, s16
	s_addc_u32 s21, s21, 0
	v_addc_co_u32_e32 v2, vcc, 0, v2, vcc
	v_mov_b32_e32 v8, s17
	v_cmp_lt_i64_e32 vcc, s[20:21], v[7:8]
	v_add_co_u32_e64 v3, s[0:1], s56, v3
	v_addc_co_u32_e64 v4, s[0:1], 0, v4, s[0:1]
	s_cbranch_vccz .LBB147_20
.LBB147_4:                              ; =>This Inner Loop Header: Depth=1
	v_mov_b32_e32 v8, s21
	v_add_co_u32_e32 v7, vcc, s20, v0
	v_addc_co_u32_e32 v8, vcc, 0, v8, vcc
	v_cmp_gt_u64_e64 s[6:7], s[18:19], v[7:8]
	v_mov_b32_e32 v11, 0
	v_mov_b32_e32 v13, 0
	;; [unrolled: 1-line block ×4, first 2 shown]
	s_and_saveexec_b64 s[0:1], s[6:7]
	s_cbranch_execz .LBB147_6
; %bb.5:                                ;   in Loop: Header=BB147_4 Depth=1
	global_load_dwordx2 v[13:14], v[1:2], off
.LBB147_6:                              ;   in Loop: Header=BB147_4 Depth=1
	s_or_b64 exec, exec, s[0:1]
	v_mov_b32_e32 v8, s21
	v_add_co_u32_e32 v7, vcc, s20, v19
	v_addc_co_u32_e32 v8, vcc, v20, v8, vcc
	v_cmp_gt_u64_e64 s[2:3], s[18:19], v[7:8]
	s_and_saveexec_b64 s[0:1], s[2:3]
	s_cbranch_execz .LBB147_8
; %bb.7:                                ;   in Loop: Header=BB147_4 Depth=1
	global_load_dwordx2 v[11:12], v[3:4], off
.LBB147_8:                              ;   in Loop: Header=BB147_4 Depth=1
	s_or_b64 exec, exec, s[0:1]
	v_mov_b32_e32 v8, s21
	v_add_co_u32_e32 v7, vcc, s20, v17
	v_addc_co_u32_e32 v8, vcc, v18, v8, vcc
	v_cmp_gt_u64_e64 s[0:1], s[18:19], v[7:8]
	v_mov_b32_e32 v7, 0
	v_mov_b32_e32 v9, 0
	;; [unrolled: 1-line block ×4, first 2 shown]
	s_and_saveexec_b64 s[8:9], s[0:1]
	s_cbranch_execz .LBB147_10
; %bb.9:                                ;   in Loop: Header=BB147_4 Depth=1
	v_add_co_u32_e32 v9, vcc, s58, v1
	v_addc_co_u32_e32 v10, vcc, 0, v2, vcc
	global_load_dwordx2 v[9:10], v[9:10], off
.LBB147_10:                             ;   in Loop: Header=BB147_4 Depth=1
	s_or_b64 exec, exec, s[8:9]
	v_mov_b32_e32 v25, s21
	v_add_co_u32_e32 v24, vcc, s20, v15
	v_addc_co_u32_e32 v25, vcc, v16, v25, vcc
	v_cmp_gt_u64_e32 vcc, s[18:19], v[24:25]
	s_and_saveexec_b64 s[54:55], vcc
	s_cbranch_execnz .LBB147_15
; %bb.11:                               ;   in Loop: Header=BB147_4 Depth=1
	s_or_b64 exec, exec, s[54:55]
	s_and_saveexec_b64 s[54:55], s[6:7]
	s_cbranch_execnz .LBB147_16
.LBB147_12:                             ;   in Loop: Header=BB147_4 Depth=1
	s_or_b64 exec, exec, s[54:55]
	s_and_saveexec_b64 s[54:55], s[2:3]
	s_cbranch_execnz .LBB147_17
.LBB147_13:                             ;   in Loop: Header=BB147_4 Depth=1
	s_or_b64 exec, exec, s[54:55]
	s_and_saveexec_b64 s[8:9], s[0:1]
	s_cbranch_execnz .LBB147_18
.LBB147_14:                             ;   in Loop: Header=BB147_4 Depth=1
	s_or_b64 exec, exec, s[8:9]
	s_and_saveexec_b64 s[6:7], vcc
	s_cbranch_execz .LBB147_3
	s_branch .LBB147_19
.LBB147_15:                             ;   in Loop: Header=BB147_4 Depth=1
	v_add_co_u32_e64 v7, s[8:9], s57, v1
	v_addc_co_u32_e64 v8, s[8:9], 0, v2, s[8:9]
	global_load_dwordx2 v[7:8], v[7:8], off
	s_or_b64 exec, exec, s[54:55]
	s_and_saveexec_b64 s[54:55], s[6:7]
	s_cbranch_execz .LBB147_12
.LBB147_16:                             ;   in Loop: Header=BB147_4 Depth=1
	s_waitcnt vmcnt(0)
	v_mul_f64 v[24:25], v[13:14], s[22:23]
	s_mov_b32 s50, s26
	v_cmp_ngt_f64_e64 s[8:9], s[52:53], v[13:14]
	v_rndne_f64_e32 v[24:25], v[24:25]
	v_fma_f64 v[28:29], v[24:25], s[26:27], v[13:14]
	v_cmp_eq_f64_e64 s[6:7], s[24:25], v[24:25]
	v_cvt_i32_f64_e32 v26, v[24:25]
	v_ldexp_f64 v[26:27], 1.0, v26
	v_fma_f64 v[24:25], v[24:25], s[28:29], v[28:29]
	v_cndmask_b32_e64 v27, v27, v21, s[6:7]
	v_cndmask_b32_e64 v26, v26, 0, s[6:7]
	v_fma_f64 v[28:29], v[24:25], s[30:31], v[5:6]
	v_fma_f64 v[28:29], v[24:25], v[28:29], s[34:35]
	;; [unrolled: 1-line block ×9, first 2 shown]
	v_fma_f64 v[28:29], v[24:25], v[28:29], 0.5
	v_mul_f64 v[28:29], v[24:25], v[28:29]
	v_fma_f64 v[24:25], v[24:25], v[28:29], v[24:25]
	v_add_f64 v[28:29], v[26:27], -1.0
	v_fma_f64 v[24:25], v[26:27], v[24:25], v[28:29]
	v_add_f64 v[26:27], v[24:25], v[24:25]
	v_cndmask_b32_e64 v24, v24, v26, s[6:7]
	v_cndmask_b32_e64 v25, v25, v27, s[6:7]
	v_cmp_nlt_f64_e64 s[6:7], s[50:51], v[13:14]
	v_cndmask_b32_e64 v25, v22, v25, s[6:7]
	s_and_b64 s[6:7], s[8:9], s[6:7]
	v_cndmask_b32_e64 v13, 0, v24, s[6:7]
	v_cndmask_b32_e64 v14, v23, v25, s[8:9]
	global_store_dwordx2 v[1:2], v[13:14], off
	s_or_b64 exec, exec, s[54:55]
	s_and_saveexec_b64 s[54:55], s[2:3]
	s_cbranch_execz .LBB147_13
.LBB147_17:                             ;   in Loop: Header=BB147_4 Depth=1
	s_waitcnt vmcnt(0)
	v_mul_f64 v[13:14], v[11:12], s[22:23]
	s_mov_b32 s50, s26
	v_cmp_nlt_f64_e64 s[6:7], s[50:51], v[11:12]
	v_cmp_ngt_f64_e64 s[8:9], s[52:53], v[11:12]
	v_rndne_f64_e32 v[13:14], v[13:14]
	v_fma_f64 v[24:25], v[13:14], s[26:27], v[11:12]
	v_cvt_i32_f64_e32 v28, v[13:14]
	v_cmp_eq_f64_e64 s[2:3], s[24:25], v[13:14]
	v_ldexp_f64 v[28:29], 1.0, v28
	v_fma_f64 v[24:25], v[13:14], s[28:29], v[24:25]
	v_fma_f64 v[26:27], v[24:25], s[30:31], v[5:6]
	;; [unrolled: 1-line block ×10, first 2 shown]
	v_fma_f64 v[26:27], v[24:25], v[26:27], 0.5
	v_mul_f64 v[13:14], v[24:25], v[26:27]
	v_cndmask_b32_e64 v27, v29, v21, s[2:3]
	v_cndmask_b32_e64 v26, v28, 0, s[2:3]
	v_add_f64 v[28:29], v[26:27], -1.0
	v_fma_f64 v[13:14], v[24:25], v[13:14], v[24:25]
	v_fma_f64 v[13:14], v[26:27], v[13:14], v[28:29]
	v_add_f64 v[24:25], v[13:14], v[13:14]
	v_cndmask_b32_e64 v14, v14, v25, s[2:3]
	v_cndmask_b32_e64 v14, v22, v14, s[6:7]
	;; [unrolled: 1-line block ×3, first 2 shown]
	s_and_b64 s[2:3], s[8:9], s[6:7]
	v_cndmask_b32_e64 v12, v23, v14, s[8:9]
	v_cndmask_b32_e64 v11, 0, v11, s[2:3]
	global_store_dwordx2 v[3:4], v[11:12], off
	s_or_b64 exec, exec, s[54:55]
	s_and_saveexec_b64 s[8:9], s[0:1]
	s_cbranch_execz .LBB147_14
.LBB147_18:                             ;   in Loop: Header=BB147_4 Depth=1
	s_waitcnt vmcnt(0)
	v_mul_f64 v[11:12], v[9:10], s[22:23]
	s_mov_b32 s50, s26
	v_cmp_nlt_f64_e64 s[2:3], s[50:51], v[9:10]
	v_cmp_ngt_f64_e64 s[6:7], s[52:53], v[9:10]
	v_rndne_f64_e32 v[11:12], v[11:12]
	v_fma_f64 v[13:14], v[11:12], s[26:27], v[9:10]
	v_cvt_i32_f64_e32 v26, v[11:12]
	v_cmp_eq_f64_e64 s[0:1], s[24:25], v[11:12]
	v_ldexp_f64 v[26:27], 1.0, v26
	v_fma_f64 v[13:14], v[11:12], s[28:29], v[13:14]
	v_fma_f64 v[24:25], v[13:14], s[30:31], v[5:6]
	v_fma_f64 v[24:25], v[13:14], v[24:25], s[34:35]
	v_fma_f64 v[24:25], v[13:14], v[24:25], s[36:37]
	v_fma_f64 v[24:25], v[13:14], v[24:25], s[38:39]
	v_fma_f64 v[24:25], v[13:14], v[24:25], s[40:41]
	v_fma_f64 v[24:25], v[13:14], v[24:25], s[42:43]
	v_fma_f64 v[24:25], v[13:14], v[24:25], s[44:45]
	v_fma_f64 v[24:25], v[13:14], v[24:25], s[46:47]
	v_fma_f64 v[24:25], v[13:14], v[24:25], s[48:49]
	v_fma_f64 v[24:25], v[13:14], v[24:25], 0.5
	v_mul_f64 v[11:12], v[13:14], v[24:25]
	v_cndmask_b32_e64 v25, v27, v21, s[0:1]
	v_cndmask_b32_e64 v24, v26, 0, s[0:1]
	v_add_f64 v[26:27], v[24:25], -1.0
	v_fma_f64 v[11:12], v[13:14], v[11:12], v[13:14]
	v_fma_f64 v[11:12], v[24:25], v[11:12], v[26:27]
	v_add_f64 v[13:14], v[11:12], v[11:12]
	v_cndmask_b32_e64 v12, v12, v14, s[0:1]
	v_cndmask_b32_e64 v9, v11, v13, s[0:1]
	s_and_b64 s[0:1], s[6:7], s[2:3]
	v_cndmask_b32_e64 v12, v22, v12, s[2:3]
	v_cndmask_b32_e64 v9, 0, v9, s[0:1]
	v_add_co_u32_e64 v11, s[0:1], s58, v1
	v_cndmask_b32_e64 v10, v23, v12, s[6:7]
	v_addc_co_u32_e64 v12, s[0:1], 0, v2, s[0:1]
	global_store_dwordx2 v[11:12], v[9:10], off
	s_or_b64 exec, exec, s[8:9]
	s_and_saveexec_b64 s[6:7], vcc
	s_cbranch_execz .LBB147_3
.LBB147_19:                             ;   in Loop: Header=BB147_4 Depth=1
	s_waitcnt vmcnt(0)
	v_mul_f64 v[9:10], v[7:8], s[22:23]
	s_mov_b32 s50, s26
	v_cmp_nlt_f64_e64 s[0:1], s[50:51], v[7:8]
	v_cmp_ngt_f64_e64 s[2:3], s[52:53], v[7:8]
	v_rndne_f64_e32 v[9:10], v[9:10]
	v_fma_f64 v[11:12], v[9:10], s[26:27], v[7:8]
	v_cvt_i32_f64_e32 v24, v[9:10]
	v_cmp_eq_f64_e32 vcc, s[24:25], v[9:10]
	v_ldexp_f64 v[24:25], 1.0, v24
	v_fma_f64 v[11:12], v[9:10], s[28:29], v[11:12]
	v_fma_f64 v[13:14], v[11:12], s[30:31], v[5:6]
	;; [unrolled: 1-line block ×10, first 2 shown]
	v_fma_f64 v[13:14], v[11:12], v[13:14], 0.5
	v_mul_f64 v[9:10], v[11:12], v[13:14]
	v_cndmask_b32_e32 v14, v25, v21, vcc
	v_cndmask_b32_e64 v13, v24, 0, vcc
	v_add_f64 v[24:25], v[13:14], -1.0
	v_fma_f64 v[9:10], v[11:12], v[9:10], v[11:12]
	v_fma_f64 v[9:10], v[13:14], v[9:10], v[24:25]
	v_add_f64 v[11:12], v[9:10], v[9:10]
	v_cndmask_b32_e32 v10, v10, v12, vcc
	v_cndmask_b32_e32 v7, v9, v11, vcc
	s_and_b64 vcc, s[2:3], s[0:1]
	v_cndmask_b32_e64 v10, v22, v10, s[0:1]
	v_cndmask_b32_e32 v7, 0, v7, vcc
	v_add_co_u32_e32 v9, vcc, s57, v1
	v_cndmask_b32_e64 v8, v23, v10, s[2:3]
	v_addc_co_u32_e32 v10, vcc, 0, v2, vcc
	global_store_dwordx2 v[9:10], v[7:8], off
	s_branch .LBB147_3
.LBB147_20:
	s_cbranch_execz .LBB147_22
	s_branch .LBB147_25
.LBB147_21:
.LBB147_22:
	v_mov_b32_e32 v1, 0x10000
	v_mov_b32_e32 v2, 0
	v_cmp_lt_i64_e32 vcc, s[14:15], v[1:2]
	v_mov_b32_e32 v2, 0
	s_and_b64 s[0:1], vcc, exec
	s_cselect_b32 s17, s15, 0
	s_cselect_b32 s16, s14, 0x10000
	v_lshlrev_b32_e32 v1, 2, v0
	v_cmp_gt_i64_e32 vcc, s[16:17], v[1:2]
	s_and_saveexec_b64 s[0:1], vcc
	s_cbranch_execz .LBB147_25
; %bb.23:
	s_load_dword s0, s[4:5], 0xd3c
	v_mov_b32_e32 v1, v2
	v_lshlrev_b32_e32 v2, 5, v0
	s_mov_b32 s20, 0x652b82fe
	s_mov_b32 s22, 0xfefa39ef
	s_waitcnt lgkmcnt(0)
	s_and_b32 s33, s0, 0xffff
	s_add_u32 s0, s10, s12
	s_addc_u32 s1, s11, s13
	v_mov_b32_e32 v3, s1
	v_add_co_u32_e32 v2, vcc, s0, v2
	s_mov_b32 s0, 0x2a1b768b
	v_addc_co_u32_e32 v3, vcc, 0, v3, vcc
	s_mov_b32 s1, 0x3e5af4eb
	v_add_co_u32_e32 v10, vcc, 16, v2
	s_mov_b32 s24, 0x3b39803f
	s_mov_b32 s26, 0xa9d67f34
	v_mov_b32_e32 v13, s1
	s_mov_b32 s28, 0xe0ac05b
	s_mov_b32 s30, 0x1b889c29
	;; [unrolled: 1-line block ×10, first 2 shown]
	v_addc_co_u32_e32 v11, vcc, 0, v3, vcc
	s_lshl_b32 s52, s33, 5
	s_mov_b64 s[18:19], 0
	s_mov_b32 s21, 0x3ff71547
	s_mov_b32 s23, 0xbfe62e42
	;; [unrolled: 1-line block ×4, first 2 shown]
	v_mov_b32_e32 v12, s0
	s_mov_b32 s29, 0x3e927e50
	s_mov_b32 s31, 0x3ec71de0
	s_mov_b32 s35, 0x3efa01a0
	s_mov_b32 s37, 0x3f2a01a0
	s_mov_b32 s39, 0x3f56c16c
	s_mov_b32 s41, 0x3f811111
	s_mov_b32 s43, 0x3fa55555
	s_mov_b32 s45, 0x3fc55555
	s_mov_b32 s47, 0x40900000
	v_mov_b32_e32 v16, 0x7fe00000
	s_mov_b32 s49, 0x40862e42
	s_mov_b32 s48, s22
	v_mov_b32_e32 v17, 0x7ff00000
	s_mov_b32 s51, 0xc0428000
	v_mov_b32_e32 v18, 0xbff00000
.LBB147_24:                             ; =>This Inner Loop Header: Depth=1
	global_load_dwordx4 v[2:5], v[10:11], off offset:-16
	v_add_co_u32_e64 v0, s[6:7], s33, v0
	v_addc_co_u32_e64 v1, s[6:7], 0, v1, s[6:7]
	s_waitcnt vmcnt(0)
	v_mul_f64 v[6:7], v[2:3], s[20:21]
	v_mul_f64 v[19:20], v[4:5], s[20:21]
	v_cmp_ngt_f64_e64 s[8:9], s[50:51], v[2:3]
	v_cmp_ngt_f64_e64 s[10:11], s[50:51], v[4:5]
	v_rndne_f64_e32 v[6:7], v[6:7]
	v_rndne_f64_e32 v[19:20], v[19:20]
	v_fma_f64 v[8:9], v[6:7], s[22:23], v[2:3]
	v_cvt_i32_f64_e32 v23, v[6:7]
	v_cmp_eq_f64_e32 vcc, s[46:47], v[6:7]
	v_fma_f64 v[21:22], v[19:20], s[22:23], v[4:5]
	v_cmp_eq_f64_e64 s[0:1], s[46:47], v[19:20]
	v_ldexp_f64 v[23:24], 1.0, v23
	v_fma_f64 v[8:9], v[6:7], s[24:25], v[8:9]
	v_fma_f64 v[21:22], v[19:20], s[24:25], v[21:22]
	;; [unrolled: 1-line block ×12, first 2 shown]
	v_fma_f64 v[14:15], v[8:9], v[14:15], 0.5
	v_mul_f64 v[6:7], v[8:9], v[14:15]
	v_cndmask_b32_e32 v15, v24, v16, vcc
	v_cndmask_b32_e64 v14, v23, 0, vcc
	v_add_f64 v[23:24], v[14:15], -1.0
	v_fma_f64 v[6:7], v[8:9], v[6:7], v[8:9]
	v_fma_f64 v[14:15], v[14:15], v[6:7], v[23:24]
	global_load_dwordx4 v[6:9], v[10:11], off
	v_fma_f64 v[23:24], v[21:22], v[25:26], s[28:29]
	v_cvt_i32_f64_e32 v25, v[19:20]
	v_ldexp_f64 v[25:26], 1.0, v25
	v_fma_f64 v[23:24], v[21:22], v[23:24], s[30:31]
	v_cndmask_b32_e64 v20, v26, v16, s[0:1]
	v_cndmask_b32_e64 v19, v25, 0, s[0:1]
	v_fma_f64 v[23:24], v[21:22], v[23:24], s[34:35]
	v_fma_f64 v[23:24], v[21:22], v[23:24], s[36:37]
	;; [unrolled: 1-line block ×6, first 2 shown]
	v_fma_f64 v[23:24], v[21:22], v[23:24], 0.5
	v_mul_f64 v[23:24], v[21:22], v[23:24]
	s_waitcnt vmcnt(0)
	v_mul_f64 v[25:26], v[6:7], s[20:21]
	v_fma_f64 v[21:22], v[21:22], v[23:24], v[21:22]
	v_add_f64 v[23:24], v[19:20], -1.0
	v_cmp_ngt_f64_e64 s[12:13], s[50:51], v[6:7]
	v_cmp_ngt_f64_e64 s[14:15], s[50:51], v[8:9]
	v_rndne_f64_e32 v[25:26], v[25:26]
	v_fma_f64 v[19:20], v[19:20], v[21:22], v[23:24]
	v_fma_f64 v[21:22], v[25:26], s[22:23], v[6:7]
	v_cvt_i32_f64_e32 v23, v[25:26]
	v_cmp_eq_f64_e64 s[2:3], s[46:47], v[25:26]
	v_ldexp_f64 v[23:24], 1.0, v23
	v_fma_f64 v[21:22], v[25:26], s[24:25], v[21:22]
	v_cndmask_b32_e64 v24, v24, v16, s[2:3]
	v_cndmask_b32_e64 v23, v23, 0, s[2:3]
	v_fma_f64 v[25:26], v[21:22], s[26:27], v[12:13]
	v_fma_f64 v[25:26], v[21:22], v[25:26], s[28:29]
	v_fma_f64 v[25:26], v[21:22], v[25:26], s[30:31]
	v_fma_f64 v[25:26], v[21:22], v[25:26], s[34:35]
	v_fma_f64 v[25:26], v[21:22], v[25:26], s[36:37]
	v_fma_f64 v[25:26], v[21:22], v[25:26], s[38:39]
	v_fma_f64 v[25:26], v[21:22], v[25:26], s[40:41]
	v_fma_f64 v[25:26], v[21:22], v[25:26], s[42:43]
	v_fma_f64 v[25:26], v[21:22], v[25:26], s[44:45]
	v_fma_f64 v[25:26], v[21:22], v[25:26], 0.5
	v_mul_f64 v[25:26], v[21:22], v[25:26]
	v_fma_f64 v[21:22], v[21:22], v[25:26], v[21:22]
	v_add_f64 v[25:26], v[23:24], -1.0
	v_fma_f64 v[21:22], v[23:24], v[21:22], v[25:26]
	v_mul_f64 v[23:24], v[8:9], s[20:21]
	v_rndne_f64_e32 v[23:24], v[23:24]
	v_fma_f64 v[27:28], v[23:24], s[22:23], v[8:9]
	v_cvt_i32_f64_e32 v25, v[23:24]
	v_cmp_eq_f64_e64 s[4:5], s[46:47], v[23:24]
	v_ldexp_f64 v[25:26], 1.0, v25
	v_fma_f64 v[23:24], v[23:24], s[24:25], v[27:28]
	v_cndmask_b32_e64 v26, v26, v16, s[4:5]
	v_cndmask_b32_e64 v25, v25, 0, s[4:5]
	v_fma_f64 v[27:28], v[23:24], s[26:27], v[12:13]
	v_fma_f64 v[27:28], v[23:24], v[27:28], s[28:29]
	v_fma_f64 v[27:28], v[23:24], v[27:28], s[30:31]
	v_fma_f64 v[27:28], v[23:24], v[27:28], s[34:35]
	v_fma_f64 v[27:28], v[23:24], v[27:28], s[36:37]
	v_fma_f64 v[27:28], v[23:24], v[27:28], s[38:39]
	v_fma_f64 v[27:28], v[23:24], v[27:28], s[40:41]
	v_fma_f64 v[27:28], v[23:24], v[27:28], s[42:43]
	v_fma_f64 v[27:28], v[23:24], v[27:28], s[44:45]
	v_fma_f64 v[27:28], v[23:24], v[27:28], 0.5
	v_mul_f64 v[27:28], v[23:24], v[27:28]
	v_fma_f64 v[23:24], v[23:24], v[27:28], v[23:24]
	v_add_f64 v[27:28], v[25:26], -1.0
	v_fma_f64 v[23:24], v[25:26], v[23:24], v[27:28]
	v_lshlrev_b64 v[25:26], 2, v[0:1]
	v_cmp_le_i64_e64 s[6:7], s[16:17], v[25:26]
	v_add_f64 v[25:26], v[14:15], v[14:15]
	v_cndmask_b32_e32 v25, v14, v25, vcc
	v_cndmask_b32_e32 v26, v15, v26, vcc
	v_add_f64 v[14:15], v[19:20], v[19:20]
	v_cmp_nlt_f64_e32 vcc, s[48:49], v[2:3]
	v_cndmask_b32_e64 v19, v19, v14, s[0:1]
	v_cndmask_b32_e64 v20, v20, v15, s[0:1]
	v_add_f64 v[14:15], v[21:22], v[21:22]
	v_cmp_nlt_f64_e64 s[0:1], s[48:49], v[4:5]
	v_cndmask_b32_e64 v21, v21, v14, s[2:3]
	v_cndmask_b32_e64 v22, v22, v15, s[2:3]
	v_add_f64 v[14:15], v[23:24], v[23:24]
	v_cmp_nlt_f64_e64 s[2:3], s[48:49], v[6:7]
	v_cndmask_b32_e64 v20, v17, v20, s[0:1]
	v_cndmask_b32_e64 v5, v18, v20, s[10:11]
	;; [unrolled: 1-line block ×4, first 2 shown]
	v_cmp_nlt_f64_e64 s[4:5], s[48:49], v[8:9]
	v_cndmask_b32_e32 v23, v17, v26, vcc
	s_and_b64 vcc, s[8:9], vcc
	v_cndmask_b32_e32 v2, 0, v25, vcc
	s_and_b64 vcc, s[10:11], s[0:1]
	v_cndmask_b32_e32 v4, 0, v19, vcc
	s_and_b64 vcc, s[12:13], s[2:3]
	v_cndmask_b32_e64 v22, v17, v22, s[2:3]
	v_cndmask_b32_e64 v15, v17, v15, s[4:5]
	;; [unrolled: 1-line block ×3, first 2 shown]
	v_cndmask_b32_e32 v6, 0, v21, vcc
	s_and_b64 vcc, s[14:15], s[4:5]
	v_cndmask_b32_e64 v7, v18, v22, s[12:13]
	v_cndmask_b32_e64 v9, v18, v15, s[14:15]
	v_cndmask_b32_e32 v8, 0, v14, vcc
	global_store_dwordx4 v[10:11], v[2:5], off offset:-16
	global_store_dwordx4 v[10:11], v[6:9], off
	v_add_co_u32_e32 v10, vcc, s52, v10
	s_or_b64 s[18:19], s[6:7], s[18:19]
	v_addc_co_u32_e32 v11, vcc, 0, v11, vcc
	s_andn2_b64 exec, exec, s[18:19]
	s_cbranch_execnz .LBB147_24
.LBB147_25:
	s_endpgm
	.section	.rodata,"a",@progbits
	.p2align	6, 0x0
	.amdhsa_kernel _ZN2at6native12_GLOBAL__N_125multi_tensor_apply_kernelINS1_18TensorListMetadataILi1EEENS1_14UnaryOpFunctorIdLi1ELi1ELi0EEEJNS0_5Expm1IdEEEEEvT_T0_DpT1_
		.amdhsa_group_segment_fixed_size 0
		.amdhsa_private_segment_fixed_size 0
		.amdhsa_kernarg_size 3632
		.amdhsa_user_sgpr_count 6
		.amdhsa_user_sgpr_private_segment_buffer 1
		.amdhsa_user_sgpr_dispatch_ptr 0
		.amdhsa_user_sgpr_queue_ptr 0
		.amdhsa_user_sgpr_kernarg_segment_ptr 1
		.amdhsa_user_sgpr_dispatch_id 0
		.amdhsa_user_sgpr_flat_scratch_init 0
		.amdhsa_user_sgpr_private_segment_size 0
		.amdhsa_uses_dynamic_stack 0
		.amdhsa_system_sgpr_private_segment_wavefront_offset 0
		.amdhsa_system_sgpr_workgroup_id_x 1
		.amdhsa_system_sgpr_workgroup_id_y 0
		.amdhsa_system_sgpr_workgroup_id_z 0
		.amdhsa_system_sgpr_workgroup_info 0
		.amdhsa_system_vgpr_workitem_id 0
		.amdhsa_next_free_vgpr 30
		.amdhsa_next_free_sgpr 59
		.amdhsa_reserve_vcc 1
		.amdhsa_reserve_flat_scratch 0
		.amdhsa_float_round_mode_32 0
		.amdhsa_float_round_mode_16_64 0
		.amdhsa_float_denorm_mode_32 3
		.amdhsa_float_denorm_mode_16_64 3
		.amdhsa_dx10_clamp 1
		.amdhsa_ieee_mode 1
		.amdhsa_fp16_overflow 0
		.amdhsa_exception_fp_ieee_invalid_op 0
		.amdhsa_exception_fp_denorm_src 0
		.amdhsa_exception_fp_ieee_div_zero 0
		.amdhsa_exception_fp_ieee_overflow 0
		.amdhsa_exception_fp_ieee_underflow 0
		.amdhsa_exception_fp_ieee_inexact 0
		.amdhsa_exception_int_div_zero 0
	.end_amdhsa_kernel
	.section	.text._ZN2at6native12_GLOBAL__N_125multi_tensor_apply_kernelINS1_18TensorListMetadataILi1EEENS1_14UnaryOpFunctorIdLi1ELi1ELi0EEEJNS0_5Expm1IdEEEEEvT_T0_DpT1_,"axG",@progbits,_ZN2at6native12_GLOBAL__N_125multi_tensor_apply_kernelINS1_18TensorListMetadataILi1EEENS1_14UnaryOpFunctorIdLi1ELi1ELi0EEEJNS0_5Expm1IdEEEEEvT_T0_DpT1_,comdat
.Lfunc_end147:
	.size	_ZN2at6native12_GLOBAL__N_125multi_tensor_apply_kernelINS1_18TensorListMetadataILi1EEENS1_14UnaryOpFunctorIdLi1ELi1ELi0EEEJNS0_5Expm1IdEEEEEvT_T0_DpT1_, .Lfunc_end147-_ZN2at6native12_GLOBAL__N_125multi_tensor_apply_kernelINS1_18TensorListMetadataILi1EEENS1_14UnaryOpFunctorIdLi1ELi1ELi0EEEJNS0_5Expm1IdEEEEEvT_T0_DpT1_
                                        ; -- End function
	.set _ZN2at6native12_GLOBAL__N_125multi_tensor_apply_kernelINS1_18TensorListMetadataILi1EEENS1_14UnaryOpFunctorIdLi1ELi1ELi0EEEJNS0_5Expm1IdEEEEEvT_T0_DpT1_.num_vgpr, 30
	.set _ZN2at6native12_GLOBAL__N_125multi_tensor_apply_kernelINS1_18TensorListMetadataILi1EEENS1_14UnaryOpFunctorIdLi1ELi1ELi0EEEJNS0_5Expm1IdEEEEEvT_T0_DpT1_.num_agpr, 0
	.set _ZN2at6native12_GLOBAL__N_125multi_tensor_apply_kernelINS1_18TensorListMetadataILi1EEENS1_14UnaryOpFunctorIdLi1ELi1ELi0EEEJNS0_5Expm1IdEEEEEvT_T0_DpT1_.numbered_sgpr, 59
	.set _ZN2at6native12_GLOBAL__N_125multi_tensor_apply_kernelINS1_18TensorListMetadataILi1EEENS1_14UnaryOpFunctorIdLi1ELi1ELi0EEEJNS0_5Expm1IdEEEEEvT_T0_DpT1_.num_named_barrier, 0
	.set _ZN2at6native12_GLOBAL__N_125multi_tensor_apply_kernelINS1_18TensorListMetadataILi1EEENS1_14UnaryOpFunctorIdLi1ELi1ELi0EEEJNS0_5Expm1IdEEEEEvT_T0_DpT1_.private_seg_size, 0
	.set _ZN2at6native12_GLOBAL__N_125multi_tensor_apply_kernelINS1_18TensorListMetadataILi1EEENS1_14UnaryOpFunctorIdLi1ELi1ELi0EEEJNS0_5Expm1IdEEEEEvT_T0_DpT1_.uses_vcc, 1
	.set _ZN2at6native12_GLOBAL__N_125multi_tensor_apply_kernelINS1_18TensorListMetadataILi1EEENS1_14UnaryOpFunctorIdLi1ELi1ELi0EEEJNS0_5Expm1IdEEEEEvT_T0_DpT1_.uses_flat_scratch, 0
	.set _ZN2at6native12_GLOBAL__N_125multi_tensor_apply_kernelINS1_18TensorListMetadataILi1EEENS1_14UnaryOpFunctorIdLi1ELi1ELi0EEEJNS0_5Expm1IdEEEEEvT_T0_DpT1_.has_dyn_sized_stack, 0
	.set _ZN2at6native12_GLOBAL__N_125multi_tensor_apply_kernelINS1_18TensorListMetadataILi1EEENS1_14UnaryOpFunctorIdLi1ELi1ELi0EEEJNS0_5Expm1IdEEEEEvT_T0_DpT1_.has_recursion, 0
	.set _ZN2at6native12_GLOBAL__N_125multi_tensor_apply_kernelINS1_18TensorListMetadataILi1EEENS1_14UnaryOpFunctorIdLi1ELi1ELi0EEEJNS0_5Expm1IdEEEEEvT_T0_DpT1_.has_indirect_call, 0
	.section	.AMDGPU.csdata,"",@progbits
; Kernel info:
; codeLenInByte = 3428
; TotalNumSgprs: 63
; NumVgprs: 30
; ScratchSize: 0
; MemoryBound: 0
; FloatMode: 240
; IeeeMode: 1
; LDSByteSize: 0 bytes/workgroup (compile time only)
; SGPRBlocks: 7
; VGPRBlocks: 7
; NumSGPRsForWavesPerEU: 63
; NumVGPRsForWavesPerEU: 30
; Occupancy: 8
; WaveLimiterHint : 0
; COMPUTE_PGM_RSRC2:SCRATCH_EN: 0
; COMPUTE_PGM_RSRC2:USER_SGPR: 6
; COMPUTE_PGM_RSRC2:TRAP_HANDLER: 0
; COMPUTE_PGM_RSRC2:TGID_X_EN: 1
; COMPUTE_PGM_RSRC2:TGID_Y_EN: 0
; COMPUTE_PGM_RSRC2:TGID_Z_EN: 0
; COMPUTE_PGM_RSRC2:TIDIG_COMP_CNT: 0
	.section	.text._ZN2at6native12_GLOBAL__N_125multi_tensor_apply_kernelINS1_18TensorListMetadataILi1EEENS1_14UnaryOpFunctorIfLi1ELi1ELi0EEEJNS0_5Expm1IfEEEEEvT_T0_DpT1_,"axG",@progbits,_ZN2at6native12_GLOBAL__N_125multi_tensor_apply_kernelINS1_18TensorListMetadataILi1EEENS1_14UnaryOpFunctorIfLi1ELi1ELi0EEEJNS0_5Expm1IfEEEEEvT_T0_DpT1_,comdat
	.globl	_ZN2at6native12_GLOBAL__N_125multi_tensor_apply_kernelINS1_18TensorListMetadataILi1EEENS1_14UnaryOpFunctorIfLi1ELi1ELi0EEEJNS0_5Expm1IfEEEEEvT_T0_DpT1_ ; -- Begin function _ZN2at6native12_GLOBAL__N_125multi_tensor_apply_kernelINS1_18TensorListMetadataILi1EEENS1_14UnaryOpFunctorIfLi1ELi1ELi0EEEJNS0_5Expm1IfEEEEEvT_T0_DpT1_
	.p2align	8
	.type	_ZN2at6native12_GLOBAL__N_125multi_tensor_apply_kernelINS1_18TensorListMetadataILi1EEENS1_14UnaryOpFunctorIfLi1ELi1ELi0EEEJNS0_5Expm1IfEEEEEvT_T0_DpT1_,@function
_ZN2at6native12_GLOBAL__N_125multi_tensor_apply_kernelINS1_18TensorListMetadataILi1EEENS1_14UnaryOpFunctorIfLi1ELi1ELi0EEEJNS0_5Expm1IfEEEEEvT_T0_DpT1_: ; @_ZN2at6native12_GLOBAL__N_125multi_tensor_apply_kernelINS1_18TensorListMetadataILi1EEENS1_14UnaryOpFunctorIfLi1ELi1ELi0EEEJNS0_5Expm1IfEEEEEvT_T0_DpT1_
; %bb.0:
	v_mov_b32_e32 v1, s6
	global_load_ubyte v1, v1, s[4:5] offset:1760
	s_add_u32 s0, s4, s6
	s_mul_hi_u32 s1, s6, 3
	s_mul_i32 s6, s6, 3
	s_addc_u32 s2, s5, 0
	s_add_u32 s0, s0, s6
	s_addc_u32 s1, s2, s1
	s_load_dword s0, s[0:1], 0x820
	s_mov_b32 s7, 0
	s_waitcnt vmcnt(0)
	v_readfirstlane_b32 s1, v1
	s_lshl_b32 s1, s1, 3
	s_load_dwordx2 s[2:3], s[4:5], s1 offset:0x370
	s_load_dwordx2 s[10:11], s[4:5], s1 offset:0x0
	s_waitcnt lgkmcnt(0)
	s_ashr_i32 s1, s0, 31
	s_lshl_b64 s[12:13], s[0:1], 18
	s_lshl_b64 s[0:1], s[0:1], 16
	s_and_b32 s6, s10, 15
	s_sub_u32 s14, s2, s0
	s_subb_u32 s15, s3, s1
	s_and_b32 s0, s2, 3
	s_mov_b32 s1, s7
	s_or_b64 s[0:1], s[6:7], s[0:1]
	s_cmp_eq_u64 s[0:1], 0
	s_cbranch_scc1 .LBB148_21
; %bb.1:
	v_cmp_lt_i64_e64 s[0:1], s[14:15], 1
	s_and_b64 vcc, exec, s[0:1]
	s_cbranch_vccnz .LBB148_20
; %bb.2:
	v_mov_b32_e32 v1, 0x10000
	s_load_dword s2, s[4:5], 0xd3c
	v_mov_b32_e32 v2, 0
	v_cmp_lt_i64_e32 vcc, s[14:15], v[1:2]
	s_mov_b64 s[20:21], 0
	s_and_b64 s[0:1], vcc, exec
	v_cmp_lt_u64_e32 vcc, s[14:15], v[1:2]
	s_cselect_b32 s17, s15, 0
	s_cselect_b32 s16, s14, 0x10000
	s_waitcnt lgkmcnt(0)
	s_and_b32 s2, s2, 0xffff
	s_and_b64 s[0:1], vcc, exec
	s_cselect_b32 s19, s15, 0
	s_cselect_b32 s18, s14, 0x10000
	s_lshl_b32 s3, s2, 1
	s_lshl_b32 s24, s2, 2
	s_add_u32 s6, s10, s12
	v_lshlrev_b32_e32 v1, 2, v0
	s_addc_u32 s7, s11, s13
	v_mov_b32_e32 v2, s7
	v_add_co_u32_e32 v1, vcc, s6, v1
	s_mul_i32 s0, s2, 3
	v_addc_co_u32_e32 v2, vcc, 0, v2, vcc
	v_add_co_u32_e32 v5, vcc, s0, v0
	v_addc_co_u32_e64 v6, s[0:1], 0, 0, vcc
	v_add_co_u32_e32 v7, vcc, s3, v0
	v_addc_co_u32_e64 v8, s[0:1], 0, 0, vcc
	v_add_co_u32_e32 v9, vcc, s2, v0
	v_lshlrev_b32_e32 v3, 2, v9
	v_addc_co_u32_e64 v10, s[0:1], 0, 0, vcc
	v_mov_b32_e32 v4, s7
	v_add_co_u32_e32 v3, vcc, s6, v3
	s_lshl_b32 s25, s2, 4
	s_mul_i32 s26, s2, 12
	s_lshl_b32 s27, s2, 3
	v_addc_co_u32_e32 v4, vcc, 0, v4, vcc
	s_mov_b32 s28, 0x43000000
	v_mov_b32_e32 v11, 0x3c0887f9
	v_mov_b32_e32 v12, 0x3d2aaa81
	;; [unrolled: 1-line block ×3, first 2 shown]
	s_mov_b32 s29, 0x42b17217
	s_mov_b32 s30, 0xc1880000
	v_mov_b32_e32 v14, 0x7f000000
	v_mov_b32_e32 v15, 0x7f800000
	s_branch .LBB148_4
.LBB148_3:                              ;   in Loop: Header=BB148_4 Depth=1
	s_or_b64 exec, exec, s[0:1]
	s_add_u32 s20, s20, s24
	v_add_co_u32_e32 v1, vcc, s25, v1
	s_waitcnt vmcnt(0)
	v_mov_b32_e32 v16, s16
	s_addc_u32 s21, s21, 0
	v_addc_co_u32_e32 v2, vcc, 0, v2, vcc
	v_mov_b32_e32 v17, s17
	v_cmp_lt_i64_e32 vcc, s[20:21], v[16:17]
	v_add_co_u32_e64 v3, s[0:1], s25, v3
	v_addc_co_u32_e64 v4, s[0:1], 0, v4, s[0:1]
	s_cbranch_vccz .LBB148_20
.LBB148_4:                              ; =>This Inner Loop Header: Depth=1
	v_mov_b32_e32 v17, s21
	v_add_co_u32_e32 v16, vcc, s20, v0
	v_addc_co_u32_e32 v17, vcc, 0, v17, vcc
	v_cmp_gt_u64_e64 s[6:7], s[18:19], v[16:17]
	v_mov_b32_e32 v19, 0
	s_and_saveexec_b64 s[0:1], s[6:7]
	s_cbranch_execz .LBB148_6
; %bb.5:                                ;   in Loop: Header=BB148_4 Depth=1
	global_load_dword v19, v[1:2], off
.LBB148_6:                              ;   in Loop: Header=BB148_4 Depth=1
	s_or_b64 exec, exec, s[0:1]
	v_mov_b32_e32 v17, s21
	v_add_co_u32_e32 v16, vcc, s20, v9
	v_addc_co_u32_e32 v17, vcc, v10, v17, vcc
	v_cmp_gt_u64_e64 s[2:3], s[18:19], v[16:17]
	v_mov_b32_e32 v17, 0
	v_mov_b32_e32 v18, 0
	s_and_saveexec_b64 s[0:1], s[2:3]
	s_cbranch_execz .LBB148_8
; %bb.7:                                ;   in Loop: Header=BB148_4 Depth=1
	global_load_dword v18, v[3:4], off
.LBB148_8:                              ;   in Loop: Header=BB148_4 Depth=1
	s_or_b64 exec, exec, s[0:1]
	v_mov_b32_e32 v16, s21
	v_add_co_u32_e32 v20, vcc, s20, v7
	v_addc_co_u32_e32 v21, vcc, v8, v16, vcc
	v_cmp_gt_u64_e64 s[0:1], s[18:19], v[20:21]
	s_and_saveexec_b64 s[8:9], s[0:1]
	s_cbranch_execz .LBB148_10
; %bb.9:                                ;   in Loop: Header=BB148_4 Depth=1
	v_add_co_u32_e32 v16, vcc, s27, v1
	v_addc_co_u32_e32 v17, vcc, 0, v2, vcc
	global_load_dword v17, v[16:17], off
.LBB148_10:                             ;   in Loop: Header=BB148_4 Depth=1
	s_or_b64 exec, exec, s[8:9]
	v_mov_b32_e32 v16, s21
	v_add_co_u32_e32 v20, vcc, s20, v5
	v_addc_co_u32_e32 v21, vcc, v6, v16, vcc
	v_cmp_gt_u64_e32 vcc, s[18:19], v[20:21]
	v_mov_b32_e32 v16, 0
	s_and_saveexec_b64 s[22:23], vcc
	s_cbranch_execnz .LBB148_15
; %bb.11:                               ;   in Loop: Header=BB148_4 Depth=1
	s_or_b64 exec, exec, s[22:23]
	s_and_saveexec_b64 s[8:9], s[6:7]
	s_cbranch_execnz .LBB148_16
.LBB148_12:                             ;   in Loop: Header=BB148_4 Depth=1
	s_or_b64 exec, exec, s[8:9]
	s_and_saveexec_b64 s[6:7], s[2:3]
	s_cbranch_execnz .LBB148_17
.LBB148_13:                             ;   in Loop: Header=BB148_4 Depth=1
	s_or_b64 exec, exec, s[6:7]
	s_and_saveexec_b64 s[2:3], s[0:1]
	s_cbranch_execnz .LBB148_18
.LBB148_14:                             ;   in Loop: Header=BB148_4 Depth=1
	s_or_b64 exec, exec, s[2:3]
	s_and_saveexec_b64 s[0:1], vcc
	s_cbranch_execz .LBB148_3
	s_branch .LBB148_19
.LBB148_15:                             ;   in Loop: Header=BB148_4 Depth=1
	v_add_co_u32_e64 v20, s[8:9], s26, v1
	v_addc_co_u32_e64 v21, s[8:9], 0, v2, s[8:9]
	global_load_dword v16, v[20:21], off
	s_or_b64 exec, exec, s[22:23]
	s_and_saveexec_b64 s[8:9], s[6:7]
	s_cbranch_execz .LBB148_12
.LBB148_16:                             ;   in Loop: Header=BB148_4 Depth=1
	s_waitcnt vmcnt(0)
	v_mul_f32_e32 v20, 0x3fb8aa3b, v19
	v_rndne_f32_e32 v20, v20
	v_mov_b32_e32 v22, v19
	v_fmac_f32_e32 v22, 0xbf317218, v20
	v_cvt_i32_f32_e32 v21, v20
	v_cmp_eq_f32_e64 s[6:7], s28, v20
	v_fmac_f32_e32 v22, 0x3102e308, v20
	v_mov_b32_e32 v20, 0x3ab69700
	v_fmac_f32_e32 v20, 0x395133b1, v22
	v_fma_f32 v20, v22, v20, v11
	v_fma_f32 v20, v22, v20, v12
	;; [unrolled: 1-line block ×3, first 2 shown]
	v_ldexp_f32 v21, 1.0, v21
	v_fma_f32 v20, v22, v20, 0.5
	v_cndmask_b32_e64 v21, v21, v14, s[6:7]
	v_mul_f32_e32 v20, v22, v20
	v_fmac_f32_e32 v22, v22, v20
	v_add_f32_e32 v20, -1.0, v21
	v_fmac_f32_e32 v20, v21, v22
	v_add_f32_e32 v21, v20, v20
	v_cndmask_b32_e64 v20, v20, v21, s[6:7]
	v_cmp_nlt_f32_e64 s[6:7], s29, v19
	v_cndmask_b32_e64 v20, v15, v20, s[6:7]
	v_cmp_ngt_f32_e64 s[6:7], s30, v19
	v_cndmask_b32_e64 v19, -1.0, v20, s[6:7]
	global_store_dword v[1:2], v19, off
	s_or_b64 exec, exec, s[8:9]
	s_and_saveexec_b64 s[6:7], s[2:3]
	s_cbranch_execz .LBB148_13
.LBB148_17:                             ;   in Loop: Header=BB148_4 Depth=1
	s_waitcnt vmcnt(0)
	v_mul_f32_e32 v19, 0x3fb8aa3b, v18
	v_rndne_f32_e32 v19, v19
	v_mov_b32_e32 v20, v18
	v_fmac_f32_e32 v20, 0xbf317218, v19
	v_fmac_f32_e32 v20, 0x3102e308, v19
	v_mov_b32_e32 v21, 0x3ab69700
	v_fmac_f32_e32 v21, 0x395133b1, v20
	v_fma_f32 v21, v20, v21, v11
	v_fma_f32 v21, v20, v21, v12
	v_cvt_i32_f32_e32 v22, v19
	v_fma_f32 v21, v20, v21, v13
	v_fma_f32 v21, v20, v21, 0.5
	v_mul_f32_e32 v21, v20, v21
	v_fmac_f32_e32 v20, v20, v21
	v_ldexp_f32 v21, 1.0, v22
	v_cmp_eq_f32_e64 s[2:3], s28, v19
	v_cndmask_b32_e64 v19, v21, v14, s[2:3]
	v_add_f32_e32 v21, -1.0, v19
	v_fmac_f32_e32 v21, v19, v20
	v_add_f32_e32 v19, v21, v21
	v_cndmask_b32_e64 v19, v21, v19, s[2:3]
	v_cmp_nlt_f32_e64 s[2:3], s29, v18
	v_cndmask_b32_e64 v19, v15, v19, s[2:3]
	v_cmp_ngt_f32_e64 s[2:3], s30, v18
	v_cndmask_b32_e64 v18, -1.0, v19, s[2:3]
	global_store_dword v[3:4], v18, off
	s_or_b64 exec, exec, s[6:7]
	s_and_saveexec_b64 s[2:3], s[0:1]
	s_cbranch_execz .LBB148_14
.LBB148_18:                             ;   in Loop: Header=BB148_4 Depth=1
	s_waitcnt vmcnt(0)
	v_mul_f32_e32 v18, 0x3fb8aa3b, v17
	v_rndne_f32_e32 v18, v18
	v_mov_b32_e32 v19, v17
	v_fmac_f32_e32 v19, 0xbf317218, v18
	v_fmac_f32_e32 v19, 0x3102e308, v18
	v_mov_b32_e32 v20, 0x3ab69700
	v_fmac_f32_e32 v20, 0x395133b1, v19
	v_fma_f32 v20, v19, v20, v11
	v_fma_f32 v20, v19, v20, v12
	v_cvt_i32_f32_e32 v21, v18
	v_fma_f32 v20, v19, v20, v13
	v_fma_f32 v20, v19, v20, 0.5
	v_mul_f32_e32 v20, v19, v20
	v_fmac_f32_e32 v19, v19, v20
	v_ldexp_f32 v20, 1.0, v21
	v_cmp_eq_f32_e64 s[0:1], s28, v18
	v_cndmask_b32_e64 v18, v20, v14, s[0:1]
	v_add_f32_e32 v20, -1.0, v18
	v_fmac_f32_e32 v20, v18, v19
	v_add_f32_e32 v18, v20, v20
	v_cndmask_b32_e64 v18, v20, v18, s[0:1]
	v_cmp_nlt_f32_e64 s[0:1], s29, v17
	v_cndmask_b32_e64 v18, v15, v18, s[0:1]
	v_cmp_ngt_f32_e64 s[0:1], s30, v17
	v_cndmask_b32_e64 v19, -1.0, v18, s[0:1]
	v_add_co_u32_e64 v17, s[0:1], s27, v1
	v_addc_co_u32_e64 v18, s[0:1], 0, v2, s[0:1]
	global_store_dword v[17:18], v19, off
	s_or_b64 exec, exec, s[2:3]
	s_and_saveexec_b64 s[0:1], vcc
	s_cbranch_execz .LBB148_3
.LBB148_19:                             ;   in Loop: Header=BB148_4 Depth=1
	s_waitcnt vmcnt(0)
	v_mul_f32_e32 v17, 0x3fb8aa3b, v16
	v_rndne_f32_e32 v17, v17
	v_mov_b32_e32 v18, v16
	v_fmac_f32_e32 v18, 0xbf317218, v17
	v_fmac_f32_e32 v18, 0x3102e308, v17
	v_mov_b32_e32 v19, 0x3ab69700
	v_fmac_f32_e32 v19, 0x395133b1, v18
	v_fma_f32 v19, v18, v19, v11
	v_fma_f32 v19, v18, v19, v12
	v_cvt_i32_f32_e32 v20, v17
	v_fma_f32 v19, v18, v19, v13
	v_fma_f32 v19, v18, v19, 0.5
	v_mul_f32_e32 v19, v18, v19
	v_fmac_f32_e32 v18, v18, v19
	v_ldexp_f32 v19, 1.0, v20
	v_cmp_eq_f32_e32 vcc, s28, v17
	v_cndmask_b32_e32 v17, v19, v14, vcc
	v_add_f32_e32 v19, -1.0, v17
	v_fmac_f32_e32 v19, v17, v18
	v_add_f32_e32 v17, v19, v19
	v_cndmask_b32_e32 v17, v19, v17, vcc
	v_cmp_nlt_f32_e32 vcc, s29, v16
	v_cndmask_b32_e32 v17, v15, v17, vcc
	v_cmp_ngt_f32_e32 vcc, s30, v16
	v_cndmask_b32_e32 v18, -1.0, v17, vcc
	v_add_co_u32_e32 v16, vcc, s26, v1
	v_addc_co_u32_e32 v17, vcc, 0, v2, vcc
	global_store_dword v[16:17], v18, off
	s_branch .LBB148_3
.LBB148_20:
	s_cbranch_execz .LBB148_22
	s_branch .LBB148_25
.LBB148_21:
.LBB148_22:
	v_mov_b32_e32 v1, 0x10000
	v_mov_b32_e32 v2, 0
	v_cmp_lt_i64_e32 vcc, s[14:15], v[1:2]
	v_mov_b32_e32 v2, 0
	s_and_b64 s[0:1], vcc, exec
	s_cselect_b32 s7, s15, 0
	s_cselect_b32 s6, s14, 0x10000
	v_lshlrev_b32_e32 v1, 2, v0
	v_cmp_gt_i64_e32 vcc, s[6:7], v[1:2]
	s_and_saveexec_b64 s[0:1], vcc
	s_cbranch_execz .LBB148_25
; %bb.23:
	s_load_dword s0, s[4:5], 0xd3c
	v_mov_b32_e32 v1, v2
	v_lshlrev_b32_e32 v2, 4, v0
	s_mov_b64 s[8:9], 0
	v_mov_b32_e32 v4, 0x3c0887f9
	s_waitcnt lgkmcnt(0)
	s_and_b32 s14, s0, 0xffff
	s_add_u32 s0, s10, s12
	s_addc_u32 s1, s11, s13
	v_mov_b32_e32 v3, s1
	v_add_co_u32_e32 v2, vcc, s0, v2
	v_addc_co_u32_e32 v3, vcc, 0, v3, vcc
	v_add_co_u32_e32 v2, vcc, 8, v2
	v_addc_co_u32_e32 v3, vcc, 0, v3, vcc
	s_lshl_b32 s10, s14, 4
	v_mov_b32_e32 v5, 0x3d2aaa81
	v_mov_b32_e32 v6, 0x3e2aaaab
	s_mov_b32 s11, 0x43000000
	v_mov_b32_e32 v7, 0x7f000000
	s_mov_b32 s12, 0x42b17217
	;; [unrolled: 2-line block ×3, first 2 shown]
.LBB148_24:                             ; =>This Inner Loop Header: Depth=1
	global_load_dwordx4 v[9:12], v[2:3], off offset:-8
	v_mov_b32_e32 v13, 0x3ab69700
	v_mov_b32_e32 v14, 0x3ab69700
	v_mov_b32_e32 v15, 0x3ab69700
	v_mov_b32_e32 v16, 0x3ab69700
	s_waitcnt vmcnt(0)
	v_mul_f32_e32 v17, 0x3fb8aa3b, v9
	v_rndne_f32_e32 v17, v17
	v_mov_b32_e32 v19, v9
	v_fmac_f32_e32 v19, 0xbf317218, v17
	v_fmac_f32_e32 v19, 0x3102e308, v17
	v_cvt_i32_f32_e32 v18, v17
	v_fmac_f32_e32 v13, 0x395133b1, v19
	v_fma_f32 v13, v19, v13, v4
	v_fma_f32 v13, v19, v13, v5
	;; [unrolled: 1-line block ×3, first 2 shown]
	v_ldexp_f32 v18, 1.0, v18
	v_cmp_eq_f32_e32 vcc, s11, v17
	v_fma_f32 v13, v19, v13, 0.5
	v_cndmask_b32_e32 v18, v18, v7, vcc
	v_mul_f32_e32 v13, v19, v13
	v_mul_f32_e32 v17, 0x3fb8aa3b, v10
	v_fmac_f32_e32 v19, v19, v13
	v_add_f32_e32 v13, -1.0, v18
	v_rndne_f32_e32 v17, v17
	v_fmac_f32_e32 v13, v18, v19
	v_mov_b32_e32 v19, v10
	v_fmac_f32_e32 v19, 0xbf317218, v17
	v_fmac_f32_e32 v19, 0x3102e308, v17
	v_cvt_i32_f32_e32 v18, v17
	v_fmac_f32_e32 v14, 0x395133b1, v19
	v_fma_f32 v14, v19, v14, v4
	v_fma_f32 v14, v19, v14, v5
	;; [unrolled: 1-line block ×3, first 2 shown]
	v_ldexp_f32 v18, 1.0, v18
	v_cmp_eq_f32_e64 s[0:1], s11, v17
	v_fma_f32 v14, v19, v14, 0.5
	v_cndmask_b32_e64 v18, v18, v7, s[0:1]
	v_mul_f32_e32 v14, v19, v14
	v_mul_f32_e32 v17, 0x3fb8aa3b, v11
	v_fmac_f32_e32 v19, v19, v14
	v_add_f32_e32 v14, -1.0, v18
	v_rndne_f32_e32 v17, v17
	v_fmac_f32_e32 v14, v18, v19
	v_mov_b32_e32 v19, v11
	v_fmac_f32_e32 v19, 0xbf317218, v17
	v_fmac_f32_e32 v19, 0x3102e308, v17
	v_cvt_i32_f32_e32 v18, v17
	v_fmac_f32_e32 v15, 0x395133b1, v19
	v_fma_f32 v15, v19, v15, v4
	v_fma_f32 v15, v19, v15, v5
	;; [unrolled: 1-line block ×3, first 2 shown]
	v_ldexp_f32 v18, 1.0, v18
	v_cmp_eq_f32_e64 s[2:3], s11, v17
	v_fma_f32 v15, v19, v15, 0.5
	v_cndmask_b32_e64 v18, v18, v7, s[2:3]
	v_mul_f32_e32 v15, v19, v15
	v_mul_f32_e32 v17, 0x3fb8aa3b, v12
	v_fmac_f32_e32 v19, v19, v15
	v_add_f32_e32 v15, -1.0, v18
	v_fmac_f32_e32 v15, v18, v19
	v_mov_b32_e32 v18, v12
	v_rndne_f32_e32 v17, v17
	v_fmac_f32_e32 v18, 0xbf317218, v17
	v_fmac_f32_e32 v18, 0x3102e308, v17
	v_cvt_i32_f32_e32 v19, v17
	v_fmac_f32_e32 v16, 0x395133b1, v18
	v_fma_f32 v16, v18, v16, v4
	v_fma_f32 v16, v18, v16, v5
	;; [unrolled: 1-line block ×3, first 2 shown]
	v_ldexp_f32 v19, 1.0, v19
	v_cmp_eq_f32_e64 s[4:5], s11, v17
	v_fma_f32 v16, v18, v16, 0.5
	v_cndmask_b32_e64 v17, v19, v7, s[4:5]
	v_mul_f32_e32 v16, v18, v16
	v_add_f32_e32 v19, -1.0, v17
	v_fmac_f32_e32 v18, v18, v16
	v_add_f32_e32 v16, v13, v13
	v_fmac_f32_e32 v19, v17, v18
	v_add_f32_e32 v17, v14, v14
	v_cndmask_b32_e32 v13, v13, v16, vcc
	v_cmp_nlt_f32_e32 vcc, s12, v9
	v_cndmask_b32_e64 v14, v14, v17, s[0:1]
	v_cndmask_b32_e32 v13, v8, v13, vcc
	v_cmp_nlt_f32_e32 vcc, s12, v10
	v_cndmask_b32_e32 v14, v8, v14, vcc
	v_cmp_ngt_f32_e32 vcc, s13, v9
	v_add_f32_e32 v18, v15, v15
	v_cndmask_b32_e32 v9, -1.0, v13, vcc
	v_cmp_ngt_f32_e32 vcc, s13, v10
	v_cndmask_b32_e64 v15, v15, v18, s[2:3]
	v_cndmask_b32_e32 v10, -1.0, v14, vcc
	v_cmp_nlt_f32_e32 vcc, s12, v11
	v_add_f32_e32 v13, v19, v19
	v_cndmask_b32_e32 v14, v8, v15, vcc
	v_cmp_ngt_f32_e32 vcc, s13, v11
	v_cndmask_b32_e32 v11, -1.0, v14, vcc
	v_cndmask_b32_e64 v13, v19, v13, s[4:5]
	v_cmp_nlt_f32_e32 vcc, s12, v12
	v_cndmask_b32_e32 v15, v8, v13, vcc
	v_add_co_u32_e32 v0, vcc, s14, v0
	v_addc_co_u32_e32 v1, vcc, 0, v1, vcc
	v_lshlrev_b64 v[13:14], 2, v[0:1]
	v_cmp_ngt_f32_e32 vcc, s13, v12
	v_cndmask_b32_e32 v12, -1.0, v15, vcc
	v_cmp_le_i64_e32 vcc, s[6:7], v[13:14]
	global_store_dwordx4 v[2:3], v[9:12], off offset:-8
	s_or_b64 s[8:9], vcc, s[8:9]
	v_add_co_u32_e32 v2, vcc, s10, v2
	v_addc_co_u32_e32 v3, vcc, 0, v3, vcc
	s_andn2_b64 exec, exec, s[8:9]
	s_cbranch_execnz .LBB148_24
.LBB148_25:
	s_endpgm
	.section	.rodata,"a",@progbits
	.p2align	6, 0x0
	.amdhsa_kernel _ZN2at6native12_GLOBAL__N_125multi_tensor_apply_kernelINS1_18TensorListMetadataILi1EEENS1_14UnaryOpFunctorIfLi1ELi1ELi0EEEJNS0_5Expm1IfEEEEEvT_T0_DpT1_
		.amdhsa_group_segment_fixed_size 0
		.amdhsa_private_segment_fixed_size 0
		.amdhsa_kernarg_size 3632
		.amdhsa_user_sgpr_count 6
		.amdhsa_user_sgpr_private_segment_buffer 1
		.amdhsa_user_sgpr_dispatch_ptr 0
		.amdhsa_user_sgpr_queue_ptr 0
		.amdhsa_user_sgpr_kernarg_segment_ptr 1
		.amdhsa_user_sgpr_dispatch_id 0
		.amdhsa_user_sgpr_flat_scratch_init 0
		.amdhsa_user_sgpr_private_segment_size 0
		.amdhsa_uses_dynamic_stack 0
		.amdhsa_system_sgpr_private_segment_wavefront_offset 0
		.amdhsa_system_sgpr_workgroup_id_x 1
		.amdhsa_system_sgpr_workgroup_id_y 0
		.amdhsa_system_sgpr_workgroup_id_z 0
		.amdhsa_system_sgpr_workgroup_info 0
		.amdhsa_system_vgpr_workitem_id 0
		.amdhsa_next_free_vgpr 23
		.amdhsa_next_free_sgpr 31
		.amdhsa_reserve_vcc 1
		.amdhsa_reserve_flat_scratch 0
		.amdhsa_float_round_mode_32 0
		.amdhsa_float_round_mode_16_64 0
		.amdhsa_float_denorm_mode_32 3
		.amdhsa_float_denorm_mode_16_64 3
		.amdhsa_dx10_clamp 1
		.amdhsa_ieee_mode 1
		.amdhsa_fp16_overflow 0
		.amdhsa_exception_fp_ieee_invalid_op 0
		.amdhsa_exception_fp_denorm_src 0
		.amdhsa_exception_fp_ieee_div_zero 0
		.amdhsa_exception_fp_ieee_overflow 0
		.amdhsa_exception_fp_ieee_underflow 0
		.amdhsa_exception_fp_ieee_inexact 0
		.amdhsa_exception_int_div_zero 0
	.end_amdhsa_kernel
	.section	.text._ZN2at6native12_GLOBAL__N_125multi_tensor_apply_kernelINS1_18TensorListMetadataILi1EEENS1_14UnaryOpFunctorIfLi1ELi1ELi0EEEJNS0_5Expm1IfEEEEEvT_T0_DpT1_,"axG",@progbits,_ZN2at6native12_GLOBAL__N_125multi_tensor_apply_kernelINS1_18TensorListMetadataILi1EEENS1_14UnaryOpFunctorIfLi1ELi1ELi0EEEJNS0_5Expm1IfEEEEEvT_T0_DpT1_,comdat
.Lfunc_end148:
	.size	_ZN2at6native12_GLOBAL__N_125multi_tensor_apply_kernelINS1_18TensorListMetadataILi1EEENS1_14UnaryOpFunctorIfLi1ELi1ELi0EEEJNS0_5Expm1IfEEEEEvT_T0_DpT1_, .Lfunc_end148-_ZN2at6native12_GLOBAL__N_125multi_tensor_apply_kernelINS1_18TensorListMetadataILi1EEENS1_14UnaryOpFunctorIfLi1ELi1ELi0EEEJNS0_5Expm1IfEEEEEvT_T0_DpT1_
                                        ; -- End function
	.set _ZN2at6native12_GLOBAL__N_125multi_tensor_apply_kernelINS1_18TensorListMetadataILi1EEENS1_14UnaryOpFunctorIfLi1ELi1ELi0EEEJNS0_5Expm1IfEEEEEvT_T0_DpT1_.num_vgpr, 23
	.set _ZN2at6native12_GLOBAL__N_125multi_tensor_apply_kernelINS1_18TensorListMetadataILi1EEENS1_14UnaryOpFunctorIfLi1ELi1ELi0EEEJNS0_5Expm1IfEEEEEvT_T0_DpT1_.num_agpr, 0
	.set _ZN2at6native12_GLOBAL__N_125multi_tensor_apply_kernelINS1_18TensorListMetadataILi1EEENS1_14UnaryOpFunctorIfLi1ELi1ELi0EEEJNS0_5Expm1IfEEEEEvT_T0_DpT1_.numbered_sgpr, 31
	.set _ZN2at6native12_GLOBAL__N_125multi_tensor_apply_kernelINS1_18TensorListMetadataILi1EEENS1_14UnaryOpFunctorIfLi1ELi1ELi0EEEJNS0_5Expm1IfEEEEEvT_T0_DpT1_.num_named_barrier, 0
	.set _ZN2at6native12_GLOBAL__N_125multi_tensor_apply_kernelINS1_18TensorListMetadataILi1EEENS1_14UnaryOpFunctorIfLi1ELi1ELi0EEEJNS0_5Expm1IfEEEEEvT_T0_DpT1_.private_seg_size, 0
	.set _ZN2at6native12_GLOBAL__N_125multi_tensor_apply_kernelINS1_18TensorListMetadataILi1EEENS1_14UnaryOpFunctorIfLi1ELi1ELi0EEEJNS0_5Expm1IfEEEEEvT_T0_DpT1_.uses_vcc, 1
	.set _ZN2at6native12_GLOBAL__N_125multi_tensor_apply_kernelINS1_18TensorListMetadataILi1EEENS1_14UnaryOpFunctorIfLi1ELi1ELi0EEEJNS0_5Expm1IfEEEEEvT_T0_DpT1_.uses_flat_scratch, 0
	.set _ZN2at6native12_GLOBAL__N_125multi_tensor_apply_kernelINS1_18TensorListMetadataILi1EEENS1_14UnaryOpFunctorIfLi1ELi1ELi0EEEJNS0_5Expm1IfEEEEEvT_T0_DpT1_.has_dyn_sized_stack, 0
	.set _ZN2at6native12_GLOBAL__N_125multi_tensor_apply_kernelINS1_18TensorListMetadataILi1EEENS1_14UnaryOpFunctorIfLi1ELi1ELi0EEEJNS0_5Expm1IfEEEEEvT_T0_DpT1_.has_recursion, 0
	.set _ZN2at6native12_GLOBAL__N_125multi_tensor_apply_kernelINS1_18TensorListMetadataILi1EEENS1_14UnaryOpFunctorIfLi1ELi1ELi0EEEJNS0_5Expm1IfEEEEEvT_T0_DpT1_.has_indirect_call, 0
	.section	.AMDGPU.csdata,"",@progbits
; Kernel info:
; codeLenInByte = 2300
; TotalNumSgprs: 35
; NumVgprs: 23
; ScratchSize: 0
; MemoryBound: 0
; FloatMode: 240
; IeeeMode: 1
; LDSByteSize: 0 bytes/workgroup (compile time only)
; SGPRBlocks: 4
; VGPRBlocks: 5
; NumSGPRsForWavesPerEU: 35
; NumVGPRsForWavesPerEU: 23
; Occupancy: 10
; WaveLimiterHint : 0
; COMPUTE_PGM_RSRC2:SCRATCH_EN: 0
; COMPUTE_PGM_RSRC2:USER_SGPR: 6
; COMPUTE_PGM_RSRC2:TRAP_HANDLER: 0
; COMPUTE_PGM_RSRC2:TGID_X_EN: 1
; COMPUTE_PGM_RSRC2:TGID_Y_EN: 0
; COMPUTE_PGM_RSRC2:TGID_Z_EN: 0
; COMPUTE_PGM_RSRC2:TIDIG_COMP_CNT: 0
	.section	.text._ZN2at6native12_GLOBAL__N_125multi_tensor_apply_kernelINS1_18TensorListMetadataILi1EEENS1_14UnaryOpFunctorIN3c107complexIdEELi1ELi1ELi0EEEJNS0_5Expm1IS8_EEEEEvT_T0_DpT1_,"axG",@progbits,_ZN2at6native12_GLOBAL__N_125multi_tensor_apply_kernelINS1_18TensorListMetadataILi1EEENS1_14UnaryOpFunctorIN3c107complexIdEELi1ELi1ELi0EEEJNS0_5Expm1IS8_EEEEEvT_T0_DpT1_,comdat
	.globl	_ZN2at6native12_GLOBAL__N_125multi_tensor_apply_kernelINS1_18TensorListMetadataILi1EEENS1_14UnaryOpFunctorIN3c107complexIdEELi1ELi1ELi0EEEJNS0_5Expm1IS8_EEEEEvT_T0_DpT1_ ; -- Begin function _ZN2at6native12_GLOBAL__N_125multi_tensor_apply_kernelINS1_18TensorListMetadataILi1EEENS1_14UnaryOpFunctorIN3c107complexIdEELi1ELi1ELi0EEEJNS0_5Expm1IS8_EEEEEvT_T0_DpT1_
	.p2align	8
	.type	_ZN2at6native12_GLOBAL__N_125multi_tensor_apply_kernelINS1_18TensorListMetadataILi1EEENS1_14UnaryOpFunctorIN3c107complexIdEELi1ELi1ELi0EEEJNS0_5Expm1IS8_EEEEEvT_T0_DpT1_,@function
_ZN2at6native12_GLOBAL__N_125multi_tensor_apply_kernelINS1_18TensorListMetadataILi1EEENS1_14UnaryOpFunctorIN3c107complexIdEELi1ELi1ELi0EEEJNS0_5Expm1IS8_EEEEEvT_T0_DpT1_: ; @_ZN2at6native12_GLOBAL__N_125multi_tensor_apply_kernelINS1_18TensorListMetadataILi1EEENS1_14UnaryOpFunctorIN3c107complexIdEELi1ELi1ELi0EEEJNS0_5Expm1IS8_EEEEEvT_T0_DpT1_
; %bb.0:
	v_mov_b32_e32 v1, s6
	global_load_ubyte v1, v1, s[4:5] offset:1760
	s_mov_b64 s[98:99], s[2:3]
	s_mov_b64 s[96:97], s[0:1]
	s_add_u32 s96, s96, s7
	s_addc_u32 s97, s97, 0
	s_add_u32 s0, s4, s6
	s_mul_hi_u32 s1, s6, 3
	s_mul_i32 s6, s6, 3
	s_addc_u32 s2, s5, 0
	s_add_u32 s0, s0, s6
	s_addc_u32 s1, s2, s1
	s_load_dword s0, s[0:1], 0x820
                                        ; implicit-def: $vgpr127 : SGPR spill to VGPR lane
	s_waitcnt vmcnt(0)
	v_readfirstlane_b32 s1, v1
	s_lshl_b32 s1, s1, 3
	s_load_dwordx2 s[6:7], s[4:5], s1 offset:0x0
	v_writelane_b32 v127, s4, 0
	s_load_dwordx2 s[2:3], s[4:5], s1 offset:0x370
                                        ; kill: killed $sgpr1
	s_waitcnt lgkmcnt(0)
	s_ashr_i32 s1, s0, 31
	v_writelane_b32 v127, s5, 1
	s_lshl_b64 s[8:9], s[0:1], 20
	s_add_u32 s33, s6, s8
	v_writelane_b32 v127, s6, 2
	v_writelane_b32 v127, s7, 3
	;; [unrolled: 1-line block ×3, first 2 shown]
	s_addc_u32 s12, s7, s9
	s_lshl_b64 s[0:1], s[0:1], 16
	s_and_b32 s4, s33, 63
	s_mov_b32 s5, 0
	s_sub_u32 s6, s2, s0
	s_subb_u32 s7, s3, s1
	s_and_b32 s0, s2, 3
	s_mov_b32 s1, s5
	s_or_b64 s[0:1], s[4:5], s[0:1]
	v_writelane_b32 v127, s9, 5
	s_cmp_eq_u64 s[0:1], 0
	s_cbranch_scc1 .LBB149_69
; %bb.1:
	v_writelane_b32 v127, s6, 6
	v_cmp_lt_i64_e64 s[0:1], s[6:7], 1
	v_writelane_b32 v127, s7, 7
	s_and_b64 vcc, exec, s[0:1]
	s_cbranch_vccnz .LBB149_68
; %bb.2:
	v_readlane_b32 s0, v127, 0
	v_readlane_b32 s1, v127, 1
	v_mov_b32_e32 v1, 0x10000
	v_readlane_b32 s4, v127, 6
	s_load_dword s2, s[0:1], 0xd3c
	v_mov_b32_e32 v2, 0
	v_readlane_b32 s5, v127, 7
	v_cmp_lt_i64_e32 vcc, s[4:5], v[1:2]
	v_mov_b32_e32 v17, 0
	s_and_b64 s[0:1], vcc, exec
	v_cmp_lt_u64_e32 vcc, s[4:5], v[1:2]
	s_cselect_b32 s19, s5, 0
	s_cselect_b32 s18, s4, 0x10000
	s_waitcnt lgkmcnt(0)
	s_and_b32 s2, s2, 0xffff
	s_and_b64 s[0:1], vcc, exec
	s_cselect_b32 s21, s5, 0
	s_cselect_b32 s20, s4, 0x10000
	s_mul_i32 s4, s2, 3
	s_lshl_b32 s0, s2, 6
	v_add_co_u32_e32 v90, vcc, s2, v0
	v_lshlrev_b32_e32 v19, 4, v0
	v_mov_b32_e32 v20, v17
	v_writelane_b32 v127, s0, 8
	v_addc_co_u32_e64 v125, s[0:1], 0, 0, vcc
	v_add_co_u32_e32 v126, vcc, s4, v0
	v_mad_u64_u32 v[20:21], s[0:1], s2, 48, v[19:20]
	v_addc_co_u32_e64 v1, s[0:1], 0, 0, vcc
	s_lshl_b32 s0, s2, 5
	s_lshl_b32 s3, s2, 1
	buffer_store_dword v1, off, s[96:99], 0 ; 4-byte Folded Spill
	v_add_co_u32_e32 v1, vcc, s0, v19
	v_addc_co_u32_e64 v95, s[0:1], 0, 0, vcc
	v_add_co_u32_e32 v97, vcc, s3, v0
	s_mov_b32 s22, 0x54442d18
	s_mov_b32 s24, 0x6dc9c883
	;; [unrolled: 1-line block ×22, first 2 shown]
	s_lshl_b32 s41, s2, 2
	v_or_b32_e32 v20, 8, v20
	v_or_b32_e32 v96, 8, v1
	v_addc_co_u32_e64 v98, s[0:1], 0, 0, vcc
	s_movk_i32 s13, 0xff80
	s_mov_b32 s23, 0xbff921fb
	s_mov_b32 s25, 0x3fe45f30
	;; [unrolled: 1-line block ×14, first 2 shown]
	v_mov_b32_e32 v99, 0x40100000
	v_mov_b32_e32 v100, 0x3ff00000
	;; [unrolled: 1-line block ×4, first 2 shown]
	s_mov_b32 s73, 0xbe5ae600
	v_mov_b32_e32 v94, 0xbff00000
	v_mov_b32_e32 v104, 0x7ff80000
	s_mov_b32 s75, 0x3de5e0b2
	v_mov_b32_e32 v22, 0xfca7ab0c
	s_mov_b32 s77, 0x3ec71de3
	;; [unrolled: 2-line block ×3, first 2 shown]
	v_mov_b32_e32 v23, 0x3e928af3
	v_mov_b32_e32 v25, 0x3e5af4eb
	s_movk_i32 s40, 0x1f8
	s_mov_b64 s[80:81], 0
	s_mov_b32 s83, 0x41d00000
	s_mov_b32 s85, 0x7b000000
	;; [unrolled: 1-line block ×17, first 2 shown]
	s_branch .LBB149_4
.LBB149_3:                              ;   in Loop: Header=BB149_4 Depth=1
	s_or_b64 exec, exec, s[6:7]
	s_add_u32 s80, s80, s41
	v_mov_b32_e32 v1, s18
	s_addc_u32 s81, s81, 0
	v_mov_b32_e32 v2, s19
	v_readlane_b32 s0, v127, 8
	v_cmp_ge_i64_e32 vcc, s[80:81], v[1:2]
	s_add_u32 s33, s33, s0
	s_addc_u32 s12, s12, 0
	s_cbranch_vccnz .LBB149_68
.LBB149_4:                              ; =>This Inner Loop Header: Depth=1
	v_mov_b32_e32 v2, s81
	v_add_co_u32_e32 v1, vcc, s80, v0
	v_addc_co_u32_e32 v2, vcc, 0, v2, vcc
	v_cmp_gt_u64_e64 s[6:7], s[20:21], v[1:2]
	v_mov_b32_e32 v11, 0
	v_mov_b32_e32 v15, 0
	;; [unrolled: 1-line block ×6, first 2 shown]
	s_and_saveexec_b64 s[0:1], s[6:7]
	s_cbranch_execz .LBB149_6
; %bb.5:                                ;   in Loop: Header=BB149_4 Depth=1
	v_mov_b32_e32 v2, s12
	v_add_co_u32_e32 v1, vcc, s33, v19
	v_addc_co_u32_e32 v2, vcc, 0, v2, vcc
	global_load_dwordx4 v[13:16], v[1:2], off
.LBB149_6:                              ;   in Loop: Header=BB149_4 Depth=1
	s_or_b64 exec, exec, s[0:1]
	v_mov_b32_e32 v2, s81
	v_add_co_u32_e32 v1, vcc, s80, v90
	v_addc_co_u32_e32 v2, vcc, v125, v2, vcc
	v_cmp_gt_u64_e64 s[2:3], s[20:21], v[1:2]
	v_mov_b32_e32 v9, 0
	v_mov_b32_e32 v10, 0
	s_and_saveexec_b64 s[0:1], s[2:3]
	s_cbranch_execz .LBB149_8
; %bb.7:                                ;   in Loop: Header=BB149_4 Depth=1
	v_lshlrev_b32_e32 v1, 4, v90
	v_mov_b32_e32 v2, s12
	v_add_co_u32_e32 v1, vcc, s33, v1
	v_addc_co_u32_e32 v2, vcc, 0, v2, vcc
	global_load_dwordx4 v[9:12], v[1:2], off
.LBB149_8:                              ;   in Loop: Header=BB149_4 Depth=1
	s_or_b64 exec, exec, s[0:1]
	v_mov_b32_e32 v2, s81
	v_add_co_u32_e32 v1, vcc, s80, v97
	v_addc_co_u32_e32 v2, vcc, v98, v2, vcc
	v_cmp_gt_u64_e64 s[0:1], s[20:21], v[1:2]
	v_mov_b32_e32 v3, 0
	v_mov_b32_e32 v7, 0
	;; [unrolled: 1-line block ×6, first 2 shown]
	s_and_saveexec_b64 s[8:9], s[0:1]
	s_cbranch_execz .LBB149_10
; %bb.9:                                ;   in Loop: Header=BB149_4 Depth=1
	v_mov_b32_e32 v2, s12
	v_add_co_u32_e32 v1, vcc, s33, v96
	v_addc_co_u32_e32 v2, vcc, v2, v95, vcc
	global_load_dwordx4 v[5:8], v[1:2], off offset:-8
.LBB149_10:                             ;   in Loop: Header=BB149_4 Depth=1
	s_or_b64 exec, exec, s[8:9]
	buffer_load_dword v18, off, s[96:99], 0 ; 4-byte Folded Reload
	v_mov_b32_e32 v2, s81
	v_add_co_u32_e32 v1, vcc, s80, v126
	s_waitcnt vmcnt(0)
	v_addc_co_u32_e32 v2, vcc, v18, v2, vcc
	v_cmp_gt_u64_e32 vcc, s[20:21], v[1:2]
	v_mov_b32_e32 v1, 0
	v_mov_b32_e32 v2, 0
	s_and_saveexec_b64 s[10:11], vcc
	s_cbranch_execz .LBB149_12
; %bb.11:                               ;   in Loop: Header=BB149_4 Depth=1
	v_mov_b32_e32 v2, s12
	v_add_co_u32_e64 v1, s[8:9], s33, v20
	v_addc_co_u32_e64 v2, s[8:9], v2, v21, s[8:9]
	global_load_dwordx4 v[1:4], v[1:2], off offset:-8
.LBB149_12:                             ;   in Loop: Header=BB149_4 Depth=1
	s_or_b64 exec, exec, s[10:11]
	v_mul_f64 v[32:33], v[15:16], 0.5
                                        ; implicit-def: $vgpr108
                                        ; implicit-def: $vgpr46_vgpr47
                                        ; implicit-def: $vgpr48_vgpr49
	v_cmp_nlt_f64_e64 s[8:9], |v[32:33]|, s[82:83]
	s_and_saveexec_b64 s[10:11], s[8:9]
	s_xor_b64 s[60:61], exec, s[10:11]
	s_cbranch_execz .LBB149_14
; %bb.13:                               ;   in Loop: Header=BB149_4 Depth=1
	v_trig_preop_f64 v[26:27], |v[32:33]|, 0
	v_cmp_ge_f64_e64 s[8:9], |v[32:33]|, s[84:85]
	v_ldexp_f64 v[30:31], |v[32:33]|, s13
	v_trig_preop_f64 v[28:29], |v[32:33]|, 1
	v_and_b32_e32 v18, 0x7fffffff, v33
	s_mov_b32 s88, s22
	s_mov_b32 s93, s91
	v_cndmask_b32_e64 v31, v18, v31, s[8:9]
	v_cndmask_b32_e64 v30, v32, v30, s[8:9]
	v_mul_f64 v[36:37], v[26:27], v[30:31]
	v_mul_f64 v[34:35], v[28:29], v[30:31]
	v_fma_f64 v[26:27], v[26:27], v[30:31], -v[36:37]
	v_fma_f64 v[28:29], v[28:29], v[30:31], -v[34:35]
	v_add_f64 v[38:39], v[34:35], v[26:27]
	v_add_f64 v[46:47], v[38:39], -v[34:35]
	v_add_f64 v[40:41], v[36:37], v[38:39]
	v_add_f64 v[26:27], v[26:27], -v[46:47]
	v_add_f64 v[46:47], v[38:39], -v[46:47]
	v_ldexp_f64 v[42:43], v[40:41], -2
	v_add_f64 v[36:37], v[40:41], -v[36:37]
	v_add_f64 v[46:47], v[34:35], -v[46:47]
	v_trig_preop_f64 v[34:35], |v[32:33]|, 2
	v_fract_f64_e32 v[44:45], v[42:43]
	v_add_f64 v[36:37], v[38:39], -v[36:37]
	v_cmp_neq_f64_e64 s[8:9], |v[42:43]|, s[86:87]
	v_add_f64 v[26:27], v[26:27], v[46:47]
	v_mul_f64 v[46:47], v[34:35], v[30:31]
	v_add_f64 v[48:49], v[46:47], v[28:29]
	v_add_f64 v[50:51], v[48:49], v[26:27]
	v_add_f64 v[40:41], v[50:51], -v[48:49]
	v_add_f64 v[38:39], v[36:37], v[50:51]
	v_add_f64 v[26:27], v[26:27], -v[40:41]
	v_add_f64 v[40:41], v[50:51], -v[40:41]
	;; [unrolled: 1-line block ×5, first 2 shown]
	v_add_f64 v[26:27], v[26:27], v[40:41]
	v_add_f64 v[40:41], v[48:49], -v[46:47]
	v_add_f64 v[28:29], v[28:29], -v[40:41]
	v_add_f64 v[40:41], v[48:49], -v[40:41]
	v_add_f64 v[40:41], v[46:47], -v[40:41]
	v_add_f64 v[28:29], v[28:29], v[40:41]
	v_add_f64 v[26:27], v[28:29], v[26:27]
	v_fma_f64 v[28:29], v[34:35], v[30:31], -v[46:47]
	v_add_f64 v[26:27], v[28:29], v[26:27]
	v_ldexp_f64 v[28:29], v[44:45], 2
	v_add_f64 v[26:27], v[36:37], v[26:27]
	v_cndmask_b32_e64 v29, 0, v29, s[8:9]
	v_cndmask_b32_e64 v28, 0, v28, s[8:9]
	v_add_f64 v[30:31], v[38:39], v[28:29]
	v_cmp_gt_f64_e64 s[8:9], 0, v[30:31]
	v_cndmask_b32_e64 v18, 0, v99, s[8:9]
	v_add_f64 v[28:29], v[28:29], v[17:18]
	v_add_f64 v[30:31], v[38:39], v[28:29]
	v_cvt_i32_f64_e32 v18, v[30:31]
	v_cvt_f64_i32_e32 v[30:31], v18
	v_add_f64 v[28:29], v[28:29], -v[30:31]
	v_add_f64 v[30:31], v[38:39], v[28:29]
	v_add_f64 v[28:29], v[30:31], -v[28:29]
	v_cmp_le_f64_e64 s[8:9], 0.5, v[30:31]
	v_add_f64 v[28:29], v[38:39], -v[28:29]
	v_addc_co_u32_e64 v108, s[10:11], 0, v18, s[8:9]
	v_cndmask_b32_e64 v18, 0, v100, s[8:9]
	v_add_f64 v[26:27], v[26:27], v[28:29]
	v_add_f64 v[28:29], v[30:31], -v[17:18]
	v_add_f64 v[30:31], v[28:29], v[26:27]
	v_add_f64 v[28:29], v[30:31], -v[28:29]
	v_add_f64 v[26:27], v[26:27], -v[28:29]
	v_mul_f64 v[28:29], v[30:31], s[88:89]
	v_fma_f64 v[34:35], v[30:31], s[88:89], -v[28:29]
	v_fma_f64 v[30:31], v[30:31], s[92:93], v[34:35]
	v_fma_f64 v[26:27], v[26:27], s[88:89], v[30:31]
	v_add_f64 v[46:47], v[28:29], v[26:27]
	v_add_f64 v[28:29], v[46:47], -v[28:29]
	v_add_f64 v[48:49], v[26:27], -v[28:29]
.LBB149_14:                             ;   in Loop: Header=BB149_4 Depth=1
	s_andn2_saveexec_b64 s[8:9], s[60:61]
	s_cbranch_execz .LBB149_16
; %bb.15:                               ;   in Loop: Header=BB149_4 Depth=1
	v_mul_f64 v[26:27], |v[32:33]|, s[24:25]
	s_mov_b32 s90, s26
	v_rndne_f64_e32 v[26:27], v[26:27]
	v_fma_f64 v[28:29], v[26:27], s[22:23], |v[32:33]|
	v_mul_f64 v[30:31], v[26:27], s[26:27]
	v_cvt_i32_f64_e32 v108, v[26:27]
	v_add_f64 v[34:35], v[28:29], v[30:31]
	v_add_f64 v[36:37], v[28:29], -v[34:35]
	v_fma_f64 v[28:29], v[26:27], s[26:27], v[28:29]
	v_add_f64 v[36:37], v[36:37], v[30:31]
	v_add_f64 v[34:35], v[34:35], -v[28:29]
	v_fma_f64 v[30:31], v[26:27], s[90:91], v[30:31]
	;; [unrolled: 3-line block ×3, first 2 shown]
	v_add_f64 v[46:47], v[28:29], v[30:31]
	v_add_f64 v[28:29], v[46:47], -v[28:29]
	v_add_f64 v[48:49], v[30:31], -v[28:29]
.LBB149_16:                             ;   in Loop: Header=BB149_4 Depth=1
	s_or_b64 exec, exec, s[8:9]
	v_trig_preop_f64 v[30:31], |v[15:16]|, 0
	v_trig_preop_f64 v[28:29], |v[15:16]|, 1
	;; [unrolled: 1-line block ×3, first 2 shown]
	v_cmp_nlt_f64_e64 s[60:61], |v[15:16]|, s[82:83]
	v_ldexp_f64 v[34:35], |v[15:16]|, s13
	v_and_b32_e32 v36, 0x7fffffff, v16
                                        ; implicit-def: $vgpr116
                                        ; implicit-def: $vgpr78_vgpr79
                                        ; implicit-def: $vgpr80_vgpr81
	s_and_saveexec_b64 s[8:9], s[60:61]
	s_xor_b64 s[64:65], exec, s[8:9]
	s_cbranch_execz .LBB149_18
; %bb.17:                               ;   in Loop: Header=BB149_4 Depth=1
	v_cmp_ge_f64_e64 s[8:9], |v[15:16]|, s[84:85]
	s_mov_b32 s88, s22
	s_mov_b32 s93, s91
	v_cndmask_b32_e64 v38, v36, v35, s[8:9]
	v_cndmask_b32_e64 v37, v15, v34, s[8:9]
	v_mul_f64 v[41:42], v[30:31], v[37:38]
	v_mul_f64 v[39:40], v[28:29], v[37:38]
	v_fma_f64 v[43:44], v[30:31], v[37:38], -v[41:42]
	v_add_f64 v[50:51], v[39:40], v[43:44]
	v_add_f64 v[58:59], v[50:51], -v[39:40]
	v_add_f64 v[52:53], v[41:42], v[50:51]
	v_add_f64 v[43:44], v[43:44], -v[58:59]
	v_add_f64 v[58:59], v[50:51], -v[58:59]
	v_ldexp_f64 v[54:55], v[52:53], -2
	v_add_f64 v[41:42], v[52:53], -v[41:42]
	v_add_f64 v[58:59], v[39:40], -v[58:59]
	v_fma_f64 v[39:40], v[28:29], v[37:38], -v[39:40]
	v_add_f64 v[41:42], v[50:51], -v[41:42]
	v_fract_f64_e32 v[56:57], v[54:55]
	v_cmp_neq_f64_e64 s[8:9], |v[54:55]|, s[86:87]
	v_add_f64 v[43:44], v[43:44], v[58:59]
	v_mul_f64 v[58:59], v[26:27], v[37:38]
	v_add_f64 v[60:61], v[58:59], v[39:40]
	v_fma_f64 v[37:38], v[26:27], v[37:38], -v[58:59]
	v_add_f64 v[62:63], v[60:61], v[43:44]
	v_add_f64 v[52:53], v[62:63], -v[60:61]
	v_add_f64 v[50:51], v[41:42], v[62:63]
	v_add_f64 v[43:44], v[43:44], -v[52:53]
	v_add_f64 v[52:53], v[62:63], -v[52:53]
	;; [unrolled: 1-line block ×5, first 2 shown]
	v_add_f64 v[43:44], v[43:44], v[52:53]
	v_add_f64 v[52:53], v[60:61], -v[58:59]
	v_add_f64 v[39:40], v[39:40], -v[52:53]
	;; [unrolled: 1-line block ×4, first 2 shown]
	v_add_f64 v[39:40], v[39:40], v[52:53]
	v_add_f64 v[39:40], v[39:40], v[43:44]
	;; [unrolled: 1-line block ×3, first 2 shown]
	v_ldexp_f64 v[39:40], v[56:57], 2
	v_add_f64 v[37:38], v[41:42], v[37:38]
	v_cndmask_b32_e64 v40, 0, v40, s[8:9]
	v_cndmask_b32_e64 v39, 0, v39, s[8:9]
	v_add_f64 v[41:42], v[50:51], v[39:40]
	v_cmp_gt_f64_e64 s[8:9], 0, v[41:42]
	v_cndmask_b32_e64 v18, 0, v99, s[8:9]
	v_add_f64 v[39:40], v[39:40], v[17:18]
	v_add_f64 v[41:42], v[50:51], v[39:40]
	v_cvt_i32_f64_e32 v18, v[41:42]
	v_cvt_f64_i32_e32 v[41:42], v18
	v_add_f64 v[39:40], v[39:40], -v[41:42]
	v_add_f64 v[41:42], v[50:51], v[39:40]
	v_add_f64 v[39:40], v[41:42], -v[39:40]
	v_cmp_le_f64_e64 s[8:9], 0.5, v[41:42]
	v_add_f64 v[39:40], v[50:51], -v[39:40]
	v_addc_co_u32_e64 v116, s[10:11], 0, v18, s[8:9]
	v_cndmask_b32_e64 v18, 0, v100, s[8:9]
	v_add_f64 v[37:38], v[37:38], v[39:40]
	v_add_f64 v[39:40], v[41:42], -v[17:18]
	v_add_f64 v[41:42], v[39:40], v[37:38]
	v_add_f64 v[39:40], v[41:42], -v[39:40]
	v_add_f64 v[37:38], v[37:38], -v[39:40]
	v_mul_f64 v[39:40], v[41:42], s[88:89]
	v_fma_f64 v[43:44], v[41:42], s[88:89], -v[39:40]
	v_fma_f64 v[41:42], v[41:42], s[92:93], v[43:44]
	v_fma_f64 v[37:38], v[37:38], s[88:89], v[41:42]
	v_add_f64 v[78:79], v[39:40], v[37:38]
	v_add_f64 v[39:40], v[78:79], -v[39:40]
	v_add_f64 v[80:81], v[37:38], -v[39:40]
	s_andn2_saveexec_b64 s[8:9], s[64:65]
	s_cbranch_execz .LBB149_20
	s_branch .LBB149_19
.LBB149_18:                             ;   in Loop: Header=BB149_4 Depth=1
	s_andn2_saveexec_b64 s[8:9], s[64:65]
	s_cbranch_execz .LBB149_20
.LBB149_19:                             ;   in Loop: Header=BB149_4 Depth=1
	v_mul_f64 v[37:38], |v[15:16]|, s[24:25]
	s_mov_b32 s90, s26
	v_rndne_f64_e32 v[37:38], v[37:38]
	v_fma_f64 v[39:40], v[37:38], s[22:23], |v[15:16]|
	v_mul_f64 v[41:42], v[37:38], s[26:27]
	v_cvt_i32_f64_e32 v116, v[37:38]
	v_add_f64 v[43:44], v[39:40], v[41:42]
	v_add_f64 v[50:51], v[39:40], -v[43:44]
	v_fma_f64 v[39:40], v[37:38], s[26:27], v[39:40]
	v_add_f64 v[50:51], v[50:51], v[41:42]
	v_add_f64 v[43:44], v[43:44], -v[39:40]
	v_fma_f64 v[41:42], v[37:38], s[90:91], v[41:42]
	;; [unrolled: 3-line block ×3, first 2 shown]
	v_add_f64 v[78:79], v[39:40], v[41:42]
	v_add_f64 v[39:40], v[78:79], -v[39:40]
	v_add_f64 v[80:81], v[41:42], -v[39:40]
.LBB149_20:                             ;   in Loop: Header=BB149_4 Depth=1
	s_or_b64 exec, exec, s[8:9]
                                        ; implicit-def: $vgpr112
                                        ; implicit-def: $vgpr60_vgpr61
                                        ; implicit-def: $vgpr64_vgpr65
	s_and_saveexec_b64 s[8:9], s[60:61]
	s_xor_b64 s[60:61], exec, s[8:9]
	s_cbranch_execz .LBB149_22
; %bb.21:                               ;   in Loop: Header=BB149_4 Depth=1
	v_cmp_ge_f64_e64 s[8:9], |v[15:16]|, s[84:85]
	s_mov_b32 s88, s22
	s_mov_b32 s93, s91
	v_cndmask_b32_e64 v35, v36, v35, s[8:9]
	v_cndmask_b32_e64 v34, v15, v34, s[8:9]
	v_mul_f64 v[38:39], v[30:31], v[34:35]
	v_mul_f64 v[36:37], v[28:29], v[34:35]
	v_fma_f64 v[30:31], v[30:31], v[34:35], -v[38:39]
	v_fma_f64 v[28:29], v[28:29], v[34:35], -v[36:37]
	v_add_f64 v[40:41], v[36:37], v[30:31]
	v_add_f64 v[52:53], v[40:41], -v[36:37]
	v_add_f64 v[42:43], v[38:39], v[40:41]
	v_add_f64 v[30:31], v[30:31], -v[52:53]
	v_add_f64 v[52:53], v[40:41], -v[52:53]
	v_ldexp_f64 v[44:45], v[42:43], -2
	v_add_f64 v[38:39], v[42:43], -v[38:39]
	v_add_f64 v[52:53], v[36:37], -v[52:53]
	v_mul_f64 v[36:37], v[26:27], v[34:35]
	v_fract_f64_e32 v[50:51], v[44:45]
	v_add_f64 v[38:39], v[40:41], -v[38:39]
	v_cmp_neq_f64_e64 s[8:9], |v[44:45]|, s[86:87]
	v_add_f64 v[30:31], v[30:31], v[52:53]
	v_add_f64 v[52:53], v[36:37], v[28:29]
	v_fma_f64 v[26:27], v[26:27], v[34:35], -v[36:37]
	v_add_f64 v[54:55], v[52:53], v[30:31]
	v_add_f64 v[42:43], v[54:55], -v[52:53]
	v_add_f64 v[40:41], v[38:39], v[54:55]
	v_add_f64 v[30:31], v[30:31], -v[42:43]
	v_add_f64 v[42:43], v[54:55], -v[42:43]
	;; [unrolled: 1-line block ×5, first 2 shown]
	v_add_f64 v[30:31], v[30:31], v[42:43]
	v_add_f64 v[42:43], v[52:53], -v[36:37]
	v_add_f64 v[28:29], v[28:29], -v[42:43]
	v_add_f64 v[42:43], v[52:53], -v[42:43]
	v_add_f64 v[42:43], v[36:37], -v[42:43]
	v_add_f64 v[28:29], v[28:29], v[42:43]
	v_add_f64 v[28:29], v[28:29], v[30:31]
	;; [unrolled: 1-line block ×3, first 2 shown]
	v_ldexp_f64 v[28:29], v[50:51], 2
	v_add_f64 v[26:27], v[38:39], v[26:27]
	v_cndmask_b32_e64 v29, 0, v29, s[8:9]
	v_cndmask_b32_e64 v28, 0, v28, s[8:9]
	v_add_f64 v[30:31], v[40:41], v[28:29]
	v_cmp_gt_f64_e64 s[8:9], 0, v[30:31]
	v_cndmask_b32_e64 v18, 0, v99, s[8:9]
	v_add_f64 v[28:29], v[28:29], v[17:18]
	v_add_f64 v[30:31], v[40:41], v[28:29]
	v_cvt_i32_f64_e32 v18, v[30:31]
	v_cvt_f64_i32_e32 v[30:31], v18
	v_add_f64 v[28:29], v[28:29], -v[30:31]
	v_add_f64 v[30:31], v[40:41], v[28:29]
	v_add_f64 v[28:29], v[30:31], -v[28:29]
	v_cmp_le_f64_e64 s[8:9], 0.5, v[30:31]
	v_add_f64 v[28:29], v[40:41], -v[28:29]
	v_addc_co_u32_e64 v112, s[10:11], 0, v18, s[8:9]
	v_cndmask_b32_e64 v18, 0, v100, s[8:9]
	v_add_f64 v[26:27], v[26:27], v[28:29]
	v_add_f64 v[28:29], v[30:31], -v[17:18]
	v_add_f64 v[30:31], v[28:29], v[26:27]
	v_add_f64 v[28:29], v[30:31], -v[28:29]
	v_add_f64 v[26:27], v[26:27], -v[28:29]
	v_mul_f64 v[28:29], v[30:31], s[88:89]
	v_fma_f64 v[34:35], v[30:31], s[88:89], -v[28:29]
	v_fma_f64 v[30:31], v[30:31], s[92:93], v[34:35]
	v_fma_f64 v[26:27], v[26:27], s[88:89], v[30:31]
	v_add_f64 v[60:61], v[28:29], v[26:27]
	v_add_f64 v[28:29], v[60:61], -v[28:29]
	v_add_f64 v[64:65], v[26:27], -v[28:29]
	s_andn2_saveexec_b64 s[8:9], s[60:61]
	s_cbranch_execnz .LBB149_23
	s_branch .LBB149_24
.LBB149_22:                             ;   in Loop: Header=BB149_4 Depth=1
	s_andn2_saveexec_b64 s[8:9], s[60:61]
	s_cbranch_execz .LBB149_24
.LBB149_23:                             ;   in Loop: Header=BB149_4 Depth=1
	v_mul_f64 v[26:27], |v[15:16]|, s[24:25]
	s_mov_b32 s90, s26
	v_rndne_f64_e32 v[26:27], v[26:27]
	v_fma_f64 v[28:29], v[26:27], s[22:23], |v[15:16]|
	v_mul_f64 v[30:31], v[26:27], s[26:27]
	v_cvt_i32_f64_e32 v112, v[26:27]
	v_add_f64 v[34:35], v[28:29], v[30:31]
	v_add_f64 v[36:37], v[28:29], -v[34:35]
	v_fma_f64 v[28:29], v[26:27], s[26:27], v[28:29]
	v_add_f64 v[36:37], v[36:37], v[30:31]
	v_add_f64 v[34:35], v[34:35], -v[28:29]
	v_fma_f64 v[30:31], v[26:27], s[90:91], v[30:31]
	;; [unrolled: 3-line block ×3, first 2 shown]
	v_add_f64 v[60:61], v[28:29], v[30:31]
	v_add_f64 v[28:29], v[60:61], -v[28:29]
	v_add_f64 v[64:65], v[30:31], -v[28:29]
.LBB149_24:                             ;   in Loop: Header=BB149_4 Depth=1
	s_or_b64 exec, exec, s[8:9]
	v_mul_f64 v[30:31], v[11:12], 0.5
                                        ; implicit-def: $vgpr107
                                        ; implicit-def: $vgpr42_vgpr43
                                        ; implicit-def: $vgpr44_vgpr45
	v_cmp_nlt_f64_e64 s[8:9], |v[30:31]|, s[82:83]
	s_and_saveexec_b64 s[10:11], s[8:9]
	s_xor_b64 s[60:61], exec, s[10:11]
	s_cbranch_execz .LBB149_26
; %bb.25:                               ;   in Loop: Header=BB149_4 Depth=1
	v_trig_preop_f64 v[26:27], |v[30:31]|, 0
	v_cmp_ge_f64_e64 s[8:9], |v[30:31]|, s[84:85]
	v_ldexp_f64 v[34:35], |v[30:31]|, s13
	v_trig_preop_f64 v[28:29], |v[30:31]|, 1
	v_and_b32_e32 v18, 0x7fffffff, v31
	s_mov_b32 s88, s22
	s_mov_b32 s93, s91
	v_cndmask_b32_e64 v35, v18, v35, s[8:9]
	v_cndmask_b32_e64 v34, v30, v34, s[8:9]
	v_mul_f64 v[38:39], v[26:27], v[34:35]
	v_mul_f64 v[36:37], v[28:29], v[34:35]
	v_fma_f64 v[26:27], v[26:27], v[34:35], -v[38:39]
	v_fma_f64 v[28:29], v[28:29], v[34:35], -v[36:37]
	v_add_f64 v[40:41], v[36:37], v[26:27]
	v_add_f64 v[52:53], v[40:41], -v[36:37]
	v_add_f64 v[42:43], v[38:39], v[40:41]
	v_add_f64 v[26:27], v[26:27], -v[52:53]
	v_add_f64 v[52:53], v[40:41], -v[52:53]
	v_ldexp_f64 v[44:45], v[42:43], -2
	v_add_f64 v[38:39], v[42:43], -v[38:39]
	v_add_f64 v[52:53], v[36:37], -v[52:53]
	v_trig_preop_f64 v[36:37], |v[30:31]|, 2
	v_fract_f64_e32 v[50:51], v[44:45]
	v_add_f64 v[38:39], v[40:41], -v[38:39]
	v_cmp_neq_f64_e64 s[8:9], |v[44:45]|, s[86:87]
	v_add_f64 v[26:27], v[26:27], v[52:53]
	v_mul_f64 v[52:53], v[36:37], v[34:35]
	v_add_f64 v[54:55], v[52:53], v[28:29]
	v_add_f64 v[56:57], v[54:55], v[26:27]
	v_add_f64 v[42:43], v[56:57], -v[54:55]
	v_add_f64 v[40:41], v[38:39], v[56:57]
	v_add_f64 v[26:27], v[26:27], -v[42:43]
	v_add_f64 v[42:43], v[56:57], -v[42:43]
	;; [unrolled: 1-line block ×5, first 2 shown]
	v_add_f64 v[26:27], v[26:27], v[42:43]
	v_add_f64 v[42:43], v[54:55], -v[52:53]
	v_add_f64 v[28:29], v[28:29], -v[42:43]
	;; [unrolled: 1-line block ×4, first 2 shown]
	v_add_f64 v[28:29], v[28:29], v[42:43]
	v_add_f64 v[26:27], v[28:29], v[26:27]
	v_fma_f64 v[28:29], v[36:37], v[34:35], -v[52:53]
	v_add_f64 v[26:27], v[28:29], v[26:27]
	v_ldexp_f64 v[28:29], v[50:51], 2
	v_add_f64 v[26:27], v[38:39], v[26:27]
	v_cndmask_b32_e64 v29, 0, v29, s[8:9]
	v_cndmask_b32_e64 v28, 0, v28, s[8:9]
	v_add_f64 v[34:35], v[40:41], v[28:29]
	v_cmp_gt_f64_e64 s[8:9], 0, v[34:35]
	v_cndmask_b32_e64 v18, 0, v99, s[8:9]
	v_add_f64 v[28:29], v[28:29], v[17:18]
	v_add_f64 v[34:35], v[40:41], v[28:29]
	v_cvt_i32_f64_e32 v18, v[34:35]
	v_cvt_f64_i32_e32 v[34:35], v18
	v_add_f64 v[28:29], v[28:29], -v[34:35]
	v_add_f64 v[34:35], v[40:41], v[28:29]
	v_add_f64 v[28:29], v[34:35], -v[28:29]
	v_cmp_le_f64_e64 s[8:9], 0.5, v[34:35]
	v_add_f64 v[28:29], v[40:41], -v[28:29]
	v_addc_co_u32_e64 v107, s[10:11], 0, v18, s[8:9]
	v_cndmask_b32_e64 v18, 0, v100, s[8:9]
	v_add_f64 v[26:27], v[26:27], v[28:29]
	v_add_f64 v[28:29], v[34:35], -v[17:18]
	v_add_f64 v[34:35], v[28:29], v[26:27]
	v_add_f64 v[28:29], v[34:35], -v[28:29]
	v_add_f64 v[26:27], v[26:27], -v[28:29]
	v_mul_f64 v[28:29], v[34:35], s[88:89]
	v_fma_f64 v[36:37], v[34:35], s[88:89], -v[28:29]
	v_fma_f64 v[34:35], v[34:35], s[92:93], v[36:37]
	v_fma_f64 v[26:27], v[26:27], s[88:89], v[34:35]
	v_add_f64 v[42:43], v[28:29], v[26:27]
	v_add_f64 v[28:29], v[42:43], -v[28:29]
	v_add_f64 v[44:45], v[26:27], -v[28:29]
.LBB149_26:                             ;   in Loop: Header=BB149_4 Depth=1
	s_andn2_saveexec_b64 s[8:9], s[60:61]
	s_cbranch_execz .LBB149_28
; %bb.27:                               ;   in Loop: Header=BB149_4 Depth=1
	v_mul_f64 v[26:27], |v[30:31]|, s[24:25]
	s_mov_b32 s90, s26
	v_rndne_f64_e32 v[26:27], v[26:27]
	v_fma_f64 v[28:29], v[26:27], s[22:23], |v[30:31]|
	v_mul_f64 v[34:35], v[26:27], s[26:27]
	v_cvt_i32_f64_e32 v107, v[26:27]
	v_add_f64 v[36:37], v[28:29], v[34:35]
	v_add_f64 v[38:39], v[28:29], -v[36:37]
	v_fma_f64 v[28:29], v[26:27], s[26:27], v[28:29]
	v_add_f64 v[38:39], v[38:39], v[34:35]
	v_add_f64 v[36:37], v[36:37], -v[28:29]
	v_fma_f64 v[34:35], v[26:27], s[90:91], v[34:35]
	;; [unrolled: 3-line block ×3, first 2 shown]
	v_add_f64 v[42:43], v[28:29], v[34:35]
	v_add_f64 v[28:29], v[42:43], -v[28:29]
	v_add_f64 v[44:45], v[34:35], -v[28:29]
.LBB149_28:                             ;   in Loop: Header=BB149_4 Depth=1
	s_or_b64 exec, exec, s[8:9]
	v_trig_preop_f64 v[34:35], |v[11:12]|, 0
	v_trig_preop_f64 v[28:29], |v[11:12]|, 1
	;; [unrolled: 1-line block ×3, first 2 shown]
	v_cmp_nlt_f64_e64 s[60:61], |v[11:12]|, s[82:83]
	v_ldexp_f64 v[36:37], |v[11:12]|, s13
	v_and_b32_e32 v38, 0x7fffffff, v12
                                        ; implicit-def: $vgpr115
                                        ; implicit-def: $vgpr74_vgpr75
                                        ; implicit-def: $vgpr76_vgpr77
	s_and_saveexec_b64 s[8:9], s[60:61]
	s_xor_b64 s[64:65], exec, s[8:9]
	s_cbranch_execz .LBB149_30
; %bb.29:                               ;   in Loop: Header=BB149_4 Depth=1
	v_cmp_ge_f64_e64 s[8:9], |v[11:12]|, s[84:85]
	s_mov_b32 s88, s22
	s_mov_b32 s93, s91
	v_cndmask_b32_e64 v40, v38, v37, s[8:9]
	v_cndmask_b32_e64 v39, v11, v36, s[8:9]
	v_mul_f64 v[52:53], v[34:35], v[39:40]
	v_mul_f64 v[50:51], v[28:29], v[39:40]
	v_fma_f64 v[54:55], v[34:35], v[39:40], -v[52:53]
	v_add_f64 v[56:57], v[50:51], v[54:55]
	v_add_f64 v[68:69], v[56:57], -v[50:51]
	v_add_f64 v[58:59], v[52:53], v[56:57]
	v_add_f64 v[54:55], v[54:55], -v[68:69]
	v_add_f64 v[68:69], v[56:57], -v[68:69]
	v_ldexp_f64 v[62:63], v[58:59], -2
	v_add_f64 v[52:53], v[58:59], -v[52:53]
	v_add_f64 v[68:69], v[50:51], -v[68:69]
	v_fma_f64 v[50:51], v[28:29], v[39:40], -v[50:51]
	v_add_f64 v[52:53], v[56:57], -v[52:53]
	v_fract_f64_e32 v[66:67], v[62:63]
	v_cmp_neq_f64_e64 s[8:9], |v[62:63]|, s[86:87]
	v_add_f64 v[54:55], v[54:55], v[68:69]
	v_mul_f64 v[68:69], v[26:27], v[39:40]
	v_add_f64 v[70:71], v[68:69], v[50:51]
	v_fma_f64 v[39:40], v[26:27], v[39:40], -v[68:69]
	v_add_f64 v[72:73], v[70:71], v[54:55]
	v_add_f64 v[58:59], v[72:73], -v[70:71]
	v_add_f64 v[56:57], v[52:53], v[72:73]
	v_add_f64 v[54:55], v[54:55], -v[58:59]
	v_add_f64 v[58:59], v[72:73], -v[58:59]
	;; [unrolled: 1-line block ×5, first 2 shown]
	v_add_f64 v[54:55], v[54:55], v[58:59]
	v_add_f64 v[58:59], v[70:71], -v[68:69]
	v_add_f64 v[50:51], v[50:51], -v[58:59]
	;; [unrolled: 1-line block ×4, first 2 shown]
	v_add_f64 v[50:51], v[50:51], v[58:59]
	v_add_f64 v[50:51], v[50:51], v[54:55]
	;; [unrolled: 1-line block ×3, first 2 shown]
	v_ldexp_f64 v[50:51], v[66:67], 2
	v_add_f64 v[39:40], v[52:53], v[39:40]
	v_cndmask_b32_e64 v51, 0, v51, s[8:9]
	v_cndmask_b32_e64 v50, 0, v50, s[8:9]
	v_add_f64 v[52:53], v[56:57], v[50:51]
	v_cmp_gt_f64_e64 s[8:9], 0, v[52:53]
	v_cndmask_b32_e64 v18, 0, v99, s[8:9]
	v_add_f64 v[50:51], v[50:51], v[17:18]
	v_add_f64 v[52:53], v[56:57], v[50:51]
	v_cvt_i32_f64_e32 v18, v[52:53]
	v_cvt_f64_i32_e32 v[52:53], v18
	v_add_f64 v[50:51], v[50:51], -v[52:53]
	v_add_f64 v[52:53], v[56:57], v[50:51]
	v_add_f64 v[50:51], v[52:53], -v[50:51]
	v_cmp_le_f64_e64 s[8:9], 0.5, v[52:53]
	v_add_f64 v[50:51], v[56:57], -v[50:51]
	v_addc_co_u32_e64 v115, s[10:11], 0, v18, s[8:9]
	v_cndmask_b32_e64 v18, 0, v100, s[8:9]
	v_add_f64 v[39:40], v[39:40], v[50:51]
	v_add_f64 v[50:51], v[52:53], -v[17:18]
	v_add_f64 v[52:53], v[50:51], v[39:40]
	v_add_f64 v[50:51], v[52:53], -v[50:51]
	v_add_f64 v[39:40], v[39:40], -v[50:51]
	v_mul_f64 v[50:51], v[52:53], s[88:89]
	v_fma_f64 v[54:55], v[52:53], s[88:89], -v[50:51]
	v_fma_f64 v[52:53], v[52:53], s[92:93], v[54:55]
	v_fma_f64 v[39:40], v[39:40], s[88:89], v[52:53]
	v_add_f64 v[74:75], v[50:51], v[39:40]
	v_add_f64 v[50:51], v[74:75], -v[50:51]
	v_add_f64 v[76:77], v[39:40], -v[50:51]
	s_andn2_saveexec_b64 s[8:9], s[64:65]
	s_cbranch_execz .LBB149_32
	s_branch .LBB149_31
.LBB149_30:                             ;   in Loop: Header=BB149_4 Depth=1
	s_andn2_saveexec_b64 s[8:9], s[64:65]
	s_cbranch_execz .LBB149_32
.LBB149_31:                             ;   in Loop: Header=BB149_4 Depth=1
	v_mul_f64 v[39:40], |v[11:12]|, s[24:25]
	s_mov_b32 s90, s26
	v_rndne_f64_e32 v[39:40], v[39:40]
	v_fma_f64 v[50:51], v[39:40], s[22:23], |v[11:12]|
	v_mul_f64 v[52:53], v[39:40], s[26:27]
	v_cvt_i32_f64_e32 v115, v[39:40]
	v_add_f64 v[54:55], v[50:51], v[52:53]
	v_add_f64 v[56:57], v[50:51], -v[54:55]
	v_fma_f64 v[50:51], v[39:40], s[26:27], v[50:51]
	v_add_f64 v[56:57], v[56:57], v[52:53]
	v_add_f64 v[54:55], v[54:55], -v[50:51]
	v_fma_f64 v[52:53], v[39:40], s[90:91], v[52:53]
	;; [unrolled: 3-line block ×3, first 2 shown]
	v_add_f64 v[74:75], v[50:51], v[52:53]
	v_add_f64 v[50:51], v[74:75], -v[50:51]
	v_add_f64 v[76:77], v[52:53], -v[50:51]
.LBB149_32:                             ;   in Loop: Header=BB149_4 Depth=1
	s_or_b64 exec, exec, s[8:9]
                                        ; implicit-def: $vgpr111
                                        ; implicit-def: $vgpr56_vgpr57
                                        ; implicit-def: $vgpr62_vgpr63
	s_and_saveexec_b64 s[8:9], s[60:61]
	s_xor_b64 s[60:61], exec, s[8:9]
	s_cbranch_execz .LBB149_34
; %bb.33:                               ;   in Loop: Header=BB149_4 Depth=1
	v_cmp_ge_f64_e64 s[8:9], |v[11:12]|, s[84:85]
	s_mov_b32 s88, s22
	s_mov_b32 s93, s91
	v_cndmask_b32_e64 v37, v38, v37, s[8:9]
	v_cndmask_b32_e64 v36, v11, v36, s[8:9]
	v_mul_f64 v[40:41], v[34:35], v[36:37]
	v_mul_f64 v[38:39], v[28:29], v[36:37]
	v_fma_f64 v[34:35], v[34:35], v[36:37], -v[40:41]
	v_fma_f64 v[28:29], v[28:29], v[36:37], -v[38:39]
	v_add_f64 v[50:51], v[38:39], v[34:35]
	v_add_f64 v[58:59], v[50:51], -v[38:39]
	v_add_f64 v[52:53], v[40:41], v[50:51]
	v_add_f64 v[34:35], v[34:35], -v[58:59]
	v_add_f64 v[58:59], v[50:51], -v[58:59]
	v_ldexp_f64 v[54:55], v[52:53], -2
	v_add_f64 v[40:41], v[52:53], -v[40:41]
	v_add_f64 v[58:59], v[38:39], -v[58:59]
	v_mul_f64 v[38:39], v[26:27], v[36:37]
	v_fract_f64_e32 v[56:57], v[54:55]
	v_add_f64 v[40:41], v[50:51], -v[40:41]
	v_cmp_neq_f64_e64 s[8:9], |v[54:55]|, s[86:87]
	v_add_f64 v[34:35], v[34:35], v[58:59]
	v_add_f64 v[58:59], v[38:39], v[28:29]
	v_fma_f64 v[26:27], v[26:27], v[36:37], -v[38:39]
	v_add_f64 v[62:63], v[58:59], v[34:35]
	v_add_f64 v[52:53], v[62:63], -v[58:59]
	v_add_f64 v[50:51], v[40:41], v[62:63]
	v_add_f64 v[34:35], v[34:35], -v[52:53]
	v_add_f64 v[52:53], v[62:63], -v[52:53]
	;; [unrolled: 1-line block ×5, first 2 shown]
	v_add_f64 v[34:35], v[34:35], v[52:53]
	v_add_f64 v[52:53], v[58:59], -v[38:39]
	v_add_f64 v[28:29], v[28:29], -v[52:53]
	;; [unrolled: 1-line block ×4, first 2 shown]
	v_add_f64 v[28:29], v[28:29], v[52:53]
	v_add_f64 v[28:29], v[28:29], v[34:35]
	;; [unrolled: 1-line block ×3, first 2 shown]
	v_ldexp_f64 v[28:29], v[56:57], 2
	v_add_f64 v[26:27], v[40:41], v[26:27]
	v_cndmask_b32_e64 v29, 0, v29, s[8:9]
	v_cndmask_b32_e64 v28, 0, v28, s[8:9]
	v_add_f64 v[34:35], v[50:51], v[28:29]
	v_cmp_gt_f64_e64 s[8:9], 0, v[34:35]
	v_cndmask_b32_e64 v18, 0, v99, s[8:9]
	v_add_f64 v[28:29], v[28:29], v[17:18]
	v_add_f64 v[34:35], v[50:51], v[28:29]
	v_cvt_i32_f64_e32 v18, v[34:35]
	v_cvt_f64_i32_e32 v[34:35], v18
	v_add_f64 v[28:29], v[28:29], -v[34:35]
	v_add_f64 v[34:35], v[50:51], v[28:29]
	v_add_f64 v[28:29], v[34:35], -v[28:29]
	v_cmp_le_f64_e64 s[8:9], 0.5, v[34:35]
	v_add_f64 v[28:29], v[50:51], -v[28:29]
	v_addc_co_u32_e64 v111, s[10:11], 0, v18, s[8:9]
	v_cndmask_b32_e64 v18, 0, v100, s[8:9]
	v_add_f64 v[26:27], v[26:27], v[28:29]
	v_add_f64 v[28:29], v[34:35], -v[17:18]
	v_add_f64 v[34:35], v[28:29], v[26:27]
	v_add_f64 v[28:29], v[34:35], -v[28:29]
	v_add_f64 v[26:27], v[26:27], -v[28:29]
	v_mul_f64 v[28:29], v[34:35], s[88:89]
	v_fma_f64 v[36:37], v[34:35], s[88:89], -v[28:29]
	v_fma_f64 v[34:35], v[34:35], s[92:93], v[36:37]
	v_fma_f64 v[26:27], v[26:27], s[88:89], v[34:35]
	v_add_f64 v[56:57], v[28:29], v[26:27]
	v_add_f64 v[28:29], v[56:57], -v[28:29]
	v_add_f64 v[62:63], v[26:27], -v[28:29]
	s_andn2_saveexec_b64 s[8:9], s[60:61]
	s_cbranch_execnz .LBB149_35
	s_branch .LBB149_36
.LBB149_34:                             ;   in Loop: Header=BB149_4 Depth=1
	s_andn2_saveexec_b64 s[8:9], s[60:61]
	s_cbranch_execz .LBB149_36
.LBB149_35:                             ;   in Loop: Header=BB149_4 Depth=1
	v_mul_f64 v[26:27], |v[11:12]|, s[24:25]
	s_mov_b32 s90, s26
	v_rndne_f64_e32 v[26:27], v[26:27]
	v_fma_f64 v[28:29], v[26:27], s[22:23], |v[11:12]|
	v_mul_f64 v[34:35], v[26:27], s[26:27]
	v_cvt_i32_f64_e32 v111, v[26:27]
	v_add_f64 v[36:37], v[28:29], v[34:35]
	v_add_f64 v[38:39], v[28:29], -v[36:37]
	v_fma_f64 v[28:29], v[26:27], s[26:27], v[28:29]
	v_add_f64 v[38:39], v[38:39], v[34:35]
	v_add_f64 v[36:37], v[36:37], -v[28:29]
	v_fma_f64 v[34:35], v[26:27], s[90:91], v[34:35]
	;; [unrolled: 3-line block ×3, first 2 shown]
	v_add_f64 v[56:57], v[28:29], v[34:35]
	v_add_f64 v[28:29], v[56:57], -v[28:29]
	v_add_f64 v[62:63], v[34:35], -v[28:29]
.LBB149_36:                             ;   in Loop: Header=BB149_4 Depth=1
	s_or_b64 exec, exec, s[8:9]
	v_mul_f64 v[28:29], v[7:8], 0.5
                                        ; implicit-def: $vgpr106
                                        ; implicit-def: $vgpr38_vgpr39
                                        ; implicit-def: $vgpr40_vgpr41
	v_cmp_nlt_f64_e64 s[8:9], |v[28:29]|, s[82:83]
	s_and_saveexec_b64 s[10:11], s[8:9]
	s_xor_b64 s[60:61], exec, s[10:11]
	s_cbranch_execz .LBB149_38
; %bb.37:                               ;   in Loop: Header=BB149_4 Depth=1
	v_trig_preop_f64 v[26:27], |v[28:29]|, 0
	v_cmp_ge_f64_e64 s[8:9], |v[28:29]|, s[84:85]
	v_ldexp_f64 v[36:37], |v[28:29]|, s13
	v_trig_preop_f64 v[34:35], |v[28:29]|, 1
	v_and_b32_e32 v18, 0x7fffffff, v29
	s_mov_b32 s88, s22
	s_mov_b32 s93, s91
	v_cndmask_b32_e64 v37, v18, v37, s[8:9]
	v_cndmask_b32_e64 v36, v28, v36, s[8:9]
	v_mul_f64 v[40:41], v[26:27], v[36:37]
	v_mul_f64 v[38:39], v[34:35], v[36:37]
	v_fma_f64 v[26:27], v[26:27], v[36:37], -v[40:41]
	v_fma_f64 v[34:35], v[34:35], v[36:37], -v[38:39]
	v_add_f64 v[50:51], v[38:39], v[26:27]
	v_add_f64 v[66:67], v[50:51], -v[38:39]
	v_add_f64 v[52:53], v[40:41], v[50:51]
	v_add_f64 v[26:27], v[26:27], -v[66:67]
	v_add_f64 v[66:67], v[50:51], -v[66:67]
	v_ldexp_f64 v[54:55], v[52:53], -2
	v_add_f64 v[40:41], v[52:53], -v[40:41]
	v_add_f64 v[66:67], v[38:39], -v[66:67]
	v_trig_preop_f64 v[38:39], |v[28:29]|, 2
	v_fract_f64_e32 v[58:59], v[54:55]
	v_add_f64 v[40:41], v[50:51], -v[40:41]
	v_cmp_neq_f64_e64 s[8:9], |v[54:55]|, s[86:87]
	v_add_f64 v[26:27], v[26:27], v[66:67]
	v_mul_f64 v[66:67], v[38:39], v[36:37]
	v_add_f64 v[68:69], v[66:67], v[34:35]
	v_add_f64 v[70:71], v[68:69], v[26:27]
	v_add_f64 v[52:53], v[70:71], -v[68:69]
	v_add_f64 v[50:51], v[40:41], v[70:71]
	v_add_f64 v[26:27], v[26:27], -v[52:53]
	v_add_f64 v[52:53], v[70:71], -v[52:53]
	;; [unrolled: 1-line block ×5, first 2 shown]
	v_add_f64 v[26:27], v[26:27], v[52:53]
	v_add_f64 v[52:53], v[68:69], -v[66:67]
	v_add_f64 v[34:35], v[34:35], -v[52:53]
	;; [unrolled: 1-line block ×4, first 2 shown]
	v_add_f64 v[34:35], v[34:35], v[52:53]
	v_add_f64 v[26:27], v[34:35], v[26:27]
	v_fma_f64 v[34:35], v[38:39], v[36:37], -v[66:67]
	v_add_f64 v[26:27], v[34:35], v[26:27]
	v_ldexp_f64 v[34:35], v[58:59], 2
	v_add_f64 v[26:27], v[40:41], v[26:27]
	v_cndmask_b32_e64 v35, 0, v35, s[8:9]
	v_cndmask_b32_e64 v34, 0, v34, s[8:9]
	v_add_f64 v[36:37], v[50:51], v[34:35]
	v_cmp_gt_f64_e64 s[8:9], 0, v[36:37]
	v_cndmask_b32_e64 v18, 0, v99, s[8:9]
	v_add_f64 v[34:35], v[34:35], v[17:18]
	v_add_f64 v[36:37], v[50:51], v[34:35]
	v_cvt_i32_f64_e32 v18, v[36:37]
	v_cvt_f64_i32_e32 v[36:37], v18
	v_add_f64 v[34:35], v[34:35], -v[36:37]
	v_add_f64 v[36:37], v[50:51], v[34:35]
	v_add_f64 v[34:35], v[36:37], -v[34:35]
	v_cmp_le_f64_e64 s[8:9], 0.5, v[36:37]
	v_add_f64 v[34:35], v[50:51], -v[34:35]
	v_addc_co_u32_e64 v106, s[10:11], 0, v18, s[8:9]
	v_cndmask_b32_e64 v18, 0, v100, s[8:9]
	v_add_f64 v[26:27], v[26:27], v[34:35]
	v_add_f64 v[34:35], v[36:37], -v[17:18]
	v_add_f64 v[36:37], v[34:35], v[26:27]
	v_add_f64 v[34:35], v[36:37], -v[34:35]
	v_add_f64 v[26:27], v[26:27], -v[34:35]
	v_mul_f64 v[34:35], v[36:37], s[88:89]
	v_fma_f64 v[38:39], v[36:37], s[88:89], -v[34:35]
	v_fma_f64 v[36:37], v[36:37], s[92:93], v[38:39]
	v_fma_f64 v[26:27], v[26:27], s[88:89], v[36:37]
	v_add_f64 v[38:39], v[34:35], v[26:27]
	v_add_f64 v[34:35], v[38:39], -v[34:35]
	v_add_f64 v[40:41], v[26:27], -v[34:35]
.LBB149_38:                             ;   in Loop: Header=BB149_4 Depth=1
	s_andn2_saveexec_b64 s[8:9], s[60:61]
	s_cbranch_execz .LBB149_40
; %bb.39:                               ;   in Loop: Header=BB149_4 Depth=1
	v_mul_f64 v[26:27], |v[28:29]|, s[24:25]
	s_mov_b32 s90, s26
	v_rndne_f64_e32 v[26:27], v[26:27]
	v_fma_f64 v[34:35], v[26:27], s[22:23], |v[28:29]|
	v_mul_f64 v[36:37], v[26:27], s[26:27]
	v_cvt_i32_f64_e32 v106, v[26:27]
	v_add_f64 v[38:39], v[34:35], v[36:37]
	v_add_f64 v[40:41], v[34:35], -v[38:39]
	v_fma_f64 v[34:35], v[26:27], s[26:27], v[34:35]
	v_add_f64 v[40:41], v[40:41], v[36:37]
	v_add_f64 v[38:39], v[38:39], -v[34:35]
	v_fma_f64 v[36:37], v[26:27], s[90:91], v[36:37]
	;; [unrolled: 3-line block ×3, first 2 shown]
	v_add_f64 v[38:39], v[34:35], v[36:37]
	v_add_f64 v[34:35], v[38:39], -v[34:35]
	v_add_f64 v[40:41], v[36:37], -v[34:35]
.LBB149_40:                             ;   in Loop: Header=BB149_4 Depth=1
	s_or_b64 exec, exec, s[8:9]
	v_trig_preop_f64 v[36:37], |v[7:8]|, 0
	v_trig_preop_f64 v[34:35], |v[7:8]|, 1
	;; [unrolled: 1-line block ×3, first 2 shown]
	v_cmp_nlt_f64_e64 s[60:61], |v[7:8]|, s[82:83]
	v_ldexp_f64 v[50:51], |v[7:8]|, s13
	v_and_b32_e32 v54, 0x7fffffff, v8
                                        ; implicit-def: $vgpr114
                                        ; implicit-def: $vgpr70_vgpr71
                                        ; implicit-def: $vgpr72_vgpr73
	s_and_saveexec_b64 s[8:9], s[60:61]
	s_xor_b64 s[64:65], exec, s[8:9]
	s_cbranch_execz .LBB149_42
; %bb.41:                               ;   in Loop: Header=BB149_4 Depth=1
	v_cmp_ge_f64_e64 s[8:9], |v[7:8]|, s[84:85]
	s_mov_b32 s88, s22
	s_mov_b32 s93, s91
	v_cndmask_b32_e64 v53, v54, v51, s[8:9]
	v_cndmask_b32_e64 v52, v7, v50, s[8:9]
	v_mul_f64 v[66:67], v[36:37], v[52:53]
	v_mul_f64 v[58:59], v[34:35], v[52:53]
	v_fma_f64 v[68:69], v[36:37], v[52:53], -v[66:67]
	v_add_f64 v[70:71], v[58:59], v[68:69]
	v_add_f64 v[86:87], v[70:71], -v[58:59]
	v_add_f64 v[72:73], v[66:67], v[70:71]
	v_add_f64 v[68:69], v[68:69], -v[86:87]
	v_add_f64 v[86:87], v[70:71], -v[86:87]
	v_ldexp_f64 v[82:83], v[72:73], -2
	v_add_f64 v[66:67], v[72:73], -v[66:67]
	v_add_f64 v[86:87], v[58:59], -v[86:87]
	v_fma_f64 v[58:59], v[34:35], v[52:53], -v[58:59]
	v_add_f64 v[66:67], v[70:71], -v[66:67]
	v_fract_f64_e32 v[84:85], v[82:83]
	v_cmp_neq_f64_e64 s[8:9], |v[82:83]|, s[86:87]
	v_add_f64 v[68:69], v[68:69], v[86:87]
	v_mul_f64 v[86:87], v[26:27], v[52:53]
	v_add_f64 v[88:89], v[86:87], v[58:59]
	v_fma_f64 v[52:53], v[26:27], v[52:53], -v[86:87]
	v_add_f64 v[109:110], v[88:89], v[68:69]
	v_add_f64 v[72:73], v[109:110], -v[88:89]
	v_add_f64 v[70:71], v[66:67], v[109:110]
	v_add_f64 v[68:69], v[68:69], -v[72:73]
	v_add_f64 v[72:73], v[109:110], -v[72:73]
	;; [unrolled: 1-line block ×5, first 2 shown]
	v_add_f64 v[68:69], v[68:69], v[72:73]
	v_add_f64 v[72:73], v[88:89], -v[86:87]
	v_add_f64 v[58:59], v[58:59], -v[72:73]
	;; [unrolled: 1-line block ×4, first 2 shown]
	v_add_f64 v[58:59], v[58:59], v[72:73]
	v_add_f64 v[58:59], v[58:59], v[68:69]
	v_add_f64 v[52:53], v[52:53], v[58:59]
	v_ldexp_f64 v[58:59], v[84:85], 2
	v_add_f64 v[52:53], v[66:67], v[52:53]
	v_cndmask_b32_e64 v59, 0, v59, s[8:9]
	v_cndmask_b32_e64 v58, 0, v58, s[8:9]
	v_add_f64 v[66:67], v[70:71], v[58:59]
	v_cmp_gt_f64_e64 s[8:9], 0, v[66:67]
	v_cndmask_b32_e64 v18, 0, v99, s[8:9]
	v_add_f64 v[58:59], v[58:59], v[17:18]
	v_add_f64 v[66:67], v[70:71], v[58:59]
	v_cvt_i32_f64_e32 v18, v[66:67]
	v_cvt_f64_i32_e32 v[66:67], v18
	v_add_f64 v[58:59], v[58:59], -v[66:67]
	v_add_f64 v[66:67], v[70:71], v[58:59]
	v_add_f64 v[58:59], v[66:67], -v[58:59]
	v_cmp_le_f64_e64 s[8:9], 0.5, v[66:67]
	v_add_f64 v[58:59], v[70:71], -v[58:59]
	v_addc_co_u32_e64 v114, s[10:11], 0, v18, s[8:9]
	v_cndmask_b32_e64 v18, 0, v100, s[8:9]
	v_add_f64 v[52:53], v[52:53], v[58:59]
	v_add_f64 v[58:59], v[66:67], -v[17:18]
	v_add_f64 v[66:67], v[58:59], v[52:53]
	v_add_f64 v[58:59], v[66:67], -v[58:59]
	v_add_f64 v[52:53], v[52:53], -v[58:59]
	v_mul_f64 v[58:59], v[66:67], s[88:89]
	v_fma_f64 v[68:69], v[66:67], s[88:89], -v[58:59]
	v_fma_f64 v[66:67], v[66:67], s[92:93], v[68:69]
	v_fma_f64 v[52:53], v[52:53], s[88:89], v[66:67]
	v_add_f64 v[70:71], v[58:59], v[52:53]
	v_add_f64 v[58:59], v[70:71], -v[58:59]
	v_add_f64 v[72:73], v[52:53], -v[58:59]
	s_andn2_saveexec_b64 s[8:9], s[64:65]
	s_cbranch_execz .LBB149_44
	s_branch .LBB149_43
.LBB149_42:                             ;   in Loop: Header=BB149_4 Depth=1
	s_andn2_saveexec_b64 s[8:9], s[64:65]
	s_cbranch_execz .LBB149_44
.LBB149_43:                             ;   in Loop: Header=BB149_4 Depth=1
	v_mul_f64 v[52:53], |v[7:8]|, s[24:25]
	s_mov_b32 s90, s26
	v_rndne_f64_e32 v[52:53], v[52:53]
	v_fma_f64 v[58:59], v[52:53], s[22:23], |v[7:8]|
	v_mul_f64 v[66:67], v[52:53], s[26:27]
	v_cvt_i32_f64_e32 v114, v[52:53]
	v_add_f64 v[68:69], v[58:59], v[66:67]
	v_add_f64 v[70:71], v[58:59], -v[68:69]
	v_fma_f64 v[58:59], v[52:53], s[26:27], v[58:59]
	v_add_f64 v[70:71], v[70:71], v[66:67]
	v_add_f64 v[68:69], v[68:69], -v[58:59]
	v_fma_f64 v[66:67], v[52:53], s[90:91], v[66:67]
	;; [unrolled: 3-line block ×3, first 2 shown]
	v_add_f64 v[70:71], v[58:59], v[66:67]
	v_add_f64 v[58:59], v[70:71], -v[58:59]
	v_add_f64 v[72:73], v[66:67], -v[58:59]
.LBB149_44:                             ;   in Loop: Header=BB149_4 Depth=1
	s_or_b64 exec, exec, s[8:9]
                                        ; implicit-def: $vgpr110
                                        ; implicit-def: $vgpr52_vgpr53
                                        ; implicit-def: $vgpr58_vgpr59
	s_and_saveexec_b64 s[8:9], s[60:61]
	s_xor_b64 s[60:61], exec, s[8:9]
	s_cbranch_execz .LBB149_46
; %bb.45:                               ;   in Loop: Header=BB149_4 Depth=1
	v_cmp_ge_f64_e64 s[8:9], |v[7:8]|, s[84:85]
	s_mov_b32 s88, s22
	s_mov_b32 s93, s91
	v_cndmask_b32_e64 v51, v54, v51, s[8:9]
	v_cndmask_b32_e64 v50, v7, v50, s[8:9]
	v_mul_f64 v[54:55], v[36:37], v[50:51]
	v_mul_f64 v[52:53], v[34:35], v[50:51]
	v_fma_f64 v[36:37], v[36:37], v[50:51], -v[54:55]
	v_fma_f64 v[34:35], v[34:35], v[50:51], -v[52:53]
	v_add_f64 v[58:59], v[52:53], v[36:37]
	v_add_f64 v[84:85], v[58:59], -v[52:53]
	v_add_f64 v[66:67], v[54:55], v[58:59]
	v_add_f64 v[36:37], v[36:37], -v[84:85]
	v_add_f64 v[84:85], v[58:59], -v[84:85]
	v_ldexp_f64 v[68:69], v[66:67], -2
	v_add_f64 v[54:55], v[66:67], -v[54:55]
	v_add_f64 v[84:85], v[52:53], -v[84:85]
	v_mul_f64 v[52:53], v[26:27], v[50:51]
	v_fract_f64_e32 v[82:83], v[68:69]
	v_add_f64 v[54:55], v[58:59], -v[54:55]
	v_cmp_neq_f64_e64 s[8:9], |v[68:69]|, s[86:87]
	v_add_f64 v[36:37], v[36:37], v[84:85]
	v_add_f64 v[84:85], v[52:53], v[34:35]
	v_fma_f64 v[26:27], v[26:27], v[50:51], -v[52:53]
	v_add_f64 v[86:87], v[84:85], v[36:37]
	v_add_f64 v[66:67], v[86:87], -v[84:85]
	v_add_f64 v[58:59], v[54:55], v[86:87]
	v_add_f64 v[36:37], v[36:37], -v[66:67]
	v_add_f64 v[66:67], v[86:87], -v[66:67]
	;; [unrolled: 1-line block ×5, first 2 shown]
	v_add_f64 v[36:37], v[36:37], v[66:67]
	v_add_f64 v[66:67], v[84:85], -v[52:53]
	v_add_f64 v[34:35], v[34:35], -v[66:67]
	;; [unrolled: 1-line block ×4, first 2 shown]
	v_add_f64 v[34:35], v[34:35], v[66:67]
	v_add_f64 v[34:35], v[34:35], v[36:37]
	;; [unrolled: 1-line block ×3, first 2 shown]
	v_ldexp_f64 v[34:35], v[82:83], 2
	v_add_f64 v[26:27], v[54:55], v[26:27]
	v_cndmask_b32_e64 v35, 0, v35, s[8:9]
	v_cndmask_b32_e64 v34, 0, v34, s[8:9]
	v_add_f64 v[36:37], v[58:59], v[34:35]
	v_cmp_gt_f64_e64 s[8:9], 0, v[36:37]
	v_cndmask_b32_e64 v18, 0, v99, s[8:9]
	v_add_f64 v[34:35], v[34:35], v[17:18]
	v_add_f64 v[36:37], v[58:59], v[34:35]
	v_cvt_i32_f64_e32 v18, v[36:37]
	v_cvt_f64_i32_e32 v[36:37], v18
	v_add_f64 v[34:35], v[34:35], -v[36:37]
	v_add_f64 v[36:37], v[58:59], v[34:35]
	v_add_f64 v[34:35], v[36:37], -v[34:35]
	v_cmp_le_f64_e64 s[8:9], 0.5, v[36:37]
	v_add_f64 v[34:35], v[58:59], -v[34:35]
	v_addc_co_u32_e64 v110, s[10:11], 0, v18, s[8:9]
	v_cndmask_b32_e64 v18, 0, v100, s[8:9]
	v_add_f64 v[26:27], v[26:27], v[34:35]
	v_add_f64 v[34:35], v[36:37], -v[17:18]
	v_add_f64 v[36:37], v[34:35], v[26:27]
	v_add_f64 v[34:35], v[36:37], -v[34:35]
	v_add_f64 v[26:27], v[26:27], -v[34:35]
	v_mul_f64 v[34:35], v[36:37], s[88:89]
	v_fma_f64 v[50:51], v[36:37], s[88:89], -v[34:35]
	v_fma_f64 v[36:37], v[36:37], s[92:93], v[50:51]
	v_fma_f64 v[26:27], v[26:27], s[88:89], v[36:37]
	v_add_f64 v[52:53], v[34:35], v[26:27]
	v_add_f64 v[34:35], v[52:53], -v[34:35]
	v_add_f64 v[58:59], v[26:27], -v[34:35]
	s_andn2_saveexec_b64 s[8:9], s[60:61]
	s_cbranch_execnz .LBB149_47
	s_branch .LBB149_48
.LBB149_46:                             ;   in Loop: Header=BB149_4 Depth=1
	s_andn2_saveexec_b64 s[8:9], s[60:61]
	s_cbranch_execz .LBB149_48
.LBB149_47:                             ;   in Loop: Header=BB149_4 Depth=1
	v_mul_f64 v[26:27], |v[7:8]|, s[24:25]
	s_mov_b32 s90, s26
	v_rndne_f64_e32 v[26:27], v[26:27]
	v_fma_f64 v[34:35], v[26:27], s[22:23], |v[7:8]|
	v_mul_f64 v[36:37], v[26:27], s[26:27]
	v_cvt_i32_f64_e32 v110, v[26:27]
	v_add_f64 v[50:51], v[34:35], v[36:37]
	v_add_f64 v[52:53], v[34:35], -v[50:51]
	v_fma_f64 v[34:35], v[26:27], s[26:27], v[34:35]
	v_add_f64 v[52:53], v[52:53], v[36:37]
	v_add_f64 v[50:51], v[50:51], -v[34:35]
	v_fma_f64 v[36:37], v[26:27], s[90:91], v[36:37]
	;; [unrolled: 3-line block ×3, first 2 shown]
	v_add_f64 v[52:53], v[34:35], v[36:37]
	v_add_f64 v[34:35], v[52:53], -v[34:35]
	v_add_f64 v[58:59], v[36:37], -v[34:35]
.LBB149_48:                             ;   in Loop: Header=BB149_4 Depth=1
	s_or_b64 exec, exec, s[8:9]
	s_waitcnt vmcnt(0)
	v_mul_f64 v[26:27], v[3:4], 0.5
                                        ; implicit-def: $vgpr105
                                        ; implicit-def: $vgpr34_vgpr35
                                        ; implicit-def: $vgpr36_vgpr37
	v_cmp_nlt_f64_e64 s[8:9], |v[26:27]|, s[82:83]
	s_and_saveexec_b64 s[10:11], s[8:9]
	s_xor_b64 s[60:61], exec, s[10:11]
	s_cbranch_execz .LBB149_50
; %bb.49:                               ;   in Loop: Header=BB149_4 Depth=1
	v_trig_preop_f64 v[34:35], |v[26:27]|, 0
	v_cmp_ge_f64_e64 s[8:9], |v[26:27]|, s[84:85]
	v_ldexp_f64 v[50:51], |v[26:27]|, s13
	v_trig_preop_f64 v[36:37], |v[26:27]|, 1
	v_and_b32_e32 v18, 0x7fffffff, v27
	s_mov_b32 s88, s22
	s_mov_b32 s93, s91
	v_cndmask_b32_e64 v51, v18, v51, s[8:9]
	v_cndmask_b32_e64 v50, v26, v50, s[8:9]
	v_mul_f64 v[66:67], v[34:35], v[50:51]
	v_mul_f64 v[54:55], v[36:37], v[50:51]
	v_fma_f64 v[34:35], v[34:35], v[50:51], -v[66:67]
	v_fma_f64 v[36:37], v[36:37], v[50:51], -v[54:55]
	v_add_f64 v[68:69], v[54:55], v[34:35]
	v_add_f64 v[88:89], v[68:69], -v[54:55]
	v_add_f64 v[82:83], v[66:67], v[68:69]
	v_add_f64 v[34:35], v[34:35], -v[88:89]
	v_add_f64 v[88:89], v[68:69], -v[88:89]
	v_ldexp_f64 v[84:85], v[82:83], -2
	v_add_f64 v[66:67], v[82:83], -v[66:67]
	v_add_f64 v[88:89], v[54:55], -v[88:89]
	v_trig_preop_f64 v[54:55], |v[26:27]|, 2
	v_fract_f64_e32 v[86:87], v[84:85]
	v_add_f64 v[66:67], v[68:69], -v[66:67]
	v_cmp_neq_f64_e64 s[8:9], |v[84:85]|, s[86:87]
	v_add_f64 v[34:35], v[34:35], v[88:89]
	v_mul_f64 v[88:89], v[54:55], v[50:51]
	v_add_f64 v[117:118], v[88:89], v[36:37]
	v_add_f64 v[119:120], v[117:118], v[34:35]
	v_add_f64 v[82:83], v[119:120], -v[117:118]
	v_add_f64 v[68:69], v[66:67], v[119:120]
	v_add_f64 v[34:35], v[34:35], -v[82:83]
	v_add_f64 v[82:83], v[119:120], -v[82:83]
	v_add_f64 v[66:67], v[68:69], -v[66:67]
	v_add_f64 v[82:83], v[117:118], -v[82:83]
	v_add_f64 v[66:67], v[119:120], -v[66:67]
	v_add_f64 v[34:35], v[34:35], v[82:83]
	v_add_f64 v[82:83], v[117:118], -v[88:89]
	v_add_f64 v[36:37], v[36:37], -v[82:83]
	v_add_f64 v[82:83], v[117:118], -v[82:83]
	v_add_f64 v[82:83], v[88:89], -v[82:83]
	v_add_f64 v[36:37], v[36:37], v[82:83]
	v_add_f64 v[34:35], v[36:37], v[34:35]
	v_fma_f64 v[36:37], v[54:55], v[50:51], -v[88:89]
	v_add_f64 v[34:35], v[36:37], v[34:35]
	v_ldexp_f64 v[36:37], v[86:87], 2
	v_add_f64 v[34:35], v[66:67], v[34:35]
	v_cndmask_b32_e64 v37, 0, v37, s[8:9]
	v_cndmask_b32_e64 v36, 0, v36, s[8:9]
	v_add_f64 v[50:51], v[68:69], v[36:37]
	v_cmp_gt_f64_e64 s[8:9], 0, v[50:51]
	v_cndmask_b32_e64 v18, 0, v99, s[8:9]
	v_add_f64 v[36:37], v[36:37], v[17:18]
	v_add_f64 v[50:51], v[68:69], v[36:37]
	v_cvt_i32_f64_e32 v18, v[50:51]
	v_cvt_f64_i32_e32 v[50:51], v18
	v_add_f64 v[36:37], v[36:37], -v[50:51]
	v_add_f64 v[50:51], v[68:69], v[36:37]
	v_add_f64 v[36:37], v[50:51], -v[36:37]
	v_cmp_le_f64_e64 s[8:9], 0.5, v[50:51]
	v_add_f64 v[36:37], v[68:69], -v[36:37]
	v_addc_co_u32_e64 v105, s[10:11], 0, v18, s[8:9]
	v_cndmask_b32_e64 v18, 0, v100, s[8:9]
	v_add_f64 v[34:35], v[34:35], v[36:37]
	v_add_f64 v[36:37], v[50:51], -v[17:18]
	v_add_f64 v[50:51], v[36:37], v[34:35]
	v_add_f64 v[36:37], v[50:51], -v[36:37]
	v_add_f64 v[34:35], v[34:35], -v[36:37]
	v_mul_f64 v[36:37], v[50:51], s[88:89]
	v_fma_f64 v[54:55], v[50:51], s[88:89], -v[36:37]
	v_fma_f64 v[50:51], v[50:51], s[92:93], v[54:55]
	v_fma_f64 v[50:51], v[34:35], s[88:89], v[50:51]
	v_add_f64 v[34:35], v[36:37], v[50:51]
	v_add_f64 v[36:37], v[34:35], -v[36:37]
	v_add_f64 v[36:37], v[50:51], -v[36:37]
.LBB149_50:                             ;   in Loop: Header=BB149_4 Depth=1
	s_andn2_saveexec_b64 s[8:9], s[60:61]
	s_cbranch_execz .LBB149_52
; %bb.51:                               ;   in Loop: Header=BB149_4 Depth=1
	v_mul_f64 v[34:35], |v[26:27]|, s[24:25]
	s_mov_b32 s90, s26
	v_rndne_f64_e32 v[50:51], v[34:35]
	v_fma_f64 v[34:35], v[50:51], s[22:23], |v[26:27]|
	v_mul_f64 v[36:37], v[50:51], s[26:27]
	v_cvt_i32_f64_e32 v105, v[50:51]
	v_fma_f64 v[68:69], v[50:51], s[26:27], v[34:35]
	v_add_f64 v[54:55], v[34:35], v[36:37]
	v_add_f64 v[66:67], v[34:35], -v[54:55]
	v_add_f64 v[54:55], v[54:55], -v[68:69]
	v_add_f64 v[34:35], v[66:67], v[36:37]
	v_fma_f64 v[36:37], v[50:51], s[90:91], v[36:37]
	v_add_f64 v[34:35], v[54:55], v[34:35]
	v_add_f64 v[34:35], v[34:35], -v[36:37]
	v_fma_f64 v[36:37], v[50:51], s[28:29], v[34:35]
	v_add_f64 v[34:35], v[68:69], v[36:37]
	v_add_f64 v[54:55], v[34:35], -v[68:69]
	v_add_f64 v[36:37], v[36:37], -v[54:55]
.LBB149_52:                             ;   in Loop: Header=BB149_4 Depth=1
	s_or_b64 exec, exec, s[8:9]
	v_trig_preop_f64 v[86:87], |v[3:4]|, 0
	v_trig_preop_f64 v[84:85], |v[3:4]|, 1
	;; [unrolled: 1-line block ×3, first 2 shown]
	v_cmp_nlt_f64_e64 s[60:61], |v[3:4]|, s[82:83]
	v_ldexp_f64 v[88:89], |v[3:4]|, s13
	v_and_b32_e32 v117, 0x7fffffff, v4
                                        ; implicit-def: $vgpr113
                                        ; implicit-def: $vgpr66_vgpr67
                                        ; implicit-def: $vgpr68_vgpr69
	s_and_saveexec_b64 s[8:9], s[60:61]
	s_xor_b64 s[64:65], exec, s[8:9]
	s_cbranch_execz .LBB149_54
; %bb.53:                               ;   in Loop: Header=BB149_4 Depth=1
	v_cmp_ge_f64_e64 s[8:9], |v[3:4]|, s[84:85]
	v_mov_b32_e32 v18, v125
	s_mov_b32 s88, s22
	s_mov_b32 s93, s91
	v_cndmask_b32_e64 v51, v117, v89, s[8:9]
	v_cndmask_b32_e64 v50, v3, v88, s[8:9]
	v_mul_f64 v[66:67], v[86:87], v[50:51]
	v_mul_f64 v[54:55], v[84:85], v[50:51]
	v_fma_f64 v[68:69], v[86:87], v[50:51], -v[66:67]
	v_add_f64 v[118:119], v[54:55], v[68:69]
	v_add_f64 v[102:103], v[118:119], -v[54:55]
	v_add_f64 v[120:121], v[66:67], v[118:119]
	v_add_f64 v[68:69], v[68:69], -v[102:103]
	v_add_f64 v[102:103], v[118:119], -v[102:103]
	;; [unrolled: 1-line block ×3, first 2 shown]
	v_ldexp_f64 v[122:123], v[120:121], -2
	v_add_f64 v[102:103], v[54:55], -v[102:103]
	v_fma_f64 v[54:55], v[84:85], v[50:51], -v[54:55]
	v_add_f64 v[66:67], v[118:119], -v[66:67]
	v_fract_f64_e32 v[124:125], v[122:123]
	v_cmp_neq_f64_e64 s[8:9], |v[122:123]|, s[86:87]
	v_add_f64 v[68:69], v[68:69], v[102:103]
	v_mul_f64 v[102:103], v[82:83], v[50:51]
	v_add_f64 v[91:92], v[102:103], v[54:55]
	v_fma_f64 v[50:51], v[82:83], v[50:51], -v[102:103]
	v_add_f64 v[93:94], v[91:92], v[68:69]
	v_add_f64 v[118:119], v[66:67], v[93:94]
	v_add_f64 v[120:121], v[93:94], -v[91:92]
	v_add_f64 v[66:67], v[118:119], -v[66:67]
	;; [unrolled: 1-line block ×6, first 2 shown]
	v_add_f64 v[68:69], v[68:69], v[93:94]
	v_add_f64 v[93:94], v[91:92], -v[102:103]
	v_add_f64 v[91:92], v[91:92], -v[93:94]
	;; [unrolled: 1-line block ×3, first 2 shown]
	v_mov_b32_e32 v94, 0xbff00000
	v_mov_b32_e32 v93, 0x7fe00000
	v_add_f64 v[91:92], v[102:103], -v[91:92]
	v_add_f64 v[54:55], v[54:55], v[91:92]
	v_add_f64 v[54:55], v[54:55], v[68:69]
	;; [unrolled: 1-line block ×3, first 2 shown]
	v_ldexp_f64 v[54:55], v[124:125], 2
	v_mov_b32_e32 v125, v18
	v_add_f64 v[50:51], v[66:67], v[50:51]
	v_cndmask_b32_e64 v55, 0, v55, s[8:9]
	v_cndmask_b32_e64 v54, 0, v54, s[8:9]
	v_add_f64 v[66:67], v[118:119], v[54:55]
	v_cmp_gt_f64_e64 s[8:9], 0, v[66:67]
	v_cndmask_b32_e64 v18, 0, v99, s[8:9]
	v_add_f64 v[54:55], v[54:55], v[17:18]
	v_add_f64 v[66:67], v[118:119], v[54:55]
	v_cvt_i32_f64_e32 v18, v[66:67]
	v_cvt_f64_i32_e32 v[66:67], v18
	v_add_f64 v[54:55], v[54:55], -v[66:67]
	v_add_f64 v[66:67], v[118:119], v[54:55]
	v_add_f64 v[54:55], v[66:67], -v[54:55]
	v_cmp_le_f64_e64 s[8:9], 0.5, v[66:67]
	v_add_f64 v[54:55], v[118:119], -v[54:55]
	v_addc_co_u32_e64 v113, s[10:11], 0, v18, s[8:9]
	v_cndmask_b32_e64 v18, 0, v100, s[8:9]
	v_add_f64 v[50:51], v[50:51], v[54:55]
	v_add_f64 v[54:55], v[66:67], -v[17:18]
	v_add_f64 v[66:67], v[54:55], v[50:51]
	v_add_f64 v[54:55], v[66:67], -v[54:55]
	v_add_f64 v[50:51], v[50:51], -v[54:55]
	v_mul_f64 v[54:55], v[66:67], s[88:89]
	v_fma_f64 v[68:69], v[66:67], s[88:89], -v[54:55]
	v_fma_f64 v[66:67], v[66:67], s[92:93], v[68:69]
	v_fma_f64 v[50:51], v[50:51], s[88:89], v[66:67]
	v_add_f64 v[66:67], v[54:55], v[50:51]
	v_add_f64 v[54:55], v[66:67], -v[54:55]
	v_add_f64 v[68:69], v[50:51], -v[54:55]
	s_andn2_saveexec_b64 s[8:9], s[64:65]
	s_cbranch_execz .LBB149_56
	s_branch .LBB149_55
.LBB149_54:                             ;   in Loop: Header=BB149_4 Depth=1
	s_andn2_saveexec_b64 s[8:9], s[64:65]
	s_cbranch_execz .LBB149_56
.LBB149_55:                             ;   in Loop: Header=BB149_4 Depth=1
	v_mul_f64 v[50:51], |v[3:4]|, s[24:25]
	s_mov_b32 s90, s26
	v_rndne_f64_e32 v[50:51], v[50:51]
	v_fma_f64 v[54:55], v[50:51], s[22:23], |v[3:4]|
	v_mul_f64 v[66:67], v[50:51], s[26:27]
	v_cvt_i32_f64_e32 v113, v[50:51]
	v_add_f64 v[68:69], v[54:55], v[66:67]
	v_add_f64 v[91:92], v[54:55], -v[68:69]
	v_fma_f64 v[54:55], v[50:51], s[26:27], v[54:55]
	v_add_f64 v[91:92], v[91:92], v[66:67]
	v_add_f64 v[68:69], v[68:69], -v[54:55]
	v_fma_f64 v[66:67], v[50:51], s[90:91], v[66:67]
	;; [unrolled: 3-line block ×3, first 2 shown]
	v_add_f64 v[66:67], v[54:55], v[68:69]
	v_add_f64 v[54:55], v[66:67], -v[54:55]
	v_add_f64 v[68:69], v[68:69], -v[54:55]
.LBB149_56:                             ;   in Loop: Header=BB149_4 Depth=1
	s_or_b64 exec, exec, s[8:9]
                                        ; implicit-def: $vgpr109
                                        ; implicit-def: $vgpr50_vgpr51
                                        ; implicit-def: $vgpr54_vgpr55
	s_and_saveexec_b64 s[8:9], s[60:61]
	s_xor_b64 s[60:61], exec, s[8:9]
	s_cbranch_execz .LBB149_62
; %bb.57:                               ;   in Loop: Header=BB149_4 Depth=1
	v_cmp_ge_f64_e64 s[8:9], |v[3:4]|, s[84:85]
	s_mov_b32 s88, s22
	s_mov_b32 s93, s91
	v_cndmask_b32_e64 v51, v117, v89, s[8:9]
	v_cndmask_b32_e64 v50, v3, v88, s[8:9]
	v_mul_f64 v[88:89], v[86:87], v[50:51]
	v_mul_f64 v[54:55], v[84:85], v[50:51]
	v_fma_f64 v[86:87], v[86:87], v[50:51], -v[88:89]
	v_add_f64 v[91:92], v[54:55], v[86:87]
	v_add_f64 v[119:120], v[91:92], -v[54:55]
	v_add_f64 v[93:94], v[88:89], v[91:92]
	v_add_f64 v[86:87], v[86:87], -v[119:120]
	v_add_f64 v[119:120], v[91:92], -v[119:120]
	v_ldexp_f64 v[102:103], v[93:94], -2
	v_add_f64 v[88:89], v[93:94], -v[88:89]
	v_add_f64 v[119:120], v[54:55], -v[119:120]
	v_fma_f64 v[54:55], v[84:85], v[50:51], -v[54:55]
	v_mul_f64 v[84:85], v[82:83], v[50:51]
	v_fract_f64_e32 v[117:118], v[102:103]
	v_add_f64 v[88:89], v[91:92], -v[88:89]
	v_cmp_neq_f64_e64 s[8:9], |v[102:103]|, s[86:87]
	v_add_f64 v[86:87], v[86:87], v[119:120]
	v_add_f64 v[119:120], v[84:85], v[54:55]
	v_fma_f64 v[50:51], v[82:83], v[50:51], -v[84:85]
	v_add_f64 v[121:122], v[119:120], v[86:87]
	v_add_f64 v[93:94], v[121:122], -v[119:120]
	v_add_f64 v[91:92], v[88:89], v[121:122]
	v_add_f64 v[86:87], v[86:87], -v[93:94]
	v_add_f64 v[93:94], v[121:122], -v[93:94]
	;; [unrolled: 1-line block ×5, first 2 shown]
	v_add_f64 v[86:87], v[86:87], v[93:94]
	v_add_f64 v[93:94], v[119:120], -v[84:85]
	v_add_f64 v[54:55], v[54:55], -v[93:94]
	;; [unrolled: 1-line block ×4, first 2 shown]
	v_add_f64 v[54:55], v[54:55], v[93:94]
	v_mov_b32_e32 v94, 0xbff00000
	v_mov_b32_e32 v93, 0x7fe00000
	v_add_f64 v[54:55], v[54:55], v[86:87]
	v_add_f64 v[50:51], v[50:51], v[54:55]
	v_ldexp_f64 v[54:55], v[117:118], 2
	v_add_f64 v[50:51], v[88:89], v[50:51]
	v_cndmask_b32_e64 v55, 0, v55, s[8:9]
	v_cndmask_b32_e64 v54, 0, v54, s[8:9]
	v_add_f64 v[82:83], v[91:92], v[54:55]
	v_cmp_gt_f64_e64 s[8:9], 0, v[82:83]
	v_cndmask_b32_e64 v18, 0, v99, s[8:9]
	v_add_f64 v[54:55], v[54:55], v[17:18]
	v_add_f64 v[82:83], v[91:92], v[54:55]
	v_cvt_i32_f64_e32 v18, v[82:83]
	v_cvt_f64_i32_e32 v[82:83], v18
	v_add_f64 v[54:55], v[54:55], -v[82:83]
	v_add_f64 v[82:83], v[91:92], v[54:55]
	v_add_f64 v[54:55], v[82:83], -v[54:55]
	v_cmp_le_f64_e64 s[8:9], 0.5, v[82:83]
	v_add_f64 v[54:55], v[91:92], -v[54:55]
	v_addc_co_u32_e64 v109, s[10:11], 0, v18, s[8:9]
	v_cndmask_b32_e64 v18, 0, v100, s[8:9]
	v_add_f64 v[50:51], v[50:51], v[54:55]
	v_add_f64 v[54:55], v[82:83], -v[17:18]
	v_add_f64 v[82:83], v[54:55], v[50:51]
	v_add_f64 v[54:55], v[82:83], -v[54:55]
	v_add_f64 v[50:51], v[50:51], -v[54:55]
	v_mul_f64 v[54:55], v[82:83], s[88:89]
	v_fma_f64 v[84:85], v[82:83], s[88:89], -v[54:55]
	v_fma_f64 v[82:83], v[82:83], s[92:93], v[84:85]
	v_fma_f64 v[82:83], v[50:51], s[88:89], v[82:83]
	v_add_f64 v[50:51], v[54:55], v[82:83]
	v_add_f64 v[54:55], v[50:51], -v[54:55]
	v_add_f64 v[54:55], v[82:83], -v[54:55]
	s_andn2_saveexec_b64 s[8:9], s[60:61]
	s_cbranch_execnz .LBB149_63
.LBB149_58:                             ;   in Loop: Header=BB149_4 Depth=1
	s_or_b64 exec, exec, s[8:9]
	s_and_saveexec_b64 s[8:9], s[6:7]
	s_xor_b64 s[60:61], exec, s[8:9]
	s_cbranch_execz .LBB149_64
.LBB149_59:                             ;   in Loop: Header=BB149_4 Depth=1
	s_mov_b32 s6, 0x652b82fe
	s_mov_b32 s7, 0x3ff71547
	v_mul_f64 v[82:83], v[13:14], s[6:7]
	s_mov_b32 s6, 0x3b39803f
	s_mov_b32 s7, 0xbc7abc9e
	;; [unrolled: 1-line block ×4, first 2 shown]
	v_cmp_ngt_f64_e64 s[8:9], s[8:9], v[13:14]
	s_mov_b32 s45, s15
	s_mov_b32 s47, s17
	v_rndne_f64_e32 v[84:85], v[82:83]
	s_mov_b32 s49, s57
	s_mov_b32 s51, s55
	;; [unrolled: 1-line block ×7, first 2 shown]
	v_fma_f64 v[82:83], v[84:85], s[38:39], v[13:14]
	v_cvt_i32_f64_e32 v18, v[84:85]
	s_mov_b32 s31, s55
	s_mov_b32 s5, s57
	;; [unrolled: 1-line block ×3, first 2 shown]
	v_fma_f64 v[86:87], v[84:85], s[6:7], v[82:83]
	s_mov_b32 s6, 0x6a5dcb37
	s_mov_b32 s7, 0x3e5ade15
	v_fma_f64 v[82:83], v[86:87], s[6:7], v[22:23]
	s_mov_b32 s6, 0x623fde64
	s_mov_b32 s7, 0x3ec71dee
	;; [unrolled: 3-line block ×4, first 2 shown]
	v_fma_f64 v[82:83], v[86:87], v[82:83], s[14:15]
	v_fma_f64 v[82:83], v[86:87], v[82:83], s[16:17]
	;; [unrolled: 1-line block ×6, first 2 shown]
	v_cmp_nlt_f64_e64 s[6:7], s[94:95], v[13:14]
	v_fma_f64 v[82:83], v[86:87], v[82:83], 1.0
	v_fma_f64 v[82:83], v[86:87], v[82:83], 1.0
	v_ldexp_f64 v[82:83], v[82:83], v18
	v_cndmask_b32_e64 v83, v101, v83, s[6:7]
	s_and_b64 s[6:7], s[8:9], s[6:7]
	v_cndmask_b32_e64 v83, 0, v83, s[8:9]
	s_mov_b32 s8, 0xa9d67f34
	s_mov_b32 s9, 0x3e21f32e
	v_fma_f64 v[88:89], v[86:87], s[8:9], v[24:25]
	s_mov_b32 s8, 0xe0ac05b
	s_mov_b32 s9, 0x3e927e50
	v_cndmask_b32_e64 v82, 0, v82, s[6:7]
	v_cmp_eq_f64_e64 s[6:7], s[94:95], v[84:85]
	v_ldexp_f64 v[84:85], 1.0, v18
	v_fma_f64 v[88:89], v[86:87], v[88:89], s[8:9]
	s_mov_b32 s8, 0x1b889c29
	s_mov_b32 s9, 0x3ec71de0
	v_cndmask_b32_e64 v85, v85, v93, s[6:7]
	v_cndmask_b32_e64 v84, v84, 0, s[6:7]
	v_fma_f64 v[88:89], v[86:87], v[88:89], s[8:9]
	s_mov_b32 s8, 0
	s_mov_b32 s9, 0xc0428000
	v_cmp_ngt_f64_e64 s[8:9], s[8:9], v[13:14]
	v_fma_f64 v[88:89], v[86:87], v[88:89], s[42:43]
	v_fma_f64 v[88:89], v[86:87], v[88:89], s[44:45]
	;; [unrolled: 1-line block ×6, first 2 shown]
	v_fma_f64 v[88:89], v[86:87], v[88:89], 0.5
	v_mul_f64 v[88:89], v[86:87], v[88:89]
	v_fma_f64 v[86:87], v[86:87], v[88:89], v[86:87]
	v_add_f64 v[88:89], v[84:85], -1.0
	v_fma_f64 v[84:85], v[84:85], v[86:87], v[88:89]
	v_mul_f64 v[88:89], v[78:79], v[78:79]
	v_add_f64 v[86:87], v[84:85], v[84:85]
	v_mul_f64 v[119:120], v[88:89], v[88:89]
	v_cndmask_b32_e64 v18, v84, v86, s[6:7]
	v_cndmask_b32_e64 v84, v85, v87, s[6:7]
	v_cmp_nlt_f64_e64 s[6:7], s[34:35], v[13:14]
	v_mul_f64 v[86:87], v[88:89], 0.5
	v_cndmask_b32_e64 v84, v101, v84, s[6:7]
	v_cndmask_b32_e64 v14, v94, v84, s[8:9]
	v_mov_b32_e32 v85, s11
	v_mov_b32_e32 v84, s10
	v_fma_f64 v[121:122], v[88:89], s[66:67], v[84:85]
	v_add_f64 v[117:118], -v[86:87], 1.0
	s_and_b64 s[6:7], s[8:9], s[6:7]
	v_cndmask_b32_e64 v13, 0, v18, s[6:7]
	v_cmp_class_f64_e64 s[6:7], v[15:16], s40
	v_and_b32_e32 v15, 1, v116
	v_cmp_eq_u32_e64 s[8:9], 0, v15
	v_fma_f64 v[121:122], v[88:89], v[121:122], s[68:69]
	v_add_f64 v[123:124], -v[117:118], 1.0
	v_fma_f64 v[121:122], v[88:89], v[121:122], s[62:63]
	v_add_f64 v[86:87], v[123:124], -v[86:87]
	v_mul_f64 v[123:124], v[80:81], 0.5
	v_fma_f64 v[121:122], v[88:89], v[121:122], s[70:71]
	v_fma_f64 v[86:87], v[78:79], -v[80:81], v[86:87]
	v_fma_f64 v[121:122], v[88:89], v[121:122], s[30:31]
	v_fma_f64 v[86:87], v[119:120], v[121:122], v[86:87]
	v_mul_f64 v[119:120], v[78:79], -v[88:89]
	v_add_f64 v[117:118], v[117:118], v[86:87]
	v_mov_b32_e32 v87, s73
	v_mov_b32_e32 v86, s72
	v_fma_f64 v[121:122], v[88:89], s[74:75], v[86:87]
	v_fma_f64 v[121:122], v[88:89], v[121:122], s[76:77]
	;; [unrolled: 1-line block ×5, first 2 shown]
	v_fma_f64 v[80:81], v[88:89], v[121:122], -v[80:81]
	v_fma_f64 v[80:81], v[119:120], s[58:59], v[80:81]
	v_add_f64 v[78:79], v[78:79], -v[80:81]
	v_mul_f64 v[80:81], v[46:47], v[46:47]
	v_cndmask_b32_e64 v18, v78, v117, s[8:9]
	v_lshlrev_b32_e32 v78, 30, v116
	v_fma_f64 v[116:117], v[80:81], s[74:75], v[86:87]
	v_xor_b32_e32 v15, 0x80000000, v79
	v_cndmask_b32_e64 v15, v15, v118, s[8:9]
	v_mul_f64 v[88:89], v[46:47], -v[80:81]
	v_mul_f64 v[118:119], v[48:49], 0.5
	v_fma_f64 v[122:123], v[80:81], s[66:67], v[84:85]
	v_mul_f64 v[120:121], v[80:81], v[80:81]
	v_cmp_class_f64_e64 s[8:9], v[32:33], s40
	v_fma_f64 v[116:117], v[80:81], v[116:117], s[76:77]
	v_and_b32_e32 v78, 0x80000000, v78
	v_xor_b32_e32 v15, v15, v78
	v_cndmask_b32_e64 v79, v104, v15, s[6:7]
	v_and_b32_e32 v15, 1, v108
	v_fma_f64 v[122:123], v[80:81], v[122:123], s[68:69]
	v_lshlrev_b32_e32 v32, 30, v108
	v_cmp_eq_u32_e64 s[10:11], 0, v15
	v_fma_f64 v[116:117], v[80:81], v[116:117], s[78:79]
	v_xor_b32_e32 v32, v32, v33
	v_cndmask_b32_e64 v78, 0, v18, s[6:7]
	v_and_b32_e32 v32, 0x80000000, v32
	v_fma_f64 v[122:123], v[80:81], v[122:123], s[62:63]
	v_fma_f64 v[116:117], v[80:81], v[116:117], s[4:5]
	;; [unrolled: 1-line block ×4, first 2 shown]
	v_fma_f64 v[116:117], v[80:81], v[116:117], -v[48:49]
	v_fma_f64 v[88:89], v[88:89], s[58:59], v[116:117]
	v_mul_f64 v[116:117], v[80:81], 0.5
	v_fma_f64 v[80:81], v[80:81], v[122:123], s[30:31]
	v_add_f64 v[88:89], v[46:47], -v[88:89]
	v_add_f64 v[118:119], -v[116:117], 1.0
	v_add_f64 v[122:123], -v[118:119], 1.0
	v_add_f64 v[116:117], v[122:123], -v[116:117]
	v_fma_f64 v[46:47], v[46:47], -v[48:49], v[116:117]
	v_mul_f64 v[48:49], v[60:61], v[60:61]
	v_fma_f64 v[46:47], v[120:121], v[80:81], v[46:47]
	v_fma_f64 v[80:81], v[48:49], s[66:67], v[84:85]
	v_add_f64 v[46:47], v[118:119], v[46:47]
	v_fma_f64 v[80:81], v[48:49], v[80:81], s[68:69]
	v_cndmask_b32_e64 v18, v47, v89, s[10:11]
	v_cndmask_b32_e64 v15, v46, v88, s[10:11]
	v_xor_b32_e32 v18, v18, v32
	v_cndmask_b32_e64 v32, 0, v15, s[8:9]
	v_cndmask_b32_e64 v33, v104, v18, s[8:9]
	v_add_f64 v[46:47], v[32:33], v[32:33]
	v_fma_f64 v[80:81], v[48:49], v[80:81], s[62:63]
	v_and_b32_e32 v15, 1, v112
	v_cmp_eq_u32_e64 s[8:9], 0, v15
	v_mul_f64 v[32:33], v[46:47], v[32:33]
	v_fma_f64 v[80:81], v[48:49], v[80:81], s[70:71]
	v_fma_f64 v[13:14], v[13:14], v[78:79], -v[32:33]
	v_mul_f64 v[32:33], v[48:49], 0.5
	v_fma_f64 v[80:81], v[48:49], v[80:81], s[30:31]
	v_add_f64 v[46:47], -v[32:33], 1.0
	v_add_f64 v[78:79], -v[46:47], 1.0
	v_add_f64 v[32:33], v[78:79], -v[32:33]
	v_mul_f64 v[78:79], v[48:49], v[48:49]
	v_fma_f64 v[32:33], v[60:61], -v[64:65], v[32:33]
	v_fma_f64 v[32:33], v[78:79], v[80:81], v[32:33]
	v_mul_f64 v[80:81], v[64:65], 0.5
	v_add_f64 v[32:33], v[46:47], v[32:33]
	v_fma_f64 v[46:47], v[48:49], s[74:75], v[86:87]
	v_fma_f64 v[46:47], v[48:49], v[46:47], s[76:77]
	;; [unrolled: 1-line block ×4, first 2 shown]
	v_mul_f64 v[46:47], v[60:61], -v[48:49]
	v_fma_f64 v[78:79], v[46:47], v[78:79], v[80:81]
	v_fma_f64 v[48:49], v[48:49], v[78:79], -v[64:65]
	v_fma_f64 v[46:47], v[46:47], s[58:59], v[48:49]
	v_add_f64 v[46:47], v[60:61], -v[46:47]
	v_cndmask_b32_e64 v15, v32, v46, s[8:9]
	v_lshlrev_b32_e32 v32, 30, v112
	v_xor_b32_e32 v16, v32, v16
	v_cndmask_b32_e64 v18, v33, v47, s[8:9]
	v_and_b32_e32 v16, 0x80000000, v16
	v_xor_b32_e32 v16, v18, v16
	v_cndmask_b32_e64 v15, 0, v15, s[6:7]
	v_cndmask_b32_e64 v16, v104, v16, s[6:7]
	v_mul_f64 v[15:16], v[82:83], v[15:16]
	v_add_co_u32_e64 v32, s[6:7], s33, v19
	v_mov_b32_e32 v18, s12
	v_addc_co_u32_e64 v33, s[6:7], 0, v18, s[6:7]
	global_store_dwordx4 v[32:33], v[13:16], off
	s_or_b64 exec, exec, s[60:61]
	s_and_saveexec_b64 s[10:11], s[2:3]
	s_cbranch_execnz .LBB149_65
.LBB149_60:                             ;   in Loop: Header=BB149_4 Depth=1
	s_or_b64 exec, exec, s[10:11]
	s_and_saveexec_b64 s[8:9], s[0:1]
	s_cbranch_execz .LBB149_66
.LBB149_61:                             ;   in Loop: Header=BB149_4 Depth=1
	s_mov_b32 s0, 0x652b82fe
	s_mov_b32 s1, 0x3ff71547
	v_mul_f64 v[9:10], v[5:6], s[0:1]
	s_mov_b32 s0, 0x3b39803f
	s_mov_b32 s1, 0xbc7abc9e
	;; [unrolled: 1-line block ×4, first 2 shown]
	v_cmp_ngt_f64_e64 s[2:3], s[2:3], v[5:6]
	s_mov_b32 s45, s15
	s_mov_b32 s47, s17
	v_rndne_f64_e32 v[11:12], v[9:10]
	s_mov_b32 s49, s57
	s_mov_b32 s51, s55
	;; [unrolled: 1-line block ×7, first 2 shown]
	v_fma_f64 v[9:10], v[11:12], s[38:39], v[5:6]
	v_cvt_i32_f64_e32 v15, v[11:12]
	s_mov_b32 s31, s55
	s_mov_b32 s5, s57
	;; [unrolled: 1-line block ×3, first 2 shown]
	v_fma_f64 v[13:14], v[11:12], s[0:1], v[9:10]
	s_mov_b32 s0, 0x6a5dcb37
	s_mov_b32 s1, 0x3e5ade15
	v_fma_f64 v[9:10], v[13:14], s[0:1], v[22:23]
	s_mov_b32 s0, 0x623fde64
	s_mov_b32 s1, 0x3ec71dee
	;; [unrolled: 3-line block ×4, first 2 shown]
	v_fma_f64 v[9:10], v[13:14], v[9:10], s[14:15]
	v_fma_f64 v[9:10], v[13:14], v[9:10], s[16:17]
	;; [unrolled: 1-line block ×6, first 2 shown]
	v_cmp_nlt_f64_e64 s[0:1], s[94:95], v[5:6]
	v_fma_f64 v[9:10], v[13:14], v[9:10], 1.0
	v_fma_f64 v[9:10], v[13:14], v[9:10], 1.0
	v_ldexp_f64 v[9:10], v[9:10], v15
	v_cndmask_b32_e64 v10, v101, v10, s[0:1]
	s_and_b64 s[0:1], s[2:3], s[0:1]
	v_cndmask_b32_e64 v10, 0, v10, s[2:3]
	s_mov_b32 s2, 0xa9d67f34
	s_mov_b32 s3, 0x3e21f32e
	v_cndmask_b32_e64 v9, 0, v9, s[0:1]
	v_cmp_eq_f64_e64 s[0:1], s[94:95], v[11:12]
	v_ldexp_f64 v[11:12], 1.0, v15
	v_fma_f64 v[15:16], v[13:14], s[2:3], v[24:25]
	s_mov_b32 s2, 0xe0ac05b
	s_mov_b32 s3, 0x3e927e50
	v_cndmask_b32_e64 v12, v12, v93, s[0:1]
	v_fma_f64 v[15:16], v[13:14], v[15:16], s[2:3]
	s_mov_b32 s2, 0x1b889c29
	s_mov_b32 s3, 0x3ec71de0
	v_cndmask_b32_e64 v11, v11, 0, s[0:1]
	v_fma_f64 v[15:16], v[13:14], v[15:16], s[2:3]
	s_mov_b32 s2, 0
	s_mov_b32 s3, 0xc0428000
	v_cmp_ngt_f64_e64 s[2:3], s[2:3], v[5:6]
	v_fma_f64 v[15:16], v[13:14], v[15:16], s[42:43]
	v_fma_f64 v[15:16], v[13:14], v[15:16], s[44:45]
	;; [unrolled: 1-line block ×6, first 2 shown]
	v_fma_f64 v[15:16], v[13:14], v[15:16], 0.5
	v_mul_f64 v[15:16], v[13:14], v[15:16]
	v_fma_f64 v[13:14], v[13:14], v[15:16], v[13:14]
	v_add_f64 v[15:16], v[11:12], -1.0
	v_fma_f64 v[11:12], v[11:12], v[13:14], v[15:16]
	v_mul_f64 v[15:16], v[70:71], v[70:71]
	v_add_f64 v[13:14], v[11:12], v[11:12]
	v_mul_f64 v[32:33], v[15:16], v[15:16]
	v_cndmask_b32_e64 v11, v11, v13, s[0:1]
	v_cndmask_b32_e64 v12, v12, v14, s[0:1]
	v_cmp_nlt_f64_e64 s[0:1], s[34:35], v[5:6]
	v_mul_f64 v[13:14], v[15:16], 0.5
	v_cndmask_b32_e64 v12, v101, v12, s[0:1]
	s_and_b64 s[0:1], s[2:3], s[0:1]
	v_cndmask_b32_e64 v5, 0, v11, s[0:1]
	v_cndmask_b32_e64 v6, v94, v12, s[2:3]
	v_mov_b32_e32 v12, s7
	v_mov_b32_e32 v11, s6
	v_fma_f64 v[42:43], v[15:16], s[66:67], v[11:12]
	v_add_f64 v[30:31], -v[13:14], 1.0
	v_cmp_class_f64_e64 s[0:1], v[7:8], s40
	v_and_b32_e32 v7, 1, v114
	v_cmp_eq_u32_e64 s[2:3], 0, v7
	v_fma_f64 v[42:43], v[15:16], v[42:43], s[68:69]
	v_add_f64 v[44:45], -v[30:31], 1.0
	v_fma_f64 v[42:43], v[15:16], v[42:43], s[62:63]
	v_add_f64 v[13:14], v[44:45], -v[13:14]
	v_mul_f64 v[44:45], v[72:73], 0.5
	v_fma_f64 v[42:43], v[15:16], v[42:43], s[70:71]
	v_fma_f64 v[13:14], v[70:71], -v[72:73], v[13:14]
	v_fma_f64 v[42:43], v[15:16], v[42:43], s[30:31]
	v_fma_f64 v[13:14], v[32:33], v[42:43], v[13:14]
	v_mul_f64 v[32:33], v[70:71], -v[15:16]
	v_add_f64 v[30:31], v[30:31], v[13:14]
	v_mov_b32_e32 v13, s72
	v_mov_b32_e32 v14, s73
	v_fma_f64 v[42:43], v[15:16], s[74:75], v[13:14]
	v_fma_f64 v[42:43], v[15:16], v[42:43], s[76:77]
	;; [unrolled: 1-line block ×5, first 2 shown]
	v_mul_f64 v[44:45], v[40:41], 0.5
	v_fma_f64 v[15:16], v[15:16], v[42:43], -v[72:73]
	v_fma_f64 v[15:16], v[32:33], s[58:59], v[15:16]
	v_add_f64 v[15:16], v[70:71], -v[15:16]
	v_xor_b32_e32 v7, 0x80000000, v16
	v_cndmask_b32_e64 v15, v15, v30, s[2:3]
	v_cndmask_b32_e64 v7, v7, v31, s[2:3]
	v_mul_f64 v[30:31], v[38:39], v[38:39]
	v_cmp_class_f64_e64 s[2:3], v[28:29], s40
	v_lshlrev_b32_e32 v16, 30, v114
	v_and_b32_e32 v16, 0x80000000, v16
	v_xor_b32_e32 v7, v7, v16
	v_cndmask_b32_e64 v16, v104, v7, s[0:1]
	v_and_b32_e32 v7, 1, v106
	v_lshlrev_b32_e32 v28, 30, v106
	v_fma_f64 v[42:43], v[30:31], s[74:75], v[13:14]
	v_mul_f64 v[32:33], v[38:39], -v[30:31]
	v_fma_f64 v[48:49], v[30:31], s[66:67], v[11:12]
	v_mul_f64 v[46:47], v[30:31], v[30:31]
	v_cmp_eq_u32_e64 s[6:7], 0, v7
	v_xor_b32_e32 v28, v28, v29
	v_and_b32_e32 v28, 0x80000000, v28
	v_cndmask_b32_e64 v15, 0, v15, s[0:1]
	v_fma_f64 v[42:43], v[30:31], v[42:43], s[76:77]
	v_fma_f64 v[48:49], v[30:31], v[48:49], s[68:69]
	v_fma_f64 v[42:43], v[30:31], v[42:43], s[78:79]
	v_fma_f64 v[48:49], v[30:31], v[48:49], s[62:63]
	v_fma_f64 v[42:43], v[30:31], v[42:43], s[4:5]
	v_fma_f64 v[48:49], v[30:31], v[48:49], s[70:71]
	v_fma_f64 v[42:43], v[32:33], v[42:43], v[44:45]
	v_fma_f64 v[42:43], v[30:31], v[42:43], -v[40:41]
	v_fma_f64 v[32:33], v[32:33], s[58:59], v[42:43]
	v_mul_f64 v[42:43], v[30:31], 0.5
	v_fma_f64 v[30:31], v[30:31], v[48:49], s[30:31]
	v_add_f64 v[32:33], v[38:39], -v[32:33]
	v_add_f64 v[44:45], -v[42:43], 1.0
	v_add_f64 v[48:49], -v[44:45], 1.0
	v_add_f64 v[42:43], v[48:49], -v[42:43]
	v_fma_f64 v[38:39], v[38:39], -v[40:41], v[42:43]
	v_fma_f64 v[30:31], v[46:47], v[30:31], v[38:39]
	v_add_f64 v[30:31], v[44:45], v[30:31]
	v_cndmask_b32_e64 v18, v31, v33, s[6:7]
	v_cndmask_b32_e64 v7, v30, v32, s[6:7]
	v_xor_b32_e32 v18, v18, v28
	v_cndmask_b32_e64 v28, 0, v7, s[2:3]
	v_cndmask_b32_e64 v29, v104, v18, s[2:3]
	v_add_f64 v[30:31], v[28:29], v[28:29]
	v_and_b32_e32 v7, 1, v110
	v_cmp_eq_u32_e64 s[2:3], 0, v7
	v_mul_f64 v[28:29], v[30:31], v[28:29]
	v_fma_f64 v[5:6], v[5:6], v[15:16], -v[28:29]
	v_mul_f64 v[15:16], v[52:53], v[52:53]
	v_mul_f64 v[28:29], v[15:16], 0.5
	v_fma_f64 v[11:12], v[15:16], s[66:67], v[11:12]
	v_fma_f64 v[13:14], v[15:16], s[74:75], v[13:14]
	v_add_f64 v[30:31], -v[28:29], 1.0
	v_fma_f64 v[11:12], v[15:16], v[11:12], s[68:69]
	v_fma_f64 v[13:14], v[15:16], v[13:14], s[76:77]
	v_add_f64 v[32:33], -v[30:31], 1.0
	v_fma_f64 v[11:12], v[15:16], v[11:12], s[62:63]
	v_fma_f64 v[13:14], v[15:16], v[13:14], s[78:79]
	v_add_f64 v[28:29], v[32:33], -v[28:29]
	v_fma_f64 v[11:12], v[15:16], v[11:12], s[70:71]
	v_mul_f64 v[32:33], v[15:16], v[15:16]
	v_fma_f64 v[28:29], v[52:53], -v[58:59], v[28:29]
	v_fma_f64 v[11:12], v[15:16], v[11:12], s[30:31]
	v_fma_f64 v[11:12], v[32:33], v[11:12], v[28:29]
	;; [unrolled: 1-line block ×3, first 2 shown]
	v_mul_f64 v[13:14], v[52:53], -v[15:16]
	v_add_f64 v[11:12], v[30:31], v[11:12]
	v_mul_f64 v[30:31], v[58:59], 0.5
	v_fma_f64 v[28:29], v[13:14], v[28:29], v[30:31]
	v_fma_f64 v[15:16], v[15:16], v[28:29], -v[58:59]
	v_fma_f64 v[13:14], v[13:14], s[58:59], v[15:16]
	v_add_f64 v[13:14], v[52:53], -v[13:14]
	v_cndmask_b32_e64 v7, v11, v13, s[2:3]
	v_cndmask_b32_e64 v11, v12, v14, s[2:3]
	v_lshlrev_b32_e32 v12, 30, v110
	v_xor_b32_e32 v8, v12, v8
	v_and_b32_e32 v8, 0x80000000, v8
	v_xor_b32_e32 v8, v11, v8
	v_cndmask_b32_e64 v7, 0, v7, s[0:1]
	v_cndmask_b32_e64 v8, v104, v8, s[0:1]
	v_mul_f64 v[7:8], v[9:10], v[7:8]
	v_add_co_u32_e64 v9, s[0:1], s33, v96
	v_mov_b32_e32 v10, s12
	v_addc_co_u32_e64 v10, s[0:1], v10, v95, s[0:1]
	global_store_dwordx4 v[9:10], v[5:8], off offset:-8
	s_or_b64 exec, exec, s[8:9]
	s_and_saveexec_b64 s[6:7], vcc
	s_cbranch_execz .LBB149_3
	s_branch .LBB149_67
.LBB149_62:                             ;   in Loop: Header=BB149_4 Depth=1
	s_andn2_saveexec_b64 s[8:9], s[60:61]
	s_cbranch_execz .LBB149_58
.LBB149_63:                             ;   in Loop: Header=BB149_4 Depth=1
	v_mul_f64 v[50:51], |v[3:4]|, s[24:25]
	s_mov_b32 s90, s26
	v_rndne_f64_e32 v[82:83], v[50:51]
	v_fma_f64 v[50:51], v[82:83], s[22:23], |v[3:4]|
	v_mul_f64 v[54:55], v[82:83], s[26:27]
	v_cvt_i32_f64_e32 v109, v[82:83]
	v_fma_f64 v[88:89], v[82:83], s[26:27], v[50:51]
	v_add_f64 v[84:85], v[50:51], v[54:55]
	v_add_f64 v[86:87], v[50:51], -v[84:85]
	v_add_f64 v[84:85], v[84:85], -v[88:89]
	v_add_f64 v[50:51], v[86:87], v[54:55]
	v_fma_f64 v[54:55], v[82:83], s[90:91], v[54:55]
	v_add_f64 v[50:51], v[84:85], v[50:51]
	v_add_f64 v[50:51], v[50:51], -v[54:55]
	v_fma_f64 v[54:55], v[82:83], s[28:29], v[50:51]
	v_add_f64 v[50:51], v[88:89], v[54:55]
	v_add_f64 v[84:85], v[50:51], -v[88:89]
	v_add_f64 v[54:55], v[54:55], -v[84:85]
	s_or_b64 exec, exec, s[8:9]
	s_and_saveexec_b64 s[8:9], s[6:7]
	s_xor_b64 s[60:61], exec, s[8:9]
	s_cbranch_execnz .LBB149_59
.LBB149_64:                             ;   in Loop: Header=BB149_4 Depth=1
	s_or_b64 exec, exec, s[60:61]
	s_and_saveexec_b64 s[10:11], s[2:3]
	s_cbranch_execz .LBB149_60
.LBB149_65:                             ;   in Loop: Header=BB149_4 Depth=1
	s_mov_b32 s2, 0x652b82fe
	s_mov_b32 s3, 0x3ff71547
	v_mul_f64 v[13:14], v[9:10], s[2:3]
	s_mov_b32 s2, 0x3b39803f
	s_mov_b32 s3, 0xbc7abc9e
	;; [unrolled: 1-line block ×4, first 2 shown]
	v_cmp_ngt_f64_e64 s[6:7], s[6:7], v[9:10]
	s_mov_b32 s45, s15
	s_mov_b32 s47, s17
	v_rndne_f64_e32 v[15:16], v[13:14]
	s_mov_b32 s49, s57
	s_mov_b32 s51, s55
	;; [unrolled: 1-line block ×7, first 2 shown]
	v_fma_f64 v[13:14], v[15:16], s[38:39], v[9:10]
	v_cvt_i32_f64_e32 v18, v[15:16]
	s_mov_b32 s31, s55
	s_mov_b32 s5, s57
	;; [unrolled: 1-line block ×3, first 2 shown]
	v_fma_f64 v[32:33], v[15:16], s[2:3], v[13:14]
	s_mov_b32 s2, 0x6a5dcb37
	s_mov_b32 s3, 0x3e5ade15
	v_fma_f64 v[13:14], v[32:33], s[2:3], v[22:23]
	s_mov_b32 s2, 0x623fde64
	s_mov_b32 s3, 0x3ec71dee
	;; [unrolled: 3-line block ×4, first 2 shown]
	v_fma_f64 v[13:14], v[32:33], v[13:14], s[14:15]
	v_fma_f64 v[13:14], v[32:33], v[13:14], s[16:17]
	;; [unrolled: 1-line block ×6, first 2 shown]
	v_cmp_nlt_f64_e64 s[2:3], s[94:95], v[9:10]
	v_fma_f64 v[13:14], v[32:33], v[13:14], 1.0
	v_fma_f64 v[13:14], v[32:33], v[13:14], 1.0
	v_ldexp_f64 v[13:14], v[13:14], v18
	v_cndmask_b32_e64 v14, v101, v14, s[2:3]
	s_and_b64 s[2:3], s[6:7], s[2:3]
	v_cndmask_b32_e64 v14, 0, v14, s[6:7]
	s_mov_b32 s6, 0xa9d67f34
	s_mov_b32 s7, 0x3e21f32e
	v_fma_f64 v[46:47], v[32:33], s[6:7], v[24:25]
	s_mov_b32 s6, 0xe0ac05b
	s_mov_b32 s7, 0x3e927e50
	v_cndmask_b32_e64 v13, 0, v13, s[2:3]
	v_cmp_eq_f64_e64 s[2:3], s[94:95], v[15:16]
	v_ldexp_f64 v[15:16], 1.0, v18
	v_fma_f64 v[46:47], v[32:33], v[46:47], s[6:7]
	s_mov_b32 s6, 0x1b889c29
	s_mov_b32 s7, 0x3ec71de0
	v_cndmask_b32_e64 v16, v16, v93, s[2:3]
	v_cndmask_b32_e64 v15, v15, 0, s[2:3]
	v_fma_f64 v[46:47], v[32:33], v[46:47], s[6:7]
	s_mov_b32 s6, 0
	s_mov_b32 s7, 0xc0428000
	v_cmp_ngt_f64_e64 s[6:7], s[6:7], v[9:10]
	v_fma_f64 v[46:47], v[32:33], v[46:47], s[42:43]
	v_fma_f64 v[46:47], v[32:33], v[46:47], s[44:45]
	;; [unrolled: 1-line block ×6, first 2 shown]
	v_fma_f64 v[46:47], v[32:33], v[46:47], 0.5
	v_mul_f64 v[46:47], v[32:33], v[46:47]
	v_fma_f64 v[32:33], v[32:33], v[46:47], v[32:33]
	v_add_f64 v[46:47], v[15:16], -1.0
	v_fma_f64 v[15:16], v[15:16], v[32:33], v[46:47]
	v_mul_f64 v[46:47], v[74:75], v[74:75]
	v_add_f64 v[32:33], v[15:16], v[15:16]
	v_mul_f64 v[60:61], v[46:47], v[46:47]
	v_cndmask_b32_e64 v15, v15, v32, s[2:3]
	v_cndmask_b32_e64 v16, v16, v33, s[2:3]
	v_cmp_nlt_f64_e64 s[2:3], s[34:35], v[9:10]
	v_mul_f64 v[32:33], v[46:47], 0.5
	v_cndmask_b32_e64 v16, v101, v16, s[2:3]
	s_and_b64 s[2:3], s[6:7], s[2:3]
	v_cndmask_b32_e64 v9, 0, v15, s[2:3]
	v_cndmask_b32_e64 v10, v94, v16, s[6:7]
	v_mov_b32_e32 v16, s9
	v_mov_b32_e32 v15, s8
	v_fma_f64 v[64:65], v[46:47], s[66:67], v[15:16]
	v_add_f64 v[48:49], -v[32:33], 1.0
	v_cmp_class_f64_e64 s[2:3], v[11:12], s40
	v_and_b32_e32 v11, 1, v115
	v_cmp_eq_u32_e64 s[6:7], 0, v11
	v_fma_f64 v[64:65], v[46:47], v[64:65], s[68:69]
	v_add_f64 v[78:79], -v[48:49], 1.0
	v_fma_f64 v[64:65], v[46:47], v[64:65], s[62:63]
	v_add_f64 v[32:33], v[78:79], -v[32:33]
	v_mul_f64 v[78:79], v[76:77], 0.5
	v_fma_f64 v[64:65], v[46:47], v[64:65], s[70:71]
	v_fma_f64 v[32:33], v[74:75], -v[76:77], v[32:33]
	v_fma_f64 v[64:65], v[46:47], v[64:65], s[30:31]
	v_fma_f64 v[32:33], v[60:61], v[64:65], v[32:33]
	v_mul_f64 v[60:61], v[74:75], -v[46:47]
	v_add_f64 v[48:49], v[48:49], v[32:33]
	v_mov_b32_e32 v32, s72
	v_mov_b32_e32 v33, s73
	v_fma_f64 v[64:65], v[46:47], s[74:75], v[32:33]
	v_fma_f64 v[64:65], v[46:47], v[64:65], s[76:77]
	;; [unrolled: 1-line block ×5, first 2 shown]
	v_fma_f64 v[46:47], v[46:47], v[64:65], -v[76:77]
	v_fma_f64 v[46:47], v[60:61], s[58:59], v[46:47]
	v_add_f64 v[46:47], v[74:75], -v[46:47]
	v_mul_f64 v[74:75], v[44:45], 0.5
	v_xor_b32_e32 v11, 0x80000000, v47
	v_cndmask_b32_e64 v18, v46, v48, s[6:7]
	v_cndmask_b32_e64 v11, v11, v49, s[6:7]
	v_mul_f64 v[48:49], v[42:43], v[42:43]
	v_cmp_class_f64_e64 s[6:7], v[30:31], s40
	v_lshlrev_b32_e32 v46, 30, v115
	v_and_b32_e32 v46, 0x80000000, v46
	v_xor_b32_e32 v11, v11, v46
	v_cndmask_b32_e64 v47, v104, v11, s[2:3]
	v_and_b32_e32 v11, 1, v107
	v_lshlrev_b32_e32 v30, 30, v107
	v_fma_f64 v[64:65], v[48:49], s[74:75], v[32:33]
	v_mul_f64 v[60:61], v[42:43], -v[48:49]
	v_fma_f64 v[78:79], v[48:49], s[66:67], v[15:16]
	v_mul_f64 v[76:77], v[48:49], v[48:49]
	v_cmp_eq_u32_e64 s[8:9], 0, v11
	v_xor_b32_e32 v30, v30, v31
	v_cndmask_b32_e64 v46, 0, v18, s[2:3]
	v_and_b32_e32 v30, 0x80000000, v30
	v_fma_f64 v[64:65], v[48:49], v[64:65], s[76:77]
	v_fma_f64 v[78:79], v[48:49], v[78:79], s[68:69]
	;; [unrolled: 1-line block ×7, first 2 shown]
	v_fma_f64 v[64:65], v[48:49], v[64:65], -v[44:45]
	v_fma_f64 v[60:61], v[60:61], s[58:59], v[64:65]
	v_mul_f64 v[64:65], v[48:49], 0.5
	v_fma_f64 v[48:49], v[48:49], v[78:79], s[30:31]
	v_add_f64 v[60:61], v[42:43], -v[60:61]
	v_add_f64 v[74:75], -v[64:65], 1.0
	v_add_f64 v[78:79], -v[74:75], 1.0
	v_add_f64 v[64:65], v[78:79], -v[64:65]
	v_fma_f64 v[42:43], v[42:43], -v[44:45], v[64:65]
	v_fma_f64 v[42:43], v[76:77], v[48:49], v[42:43]
	v_add_f64 v[42:43], v[74:75], v[42:43]
	v_cndmask_b32_e64 v18, v43, v61, s[8:9]
	v_cndmask_b32_e64 v11, v42, v60, s[8:9]
	v_xor_b32_e32 v18, v18, v30
	v_cndmask_b32_e64 v30, 0, v11, s[6:7]
	v_cndmask_b32_e64 v31, v104, v18, s[6:7]
	v_add_f64 v[42:43], v[30:31], v[30:31]
	v_and_b32_e32 v11, 1, v111
	v_cmp_eq_u32_e64 s[6:7], 0, v11
	v_mul_f64 v[30:31], v[42:43], v[30:31]
	v_mul_f64 v[42:43], v[56:57], v[56:57]
	v_fma_f64 v[9:10], v[9:10], v[46:47], -v[30:31]
	v_mul_f64 v[30:31], v[42:43], 0.5
	v_fma_f64 v[15:16], v[42:43], s[66:67], v[15:16]
	v_add_f64 v[44:45], -v[30:31], 1.0
	v_fma_f64 v[15:16], v[42:43], v[15:16], s[68:69]
	v_add_f64 v[46:47], -v[44:45], 1.0
	v_fma_f64 v[15:16], v[42:43], v[15:16], s[62:63]
	v_add_f64 v[30:31], v[46:47], -v[30:31]
	v_fma_f64 v[15:16], v[42:43], v[15:16], s[70:71]
	v_mul_f64 v[46:47], v[42:43], v[42:43]
	v_fma_f64 v[30:31], v[56:57], -v[62:63], v[30:31]
	v_fma_f64 v[15:16], v[42:43], v[15:16], s[30:31]
	v_fma_f64 v[15:16], v[46:47], v[15:16], v[30:31]
	;; [unrolled: 1-line block ×3, first 2 shown]
	v_add_f64 v[15:16], v[44:45], v[15:16]
	v_fma_f64 v[30:31], v[42:43], v[30:31], s[76:77]
	v_mul_f64 v[44:45], v[62:63], 0.5
	v_fma_f64 v[30:31], v[42:43], v[30:31], s[78:79]
	v_fma_f64 v[32:33], v[42:43], v[30:31], s[4:5]
	v_mul_f64 v[30:31], v[56:57], -v[42:43]
	v_fma_f64 v[32:33], v[30:31], v[32:33], v[44:45]
	v_fma_f64 v[32:33], v[42:43], v[32:33], -v[62:63]
	v_fma_f64 v[30:31], v[30:31], s[58:59], v[32:33]
	v_add_f64 v[30:31], v[56:57], -v[30:31]
	v_cndmask_b32_e64 v11, v15, v30, s[6:7]
	v_cndmask_b32_e64 v15, v16, v31, s[6:7]
	v_lshlrev_b32_e32 v16, 30, v111
	v_xor_b32_e32 v12, v16, v12
	v_and_b32_e32 v12, 0x80000000, v12
	v_xor_b32_e32 v12, v15, v12
	v_cndmask_b32_e64 v11, 0, v11, s[2:3]
	v_cndmask_b32_e64 v12, v104, v12, s[2:3]
	v_mul_f64 v[11:12], v[13:14], v[11:12]
	v_lshlrev_b32_e32 v13, 4, v90
	v_add_co_u32_e64 v13, s[2:3], s33, v13
	v_mov_b32_e32 v14, s12
	v_addc_co_u32_e64 v14, s[2:3], 0, v14, s[2:3]
	global_store_dwordx4 v[13:14], v[9:12], off
	s_or_b64 exec, exec, s[10:11]
	s_and_saveexec_b64 s[8:9], s[0:1]
	s_cbranch_execnz .LBB149_61
.LBB149_66:                             ;   in Loop: Header=BB149_4 Depth=1
	s_or_b64 exec, exec, s[8:9]
	s_and_saveexec_b64 s[6:7], vcc
	s_cbranch_execz .LBB149_3
.LBB149_67:                             ;   in Loop: Header=BB149_4 Depth=1
	s_mov_b32 s0, 0x652b82fe
	s_mov_b32 s1, 0x3ff71547
	v_mul_f64 v[5:6], v[1:2], s[0:1]
	s_mov_b32 s0, 0x3b39803f
	s_mov_b32 s1, 0xbc7abc9e
	v_cmp_nlt_f64_e32 vcc, s[94:95], v[1:2]
	s_mov_b32 s45, s15
	s_mov_b32 s47, s17
	;; [unrolled: 1-line block ×4, first 2 shown]
	v_rndne_f64_e32 v[7:8], v[5:6]
	s_mov_b32 s53, s37
	s_mov_b32 s34, s38
	;; [unrolled: 1-line block ×7, first 2 shown]
	v_fma_f64 v[5:6], v[7:8], s[38:39], v[1:2]
	v_cvt_i32_f64_e32 v11, v[7:8]
	s_mov_b32 s58, s30
	v_fma_f64 v[9:10], v[7:8], s[0:1], v[5:6]
	s_mov_b32 s0, 0x6a5dcb37
	s_mov_b32 s1, 0x3e5ade15
	v_fma_f64 v[5:6], v[9:10], s[0:1], v[22:23]
	s_mov_b32 s0, 0x623fde64
	;; [unrolled: 3-line block ×4, first 2 shown]
	s_mov_b32 s1, 0x3fe00000
	v_fma_f64 v[5:6], v[9:10], v[5:6], s[14:15]
	v_fma_f64 v[5:6], v[9:10], v[5:6], s[16:17]
	;; [unrolled: 1-line block ×6, first 2 shown]
	s_mov_b32 s0, 0
	s_mov_b32 s1, 0xc090cc00
	v_cmp_ngt_f64_e64 s[0:1], s[0:1], v[1:2]
	v_fma_f64 v[5:6], v[9:10], v[5:6], 1.0
	v_fma_f64 v[5:6], v[9:10], v[5:6], 1.0
	v_ldexp_f64 v[5:6], v[5:6], v11
	v_cndmask_b32_e32 v6, v101, v6, vcc
	s_and_b64 vcc, s[0:1], vcc
	v_cndmask_b32_e64 v6, 0, v6, s[0:1]
	s_mov_b32 s0, 0xa9d67f34
	s_mov_b32 s1, 0x3e21f32e
	v_cndmask_b32_e32 v5, 0, v5, vcc
	v_cmp_eq_f64_e32 vcc, s[94:95], v[7:8]
	v_ldexp_f64 v[7:8], 1.0, v11
	v_fma_f64 v[11:12], v[9:10], s[0:1], v[24:25]
	s_mov_b32 s0, 0xe0ac05b
	s_mov_b32 s1, 0x3e927e50
	v_cndmask_b32_e32 v8, v8, v93, vcc
	v_fma_f64 v[11:12], v[9:10], v[11:12], s[0:1]
	s_mov_b32 s0, 0x1b889c29
	s_mov_b32 s1, 0x3ec71de0
	v_cndmask_b32_e64 v7, v7, 0, vcc
	v_fma_f64 v[11:12], v[9:10], v[11:12], s[0:1]
	s_mov_b32 s0, 0
	s_mov_b32 s1, 0xc0428000
	v_cmp_ngt_f64_e64 s[0:1], s[0:1], v[1:2]
	v_fma_f64 v[11:12], v[9:10], v[11:12], s[42:43]
	v_fma_f64 v[11:12], v[9:10], v[11:12], s[44:45]
	v_fma_f64 v[11:12], v[9:10], v[11:12], s[46:47]
	v_fma_f64 v[11:12], v[9:10], v[11:12], s[48:49]
	v_fma_f64 v[11:12], v[9:10], v[11:12], s[50:51]
	v_fma_f64 v[11:12], v[9:10], v[11:12], s[52:53]
	v_fma_f64 v[11:12], v[9:10], v[11:12], 0.5
	v_mul_f64 v[11:12], v[9:10], v[11:12]
	v_fma_f64 v[9:10], v[9:10], v[11:12], v[9:10]
	v_add_f64 v[11:12], v[7:8], -1.0
	v_fma_f64 v[7:8], v[7:8], v[9:10], v[11:12]
	v_mul_f64 v[11:12], v[66:67], v[66:67]
	v_add_f64 v[9:10], v[7:8], v[7:8]
	v_mul_f64 v[15:16], v[11:12], v[11:12]
	v_cndmask_b32_e32 v7, v7, v9, vcc
	v_cndmask_b32_e32 v8, v8, v10, vcc
	v_cmp_nlt_f64_e32 vcc, s[34:35], v[1:2]
	v_mul_f64 v[9:10], v[11:12], 0.5
	v_cndmask_b32_e32 v8, v101, v8, vcc
	s_and_b64 vcc, s[0:1], vcc
	v_cndmask_b32_e32 v1, 0, v7, vcc
	v_cndmask_b32_e64 v2, v94, v8, s[0:1]
	v_mov_b32_e32 v8, s3
	v_mov_b32_e32 v7, s2
	v_fma_f64 v[28:29], v[11:12], s[66:67], v[7:8]
	v_add_f64 v[13:14], -v[9:10], 1.0
	v_cmp_class_f64_e64 vcc, v[3:4], s40
	v_and_b32_e32 v3, 1, v113
	v_cmp_eq_u32_e64 s[0:1], 0, v3
	v_fma_f64 v[28:29], v[11:12], v[28:29], s[68:69]
	v_add_f64 v[30:31], -v[13:14], 1.0
	v_fma_f64 v[28:29], v[11:12], v[28:29], s[62:63]
	v_add_f64 v[9:10], v[30:31], -v[9:10]
	v_mul_f64 v[30:31], v[68:69], 0.5
	v_fma_f64 v[28:29], v[11:12], v[28:29], s[70:71]
	v_fma_f64 v[9:10], v[66:67], -v[68:69], v[9:10]
	v_fma_f64 v[28:29], v[11:12], v[28:29], s[30:31]
	v_fma_f64 v[9:10], v[15:16], v[28:29], v[9:10]
	v_mul_f64 v[15:16], v[66:67], -v[11:12]
	v_add_f64 v[13:14], v[13:14], v[9:10]
	v_mov_b32_e32 v9, s72
	v_mov_b32_e32 v10, s73
	v_fma_f64 v[28:29], v[11:12], s[74:75], v[9:10]
	v_fma_f64 v[28:29], v[11:12], v[28:29], s[76:77]
	;; [unrolled: 1-line block ×5, first 2 shown]
	v_mul_f64 v[30:31], v[36:37], 0.5
	v_fma_f64 v[11:12], v[11:12], v[28:29], -v[68:69]
	v_fma_f64 v[11:12], v[15:16], s[58:59], v[11:12]
	v_add_f64 v[11:12], v[66:67], -v[11:12]
	v_xor_b32_e32 v3, 0x80000000, v12
	v_cndmask_b32_e64 v11, v11, v13, s[0:1]
	v_cndmask_b32_e64 v3, v3, v14, s[0:1]
	v_mul_f64 v[13:14], v[34:35], v[34:35]
	v_lshlrev_b32_e32 v12, 30, v113
	v_and_b32_e32 v12, 0x80000000, v12
	v_cmp_class_f64_e64 s[0:1], v[26:27], s40
	v_xor_b32_e32 v3, v3, v12
	v_cndmask_b32_e32 v12, v104, v3, vcc
	v_and_b32_e32 v3, 1, v105
	v_cmp_eq_u32_e64 s[2:3], 0, v3
	v_fma_f64 v[28:29], v[13:14], s[74:75], v[9:10]
	v_mul_f64 v[15:16], v[34:35], -v[13:14]
	v_fma_f64 v[38:39], v[13:14], s[66:67], v[7:8]
	v_mul_f64 v[32:33], v[13:14], v[13:14]
	v_cndmask_b32_e32 v11, 0, v11, vcc
	v_fma_f64 v[28:29], v[13:14], v[28:29], s[76:77]
	v_fma_f64 v[38:39], v[13:14], v[38:39], s[68:69]
	;; [unrolled: 1-line block ×7, first 2 shown]
	v_fma_f64 v[28:29], v[13:14], v[28:29], -v[36:37]
	v_fma_f64 v[15:16], v[15:16], s[58:59], v[28:29]
	v_mul_f64 v[28:29], v[13:14], 0.5
	v_fma_f64 v[13:14], v[13:14], v[38:39], s[30:31]
	v_add_f64 v[15:16], v[34:35], -v[15:16]
	v_add_f64 v[30:31], -v[28:29], 1.0
	v_add_f64 v[38:39], -v[30:31], 1.0
	v_add_f64 v[28:29], v[38:39], -v[28:29]
	v_fma_f64 v[28:29], v[34:35], -v[36:37], v[28:29]
	v_fma_f64 v[13:14], v[32:33], v[13:14], v[28:29]
	v_add_f64 v[13:14], v[30:31], v[13:14]
	v_cndmask_b32_e64 v3, v13, v15, s[2:3]
	v_cndmask_b32_e64 v13, v14, v16, s[2:3]
	v_lshlrev_b32_e32 v14, 30, v105
	v_xor_b32_e32 v14, v14, v27
	v_and_b32_e32 v14, 0x80000000, v14
	v_xor_b32_e32 v14, v13, v14
	v_cndmask_b32_e64 v13, 0, v3, s[0:1]
	v_cndmask_b32_e64 v14, v104, v14, s[0:1]
	v_add_f64 v[15:16], v[13:14], v[13:14]
	v_and_b32_e32 v3, 1, v109
	v_cmp_eq_u32_e64 s[0:1], 0, v3
	v_mul_f64 v[13:14], v[15:16], v[13:14]
	v_fma_f64 v[1:2], v[1:2], v[11:12], -v[13:14]
	v_mul_f64 v[11:12], v[50:51], v[50:51]
	v_mul_f64 v[13:14], v[11:12], 0.5
	v_fma_f64 v[7:8], v[11:12], s[66:67], v[7:8]
	v_fma_f64 v[9:10], v[11:12], s[74:75], v[9:10]
	v_add_f64 v[15:16], -v[13:14], 1.0
	v_fma_f64 v[7:8], v[11:12], v[7:8], s[68:69]
	v_fma_f64 v[9:10], v[11:12], v[9:10], s[76:77]
	v_add_f64 v[26:27], -v[15:16], 1.0
	v_fma_f64 v[7:8], v[11:12], v[7:8], s[62:63]
	v_fma_f64 v[9:10], v[11:12], v[9:10], s[78:79]
	v_add_f64 v[13:14], v[26:27], -v[13:14]
	v_fma_f64 v[7:8], v[11:12], v[7:8], s[70:71]
	v_mul_f64 v[26:27], v[11:12], v[11:12]
	v_fma_f64 v[13:14], v[50:51], -v[54:55], v[13:14]
	v_fma_f64 v[7:8], v[11:12], v[7:8], s[30:31]
	v_fma_f64 v[7:8], v[26:27], v[7:8], v[13:14]
	;; [unrolled: 1-line block ×3, first 2 shown]
	v_mul_f64 v[9:10], v[50:51], -v[11:12]
	v_add_f64 v[7:8], v[15:16], v[7:8]
	v_mul_f64 v[15:16], v[54:55], 0.5
	v_fma_f64 v[13:14], v[9:10], v[13:14], v[15:16]
	v_fma_f64 v[11:12], v[11:12], v[13:14], -v[54:55]
	v_fma_f64 v[9:10], v[9:10], s[58:59], v[11:12]
	v_add_f64 v[9:10], v[50:51], -v[9:10]
	v_cndmask_b32_e64 v3, v7, v9, s[0:1]
	v_cndmask_b32_e64 v7, v8, v10, s[0:1]
	v_lshlrev_b32_e32 v8, 30, v109
	v_xor_b32_e32 v4, v8, v4
	v_and_b32_e32 v4, 0x80000000, v4
	v_xor_b32_e32 v4, v7, v4
	v_cndmask_b32_e32 v3, 0, v3, vcc
	v_cndmask_b32_e32 v4, v104, v4, vcc
	v_mul_f64 v[3:4], v[5:6], v[3:4]
	v_add_co_u32_e32 v5, vcc, s33, v20
	v_mov_b32_e32 v6, s12
	v_addc_co_u32_e32 v6, vcc, v6, v21, vcc
	global_store_dwordx4 v[5:6], v[1:4], off offset:-8
	s_branch .LBB149_3
.LBB149_68:
	v_readlane_b32 s6, v127, 6
	v_readlane_b32 s7, v127, 7
	s_cbranch_execz .LBB149_70
	s_branch .LBB149_121
.LBB149_69:
.LBB149_70:
	v_mov_b32_e32 v1, 0x10000
	v_mov_b32_e32 v2, 0
	v_cmp_lt_i64_e32 vcc, s[6:7], v[1:2]
	v_mov_b32_e32 v18, 0
	s_and_b64 s[0:1], vcc, exec
	s_cselect_b32 s1, s7, 0
	s_cselect_b32 s0, s6, 0x10000
	v_lshlrev_b32_e32 v1, 2, v0
	v_mov_b32_e32 v2, v18
	v_writelane_b32 v127, s0, 8
	v_cmp_gt_i64_e32 vcc, s[0:1], v[1:2]
	v_writelane_b32 v127, s1, 9
	s_and_saveexec_b64 s[0:1], vcc
	s_cbranch_execz .LBB149_121
; %bb.71:
	v_readlane_b32 s0, v127, 0
	v_readlane_b32 s1, v127, 1
	s_load_dword s0, s[0:1], 0xd3c
	v_readlane_b32 s2, v127, 4
	v_readlane_b32 s3, v127, 5
	v_lshlrev_b32_e32 v2, 6, v0
	s_mov_b32 s76, 0xfefa39ef
	s_waitcnt lgkmcnt(0)
	s_and_b32 s37, s0, 0xffff
	v_readlane_b32 s0, v127, 2
	v_readlane_b32 s1, v127, 3
	s_add_u32 s0, s0, s2
	s_addc_u32 s1, s1, s3
	v_mov_b32_e32 v3, s1
	v_add_co_u32_e32 v20, vcc, s0, v2
	s_lshl_b32 s0, s37, 6
	s_mov_b32 s6, 0
	s_mov_b32 s10, 0
	;; [unrolled: 1-line block ×30, first 2 shown]
	v_mov_b32_e32 v1, v18
	v_addc_co_u32_e32 v21, vcc, 0, v3, vcc
	v_writelane_b32 v127, s0, 0
	s_mov_b64 s[4:5], 0
	s_mov_b32 s7, 0x41d00000
	s_movk_i32 s33, 0xff80
	s_mov_b32 s11, 0x7ff00000
	s_mov_b32 s13, 0x3ff921fb
	;; [unrolled: 1-line block ×22, first 2 shown]
	v_mov_b32_e32 v82, 0x40100000
	v_mov_b32_e32 v83, 0x3ff00000
	;; [unrolled: 1-line block ×6, first 2 shown]
	s_movk_i32 s36, 0x1f8
	s_mov_b32 s94, 0x55555557
	s_mov_b32 s66, 0x19f4ec90
	;; [unrolled: 1-line block ×19, first 2 shown]
	s_branch .LBB149_73
.LBB149_72:                             ;   in Loop: Header=BB149_73 Depth=1
	s_or_b64 exec, exec, s[0:1]
	v_mul_f64 v[100:101], v[70:71], v[70:71]
	s_mov_b32 s0, 0xb42fdfa7
	s_mov_b32 s1, 0xbe5ae600
	v_mov_b32_e32 v69, s1
	v_mov_b32_e32 v68, s0
	s_mov_b32 s0, 0x9037ab78
	s_mov_b32 s1, 0x3e21eeb6
	v_mov_b32_e32 v67, s1
	v_fma_f64 v[102:103], v[100:101], s[88:89], v[68:69]
	v_mov_b32_e32 v66, s0
	v_fma_f64 v[104:105], v[100:101], s[80:81], v[66:67]
	v_mul_f64 v[106:107], v[100:101], 0.5
	s_mov_b32 s67, s9
	s_mov_b32 s47, s87
	v_mul_f64 v[110:111], v[72:73], 0.5
	v_mul_f64 v[112:113], v[70:71], -v[100:101]
	v_fma_f64 v[102:103], v[100:101], v[102:103], s[90:91]
	s_mov_b32 s49, s79
	v_fma_f64 v[104:105], v[100:101], v[104:105], s[82:83]
	v_add_f64 v[108:109], -v[106:107], 1.0
	s_mov_b32 s2, s48
	v_and_b32_e32 v19, 1, v97
	v_cmp_eq_u32_e32 vcc, 0, v19
	s_mov_b32 s26, 0x652b82fe
	v_fma_f64 v[102:103], v[100:101], v[102:103], s[92:93]
	s_mov_b32 s27, 0x3ff71547
	v_fma_f64 v[104:105], v[100:101], v[104:105], s[66:67]
	v_add_f64 v[114:115], -v[108:109], 1.0
	s_mov_b32 s30, 0x3b39803f
	s_mov_b32 s31, 0xbc7abc9e
	;; [unrolled: 1-line block ×4, first 2 shown]
	v_fma_f64 v[102:103], v[100:101], v[102:103], s[46:47]
	s_mov_b32 s69, s45
	v_fma_f64 v[104:105], v[100:101], v[104:105], s[84:85]
	v_add_f64 v[106:107], v[114:115], -v[106:107]
	s_mov_b32 s71, s51
	s_mov_b32 s73, s87
	;; [unrolled: 1-line block ×4, first 2 shown]
	v_fma_f64 v[102:103], v[112:113], v[102:103], v[110:111]
	v_mul_f64 v[110:111], v[100:101], v[100:101]
	v_fma_f64 v[104:105], v[100:101], v[104:105], s[48:49]
	v_fma_f64 v[106:107], v[70:71], -v[72:73], v[106:107]
	v_fma_f64 v[72:73], v[100:101], v[102:103], -v[72:73]
	v_fma_f64 v[100:101], v[110:111], v[104:105], v[106:107]
	v_mul_f64 v[106:107], v[78:79], 0.5
	v_fma_f64 v[72:73], v[112:113], s[2:3], v[72:73]
	v_add_f64 v[100:101], v[108:109], v[100:101]
	v_add_f64 v[70:71], v[70:71], -v[72:73]
	v_cndmask_b32_e32 v19, v100, v70, vcc
	v_cndmask_b32_e32 v112, v101, v71, vcc
	v_mul_f64 v[70:71], v[76:77], v[76:77]
	v_fma_f64 v[72:73], v[70:71], s[88:89], v[68:69]
	v_fma_f64 v[100:101], v[70:71], s[80:81], v[66:67]
	v_mul_f64 v[102:103], v[70:71], 0.5
	v_mul_f64 v[108:109], v[76:77], -v[70:71]
	v_fma_f64 v[72:73], v[70:71], v[72:73], s[90:91]
	v_fma_f64 v[100:101], v[70:71], v[100:101], s[82:83]
	v_add_f64 v[104:105], -v[102:103], 1.0
	v_fma_f64 v[72:73], v[70:71], v[72:73], s[92:93]
	v_fma_f64 v[100:101], v[70:71], v[100:101], s[66:67]
	v_add_f64 v[110:111], -v[104:105], 1.0
	v_fma_f64 v[72:73], v[70:71], v[72:73], s[46:47]
	v_fma_f64 v[100:101], v[70:71], v[100:101], s[84:85]
	v_add_f64 v[102:103], v[110:111], -v[102:103]
	v_fma_f64 v[72:73], v[108:109], v[72:73], v[106:107]
	v_mul_f64 v[106:107], v[70:71], v[70:71]
	v_fma_f64 v[72:73], v[70:71], v[72:73], -v[78:79]
	v_fma_f64 v[70:71], v[70:71], v[100:101], s[48:49]
	v_fma_f64 v[78:79], v[76:77], -v[78:79], v[102:103]
	v_fma_f64 v[72:73], v[108:109], s[2:3], v[72:73]
	v_mul_f64 v[108:109], v[80:81], 0.5
	v_fma_f64 v[70:71], v[106:107], v[70:71], v[78:79]
	v_mov_b32_e32 v79, s1
	v_mov_b32_e32 v78, s0
	v_cmp_ngt_f64_e64 s[0:1], s[60:61], v[14:15]
	v_add_f64 v[72:73], v[76:77], -v[72:73]
	v_and_b32_e32 v76, 1, v98
	v_add_f64 v[70:71], v[104:105], v[70:71]
	v_cmp_eq_u32_e32 vcc, 0, v76
	v_xor_b32_e32 v73, 0x80000000, v73
	v_cndmask_b32_e32 v114, v72, v70, vcc
	v_cndmask_b32_e32 v115, v73, v71, vcc
	v_cmp_class_f64_e64 vcc, v[64:65], s36
	v_lshlrev_b32_e32 v70, 30, v97
	v_xor_b32_e32 v70, v70, v65
	v_and_b32_e32 v70, 0x80000000, v70
	v_xor_b32_e32 v70, v112, v70
	v_cndmask_b32_e32 v65, v87, v70, vcc
	v_mul_f64 v[70:71], v[14:15], s[26:27]
	v_cndmask_b32_e32 v64, 0, v19, vcc
	v_cmp_nlt_f64_e32 vcc, s[54:55], v[14:15]
	v_rndne_f64_e32 v[72:73], v[70:71]
	v_fma_f64 v[70:71], v[72:73], s[34:35], v[14:15]
	v_cvt_i32_f64_e32 v19, v[72:73]
	v_ldexp_f64 v[104:105], 1.0, v19
	v_fma_f64 v[100:101], v[72:73], s[30:31], v[70:71]
	v_fma_f64 v[70:71], v[100:101], s[38:39], v[78:79]
	v_fma_f64 v[70:71], v[100:101], v[70:71], s[40:41]
	v_fma_f64 v[70:71], v[100:101], v[70:71], s[52:53]
	v_fma_f64 v[70:71], v[100:101], v[70:71], s[44:45]
	v_fma_f64 v[70:71], v[100:101], v[70:71], s[50:51]
	v_fma_f64 v[70:71], v[100:101], v[70:71], s[86:87]
	v_fma_f64 v[70:71], v[100:101], v[70:71], s[78:79]
	v_fma_f64 v[70:71], v[100:101], v[70:71], s[58:59]
	v_fma_f64 v[70:71], v[100:101], v[70:71], s[56:57]
	v_fma_f64 v[70:71], v[100:101], v[70:71], 1.0
	v_fma_f64 v[70:71], v[100:101], v[70:71], 1.0
	v_ldexp_f64 v[70:71], v[70:71], v19
	v_cndmask_b32_e32 v71, v84, v71, vcc
	s_and_b64 vcc, s[0:1], vcc
	v_cndmask_b32_e64 v71, 0, v71, s[0:1]
	s_mov_b32 s0, 0x2a1b768b
	s_mov_b32 s1, 0x3e5af4eb
	v_mov_b32_e32 v77, s1
	v_mov_b32_e32 v76, s0
	v_fma_f64 v[102:103], v[100:101], s[62:63], v[76:77]
	v_cndmask_b32_e32 v70, 0, v70, vcc
	v_cmp_eq_f64_e32 vcc, s[54:55], v[72:73]
	v_cmp_ngt_f64_e64 s[0:1], s[42:43], v[14:15]
	v_fma_f64 v[102:103], v[100:101], v[102:103], s[64:65]
	v_cndmask_b32_e32 v73, v105, v85, vcc
	v_cndmask_b32_e64 v72, v104, 0, vcc
	v_add_f64 v[104:105], v[72:73], -1.0
	v_fma_f64 v[102:103], v[100:101], v[102:103], s[28:29]
	v_fma_f64 v[102:103], v[100:101], v[102:103], s[8:9]
	;; [unrolled: 1-line block ×7, first 2 shown]
	v_fma_f64 v[102:103], v[100:101], v[102:103], 0.5
	v_mul_f64 v[102:103], v[100:101], v[102:103]
	v_fma_f64 v[100:101], v[100:101], v[102:103], v[100:101]
	v_fma_f64 v[72:73], v[72:73], v[100:101], v[104:105]
	v_add_f64 v[100:101], v[72:73], v[72:73]
	v_cndmask_b32_e32 v19, v72, v100, vcc
	v_cndmask_b32_e32 v72, v73, v101, vcc
	v_cmp_nlt_f64_e32 vcc, s[76:77], v[14:15]
	v_cndmask_b32_e32 v72, v84, v72, vcc
	v_cndmask_b32_e64 v15, v86, v72, s[0:1]
	v_mul_f64 v[72:73], v[74:75], v[74:75]
	s_and_b64 vcc, s[0:1], vcc
	v_cndmask_b32_e32 v14, 0, v19, vcc
	v_and_b32_e32 v19, 1, v99
	v_cmp_eq_u32_e32 vcc, 0, v19
	v_cmp_ngt_f64_e64 s[0:1], s[60:61], v[10:11]
	v_fma_f64 v[100:101], v[72:73], s[88:89], v[68:69]
	v_fma_f64 v[102:103], v[72:73], s[80:81], v[66:67]
	v_mul_f64 v[104:105], v[72:73], 0.5
	v_mul_f64 v[110:111], v[74:75], -v[72:73]
	v_fma_f64 v[100:101], v[72:73], v[100:101], s[90:91]
	v_fma_f64 v[102:103], v[72:73], v[102:103], s[82:83]
	v_add_f64 v[106:107], -v[104:105], 1.0
	v_fma_f64 v[100:101], v[72:73], v[100:101], s[92:93]
	v_fma_f64 v[102:103], v[72:73], v[102:103], s[66:67]
	v_add_f64 v[112:113], -v[106:107], 1.0
	v_fma_f64 v[100:101], v[72:73], v[100:101], s[46:47]
	v_fma_f64 v[102:103], v[72:73], v[102:103], s[84:85]
	v_add_f64 v[104:105], v[112:113], -v[104:105]
	v_fma_f64 v[100:101], v[110:111], v[100:101], v[108:109]
	v_mul_f64 v[108:109], v[72:73], v[72:73]
	v_fma_f64 v[102:103], v[72:73], v[102:103], s[48:49]
	v_fma_f64 v[104:105], v[74:75], -v[80:81], v[104:105]
	v_fma_f64 v[72:73], v[72:73], v[100:101], -v[80:81]
	v_fma_f64 v[80:81], v[108:109], v[102:103], v[104:105]
	v_fma_f64 v[72:73], v[110:111], s[2:3], v[72:73]
	v_add_f64 v[80:81], v[106:107], v[80:81]
	v_mul_f64 v[107:108], v[56:57], 0.5
	v_add_f64 v[72:73], v[74:75], -v[72:73]
	v_cndmask_b32_e32 v19, v80, v72, vcc
	v_cndmask_b32_e32 v74, v81, v73, vcc
	v_cmp_class_f64_e64 vcc, v[16:17], s36
	v_lshlrev_b32_e32 v16, 30, v99
	v_xor_b32_e32 v16, v16, v17
	v_and_b32_e32 v16, 0x80000000, v16
	v_xor_b32_e32 v17, v74, v16
	v_mul_f64 v[74:75], v[10:11], s[26:27]
	v_lshlrev_b32_e32 v72, 30, v98
	v_and_b32_e32 v72, 0x80000000, v72
	v_cndmask_b32_e32 v16, 0, v19, vcc
	v_xor_b32_e32 v73, v115, v72
	v_cndmask_b32_e32 v72, 0, v114, vcc
	v_cndmask_b32_e32 v73, v87, v73, vcc
	;; [unrolled: 1-line block ×3, first 2 shown]
	v_rndne_f64_e32 v[80:81], v[74:75]
	v_cmp_nlt_f64_e32 vcc, s[54:55], v[10:11]
	v_mul_f64 v[16:17], v[70:71], v[16:17]
	v_fma_f64 v[74:75], v[80:81], s[34:35], v[10:11]
	v_cvt_i32_f64_e32 v19, v[80:81]
	v_ldexp_f64 v[101:102], 1.0, v19
	v_fma_f64 v[97:98], v[80:81], s[30:31], v[74:75]
	v_fma_f64 v[74:75], v[97:98], s[38:39], v[78:79]
	;; [unrolled: 1-line block ×19, first 2 shown]
	v_fma_f64 v[74:75], v[97:98], v[74:75], 1.0
	v_fma_f64 v[99:100], v[97:98], v[99:100], 0.5
	;; [unrolled: 1-line block ×3, first 2 shown]
	v_mul_f64 v[99:100], v[97:98], v[99:100]
	v_ldexp_f64 v[74:75], v[74:75], v19
	v_fma_f64 v[97:98], v[97:98], v[99:100], v[97:98]
	v_cndmask_b32_e32 v75, v84, v75, vcc
	s_and_b64 vcc, s[0:1], vcc
	v_cndmask_b32_e32 v74, 0, v74, vcc
	v_cmp_eq_f64_e32 vcc, s[54:55], v[80:81]
	v_cndmask_b32_e64 v75, 0, v75, s[0:1]
	v_cmp_ngt_f64_e64 s[0:1], s[42:43], v[10:11]
	v_cndmask_b32_e32 v81, v102, v85, vcc
	v_cndmask_b32_e64 v80, v101, 0, vcc
	v_add_f64 v[99:100], v[80:81], -1.0
	v_fma_f64 v[80:81], v[80:81], v[97:98], v[99:100]
	v_add_f64 v[97:98], v[80:81], v[80:81]
	v_cndmask_b32_e32 v19, v80, v97, vcc
	v_cndmask_b32_e32 v80, v81, v98, vcc
	v_cmp_nlt_f64_e32 vcc, s[76:77], v[10:11]
	v_cndmask_b32_e32 v80, v84, v80, vcc
	v_cndmask_b32_e64 v11, v86, v80, s[0:1]
	v_mul_f64 v[80:81], v[52:53], v[52:53]
	s_and_b64 vcc, s[0:1], vcc
	v_cndmask_b32_e32 v10, 0, v19, vcc
	v_and_b32_e32 v19, 1, v95
	v_cmp_eq_u32_e32 vcc, 0, v19
	v_cmp_ngt_f64_e64 s[0:1], s[60:61], v[6:7]
	v_fma_f64 v[97:98], v[80:81], s[88:89], v[68:69]
	v_fma_f64 v[99:100], v[80:81], s[80:81], v[66:67]
	v_mul_f64 v[101:102], v[80:81], 0.5
	v_mul_f64 v[105:106], v[52:53], -v[80:81]
	v_fma_f64 v[97:98], v[80:81], v[97:98], s[90:91]
	v_fma_f64 v[99:100], v[80:81], v[99:100], s[82:83]
	v_add_f64 v[103:104], -v[101:102], 1.0
	v_fma_f64 v[97:98], v[80:81], v[97:98], s[92:93]
	v_fma_f64 v[99:100], v[80:81], v[99:100], s[66:67]
	v_add_f64 v[109:110], -v[103:104], 1.0
	v_fma_f64 v[97:98], v[80:81], v[97:98], s[46:47]
	v_fma_f64 v[99:100], v[80:81], v[99:100], s[84:85]
	v_add_f64 v[101:102], v[109:110], -v[101:102]
	v_fma_f64 v[97:98], v[105:106], v[97:98], v[107:108]
	v_mul_f64 v[107:108], v[80:81], v[80:81]
	v_fma_f64 v[97:98], v[80:81], v[97:98], -v[56:57]
	v_fma_f64 v[80:81], v[80:81], v[99:100], s[48:49]
	v_fma_f64 v[56:57], v[52:53], -v[56:57], v[101:102]
	v_fma_f64 v[97:98], v[105:106], s[2:3], v[97:98]
	v_fma_f64 v[56:57], v[107:108], v[80:81], v[56:57]
	v_add_f64 v[52:53], v[52:53], -v[97:98]
	v_add_f64 v[56:57], v[103:104], v[56:57]
	v_mul_f64 v[103:104], v[46:47], 0.5
	v_xor_b32_e32 v53, 0x80000000, v53
	v_cndmask_b32_e32 v19, v52, v56, vcc
	v_cndmask_b32_e32 v107, v53, v57, vcc
	v_mul_f64 v[52:53], v[44:45], v[44:45]
	v_fma_f64 v[56:57], v[52:53], s[88:89], v[68:69]
	v_fma_f64 v[80:81], v[52:53], s[80:81], v[66:67]
	v_mul_f64 v[97:98], v[52:53], 0.5
	v_mul_f64 v[101:102], v[44:45], -v[52:53]
	v_fma_f64 v[56:57], v[52:53], v[56:57], s[90:91]
	v_fma_f64 v[80:81], v[52:53], v[80:81], s[82:83]
	v_add_f64 v[99:100], -v[97:98], 1.0
	v_fma_f64 v[56:57], v[52:53], v[56:57], s[92:93]
	v_fma_f64 v[80:81], v[52:53], v[80:81], s[66:67]
	v_add_f64 v[105:106], -v[99:100], 1.0
	v_fma_f64 v[56:57], v[52:53], v[56:57], s[46:47]
	v_fma_f64 v[80:81], v[52:53], v[80:81], s[84:85]
	v_add_f64 v[97:98], v[105:106], -v[97:98]
	v_fma_f64 v[56:57], v[101:102], v[56:57], v[103:104]
	v_mul_f64 v[103:104], v[52:53], v[52:53]
	v_fma_f64 v[56:57], v[52:53], v[56:57], -v[46:47]
	v_fma_f64 v[52:53], v[52:53], v[80:81], s[48:49]
	v_fma_f64 v[46:47], v[44:45], -v[46:47], v[97:98]
	v_fma_f64 v[56:57], v[101:102], s[2:3], v[56:57]
	v_mul_f64 v[101:102], v[62:63], 0.5
	v_fma_f64 v[46:47], v[103:104], v[52:53], v[46:47]
	v_and_b32_e32 v52, 1, v93
	v_cmp_eq_u32_e32 vcc, 0, v52
	v_add_f64 v[44:45], v[44:45], -v[56:57]
	v_add_f64 v[46:47], v[99:100], v[46:47]
	v_cndmask_b32_e32 v44, v46, v44, vcc
	v_cndmask_b32_e32 v45, v47, v45, vcc
	v_cmp_class_f64_e64 vcc, v[42:43], s36
	v_lshlrev_b32_e32 v46, 30, v93
	v_xor_b32_e32 v46, v46, v43
	v_and_b32_e32 v46, 0x80000000, v46
	v_xor_b32_e32 v45, v45, v46
	v_cndmask_b32_e32 v42, 0, v44, vcc
	v_cndmask_b32_e32 v43, v87, v45, vcc
	v_mul_f64 v[44:45], v[60:61], v[60:61]
	v_fma_f64 v[46:47], v[44:45], s[88:89], v[68:69]
	v_mul_f64 v[52:53], v[44:45], 0.5
	v_fma_f64 v[56:57], v[44:45], s[80:81], v[66:67]
	v_mul_f64 v[99:100], v[60:61], -v[44:45]
	v_fma_f64 v[46:47], v[44:45], v[46:47], s[90:91]
	v_add_f64 v[80:81], -v[52:53], 1.0
	v_fma_f64 v[56:57], v[44:45], v[56:57], s[82:83]
	v_fma_f64 v[46:47], v[44:45], v[46:47], s[92:93]
	v_add_f64 v[97:98], -v[80:81], 1.0
	v_fma_f64 v[56:57], v[44:45], v[56:57], s[66:67]
	v_fma_f64 v[46:47], v[44:45], v[46:47], s[46:47]
	v_add_f64 v[52:53], v[97:98], -v[52:53]
	v_fma_f64 v[56:57], v[44:45], v[56:57], s[84:85]
	v_mul_f64 v[97:98], v[44:45], v[44:45]
	v_fma_f64 v[46:47], v[99:100], v[46:47], v[101:102]
	v_fma_f64 v[52:53], v[60:61], -v[62:63], v[52:53]
	v_fma_f64 v[56:57], v[44:45], v[56:57], s[48:49]
	v_fma_f64 v[44:45], v[44:45], v[46:47], -v[62:63]
	v_fma_f64 v[46:47], v[97:98], v[56:57], v[52:53]
	v_and_b32_e32 v52, 1, v96
	v_cmp_eq_u32_e32 vcc, 0, v52
	v_mul_f64 v[97:98], v[30:31], 0.5
	v_fma_f64 v[44:45], v[99:100], s[2:3], v[44:45]
	v_add_f64 v[46:47], v[80:81], v[46:47]
	v_add_f64 v[44:45], v[60:61], -v[44:45]
	v_cndmask_b32_e32 v46, v46, v44, vcc
	v_cndmask_b32_e32 v47, v47, v45, vcc
	v_cmp_class_f64_e64 vcc, v[12:13], s36
	v_lshlrev_b32_e32 v12, 30, v96
	v_xor_b32_e32 v12, v12, v13
	v_and_b32_e32 v12, 0x80000000, v12
	v_xor_b32_e32 v13, v47, v12
	v_lshlrev_b32_e32 v44, 30, v95
	v_and_b32_e32 v44, 0x80000000, v44
	v_xor_b32_e32 v45, v107, v44
	v_cndmask_b32_e32 v12, 0, v46, vcc
	v_mul_f64 v[46:47], v[6:7], s[26:27]
	v_cndmask_b32_e32 v44, 0, v19, vcc
	v_cndmask_b32_e32 v45, v87, v45, vcc
	;; [unrolled: 1-line block ×3, first 2 shown]
	v_cmp_nlt_f64_e32 vcc, s[54:55], v[6:7]
	v_rndne_f64_e32 v[52:53], v[46:47]
	v_fma_f64 v[46:47], v[52:53], s[34:35], v[6:7]
	v_cvt_i32_f64_e32 v19, v[52:53]
	v_ldexp_f64 v[62:63], 1.0, v19
	v_fma_f64 v[56:57], v[52:53], s[30:31], v[46:47]
	v_fma_f64 v[46:47], v[56:57], s[38:39], v[78:79]
	;; [unrolled: 1-line block ×19, first 2 shown]
	v_fma_f64 v[46:47], v[56:57], v[46:47], 1.0
	v_fma_f64 v[60:61], v[56:57], v[60:61], 0.5
	;; [unrolled: 1-line block ×3, first 2 shown]
	v_mul_f64 v[60:61], v[56:57], v[60:61]
	v_ldexp_f64 v[46:47], v[46:47], v19
	v_fma_f64 v[56:57], v[56:57], v[60:61], v[56:57]
	v_cndmask_b32_e32 v47, v84, v47, vcc
	s_and_b64 vcc, s[0:1], vcc
	v_cndmask_b32_e32 v46, 0, v46, vcc
	v_cmp_eq_f64_e32 vcc, s[54:55], v[52:53]
	v_cndmask_b32_e64 v47, 0, v47, s[0:1]
	v_cmp_ngt_f64_e64 s[0:1], s[42:43], v[6:7]
	v_cndmask_b32_e32 v53, v63, v85, vcc
	v_cndmask_b32_e64 v52, v62, 0, vcc
	v_add_f64 v[60:61], v[52:53], -1.0
	v_fma_f64 v[52:53], v[52:53], v[56:57], v[60:61]
	v_add_f64 v[56:57], v[52:53], v[52:53]
	v_cndmask_b32_e32 v19, v52, v56, vcc
	v_cndmask_b32_e32 v52, v53, v57, vcc
	v_cmp_nlt_f64_e32 vcc, s[76:77], v[6:7]
	v_cndmask_b32_e32 v52, v84, v52, vcc
	v_cndmask_b32_e64 v7, v86, v52, s[0:1]
	v_mul_f64 v[52:53], v[28:29], v[28:29]
	s_and_b64 vcc, s[0:1], vcc
	v_cndmask_b32_e32 v6, 0, v19, vcc
	v_and_b32_e32 v19, 1, v89
	v_cmp_eq_u32_e32 vcc, 0, v19
	v_cmp_ngt_f64_e64 s[0:1], s[60:61], v[2:3]
	v_fma_f64 v[56:57], v[52:53], s[88:89], v[68:69]
	v_fma_f64 v[60:61], v[52:53], s[80:81], v[66:67]
	v_mul_f64 v[62:63], v[52:53], 0.5
	v_mul_f64 v[95:96], v[28:29], -v[52:53]
	v_fma_f64 v[56:57], v[52:53], v[56:57], s[90:91]
	v_fma_f64 v[60:61], v[52:53], v[60:61], s[82:83]
	v_add_f64 v[80:81], -v[62:63], 1.0
	v_fma_f64 v[56:57], v[52:53], v[56:57], s[92:93]
	v_fma_f64 v[60:61], v[52:53], v[60:61], s[66:67]
	v_add_f64 v[99:100], -v[80:81], 1.0
	v_fma_f64 v[56:57], v[52:53], v[56:57], s[46:47]
	v_fma_f64 v[60:61], v[52:53], v[60:61], s[84:85]
	v_add_f64 v[62:63], v[99:100], -v[62:63]
	v_fma_f64 v[56:57], v[95:96], v[56:57], v[97:98]
	v_mul_f64 v[97:98], v[52:53], v[52:53]
	v_fma_f64 v[56:57], v[52:53], v[56:57], -v[30:31]
	v_fma_f64 v[52:53], v[52:53], v[60:61], s[48:49]
	v_fma_f64 v[30:31], v[28:29], -v[30:31], v[62:63]
	v_fma_f64 v[56:57], v[95:96], s[2:3], v[56:57]
	v_fma_f64 v[30:31], v[97:98], v[52:53], v[30:31]
	v_add_f64 v[28:29], v[28:29], -v[56:57]
	v_add_f64 v[30:31], v[80:81], v[30:31]
	v_mul_f64 v[80:81], v[26:27], 0.5
	v_xor_b32_e32 v29, 0x80000000, v29
	v_cndmask_b32_e32 v19, v28, v30, vcc
	v_cndmask_b32_e32 v93, v29, v31, vcc
	v_mul_f64 v[28:29], v[24:25], v[24:25]
	v_fma_f64 v[30:31], v[28:29], s[88:89], v[68:69]
	v_fma_f64 v[52:53], v[28:29], s[80:81], v[66:67]
	v_mul_f64 v[56:57], v[28:29], 0.5
	v_mul_f64 v[62:63], v[24:25], -v[28:29]
	v_fma_f64 v[30:31], v[28:29], v[30:31], s[90:91]
	v_fma_f64 v[52:53], v[28:29], v[52:53], s[82:83]
	v_add_f64 v[60:61], -v[56:57], 1.0
	v_fma_f64 v[30:31], v[28:29], v[30:31], s[92:93]
	v_fma_f64 v[52:53], v[28:29], v[52:53], s[66:67]
	v_add_f64 v[95:96], -v[60:61], 1.0
	v_fma_f64 v[30:31], v[28:29], v[30:31], s[46:47]
	v_fma_f64 v[52:53], v[28:29], v[52:53], s[84:85]
	v_add_f64 v[56:57], v[95:96], -v[56:57]
	v_fma_f64 v[30:31], v[62:63], v[30:31], v[80:81]
	v_mul_f64 v[80:81], v[28:29], v[28:29]
	v_fma_f64 v[30:31], v[28:29], v[30:31], -v[26:27]
	v_fma_f64 v[28:29], v[28:29], v[52:53], s[48:49]
	v_fma_f64 v[26:27], v[24:25], -v[26:27], v[56:57]
	v_fma_f64 v[30:31], v[62:63], s[2:3], v[30:31]
	v_mul_f64 v[62:63], v[34:35], 0.5
	v_fma_f64 v[26:27], v[80:81], v[28:29], v[26:27]
	v_and_b32_e32 v28, 1, v88
	v_cmp_eq_u32_e32 vcc, 0, v28
	v_add_f64 v[24:25], v[24:25], -v[30:31]
	v_add_f64 v[26:27], v[60:61], v[26:27]
	v_cndmask_b32_e32 v24, v26, v24, vcc
	v_cndmask_b32_e32 v25, v27, v25, vcc
	v_cmp_class_f64_e64 vcc, v[22:23], s36
	v_lshlrev_b32_e32 v26, 30, v88
	v_xor_b32_e32 v26, v26, v23
	v_and_b32_e32 v26, 0x80000000, v26
	v_xor_b32_e32 v25, v25, v26
	v_cndmask_b32_e32 v22, 0, v24, vcc
	v_cndmask_b32_e32 v23, v87, v25, vcc
	v_mul_f64 v[24:25], v[32:33], v[32:33]
	v_fma_f64 v[26:27], v[24:25], s[88:89], v[68:69]
	v_mul_f64 v[28:29], v[24:25], 0.5
	v_fma_f64 v[30:31], v[24:25], s[80:81], v[66:67]
	v_mul_f64 v[60:61], v[32:33], -v[24:25]
	v_fma_f64 v[26:27], v[24:25], v[26:27], s[90:91]
	v_add_f64 v[52:53], -v[28:29], 1.0
	v_fma_f64 v[30:31], v[24:25], v[30:31], s[82:83]
	v_fma_f64 v[26:27], v[24:25], v[26:27], s[92:93]
	v_add_f64 v[56:57], -v[52:53], 1.0
	v_fma_f64 v[30:31], v[24:25], v[30:31], s[66:67]
	v_fma_f64 v[26:27], v[24:25], v[26:27], s[46:47]
	v_add_f64 v[28:29], v[56:57], -v[28:29]
	v_fma_f64 v[30:31], v[24:25], v[30:31], s[84:85]
	v_mul_f64 v[56:57], v[24:25], v[24:25]
	v_fma_f64 v[26:27], v[60:61], v[26:27], v[62:63]
	v_fma_f64 v[28:29], v[32:33], -v[34:35], v[28:29]
	v_fma_f64 v[30:31], v[24:25], v[30:31], s[48:49]
	v_fma_f64 v[24:25], v[24:25], v[26:27], -v[34:35]
	v_fma_f64 v[26:27], v[56:57], v[30:31], v[28:29]
	v_and_b32_e32 v28, 1, v90
	v_cmp_eq_u32_e32 vcc, 0, v28
	v_fma_f64 v[24:25], v[60:61], s[2:3], v[24:25]
	v_mul_f64 v[60:61], v[58:59], 0.5
	v_add_f64 v[26:27], v[52:53], v[26:27]
	v_add_f64 v[24:25], v[32:33], -v[24:25]
	v_cndmask_b32_e32 v26, v26, v24, vcc
	v_cndmask_b32_e32 v27, v27, v25, vcc
	v_cmp_class_f64_e64 vcc, v[8:9], s36
	v_lshlrev_b32_e32 v8, 30, v90
	v_xor_b32_e32 v8, v8, v9
	v_and_b32_e32 v8, 0x80000000, v8
	v_xor_b32_e32 v9, v27, v8
	v_lshlrev_b32_e32 v24, 30, v89
	v_and_b32_e32 v24, 0x80000000, v24
	v_xor_b32_e32 v25, v93, v24
	v_cndmask_b32_e32 v8, 0, v26, vcc
	v_mul_f64 v[26:27], v[2:3], s[26:27]
	v_cndmask_b32_e32 v24, 0, v19, vcc
	v_cndmask_b32_e32 v25, v87, v25, vcc
	;; [unrolled: 1-line block ×3, first 2 shown]
	v_cmp_nlt_f64_e32 vcc, s[54:55], v[2:3]
	v_rndne_f64_e32 v[28:29], v[26:27]
	v_fma_f64 v[26:27], v[28:29], s[34:35], v[2:3]
	v_cvt_i32_f64_e32 v19, v[28:29]
	v_ldexp_f64 v[34:35], 1.0, v19
	v_fma_f64 v[30:31], v[28:29], s[30:31], v[26:27]
	v_fma_f64 v[26:27], v[30:31], s[38:39], v[78:79]
	;; [unrolled: 1-line block ×19, first 2 shown]
	v_fma_f64 v[26:27], v[30:31], v[26:27], 1.0
	v_fma_f64 v[32:33], v[30:31], v[32:33], 0.5
	;; [unrolled: 1-line block ×3, first 2 shown]
	v_mul_f64 v[32:33], v[30:31], v[32:33]
	v_ldexp_f64 v[26:27], v[26:27], v19
	v_fma_f64 v[30:31], v[30:31], v[32:33], v[30:31]
	v_cndmask_b32_e32 v27, v84, v27, vcc
	s_and_b64 vcc, s[0:1], vcc
	v_cndmask_b32_e32 v26, 0, v26, vcc
	v_cmp_eq_f64_e32 vcc, s[54:55], v[28:29]
	v_cndmask_b32_e64 v27, 0, v27, s[0:1]
	v_cmp_ngt_f64_e64 s[0:1], s[42:43], v[2:3]
	v_cndmask_b32_e32 v29, v35, v85, vcc
	v_cndmask_b32_e64 v28, v34, 0, vcc
	v_add_f64 v[32:33], v[28:29], -1.0
	v_fma_f64 v[28:29], v[28:29], v[30:31], v[32:33]
	v_add_f64 v[30:31], v[28:29], v[28:29]
	v_cndmask_b32_e32 v19, v28, v30, vcc
	v_cndmask_b32_e32 v28, v29, v31, vcc
	v_cmp_nlt_f64_e32 vcc, s[76:77], v[2:3]
	v_cndmask_b32_e32 v28, v84, v28, vcc
	v_cndmask_b32_e64 v3, v86, v28, s[0:1]
	v_mul_f64 v[28:29], v[54:55], v[54:55]
	s_and_b64 vcc, s[0:1], vcc
	v_cndmask_b32_e32 v2, 0, v19, vcc
	v_and_b32_e32 v19, 1, v92
	v_cmp_eq_u32_e32 vcc, 0, v19
	v_readlane_b32 s0, v127, 8
	v_readlane_b32 s1, v127, 9
	v_fma_f64 v[30:31], v[28:29], s[88:89], v[68:69]
	v_fma_f64 v[32:33], v[28:29], s[80:81], v[66:67]
	v_mul_f64 v[34:35], v[28:29], 0.5
	v_mul_f64 v[56:57], v[54:55], -v[28:29]
	v_fma_f64 v[30:31], v[28:29], v[30:31], s[90:91]
	v_fma_f64 v[32:33], v[28:29], v[32:33], s[82:83]
	v_add_f64 v[52:53], -v[34:35], 1.0
	v_fma_f64 v[30:31], v[28:29], v[30:31], s[92:93]
	v_fma_f64 v[32:33], v[28:29], v[32:33], s[66:67]
	v_add_f64 v[62:63], -v[52:53], 1.0
	v_fma_f64 v[30:31], v[28:29], v[30:31], s[46:47]
	v_fma_f64 v[32:33], v[28:29], v[32:33], s[84:85]
	v_add_f64 v[34:35], v[62:63], -v[34:35]
	v_fma_f64 v[30:31], v[56:57], v[30:31], v[60:61]
	v_mul_f64 v[60:61], v[28:29], v[28:29]
	v_fma_f64 v[30:31], v[28:29], v[30:31], -v[58:59]
	v_fma_f64 v[28:29], v[28:29], v[32:33], s[48:49]
	v_fma_f64 v[32:33], v[54:55], -v[58:59], v[34:35]
	v_mul_f64 v[58:59], v[40:41], 0.5
	v_fma_f64 v[30:31], v[56:57], s[2:3], v[30:31]
	v_fma_f64 v[28:29], v[60:61], v[28:29], v[32:33]
	v_add_f64 v[30:31], v[54:55], -v[30:31]
	v_add_f64 v[28:29], v[52:53], v[28:29]
	v_xor_b32_e32 v31, 0x80000000, v31
	v_cndmask_b32_e32 v19, v30, v28, vcc
	v_cndmask_b32_e32 v30, v31, v29, vcc
	v_mul_f64 v[28:29], v[38:39], v[38:39]
	v_fma_f64 v[31:32], v[28:29], s[88:89], v[68:69]
	v_fma_f64 v[33:34], v[28:29], s[80:81], v[66:67]
	v_mul_f64 v[52:53], v[28:29], 0.5
	v_mul_f64 v[56:57], v[38:39], -v[28:29]
	v_fma_f64 v[31:32], v[28:29], v[31:32], s[90:91]
	v_fma_f64 v[33:34], v[28:29], v[33:34], s[82:83]
	v_add_f64 v[54:55], -v[52:53], 1.0
	v_fma_f64 v[31:32], v[28:29], v[31:32], s[92:93]
	v_fma_f64 v[33:34], v[28:29], v[33:34], s[66:67]
	v_add_f64 v[60:61], -v[54:55], 1.0
	v_fma_f64 v[31:32], v[28:29], v[31:32], s[46:47]
	v_fma_f64 v[33:34], v[28:29], v[33:34], s[84:85]
	v_add_f64 v[52:53], v[60:61], -v[52:53]
	v_fma_f64 v[31:32], v[56:57], v[31:32], v[58:59]
	v_mul_f64 v[58:59], v[28:29], v[28:29]
	v_fma_f64 v[31:32], v[28:29], v[31:32], -v[40:41]
	v_fma_f64 v[28:29], v[28:29], v[33:34], s[48:49]
	v_fma_f64 v[33:34], v[38:39], -v[40:41], v[52:53]
	v_fma_f64 v[31:32], v[56:57], s[2:3], v[31:32]
	v_mul_f64 v[56:57], v[50:51], 0.5
	v_fma_f64 v[28:29], v[58:59], v[28:29], v[33:34]
	v_and_b32_e32 v33, 1, v91
	v_cmp_eq_u32_e32 vcc, 0, v33
	v_add_f64 v[31:32], v[38:39], -v[31:32]
	v_add_f64 v[28:29], v[54:55], v[28:29]
	v_cndmask_b32_e32 v28, v28, v31, vcc
	v_lshlrev_b32_e32 v31, 30, v91
	v_xor_b32_e32 v31, v31, v37
	v_cndmask_b32_e32 v29, v29, v32, vcc
	v_and_b32_e32 v31, 0x80000000, v31
	v_xor_b32_e32 v29, v29, v31
	v_mul_f64 v[31:32], v[48:49], v[48:49]
	v_cmp_class_f64_e64 vcc, v[36:37], s36
	v_fma_f64 v[33:34], v[31:32], s[88:89], v[68:69]
	v_mul_f64 v[35:36], v[31:32], 0.5
	v_fma_f64 v[37:38], v[31:32], s[80:81], v[66:67]
	v_mul_f64 v[54:55], v[48:49], -v[31:32]
	v_cndmask_b32_e32 v28, 0, v28, vcc
	v_cndmask_b32_e32 v29, v87, v29, vcc
	v_fma_f64 v[33:34], v[31:32], v[33:34], s[90:91]
	v_add_f64 v[39:40], -v[35:36], 1.0
	v_fma_f64 v[37:38], v[31:32], v[37:38], s[82:83]
	v_fma_f64 v[33:34], v[31:32], v[33:34], s[92:93]
	v_add_f64 v[52:53], -v[39:40], 1.0
	v_fma_f64 v[37:38], v[31:32], v[37:38], s[66:67]
	v_fma_f64 v[33:34], v[31:32], v[33:34], s[46:47]
	v_add_f64 v[35:36], v[52:53], -v[35:36]
	v_fma_f64 v[37:38], v[31:32], v[37:38], s[84:85]
	v_mul_f64 v[52:53], v[31:32], v[31:32]
	v_fma_f64 v[33:34], v[54:55], v[33:34], v[56:57]
	v_fma_f64 v[35:36], v[48:49], -v[50:51], v[35:36]
	v_fma_f64 v[37:38], v[31:32], v[37:38], s[48:49]
	v_fma_f64 v[31:32], v[31:32], v[33:34], -v[50:51]
	v_fma_f64 v[33:34], v[52:53], v[37:38], v[35:36]
	v_and_b32_e32 v35, 1, v94
	v_cmp_eq_u32_e32 vcc, 0, v35
	v_add_f64 v[36:37], v[22:23], v[22:23]
	v_fma_f64 v[31:32], v[54:55], s[2:3], v[31:32]
	v_add_f64 v[33:34], v[39:40], v[33:34]
	v_add_f64 v[38:39], v[28:29], v[28:29]
	v_mul_f64 v[22:23], v[36:37], v[22:23]
	v_add_f64 v[31:32], v[48:49], -v[31:32]
	v_mul_f64 v[28:29], v[38:39], v[28:29]
	v_fma_f64 v[22:23], v[6:7], v[24:25], -v[22:23]
	v_mul_f64 v[24:25], v[46:47], v[8:9]
	v_mul_f64 v[6:7], v[74:75], v[12:13]
	v_cndmask_b32_e32 v33, v33, v31, vcc
	v_cndmask_b32_e32 v32, v34, v32, vcc
	v_cmp_class_f64_e64 vcc, v[4:5], s36
	v_lshlrev_b32_e32 v4, 30, v94
	v_lshlrev_b32_e32 v31, 30, v92
	v_xor_b32_e32 v4, v4, v5
	v_and_b32_e32 v31, 0x80000000, v31
	v_and_b32_e32 v4, 0x80000000, v4
	v_xor_b32_e32 v31, v30, v31
	v_xor_b32_e32 v4, v32, v4
	v_cndmask_b32_e32 v30, 0, v19, vcc
	v_cndmask_b32_e32 v31, v87, v31, vcc
	;; [unrolled: 1-line block ×4, first 2 shown]
	v_add_co_u32_e32 v0, vcc, s37, v0
	v_addc_co_u32_e32 v1, vcc, 0, v1, vcc
	v_lshlrev_b64 v[4:5], 2, v[0:1]
	v_add_f64 v[34:35], v[42:43], v[42:43]
	v_cmp_le_i64_e32 vcc, s[0:1], v[4:5]
	v_add_f64 v[4:5], v[64:65], v[64:65]
	v_fma_f64 v[8:9], v[2:3], v[30:31], -v[28:29]
	v_readlane_b32 s0, v127, 0
	s_or_b64 s[4:5], vcc, s[4:5]
	v_mul_f64 v[34:35], v[34:35], v[42:43]
	v_mul_f64 v[4:5], v[4:5], v[64:65]
	v_fma_f64 v[14:15], v[14:15], v[72:73], -v[4:5]
	v_fma_f64 v[4:5], v[10:11], v[44:45], -v[34:35]
	v_mul_f64 v[10:11], v[26:27], v[32:33]
	global_store_dwordx4 v[20:21], v[22:25], off
	global_store_dwordx4 v[20:21], v[4:7], off offset:16
	global_store_dwordx4 v[20:21], v[14:17], off offset:32
	;; [unrolled: 1-line block ×3, first 2 shown]
	v_add_co_u32_e32 v20, vcc, s0, v20
	v_addc_co_u32_e32 v21, vcc, 0, v21, vcc
	s_andn2_b64 exec, exec, s[4:5]
	s_cbranch_execz .LBB149_121
.LBB149_73:                             ; =>This Inner Loop Header: Depth=1
	global_load_dwordx4 v[6:9], v[20:21], off
	global_load_dwordx4 v[10:13], v[20:21], off offset:16
	global_load_dwordx4 v[2:5], v[20:21], off offset:48
	;; [unrolled: 1-line block ×3, first 2 shown]
                                        ; implicit-def: $vgpr88
                                        ; implicit-def: $vgpr24_vgpr25
                                        ; implicit-def: $vgpr26_vgpr27
	s_waitcnt vmcnt(3)
	v_mul_f64 v[22:23], v[8:9], 0.5
	v_cmp_nlt_f64_e64 s[0:1], |v[22:23]|, s[6:7]
	s_and_saveexec_b64 s[26:27], s[0:1]
	s_xor_b64 s[26:27], exec, s[26:27]
	s_cbranch_execz .LBB149_75
; %bb.74:                               ;   in Loop: Header=BB149_73 Depth=1
	v_trig_preop_f64 v[24:25], |v[22:23]|, 0
	s_mov_b32 s0, 0
	s_mov_b32 s1, 0x7b000000
	v_ldexp_f64 v[28:29], |v[22:23]|, s33
	v_cmp_ge_f64_e64 vcc, |v[22:23]|, s[0:1]
	v_trig_preop_f64 v[26:27], |v[22:23]|, 1
	v_and_b32_e32 v19, 0x7fffffff, v23
	v_trig_preop_f64 v[36:37], |v[22:23]|, 2
	s_mov_b32 s12, s14
	s_mov_b32 s19, s17
	v_cndmask_b32_e32 v29, v19, v29, vcc
	v_cndmask_b32_e32 v28, v22, v28, vcc
	v_mul_f64 v[30:31], v[24:25], v[28:29]
	v_mul_f64 v[32:33], v[26:27], v[28:29]
	;; [unrolled: 1-line block ×3, first 2 shown]
	v_fma_f64 v[24:25], v[24:25], v[28:29], -v[30:31]
	v_fma_f64 v[26:27], v[26:27], v[28:29], -v[32:33]
	;; [unrolled: 1-line block ×3, first 2 shown]
	v_add_f64 v[34:35], v[32:33], v[24:25]
	v_add_f64 v[38:39], v[34:35], -v[32:33]
	v_add_f64 v[44:45], v[30:31], v[34:35]
	v_add_f64 v[40:41], v[34:35], -v[38:39]
	v_add_f64 v[24:25], v[24:25], -v[38:39]
	v_add_f64 v[38:39], v[42:43], v[26:27]
	v_add_f64 v[30:31], v[44:45], -v[30:31]
	v_add_f64 v[32:33], v[32:33], -v[40:41]
	v_ldexp_f64 v[40:41], v[44:45], -2
	v_add_f64 v[46:47], v[38:39], -v[42:43]
	v_add_f64 v[30:31], v[34:35], -v[30:31]
	v_add_f64 v[24:25], v[24:25], v[32:33]
	v_fract_f64_e32 v[32:33], v[40:41]
	v_cmp_neq_f64_e64 vcc, |v[40:41]|, s[10:11]
	v_add_f64 v[26:27], v[26:27], -v[46:47]
	v_add_f64 v[34:35], v[38:39], v[24:25]
	v_ldexp_f64 v[32:33], v[32:33], 2
	v_add_f64 v[40:41], v[30:31], v[34:35]
	v_cndmask_b32_e32 v33, 0, v33, vcc
	v_cndmask_b32_e32 v32, 0, v32, vcc
	v_add_f64 v[48:49], v[34:35], -v[38:39]
	v_add_f64 v[44:45], v[40:41], v[32:33]
	v_add_f64 v[30:31], v[40:41], -v[30:31]
	v_add_f64 v[50:51], v[34:35], -v[48:49]
	;; [unrolled: 1-line block ×3, first 2 shown]
	v_cmp_gt_f64_e32 vcc, 0, v[44:45]
	v_add_f64 v[44:45], v[38:39], -v[46:47]
	v_add_f64 v[30:31], v[34:35], -v[30:31]
	;; [unrolled: 1-line block ×3, first 2 shown]
	v_cndmask_b32_e32 v19, 0, v82, vcc
	v_add_f64 v[32:33], v[32:33], v[18:19]
	v_add_f64 v[44:45], v[42:43], -v[44:45]
	v_add_f64 v[24:25], v[24:25], v[38:39]
	v_add_f64 v[52:53], v[40:41], v[32:33]
	;; [unrolled: 1-line block ×3, first 2 shown]
	v_cvt_i32_f64_e32 v19, v[52:53]
	v_add_f64 v[24:25], v[26:27], v[24:25]
	v_cvt_f64_i32_e32 v[46:47], v19
	v_add_f64 v[32:33], v[32:33], -v[46:47]
	v_add_f64 v[24:25], v[28:29], v[24:25]
	v_add_f64 v[26:27], v[40:41], v[32:33]
	;; [unrolled: 1-line block ×3, first 2 shown]
	v_add_f64 v[28:29], v[26:27], -v[32:33]
	v_cmp_le_f64_e32 vcc, 0.5, v[26:27]
	v_add_f64 v[28:29], v[40:41], -v[28:29]
	v_addc_co_u32_e64 v88, s[0:1], 0, v19, vcc
	v_cndmask_b32_e32 v19, 0, v83, vcc
	v_add_f64 v[26:27], v[26:27], -v[18:19]
	v_add_f64 v[24:25], v[24:25], v[28:29]
	v_add_f64 v[28:29], v[26:27], v[24:25]
	v_mul_f64 v[30:31], v[28:29], s[12:13]
	v_add_f64 v[26:27], v[28:29], -v[26:27]
	v_fma_f64 v[32:33], v[28:29], s[12:13], -v[30:31]
	v_add_f64 v[24:25], v[24:25], -v[26:27]
	v_fma_f64 v[26:27], v[28:29], s[18:19], v[32:33]
	v_fma_f64 v[26:27], v[24:25], s[12:13], v[26:27]
	v_add_f64 v[24:25], v[30:31], v[26:27]
	v_add_f64 v[28:29], v[24:25], -v[30:31]
	v_add_f64 v[26:27], v[26:27], -v[28:29]
.LBB149_75:                             ;   in Loop: Header=BB149_73 Depth=1
	s_andn2_saveexec_b64 s[0:1], s[26:27]
	s_cbranch_execz .LBB149_77
; %bb.76:                               ;   in Loop: Header=BB149_73 Depth=1
	v_mul_f64 v[24:25], |v[22:23]|, s[20:21]
	s_mov_b32 s16, s22
	v_rndne_f64_e32 v[28:29], v[24:25]
	v_fma_f64 v[24:25], v[28:29], s[14:15], |v[22:23]|
	v_mul_f64 v[26:27], v[28:29], s[22:23]
	v_cvt_i32_f64_e32 v88, v[28:29]
	v_fma_f64 v[34:35], v[28:29], s[22:23], v[24:25]
	v_add_f64 v[30:31], v[24:25], v[26:27]
	v_add_f64 v[32:33], v[24:25], -v[30:31]
	v_add_f64 v[30:31], v[30:31], -v[34:35]
	v_add_f64 v[24:25], v[32:33], v[26:27]
	v_fma_f64 v[26:27], v[28:29], s[16:17], v[26:27]
	v_add_f64 v[24:25], v[30:31], v[24:25]
	v_add_f64 v[24:25], v[24:25], -v[26:27]
	v_fma_f64 v[26:27], v[28:29], s[24:25], v[24:25]
	v_add_f64 v[24:25], v[34:35], v[26:27]
	v_add_f64 v[30:31], v[24:25], -v[34:35]
	v_add_f64 v[26:27], v[26:27], -v[30:31]
.LBB149_77:                             ;   in Loop: Header=BB149_73 Depth=1
	s_or_b64 exec, exec, s[0:1]
	v_cmp_nlt_f64_e64 s[26:27], |v[8:9]|, s[6:7]
                                        ; implicit-def: $vgpr89
                                        ; implicit-def: $vgpr28_vgpr29
                                        ; implicit-def: $vgpr30_vgpr31
	s_and_saveexec_b64 s[0:1], s[26:27]
	s_xor_b64 s[30:31], exec, s[0:1]
	s_cbranch_execz .LBB149_79
; %bb.78:                               ;   in Loop: Header=BB149_73 Depth=1
	v_trig_preop_f64 v[28:29], |v[8:9]|, 0
	s_mov_b32 s0, 0
	s_mov_b32 s1, 0x7b000000
	v_cmp_ge_f64_e64 vcc, |v[8:9]|, s[0:1]
	v_ldexp_f64 v[32:33], |v[8:9]|, s33
	v_trig_preop_f64 v[30:31], |v[8:9]|, 1
	v_and_b32_e32 v19, 0x7fffffff, v9
	s_mov_b32 s12, s14
	s_mov_b32 s19, s17
	v_cndmask_b32_e32 v33, v19, v33, vcc
	v_cndmask_b32_e32 v32, v8, v32, vcc
	v_mul_f64 v[36:37], v[28:29], v[32:33]
	v_mul_f64 v[34:35], v[30:31], v[32:33]
	v_fma_f64 v[28:29], v[28:29], v[32:33], -v[36:37]
	v_fma_f64 v[30:31], v[30:31], v[32:33], -v[34:35]
	v_add_f64 v[38:39], v[34:35], v[28:29]
	v_add_f64 v[46:47], v[38:39], -v[34:35]
	v_add_f64 v[40:41], v[36:37], v[38:39]
	v_add_f64 v[28:29], v[28:29], -v[46:47]
	v_add_f64 v[46:47], v[38:39], -v[46:47]
	v_ldexp_f64 v[42:43], v[40:41], -2
	v_add_f64 v[36:37], v[40:41], -v[36:37]
	v_add_f64 v[46:47], v[34:35], -v[46:47]
	v_trig_preop_f64 v[34:35], |v[8:9]|, 2
	v_fract_f64_e32 v[44:45], v[42:43]
	v_add_f64 v[36:37], v[38:39], -v[36:37]
	v_cmp_neq_f64_e64 vcc, |v[42:43]|, s[10:11]
	v_add_f64 v[28:29], v[28:29], v[46:47]
	v_mul_f64 v[46:47], v[34:35], v[32:33]
	v_add_f64 v[48:49], v[46:47], v[30:31]
	v_add_f64 v[50:51], v[48:49], v[28:29]
	v_add_f64 v[40:41], v[50:51], -v[48:49]
	v_add_f64 v[38:39], v[36:37], v[50:51]
	v_add_f64 v[28:29], v[28:29], -v[40:41]
	v_add_f64 v[40:41], v[50:51], -v[40:41]
	;; [unrolled: 1-line block ×5, first 2 shown]
	v_add_f64 v[28:29], v[28:29], v[40:41]
	v_add_f64 v[40:41], v[48:49], -v[46:47]
	v_add_f64 v[30:31], v[30:31], -v[40:41]
	;; [unrolled: 1-line block ×4, first 2 shown]
	v_add_f64 v[30:31], v[30:31], v[40:41]
	v_add_f64 v[28:29], v[30:31], v[28:29]
	v_fma_f64 v[30:31], v[34:35], v[32:33], -v[46:47]
	v_add_f64 v[28:29], v[30:31], v[28:29]
	v_ldexp_f64 v[30:31], v[44:45], 2
	v_add_f64 v[28:29], v[36:37], v[28:29]
	v_cndmask_b32_e32 v31, 0, v31, vcc
	v_cndmask_b32_e32 v30, 0, v30, vcc
	v_add_f64 v[32:33], v[38:39], v[30:31]
	v_cmp_gt_f64_e32 vcc, 0, v[32:33]
	v_cndmask_b32_e32 v19, 0, v82, vcc
	v_add_f64 v[30:31], v[30:31], v[18:19]
	v_add_f64 v[32:33], v[38:39], v[30:31]
	v_cvt_i32_f64_e32 v19, v[32:33]
	v_cvt_f64_i32_e32 v[32:33], v19
	v_add_f64 v[30:31], v[30:31], -v[32:33]
	v_add_f64 v[32:33], v[38:39], v[30:31]
	v_add_f64 v[30:31], v[32:33], -v[30:31]
	v_cmp_le_f64_e32 vcc, 0.5, v[32:33]
	v_add_f64 v[30:31], v[38:39], -v[30:31]
	v_addc_co_u32_e64 v89, s[0:1], 0, v19, vcc
	v_cndmask_b32_e32 v19, 0, v83, vcc
	v_add_f64 v[28:29], v[28:29], v[30:31]
	v_add_f64 v[30:31], v[32:33], -v[18:19]
	v_add_f64 v[32:33], v[30:31], v[28:29]
	v_add_f64 v[30:31], v[32:33], -v[30:31]
	v_add_f64 v[28:29], v[28:29], -v[30:31]
	v_mul_f64 v[30:31], v[32:33], s[12:13]
	v_fma_f64 v[34:35], v[32:33], s[12:13], -v[30:31]
	v_fma_f64 v[32:33], v[32:33], s[18:19], v[34:35]
	v_fma_f64 v[32:33], v[28:29], s[12:13], v[32:33]
	v_add_f64 v[28:29], v[30:31], v[32:33]
	v_add_f64 v[30:31], v[28:29], -v[30:31]
	v_add_f64 v[30:31], v[32:33], -v[30:31]
	s_andn2_saveexec_b64 s[0:1], s[30:31]
	s_cbranch_execz .LBB149_81
	s_branch .LBB149_80
.LBB149_79:                             ;   in Loop: Header=BB149_73 Depth=1
	s_andn2_saveexec_b64 s[0:1], s[30:31]
	s_cbranch_execz .LBB149_81
.LBB149_80:                             ;   in Loop: Header=BB149_73 Depth=1
	v_mul_f64 v[28:29], |v[8:9]|, s[20:21]
	s_mov_b32 s16, s22
	v_rndne_f64_e32 v[32:33], v[28:29]
	v_fma_f64 v[28:29], v[32:33], s[14:15], |v[8:9]|
	v_mul_f64 v[30:31], v[32:33], s[22:23]
	v_cvt_i32_f64_e32 v89, v[32:33]
	v_fma_f64 v[38:39], v[32:33], s[22:23], v[28:29]
	v_add_f64 v[34:35], v[28:29], v[30:31]
	v_add_f64 v[36:37], v[28:29], -v[34:35]
	v_add_f64 v[34:35], v[34:35], -v[38:39]
	v_add_f64 v[28:29], v[36:37], v[30:31]
	v_fma_f64 v[30:31], v[32:33], s[16:17], v[30:31]
	v_add_f64 v[28:29], v[34:35], v[28:29]
	v_add_f64 v[28:29], v[28:29], -v[30:31]
	v_fma_f64 v[30:31], v[32:33], s[24:25], v[28:29]
	v_add_f64 v[28:29], v[38:39], v[30:31]
	v_add_f64 v[34:35], v[28:29], -v[38:39]
	v_add_f64 v[30:31], v[30:31], -v[34:35]
.LBB149_81:                             ;   in Loop: Header=BB149_73 Depth=1
	s_or_b64 exec, exec, s[0:1]
                                        ; implicit-def: $vgpr90
                                        ; implicit-def: $vgpr32_vgpr33
                                        ; implicit-def: $vgpr34_vgpr35
	s_and_saveexec_b64 s[0:1], s[26:27]
	s_xor_b64 s[26:27], exec, s[0:1]
	s_cbranch_execz .LBB149_83
; %bb.82:                               ;   in Loop: Header=BB149_73 Depth=1
	v_trig_preop_f64 v[32:33], |v[8:9]|, 0
	s_mov_b32 s0, 0
	s_mov_b32 s1, 0x7b000000
	v_ldexp_f64 v[36:37], |v[8:9]|, s33
	v_cmp_ge_f64_e64 vcc, |v[8:9]|, s[0:1]
	v_trig_preop_f64 v[34:35], |v[8:9]|, 1
	v_and_b32_e32 v19, 0x7fffffff, v9
	v_trig_preop_f64 v[44:45], |v[8:9]|, 2
	s_mov_b32 s12, s14
	s_mov_b32 s19, s17
	v_cndmask_b32_e32 v37, v19, v37, vcc
	v_cndmask_b32_e32 v36, v8, v36, vcc
	v_mul_f64 v[38:39], v[32:33], v[36:37]
	v_mul_f64 v[40:41], v[34:35], v[36:37]
	;; [unrolled: 1-line block ×3, first 2 shown]
	v_fma_f64 v[32:33], v[32:33], v[36:37], -v[38:39]
	v_fma_f64 v[34:35], v[34:35], v[36:37], -v[40:41]
	;; [unrolled: 1-line block ×3, first 2 shown]
	v_add_f64 v[42:43], v[40:41], v[32:33]
	v_add_f64 v[46:47], v[42:43], -v[40:41]
	v_add_f64 v[52:53], v[38:39], v[42:43]
	v_add_f64 v[48:49], v[42:43], -v[46:47]
	v_add_f64 v[32:33], v[32:33], -v[46:47]
	v_add_f64 v[46:47], v[50:51], v[34:35]
	v_add_f64 v[38:39], v[52:53], -v[38:39]
	v_add_f64 v[40:41], v[40:41], -v[48:49]
	v_ldexp_f64 v[48:49], v[52:53], -2
	v_add_f64 v[54:55], v[46:47], -v[50:51]
	v_add_f64 v[38:39], v[42:43], -v[38:39]
	v_add_f64 v[32:33], v[32:33], v[40:41]
	v_fract_f64_e32 v[40:41], v[48:49]
	v_cmp_neq_f64_e64 vcc, |v[48:49]|, s[10:11]
	v_add_f64 v[34:35], v[34:35], -v[54:55]
	v_add_f64 v[42:43], v[46:47], v[32:33]
	v_ldexp_f64 v[40:41], v[40:41], 2
	v_add_f64 v[48:49], v[38:39], v[42:43]
	v_cndmask_b32_e32 v41, 0, v41, vcc
	v_cndmask_b32_e32 v40, 0, v40, vcc
	v_add_f64 v[56:57], v[42:43], -v[46:47]
	v_add_f64 v[52:53], v[48:49], v[40:41]
	v_add_f64 v[38:39], v[48:49], -v[38:39]
	v_add_f64 v[58:59], v[42:43], -v[56:57]
	;; [unrolled: 1-line block ×3, first 2 shown]
	v_cmp_gt_f64_e32 vcc, 0, v[52:53]
	v_add_f64 v[52:53], v[46:47], -v[54:55]
	v_add_f64 v[38:39], v[42:43], -v[38:39]
	;; [unrolled: 1-line block ×3, first 2 shown]
	v_cndmask_b32_e32 v19, 0, v82, vcc
	v_add_f64 v[40:41], v[40:41], v[18:19]
	v_add_f64 v[52:53], v[50:51], -v[52:53]
	v_add_f64 v[32:33], v[32:33], v[46:47]
	v_add_f64 v[60:61], v[48:49], v[40:41]
	v_add_f64 v[34:35], v[34:35], v[52:53]
	v_cvt_i32_f64_e32 v19, v[60:61]
	v_add_f64 v[32:33], v[34:35], v[32:33]
	v_cvt_f64_i32_e32 v[54:55], v19
	v_add_f64 v[40:41], v[40:41], -v[54:55]
	v_add_f64 v[32:33], v[36:37], v[32:33]
	v_add_f64 v[34:35], v[48:49], v[40:41]
	;; [unrolled: 1-line block ×3, first 2 shown]
	v_add_f64 v[36:37], v[34:35], -v[40:41]
	v_cmp_le_f64_e32 vcc, 0.5, v[34:35]
	v_add_f64 v[36:37], v[48:49], -v[36:37]
	v_addc_co_u32_e64 v90, s[0:1], 0, v19, vcc
	v_cndmask_b32_e32 v19, 0, v83, vcc
	v_add_f64 v[34:35], v[34:35], -v[18:19]
	v_add_f64 v[32:33], v[32:33], v[36:37]
	v_add_f64 v[36:37], v[34:35], v[32:33]
	v_mul_f64 v[38:39], v[36:37], s[12:13]
	v_add_f64 v[34:35], v[36:37], -v[34:35]
	v_fma_f64 v[40:41], v[36:37], s[12:13], -v[38:39]
	v_add_f64 v[32:33], v[32:33], -v[34:35]
	v_fma_f64 v[34:35], v[36:37], s[18:19], v[40:41]
	v_fma_f64 v[34:35], v[32:33], s[12:13], v[34:35]
	v_add_f64 v[32:33], v[38:39], v[34:35]
	v_add_f64 v[36:37], v[32:33], -v[38:39]
	v_add_f64 v[34:35], v[34:35], -v[36:37]
	s_andn2_saveexec_b64 s[0:1], s[26:27]
	s_cbranch_execnz .LBB149_84
	s_branch .LBB149_85
.LBB149_83:                             ;   in Loop: Header=BB149_73 Depth=1
	s_andn2_saveexec_b64 s[0:1], s[26:27]
	s_cbranch_execz .LBB149_85
.LBB149_84:                             ;   in Loop: Header=BB149_73 Depth=1
	v_mul_f64 v[32:33], |v[8:9]|, s[20:21]
	s_mov_b32 s16, s22
	v_rndne_f64_e32 v[36:37], v[32:33]
	v_fma_f64 v[32:33], v[36:37], s[14:15], |v[8:9]|
	v_mul_f64 v[34:35], v[36:37], s[22:23]
	v_cvt_i32_f64_e32 v90, v[36:37]
	v_fma_f64 v[42:43], v[36:37], s[22:23], v[32:33]
	v_add_f64 v[38:39], v[32:33], v[34:35]
	v_add_f64 v[40:41], v[32:33], -v[38:39]
	v_add_f64 v[38:39], v[38:39], -v[42:43]
	v_add_f64 v[32:33], v[40:41], v[34:35]
	v_fma_f64 v[34:35], v[36:37], s[16:17], v[34:35]
	v_add_f64 v[32:33], v[38:39], v[32:33]
	v_add_f64 v[32:33], v[32:33], -v[34:35]
	v_fma_f64 v[34:35], v[36:37], s[24:25], v[32:33]
	v_add_f64 v[32:33], v[42:43], v[34:35]
	v_add_f64 v[38:39], v[32:33], -v[42:43]
	v_add_f64 v[34:35], v[34:35], -v[38:39]
.LBB149_85:                             ;   in Loop: Header=BB149_73 Depth=1
	s_or_b64 exec, exec, s[0:1]
	s_waitcnt vmcnt(2)
	v_mul_f64 v[42:43], v[12:13], 0.5
                                        ; implicit-def: $vgpr93
                                        ; implicit-def: $vgpr44_vgpr45
                                        ; implicit-def: $vgpr46_vgpr47
	v_cmp_nlt_f64_e64 s[0:1], |v[42:43]|, s[6:7]
	s_and_saveexec_b64 s[26:27], s[0:1]
	s_xor_b64 s[26:27], exec, s[26:27]
	s_cbranch_execz .LBB149_87
; %bb.86:                               ;   in Loop: Header=BB149_73 Depth=1
	v_trig_preop_f64 v[36:37], |v[42:43]|, 0
	s_mov_b32 s0, 0
	s_mov_b32 s1, 0x7b000000
	v_ldexp_f64 v[40:41], |v[42:43]|, s33
	v_cmp_ge_f64_e64 vcc, |v[42:43]|, s[0:1]
	v_trig_preop_f64 v[38:39], |v[42:43]|, 1
	v_and_b32_e32 v19, 0x7fffffff, v43
	v_trig_preop_f64 v[50:51], |v[42:43]|, 2
	s_mov_b32 s12, s14
	s_mov_b32 s19, s17
	v_cndmask_b32_e32 v41, v19, v41, vcc
	v_cndmask_b32_e32 v40, v42, v40, vcc
	v_mul_f64 v[44:45], v[36:37], v[40:41]
	v_mul_f64 v[46:47], v[38:39], v[40:41]
	;; [unrolled: 1-line block ×3, first 2 shown]
	v_fma_f64 v[36:37], v[36:37], v[40:41], -v[44:45]
	v_fma_f64 v[38:39], v[38:39], v[40:41], -v[46:47]
	;; [unrolled: 1-line block ×3, first 2 shown]
	v_add_f64 v[48:49], v[46:47], v[36:37]
	v_add_f64 v[52:53], v[48:49], -v[46:47]
	v_add_f64 v[58:59], v[44:45], v[48:49]
	v_add_f64 v[54:55], v[48:49], -v[52:53]
	v_add_f64 v[36:37], v[36:37], -v[52:53]
	v_add_f64 v[52:53], v[56:57], v[38:39]
	v_add_f64 v[44:45], v[58:59], -v[44:45]
	v_add_f64 v[46:47], v[46:47], -v[54:55]
	v_ldexp_f64 v[54:55], v[58:59], -2
	v_add_f64 v[60:61], v[52:53], -v[56:57]
	v_add_f64 v[44:45], v[48:49], -v[44:45]
	v_add_f64 v[36:37], v[36:37], v[46:47]
	v_fract_f64_e32 v[46:47], v[54:55]
	v_cmp_neq_f64_e64 vcc, |v[54:55]|, s[10:11]
	v_add_f64 v[38:39], v[38:39], -v[60:61]
	v_add_f64 v[48:49], v[52:53], v[36:37]
	v_ldexp_f64 v[46:47], v[46:47], 2
	v_add_f64 v[54:55], v[44:45], v[48:49]
	v_cndmask_b32_e32 v47, 0, v47, vcc
	v_cndmask_b32_e32 v46, 0, v46, vcc
	v_add_f64 v[62:63], v[48:49], -v[52:53]
	v_add_f64 v[58:59], v[54:55], v[46:47]
	v_add_f64 v[44:45], v[54:55], -v[44:45]
	v_add_f64 v[64:65], v[48:49], -v[62:63]
	;; [unrolled: 1-line block ×3, first 2 shown]
	v_cmp_gt_f64_e32 vcc, 0, v[58:59]
	v_add_f64 v[58:59], v[52:53], -v[60:61]
	v_add_f64 v[44:45], v[48:49], -v[44:45]
	;; [unrolled: 1-line block ×3, first 2 shown]
	v_cndmask_b32_e32 v19, 0, v82, vcc
	v_add_f64 v[46:47], v[46:47], v[18:19]
	v_add_f64 v[58:59], v[56:57], -v[58:59]
	v_add_f64 v[36:37], v[36:37], v[52:53]
	v_add_f64 v[66:67], v[54:55], v[46:47]
	;; [unrolled: 1-line block ×3, first 2 shown]
	v_cvt_i32_f64_e32 v19, v[66:67]
	v_add_f64 v[36:37], v[38:39], v[36:37]
	v_cvt_f64_i32_e32 v[60:61], v19
	v_add_f64 v[46:47], v[46:47], -v[60:61]
	v_add_f64 v[36:37], v[40:41], v[36:37]
	v_add_f64 v[38:39], v[54:55], v[46:47]
	;; [unrolled: 1-line block ×3, first 2 shown]
	v_add_f64 v[40:41], v[38:39], -v[46:47]
	v_cmp_le_f64_e32 vcc, 0.5, v[38:39]
	v_add_f64 v[40:41], v[54:55], -v[40:41]
	v_addc_co_u32_e64 v93, s[0:1], 0, v19, vcc
	v_cndmask_b32_e32 v19, 0, v83, vcc
	v_add_f64 v[38:39], v[38:39], -v[18:19]
	v_add_f64 v[36:37], v[36:37], v[40:41]
	v_add_f64 v[40:41], v[38:39], v[36:37]
	v_mul_f64 v[46:47], v[40:41], s[12:13]
	v_add_f64 v[38:39], v[40:41], -v[38:39]
	v_fma_f64 v[44:45], v[40:41], s[12:13], -v[46:47]
	v_add_f64 v[36:37], v[36:37], -v[38:39]
	v_fma_f64 v[38:39], v[40:41], s[18:19], v[44:45]
	v_fma_f64 v[36:37], v[36:37], s[12:13], v[38:39]
	v_add_f64 v[44:45], v[46:47], v[36:37]
	v_add_f64 v[38:39], v[44:45], -v[46:47]
	v_add_f64 v[46:47], v[36:37], -v[38:39]
.LBB149_87:                             ;   in Loop: Header=BB149_73 Depth=1
	s_andn2_saveexec_b64 s[0:1], s[26:27]
	s_cbranch_execz .LBB149_89
; %bb.88:                               ;   in Loop: Header=BB149_73 Depth=1
	v_mul_f64 v[36:37], |v[42:43]|, s[20:21]
	s_mov_b32 s16, s22
	v_rndne_f64_e32 v[36:37], v[36:37]
	v_fma_f64 v[38:39], v[36:37], s[14:15], |v[42:43]|
	v_mul_f64 v[40:41], v[36:37], s[22:23]
	v_cvt_i32_f64_e32 v93, v[36:37]
	v_add_f64 v[44:45], v[38:39], v[40:41]
	v_add_f64 v[46:47], v[38:39], -v[44:45]
	v_fma_f64 v[38:39], v[36:37], s[22:23], v[38:39]
	v_add_f64 v[46:47], v[46:47], v[40:41]
	v_add_f64 v[44:45], v[44:45], -v[38:39]
	v_fma_f64 v[40:41], v[36:37], s[16:17], v[40:41]
	;; [unrolled: 3-line block ×3, first 2 shown]
	v_add_f64 v[44:45], v[38:39], v[40:41]
	v_add_f64 v[38:39], v[44:45], -v[38:39]
	v_add_f64 v[46:47], v[40:41], -v[38:39]
.LBB149_89:                             ;   in Loop: Header=BB149_73 Depth=1
	s_or_b64 exec, exec, s[0:1]
	v_cmp_nlt_f64_e64 s[26:27], |v[12:13]|, s[6:7]
                                        ; implicit-def: $vgpr95
                                        ; implicit-def: $vgpr52_vgpr53
                                        ; implicit-def: $vgpr56_vgpr57
	s_and_saveexec_b64 s[0:1], s[26:27]
	s_xor_b64 s[30:31], exec, s[0:1]
	s_cbranch_execz .LBB149_91
; %bb.90:                               ;   in Loop: Header=BB149_73 Depth=1
	v_trig_preop_f64 v[36:37], |v[12:13]|, 0
	s_mov_b32 s0, 0
	s_mov_b32 s1, 0x7b000000
	v_ldexp_f64 v[40:41], |v[12:13]|, s33
	v_cmp_ge_f64_e64 vcc, |v[12:13]|, s[0:1]
	v_trig_preop_f64 v[38:39], |v[12:13]|, 1
	v_and_b32_e32 v19, 0x7fffffff, v13
	v_trig_preop_f64 v[54:55], |v[12:13]|, 2
	s_mov_b32 s12, s14
	s_mov_b32 s19, s17
	v_cndmask_b32_e32 v41, v19, v41, vcc
	v_cndmask_b32_e32 v40, v12, v40, vcc
	v_mul_f64 v[48:49], v[36:37], v[40:41]
	v_mul_f64 v[50:51], v[38:39], v[40:41]
	;; [unrolled: 1-line block ×3, first 2 shown]
	v_fma_f64 v[36:37], v[36:37], v[40:41], -v[48:49]
	v_fma_f64 v[38:39], v[38:39], v[40:41], -v[50:51]
	;; [unrolled: 1-line block ×3, first 2 shown]
	v_add_f64 v[52:53], v[50:51], v[36:37]
	v_add_f64 v[56:57], v[52:53], -v[50:51]
	v_add_f64 v[62:63], v[48:49], v[52:53]
	v_add_f64 v[58:59], v[52:53], -v[56:57]
	v_add_f64 v[36:37], v[36:37], -v[56:57]
	v_add_f64 v[56:57], v[60:61], v[38:39]
	v_add_f64 v[48:49], v[62:63], -v[48:49]
	v_add_f64 v[50:51], v[50:51], -v[58:59]
	v_ldexp_f64 v[58:59], v[62:63], -2
	v_add_f64 v[64:65], v[56:57], -v[60:61]
	v_add_f64 v[48:49], v[52:53], -v[48:49]
	v_add_f64 v[36:37], v[36:37], v[50:51]
	v_fract_f64_e32 v[50:51], v[58:59]
	v_cmp_neq_f64_e64 vcc, |v[58:59]|, s[10:11]
	v_add_f64 v[38:39], v[38:39], -v[64:65]
	v_add_f64 v[52:53], v[56:57], v[36:37]
	v_ldexp_f64 v[50:51], v[50:51], 2
	v_add_f64 v[58:59], v[48:49], v[52:53]
	v_cndmask_b32_e32 v51, 0, v51, vcc
	v_cndmask_b32_e32 v50, 0, v50, vcc
	v_add_f64 v[66:67], v[52:53], -v[56:57]
	v_add_f64 v[62:63], v[58:59], v[50:51]
	v_add_f64 v[48:49], v[58:59], -v[48:49]
	v_add_f64 v[68:69], v[52:53], -v[66:67]
	v_add_f64 v[36:37], v[36:37], -v[66:67]
	v_cmp_gt_f64_e32 vcc, 0, v[62:63]
	v_add_f64 v[62:63], v[56:57], -v[64:65]
	v_add_f64 v[48:49], v[52:53], -v[48:49]
	;; [unrolled: 1-line block ×3, first 2 shown]
	v_cndmask_b32_e32 v19, 0, v82, vcc
	v_add_f64 v[50:51], v[50:51], v[18:19]
	v_add_f64 v[62:63], v[60:61], -v[62:63]
	v_add_f64 v[36:37], v[36:37], v[56:57]
	v_add_f64 v[70:71], v[58:59], v[50:51]
	;; [unrolled: 1-line block ×3, first 2 shown]
	v_cvt_i32_f64_e32 v19, v[70:71]
	v_add_f64 v[36:37], v[38:39], v[36:37]
	v_cvt_f64_i32_e32 v[64:65], v19
	v_add_f64 v[50:51], v[50:51], -v[64:65]
	v_add_f64 v[36:37], v[40:41], v[36:37]
	v_add_f64 v[38:39], v[58:59], v[50:51]
	;; [unrolled: 1-line block ×3, first 2 shown]
	v_add_f64 v[40:41], v[38:39], -v[50:51]
	v_cmp_le_f64_e32 vcc, 0.5, v[38:39]
	v_add_f64 v[40:41], v[58:59], -v[40:41]
	v_addc_co_u32_e64 v95, s[0:1], 0, v19, vcc
	v_cndmask_b32_e32 v19, 0, v83, vcc
	v_add_f64 v[38:39], v[38:39], -v[18:19]
	v_add_f64 v[36:37], v[36:37], v[40:41]
	v_add_f64 v[40:41], v[38:39], v[36:37]
	v_mul_f64 v[48:49], v[40:41], s[12:13]
	v_add_f64 v[38:39], v[40:41], -v[38:39]
	v_fma_f64 v[50:51], v[40:41], s[12:13], -v[48:49]
	v_add_f64 v[36:37], v[36:37], -v[38:39]
	v_fma_f64 v[38:39], v[40:41], s[18:19], v[50:51]
	v_fma_f64 v[36:37], v[36:37], s[12:13], v[38:39]
	v_add_f64 v[52:53], v[48:49], v[36:37]
	v_add_f64 v[38:39], v[52:53], -v[48:49]
	v_add_f64 v[56:57], v[36:37], -v[38:39]
	s_andn2_saveexec_b64 s[0:1], s[30:31]
	s_cbranch_execz .LBB149_93
	s_branch .LBB149_92
.LBB149_91:                             ;   in Loop: Header=BB149_73 Depth=1
	s_andn2_saveexec_b64 s[0:1], s[30:31]
	s_cbranch_execz .LBB149_93
.LBB149_92:                             ;   in Loop: Header=BB149_73 Depth=1
	v_mul_f64 v[36:37], |v[12:13]|, s[20:21]
	s_mov_b32 s16, s22
	v_rndne_f64_e32 v[36:37], v[36:37]
	v_fma_f64 v[38:39], v[36:37], s[14:15], |v[12:13]|
	v_mul_f64 v[40:41], v[36:37], s[22:23]
	v_cvt_i32_f64_e32 v95, v[36:37]
	v_add_f64 v[48:49], v[38:39], v[40:41]
	v_add_f64 v[50:51], v[38:39], -v[48:49]
	v_fma_f64 v[38:39], v[36:37], s[22:23], v[38:39]
	v_add_f64 v[50:51], v[50:51], v[40:41]
	v_add_f64 v[48:49], v[48:49], -v[38:39]
	v_fma_f64 v[40:41], v[36:37], s[16:17], v[40:41]
	;; [unrolled: 3-line block ×3, first 2 shown]
	v_add_f64 v[52:53], v[38:39], v[40:41]
	v_add_f64 v[38:39], v[52:53], -v[38:39]
	v_add_f64 v[56:57], v[40:41], -v[38:39]
.LBB149_93:                             ;   in Loop: Header=BB149_73 Depth=1
	s_or_b64 exec, exec, s[0:1]
                                        ; implicit-def: $vgpr96
                                        ; implicit-def: $vgpr60_vgpr61
                                        ; implicit-def: $vgpr62_vgpr63
	s_and_saveexec_b64 s[0:1], s[26:27]
	s_xor_b64 s[26:27], exec, s[0:1]
	s_cbranch_execz .LBB149_95
; %bb.94:                               ;   in Loop: Header=BB149_73 Depth=1
	v_trig_preop_f64 v[36:37], |v[12:13]|, 0
	s_mov_b32 s0, 0
	s_mov_b32 s1, 0x7b000000
	v_cmp_ge_f64_e64 vcc, |v[12:13]|, s[0:1]
	v_ldexp_f64 v[40:41], |v[12:13]|, s33
	v_trig_preop_f64 v[38:39], |v[12:13]|, 1
	v_and_b32_e32 v19, 0x7fffffff, v13
	s_mov_b32 s12, s14
	s_mov_b32 s19, s17
	v_cndmask_b32_e32 v41, v19, v41, vcc
	v_cndmask_b32_e32 v40, v12, v40, vcc
	v_mul_f64 v[50:51], v[36:37], v[40:41]
	v_mul_f64 v[48:49], v[38:39], v[40:41]
	v_fma_f64 v[36:37], v[36:37], v[40:41], -v[50:51]
	v_fma_f64 v[38:39], v[38:39], v[40:41], -v[48:49]
	v_add_f64 v[54:55], v[48:49], v[36:37]
	v_add_f64 v[64:65], v[54:55], -v[48:49]
	v_add_f64 v[58:59], v[50:51], v[54:55]
	v_add_f64 v[36:37], v[36:37], -v[64:65]
	v_add_f64 v[64:65], v[54:55], -v[64:65]
	v_ldexp_f64 v[60:61], v[58:59], -2
	v_add_f64 v[50:51], v[58:59], -v[50:51]
	v_add_f64 v[64:65], v[48:49], -v[64:65]
	v_trig_preop_f64 v[48:49], |v[12:13]|, 2
	v_fract_f64_e32 v[62:63], v[60:61]
	v_add_f64 v[50:51], v[54:55], -v[50:51]
	v_cmp_neq_f64_e64 vcc, |v[60:61]|, s[10:11]
	v_add_f64 v[36:37], v[36:37], v[64:65]
	v_mul_f64 v[64:65], v[48:49], v[40:41]
	v_add_f64 v[66:67], v[64:65], v[38:39]
	v_add_f64 v[68:69], v[66:67], v[36:37]
	v_add_f64 v[58:59], v[68:69], -v[66:67]
	v_add_f64 v[54:55], v[50:51], v[68:69]
	v_add_f64 v[36:37], v[36:37], -v[58:59]
	v_add_f64 v[58:59], v[68:69], -v[58:59]
	;; [unrolled: 1-line block ×5, first 2 shown]
	v_add_f64 v[36:37], v[36:37], v[58:59]
	v_add_f64 v[58:59], v[66:67], -v[64:65]
	v_add_f64 v[38:39], v[38:39], -v[58:59]
	;; [unrolled: 1-line block ×4, first 2 shown]
	v_add_f64 v[38:39], v[38:39], v[58:59]
	v_add_f64 v[36:37], v[38:39], v[36:37]
	v_fma_f64 v[38:39], v[48:49], v[40:41], -v[64:65]
	v_add_f64 v[36:37], v[38:39], v[36:37]
	v_ldexp_f64 v[38:39], v[62:63], 2
	v_add_f64 v[36:37], v[50:51], v[36:37]
	v_cndmask_b32_e32 v39, 0, v39, vcc
	v_cndmask_b32_e32 v38, 0, v38, vcc
	v_add_f64 v[40:41], v[54:55], v[38:39]
	v_cmp_gt_f64_e32 vcc, 0, v[40:41]
	v_cndmask_b32_e32 v19, 0, v82, vcc
	v_add_f64 v[38:39], v[38:39], v[18:19]
	v_add_f64 v[40:41], v[54:55], v[38:39]
	v_cvt_i32_f64_e32 v19, v[40:41]
	v_cvt_f64_i32_e32 v[40:41], v19
	v_add_f64 v[38:39], v[38:39], -v[40:41]
	v_add_f64 v[40:41], v[54:55], v[38:39]
	v_add_f64 v[38:39], v[40:41], -v[38:39]
	v_cmp_le_f64_e32 vcc, 0.5, v[40:41]
	v_add_f64 v[38:39], v[54:55], -v[38:39]
	v_addc_co_u32_e64 v96, s[0:1], 0, v19, vcc
	v_cndmask_b32_e32 v19, 0, v83, vcc
	v_add_f64 v[36:37], v[36:37], v[38:39]
	v_add_f64 v[38:39], v[40:41], -v[18:19]
	v_add_f64 v[40:41], v[38:39], v[36:37]
	v_add_f64 v[38:39], v[40:41], -v[38:39]
	v_add_f64 v[36:37], v[36:37], -v[38:39]
	v_mul_f64 v[38:39], v[40:41], s[12:13]
	v_fma_f64 v[48:49], v[40:41], s[12:13], -v[38:39]
	v_fma_f64 v[40:41], v[40:41], s[18:19], v[48:49]
	v_fma_f64 v[36:37], v[36:37], s[12:13], v[40:41]
	v_add_f64 v[60:61], v[38:39], v[36:37]
	v_add_f64 v[38:39], v[60:61], -v[38:39]
	v_add_f64 v[62:63], v[36:37], -v[38:39]
	s_andn2_saveexec_b64 s[0:1], s[26:27]
	s_cbranch_execnz .LBB149_96
	s_branch .LBB149_97
.LBB149_95:                             ;   in Loop: Header=BB149_73 Depth=1
	s_andn2_saveexec_b64 s[0:1], s[26:27]
	s_cbranch_execz .LBB149_97
.LBB149_96:                             ;   in Loop: Header=BB149_73 Depth=1
	v_mul_f64 v[36:37], |v[12:13]|, s[20:21]
	s_mov_b32 s16, s22
	v_rndne_f64_e32 v[36:37], v[36:37]
	v_fma_f64 v[38:39], v[36:37], s[14:15], |v[12:13]|
	v_mul_f64 v[40:41], v[36:37], s[22:23]
	v_cvt_i32_f64_e32 v96, v[36:37]
	v_add_f64 v[48:49], v[38:39], v[40:41]
	v_add_f64 v[50:51], v[38:39], -v[48:49]
	v_fma_f64 v[38:39], v[36:37], s[22:23], v[38:39]
	v_add_f64 v[50:51], v[50:51], v[40:41]
	v_add_f64 v[48:49], v[48:49], -v[38:39]
	v_fma_f64 v[40:41], v[36:37], s[16:17], v[40:41]
	;; [unrolled: 3-line block ×3, first 2 shown]
	v_add_f64 v[60:61], v[38:39], v[40:41]
	v_add_f64 v[38:39], v[60:61], -v[38:39]
	v_add_f64 v[62:63], v[40:41], -v[38:39]
.LBB149_97:                             ;   in Loop: Header=BB149_73 Depth=1
	s_or_b64 exec, exec, s[0:1]
	s_waitcnt vmcnt(0)
	v_mul_f64 v[64:65], v[16:17], 0.5
                                        ; implicit-def: $vgpr97
                                        ; implicit-def: $vgpr70_vgpr71
                                        ; implicit-def: $vgpr72_vgpr73
	v_cmp_nlt_f64_e64 s[0:1], |v[64:65]|, s[6:7]
	s_and_saveexec_b64 s[26:27], s[0:1]
	s_xor_b64 s[26:27], exec, s[26:27]
	s_cbranch_execz .LBB149_99
; %bb.98:                               ;   in Loop: Header=BB149_73 Depth=1
	v_trig_preop_f64 v[36:37], |v[64:65]|, 0
	s_mov_b32 s0, 0
	s_mov_b32 s1, 0x7b000000
	v_ldexp_f64 v[40:41], |v[64:65]|, s33
	v_cmp_ge_f64_e64 vcc, |v[64:65]|, s[0:1]
	v_trig_preop_f64 v[38:39], |v[64:65]|, 1
	v_and_b32_e32 v19, 0x7fffffff, v65
	v_trig_preop_f64 v[58:59], |v[64:65]|, 2
	s_mov_b32 s12, s14
	s_mov_b32 s19, s17
	v_cndmask_b32_e32 v41, v19, v41, vcc
	v_cndmask_b32_e32 v40, v64, v40, vcc
	v_mul_f64 v[48:49], v[36:37], v[40:41]
	v_mul_f64 v[50:51], v[38:39], v[40:41]
	v_mul_f64 v[70:71], v[58:59], v[40:41]
	v_fma_f64 v[36:37], v[36:37], v[40:41], -v[48:49]
	v_fma_f64 v[38:39], v[38:39], v[40:41], -v[50:51]
	;; [unrolled: 1-line block ×3, first 2 shown]
	v_add_f64 v[54:55], v[50:51], v[36:37]
	v_add_f64 v[66:67], v[54:55], -v[50:51]
	v_add_f64 v[72:73], v[48:49], v[54:55]
	v_add_f64 v[68:69], v[54:55], -v[66:67]
	v_add_f64 v[36:37], v[36:37], -v[66:67]
	v_add_f64 v[66:67], v[70:71], v[38:39]
	v_add_f64 v[48:49], v[72:73], -v[48:49]
	v_add_f64 v[50:51], v[50:51], -v[68:69]
	v_ldexp_f64 v[68:69], v[72:73], -2
	v_add_f64 v[74:75], v[66:67], -v[70:71]
	v_add_f64 v[48:49], v[54:55], -v[48:49]
	v_add_f64 v[36:37], v[36:37], v[50:51]
	v_fract_f64_e32 v[50:51], v[68:69]
	v_cmp_neq_f64_e64 vcc, |v[68:69]|, s[10:11]
	v_add_f64 v[38:39], v[38:39], -v[74:75]
	v_add_f64 v[54:55], v[66:67], v[36:37]
	v_ldexp_f64 v[50:51], v[50:51], 2
	v_add_f64 v[68:69], v[48:49], v[54:55]
	v_cndmask_b32_e32 v51, 0, v51, vcc
	v_cndmask_b32_e32 v50, 0, v50, vcc
	v_add_f64 v[76:77], v[54:55], -v[66:67]
	v_add_f64 v[72:73], v[68:69], v[50:51]
	v_add_f64 v[48:49], v[68:69], -v[48:49]
	v_add_f64 v[78:79], v[54:55], -v[76:77]
	;; [unrolled: 1-line block ×3, first 2 shown]
	v_cmp_gt_f64_e32 vcc, 0, v[72:73]
	v_add_f64 v[72:73], v[66:67], -v[74:75]
	v_add_f64 v[48:49], v[54:55], -v[48:49]
	;; [unrolled: 1-line block ×3, first 2 shown]
	v_cndmask_b32_e32 v19, 0, v82, vcc
	v_add_f64 v[50:51], v[50:51], v[18:19]
	v_add_f64 v[72:73], v[70:71], -v[72:73]
	v_add_f64 v[36:37], v[36:37], v[66:67]
	v_add_f64 v[80:81], v[68:69], v[50:51]
	;; [unrolled: 1-line block ×3, first 2 shown]
	v_cvt_i32_f64_e32 v19, v[80:81]
	v_add_f64 v[36:37], v[38:39], v[36:37]
	v_cvt_f64_i32_e32 v[74:75], v19
	v_add_f64 v[50:51], v[50:51], -v[74:75]
	v_add_f64 v[36:37], v[40:41], v[36:37]
	v_add_f64 v[38:39], v[68:69], v[50:51]
	;; [unrolled: 1-line block ×3, first 2 shown]
	v_add_f64 v[40:41], v[38:39], -v[50:51]
	v_cmp_le_f64_e32 vcc, 0.5, v[38:39]
	v_add_f64 v[40:41], v[68:69], -v[40:41]
	v_addc_co_u32_e64 v97, s[0:1], 0, v19, vcc
	v_cndmask_b32_e32 v19, 0, v83, vcc
	v_add_f64 v[38:39], v[38:39], -v[18:19]
	v_add_f64 v[36:37], v[36:37], v[40:41]
	v_add_f64 v[40:41], v[38:39], v[36:37]
	v_mul_f64 v[48:49], v[40:41], s[12:13]
	v_add_f64 v[38:39], v[40:41], -v[38:39]
	v_fma_f64 v[50:51], v[40:41], s[12:13], -v[48:49]
	v_add_f64 v[36:37], v[36:37], -v[38:39]
	v_fma_f64 v[38:39], v[40:41], s[18:19], v[50:51]
	v_fma_f64 v[36:37], v[36:37], s[12:13], v[38:39]
	v_add_f64 v[70:71], v[48:49], v[36:37]
	v_add_f64 v[38:39], v[70:71], -v[48:49]
	v_add_f64 v[72:73], v[36:37], -v[38:39]
.LBB149_99:                             ;   in Loop: Header=BB149_73 Depth=1
	s_andn2_saveexec_b64 s[0:1], s[26:27]
	s_cbranch_execz .LBB149_101
; %bb.100:                              ;   in Loop: Header=BB149_73 Depth=1
	v_mul_f64 v[36:37], |v[64:65]|, s[20:21]
	s_mov_b32 s16, s22
	v_rndne_f64_e32 v[36:37], v[36:37]
	v_fma_f64 v[38:39], v[36:37], s[14:15], |v[64:65]|
	v_mul_f64 v[40:41], v[36:37], s[22:23]
	v_cvt_i32_f64_e32 v97, v[36:37]
	v_add_f64 v[48:49], v[38:39], v[40:41]
	v_add_f64 v[50:51], v[38:39], -v[48:49]
	v_fma_f64 v[38:39], v[36:37], s[22:23], v[38:39]
	v_add_f64 v[50:51], v[50:51], v[40:41]
	v_add_f64 v[48:49], v[48:49], -v[38:39]
	v_fma_f64 v[40:41], v[36:37], s[16:17], v[40:41]
	;; [unrolled: 3-line block ×3, first 2 shown]
	v_add_f64 v[70:71], v[38:39], v[40:41]
	v_add_f64 v[38:39], v[70:71], -v[38:39]
	v_add_f64 v[72:73], v[40:41], -v[38:39]
.LBB149_101:                            ;   in Loop: Header=BB149_73 Depth=1
	s_or_b64 exec, exec, s[0:1]
	v_cmp_nlt_f64_e64 s[26:27], |v[16:17]|, s[6:7]
                                        ; implicit-def: $vgpr98
                                        ; implicit-def: $vgpr76_vgpr77
                                        ; implicit-def: $vgpr78_vgpr79
	s_and_saveexec_b64 s[0:1], s[26:27]
	s_xor_b64 s[30:31], exec, s[0:1]
	s_cbranch_execz .LBB149_103
; %bb.102:                              ;   in Loop: Header=BB149_73 Depth=1
	v_trig_preop_f64 v[36:37], |v[16:17]|, 0
	s_mov_b32 s0, 0
	s_mov_b32 s1, 0x7b000000
	v_cmp_ge_f64_e64 vcc, |v[16:17]|, s[0:1]
	v_ldexp_f64 v[40:41], |v[16:17]|, s33
	v_trig_preop_f64 v[38:39], |v[16:17]|, 1
	v_and_b32_e32 v19, 0x7fffffff, v17
	s_mov_b32 s12, s14
	s_mov_b32 s19, s17
	v_cndmask_b32_e32 v41, v19, v41, vcc
	v_cndmask_b32_e32 v40, v16, v40, vcc
	v_mul_f64 v[50:51], v[36:37], v[40:41]
	v_mul_f64 v[48:49], v[38:39], v[40:41]
	v_fma_f64 v[36:37], v[36:37], v[40:41], -v[50:51]
	v_fma_f64 v[38:39], v[38:39], v[40:41], -v[48:49]
	v_add_f64 v[54:55], v[48:49], v[36:37]
	v_add_f64 v[74:75], v[54:55], -v[48:49]
	v_add_f64 v[58:59], v[50:51], v[54:55]
	v_add_f64 v[36:37], v[36:37], -v[74:75]
	v_add_f64 v[74:75], v[54:55], -v[74:75]
	v_ldexp_f64 v[66:67], v[58:59], -2
	v_add_f64 v[50:51], v[58:59], -v[50:51]
	v_add_f64 v[74:75], v[48:49], -v[74:75]
	v_trig_preop_f64 v[48:49], |v[16:17]|, 2
	v_fract_f64_e32 v[68:69], v[66:67]
	v_add_f64 v[50:51], v[54:55], -v[50:51]
	v_cmp_neq_f64_e64 vcc, |v[66:67]|, s[10:11]
	v_add_f64 v[36:37], v[36:37], v[74:75]
	v_mul_f64 v[74:75], v[48:49], v[40:41]
	v_add_f64 v[76:77], v[74:75], v[38:39]
	v_add_f64 v[78:79], v[76:77], v[36:37]
	v_add_f64 v[58:59], v[78:79], -v[76:77]
	v_add_f64 v[54:55], v[50:51], v[78:79]
	v_add_f64 v[36:37], v[36:37], -v[58:59]
	v_add_f64 v[58:59], v[78:79], -v[58:59]
	;; [unrolled: 1-line block ×5, first 2 shown]
	v_add_f64 v[36:37], v[36:37], v[58:59]
	v_add_f64 v[58:59], v[76:77], -v[74:75]
	v_add_f64 v[38:39], v[38:39], -v[58:59]
	;; [unrolled: 1-line block ×4, first 2 shown]
	v_add_f64 v[38:39], v[38:39], v[58:59]
	v_add_f64 v[36:37], v[38:39], v[36:37]
	v_fma_f64 v[38:39], v[48:49], v[40:41], -v[74:75]
	v_add_f64 v[36:37], v[38:39], v[36:37]
	v_ldexp_f64 v[38:39], v[68:69], 2
	v_add_f64 v[36:37], v[50:51], v[36:37]
	v_cndmask_b32_e32 v39, 0, v39, vcc
	v_cndmask_b32_e32 v38, 0, v38, vcc
	v_add_f64 v[40:41], v[54:55], v[38:39]
	v_cmp_gt_f64_e32 vcc, 0, v[40:41]
	v_cndmask_b32_e32 v19, 0, v82, vcc
	v_add_f64 v[38:39], v[38:39], v[18:19]
	v_add_f64 v[40:41], v[54:55], v[38:39]
	v_cvt_i32_f64_e32 v19, v[40:41]
	v_cvt_f64_i32_e32 v[40:41], v19
	v_add_f64 v[38:39], v[38:39], -v[40:41]
	v_add_f64 v[40:41], v[54:55], v[38:39]
	v_add_f64 v[38:39], v[40:41], -v[38:39]
	v_cmp_le_f64_e32 vcc, 0.5, v[40:41]
	v_add_f64 v[38:39], v[54:55], -v[38:39]
	v_addc_co_u32_e64 v98, s[0:1], 0, v19, vcc
	v_cndmask_b32_e32 v19, 0, v83, vcc
	v_add_f64 v[36:37], v[36:37], v[38:39]
	v_add_f64 v[38:39], v[40:41], -v[18:19]
	v_add_f64 v[40:41], v[38:39], v[36:37]
	v_add_f64 v[38:39], v[40:41], -v[38:39]
	v_add_f64 v[36:37], v[36:37], -v[38:39]
	v_mul_f64 v[38:39], v[40:41], s[12:13]
	v_fma_f64 v[48:49], v[40:41], s[12:13], -v[38:39]
	v_fma_f64 v[40:41], v[40:41], s[18:19], v[48:49]
	v_fma_f64 v[36:37], v[36:37], s[12:13], v[40:41]
	v_add_f64 v[76:77], v[38:39], v[36:37]
	v_add_f64 v[38:39], v[76:77], -v[38:39]
	v_add_f64 v[78:79], v[36:37], -v[38:39]
	s_andn2_saveexec_b64 s[0:1], s[30:31]
	s_cbranch_execz .LBB149_105
	s_branch .LBB149_104
.LBB149_103:                            ;   in Loop: Header=BB149_73 Depth=1
	s_andn2_saveexec_b64 s[0:1], s[30:31]
	s_cbranch_execz .LBB149_105
.LBB149_104:                            ;   in Loop: Header=BB149_73 Depth=1
	v_mul_f64 v[36:37], |v[16:17]|, s[20:21]
	s_mov_b32 s16, s22
	v_rndne_f64_e32 v[36:37], v[36:37]
	v_fma_f64 v[38:39], v[36:37], s[14:15], |v[16:17]|
	v_mul_f64 v[40:41], v[36:37], s[22:23]
	v_cvt_i32_f64_e32 v98, v[36:37]
	v_add_f64 v[48:49], v[38:39], v[40:41]
	v_add_f64 v[50:51], v[38:39], -v[48:49]
	v_fma_f64 v[38:39], v[36:37], s[22:23], v[38:39]
	v_add_f64 v[50:51], v[50:51], v[40:41]
	v_add_f64 v[48:49], v[48:49], -v[38:39]
	v_fma_f64 v[40:41], v[36:37], s[16:17], v[40:41]
	;; [unrolled: 3-line block ×3, first 2 shown]
	v_add_f64 v[76:77], v[38:39], v[40:41]
	v_add_f64 v[38:39], v[76:77], -v[38:39]
	v_add_f64 v[78:79], v[40:41], -v[38:39]
.LBB149_105:                            ;   in Loop: Header=BB149_73 Depth=1
	s_or_b64 exec, exec, s[0:1]
                                        ; implicit-def: $vgpr99
                                        ; implicit-def: $vgpr74_vgpr75
                                        ; implicit-def: $vgpr80_vgpr81
	s_and_saveexec_b64 s[0:1], s[26:27]
	s_xor_b64 s[26:27], exec, s[0:1]
	s_cbranch_execz .LBB149_107
; %bb.106:                              ;   in Loop: Header=BB149_73 Depth=1
	v_trig_preop_f64 v[36:37], |v[16:17]|, 0
	s_mov_b32 s0, 0
	s_mov_b32 s1, 0x7b000000
	v_ldexp_f64 v[40:41], |v[16:17]|, s33
	v_cmp_ge_f64_e64 vcc, |v[16:17]|, s[0:1]
	v_trig_preop_f64 v[38:39], |v[16:17]|, 1
	v_and_b32_e32 v19, 0x7fffffff, v17
	v_trig_preop_f64 v[58:59], |v[16:17]|, 2
	s_mov_b32 s12, s14
	s_mov_b32 s19, s17
	v_cndmask_b32_e32 v41, v19, v41, vcc
	v_cndmask_b32_e32 v40, v16, v40, vcc
	v_mul_f64 v[48:49], v[36:37], v[40:41]
	v_mul_f64 v[50:51], v[38:39], v[40:41]
	;; [unrolled: 1-line block ×3, first 2 shown]
	v_fma_f64 v[36:37], v[36:37], v[40:41], -v[48:49]
	v_fma_f64 v[38:39], v[38:39], v[40:41], -v[50:51]
	;; [unrolled: 1-line block ×3, first 2 shown]
	v_add_f64 v[54:55], v[50:51], v[36:37]
	v_add_f64 v[66:67], v[54:55], -v[50:51]
	v_add_f64 v[80:81], v[48:49], v[54:55]
	v_add_f64 v[68:69], v[54:55], -v[66:67]
	v_add_f64 v[36:37], v[36:37], -v[66:67]
	v_add_f64 v[66:67], v[74:75], v[38:39]
	v_add_f64 v[48:49], v[80:81], -v[48:49]
	v_add_f64 v[50:51], v[50:51], -v[68:69]
	v_ldexp_f64 v[68:69], v[80:81], -2
	v_add_f64 v[91:92], v[66:67], -v[74:75]
	v_add_f64 v[48:49], v[54:55], -v[48:49]
	v_add_f64 v[36:37], v[36:37], v[50:51]
	v_fract_f64_e32 v[50:51], v[68:69]
	v_cmp_neq_f64_e64 vcc, |v[68:69]|, s[10:11]
	v_add_f64 v[38:39], v[38:39], -v[91:92]
	v_add_f64 v[54:55], v[66:67], v[36:37]
	v_ldexp_f64 v[50:51], v[50:51], 2
	v_add_f64 v[68:69], v[48:49], v[54:55]
	v_cndmask_b32_e32 v51, 0, v51, vcc
	v_cndmask_b32_e32 v50, 0, v50, vcc
	v_add_f64 v[99:100], v[54:55], -v[66:67]
	v_add_f64 v[80:81], v[68:69], v[50:51]
	v_add_f64 v[48:49], v[68:69], -v[48:49]
	v_add_f64 v[101:102], v[54:55], -v[99:100]
	;; [unrolled: 1-line block ×3, first 2 shown]
	v_cmp_gt_f64_e32 vcc, 0, v[80:81]
	v_add_f64 v[80:81], v[66:67], -v[91:92]
	v_add_f64 v[48:49], v[54:55], -v[48:49]
	;; [unrolled: 1-line block ×3, first 2 shown]
	v_cndmask_b32_e32 v19, 0, v82, vcc
	v_add_f64 v[50:51], v[50:51], v[18:19]
	v_add_f64 v[80:81], v[74:75], -v[80:81]
	v_add_f64 v[36:37], v[36:37], v[66:67]
	v_add_f64 v[103:104], v[68:69], v[50:51]
	;; [unrolled: 1-line block ×3, first 2 shown]
	v_cvt_i32_f64_e32 v19, v[103:104]
	v_add_f64 v[36:37], v[38:39], v[36:37]
	v_cvt_f64_i32_e32 v[91:92], v19
	v_add_f64 v[50:51], v[50:51], -v[91:92]
	v_add_f64 v[36:37], v[40:41], v[36:37]
	v_add_f64 v[38:39], v[68:69], v[50:51]
	;; [unrolled: 1-line block ×3, first 2 shown]
	v_add_f64 v[40:41], v[38:39], -v[50:51]
	v_cmp_le_f64_e32 vcc, 0.5, v[38:39]
	v_add_f64 v[40:41], v[68:69], -v[40:41]
	v_addc_co_u32_e64 v99, s[0:1], 0, v19, vcc
	v_cndmask_b32_e32 v19, 0, v83, vcc
	v_add_f64 v[38:39], v[38:39], -v[18:19]
	v_add_f64 v[36:37], v[36:37], v[40:41]
	v_add_f64 v[40:41], v[38:39], v[36:37]
	v_mul_f64 v[48:49], v[40:41], s[12:13]
	v_add_f64 v[38:39], v[40:41], -v[38:39]
	v_fma_f64 v[50:51], v[40:41], s[12:13], -v[48:49]
	v_add_f64 v[36:37], v[36:37], -v[38:39]
	v_fma_f64 v[38:39], v[40:41], s[18:19], v[50:51]
	v_fma_f64 v[36:37], v[36:37], s[12:13], v[38:39]
	v_add_f64 v[74:75], v[48:49], v[36:37]
	v_add_f64 v[38:39], v[74:75], -v[48:49]
	v_add_f64 v[80:81], v[36:37], -v[38:39]
	s_andn2_saveexec_b64 s[0:1], s[26:27]
	s_cbranch_execnz .LBB149_108
	s_branch .LBB149_109
.LBB149_107:                            ;   in Loop: Header=BB149_73 Depth=1
	s_andn2_saveexec_b64 s[0:1], s[26:27]
	s_cbranch_execz .LBB149_109
.LBB149_108:                            ;   in Loop: Header=BB149_73 Depth=1
	v_mul_f64 v[36:37], |v[16:17]|, s[20:21]
	s_mov_b32 s16, s22
	v_rndne_f64_e32 v[36:37], v[36:37]
	v_fma_f64 v[38:39], v[36:37], s[14:15], |v[16:17]|
	v_mul_f64 v[40:41], v[36:37], s[22:23]
	v_cvt_i32_f64_e32 v99, v[36:37]
	v_add_f64 v[48:49], v[38:39], v[40:41]
	v_add_f64 v[50:51], v[38:39], -v[48:49]
	v_fma_f64 v[38:39], v[36:37], s[22:23], v[38:39]
	v_add_f64 v[50:51], v[50:51], v[40:41]
	v_add_f64 v[48:49], v[48:49], -v[38:39]
	v_fma_f64 v[40:41], v[36:37], s[16:17], v[40:41]
	v_add_f64 v[48:49], v[48:49], v[50:51]
	v_add_f64 v[40:41], v[48:49], -v[40:41]
	v_fma_f64 v[40:41], v[36:37], s[24:25], v[40:41]
	v_add_f64 v[74:75], v[38:39], v[40:41]
	v_add_f64 v[38:39], v[74:75], -v[38:39]
	v_add_f64 v[80:81], v[40:41], -v[38:39]
.LBB149_109:                            ;   in Loop: Header=BB149_73 Depth=1
	s_or_b64 exec, exec, s[0:1]
	v_mul_f64 v[36:37], v[4:5], 0.5
                                        ; implicit-def: $vgpr91
                                        ; implicit-def: $vgpr38_vgpr39
                                        ; implicit-def: $vgpr40_vgpr41
	v_cmp_nlt_f64_e64 s[0:1], |v[36:37]|, s[6:7]
	s_and_saveexec_b64 s[26:27], s[0:1]
	s_xor_b64 s[26:27], exec, s[26:27]
	s_cbranch_execz .LBB149_111
; %bb.110:                              ;   in Loop: Header=BB149_73 Depth=1
	v_trig_preop_f64 v[38:39], |v[36:37]|, 0
	s_mov_b32 s0, 0
	s_mov_b32 s1, 0x7b000000
	v_ldexp_f64 v[48:49], |v[36:37]|, s33
	v_cmp_ge_f64_e64 vcc, |v[36:37]|, s[0:1]
	v_trig_preop_f64 v[40:41], |v[36:37]|, 1
	v_and_b32_e32 v19, 0x7fffffff, v37
	v_trig_preop_f64 v[66:67], |v[36:37]|, 2
	s_mov_b32 s12, s14
	s_mov_b32 s19, s17
	v_cndmask_b32_e32 v49, v19, v49, vcc
	v_cndmask_b32_e32 v48, v36, v48, vcc
	v_mul_f64 v[50:51], v[38:39], v[48:49]
	v_mul_f64 v[54:55], v[40:41], v[48:49]
	v_mul_f64 v[100:101], v[66:67], v[48:49]
	v_fma_f64 v[38:39], v[38:39], v[48:49], -v[50:51]
	v_fma_f64 v[40:41], v[40:41], v[48:49], -v[54:55]
	;; [unrolled: 1-line block ×3, first 2 shown]
	v_add_f64 v[58:59], v[54:55], v[38:39]
	v_add_f64 v[68:69], v[58:59], -v[54:55]
	v_add_f64 v[102:103], v[50:51], v[58:59]
	v_add_f64 v[91:92], v[58:59], -v[68:69]
	v_add_f64 v[38:39], v[38:39], -v[68:69]
	v_add_f64 v[68:69], v[100:101], v[40:41]
	v_add_f64 v[50:51], v[102:103], -v[50:51]
	v_add_f64 v[54:55], v[54:55], -v[91:92]
	v_ldexp_f64 v[91:92], v[102:103], -2
	v_add_f64 v[104:105], v[68:69], -v[100:101]
	v_add_f64 v[50:51], v[58:59], -v[50:51]
	v_add_f64 v[38:39], v[38:39], v[54:55]
	v_fract_f64_e32 v[54:55], v[91:92]
	v_cmp_neq_f64_e64 vcc, |v[91:92]|, s[10:11]
	v_add_f64 v[40:41], v[40:41], -v[104:105]
	v_add_f64 v[58:59], v[68:69], v[38:39]
	v_ldexp_f64 v[54:55], v[54:55], 2
	v_add_f64 v[91:92], v[50:51], v[58:59]
	v_cndmask_b32_e32 v55, 0, v55, vcc
	v_cndmask_b32_e32 v54, 0, v54, vcc
	v_add_f64 v[106:107], v[58:59], -v[68:69]
	v_add_f64 v[102:103], v[91:92], v[54:55]
	v_add_f64 v[50:51], v[91:92], -v[50:51]
	v_add_f64 v[108:109], v[58:59], -v[106:107]
	;; [unrolled: 1-line block ×3, first 2 shown]
	v_cmp_gt_f64_e32 vcc, 0, v[102:103]
	v_add_f64 v[102:103], v[68:69], -v[104:105]
	v_add_f64 v[50:51], v[58:59], -v[50:51]
	;; [unrolled: 1-line block ×3, first 2 shown]
	v_cndmask_b32_e32 v19, 0, v82, vcc
	v_add_f64 v[54:55], v[54:55], v[18:19]
	v_add_f64 v[102:103], v[100:101], -v[102:103]
	v_add_f64 v[38:39], v[38:39], v[68:69]
	v_add_f64 v[110:111], v[91:92], v[54:55]
	v_add_f64 v[40:41], v[40:41], v[102:103]
	v_cvt_i32_f64_e32 v19, v[110:111]
	v_add_f64 v[38:39], v[40:41], v[38:39]
	v_cvt_f64_i32_e32 v[104:105], v19
	v_add_f64 v[54:55], v[54:55], -v[104:105]
	v_add_f64 v[38:39], v[48:49], v[38:39]
	v_add_f64 v[40:41], v[91:92], v[54:55]
	;; [unrolled: 1-line block ×3, first 2 shown]
	v_add_f64 v[48:49], v[40:41], -v[54:55]
	v_cmp_le_f64_e32 vcc, 0.5, v[40:41]
	v_add_f64 v[48:49], v[91:92], -v[48:49]
	v_addc_co_u32_e64 v91, s[0:1], 0, v19, vcc
	v_cndmask_b32_e32 v19, 0, v83, vcc
	v_add_f64 v[40:41], v[40:41], -v[18:19]
	v_add_f64 v[38:39], v[38:39], v[48:49]
	v_add_f64 v[48:49], v[40:41], v[38:39]
	v_mul_f64 v[50:51], v[48:49], s[12:13]
	v_add_f64 v[40:41], v[48:49], -v[40:41]
	v_fma_f64 v[54:55], v[48:49], s[12:13], -v[50:51]
	v_add_f64 v[38:39], v[38:39], -v[40:41]
	v_fma_f64 v[40:41], v[48:49], s[18:19], v[54:55]
	v_fma_f64 v[40:41], v[38:39], s[12:13], v[40:41]
	v_add_f64 v[38:39], v[50:51], v[40:41]
	v_add_f64 v[48:49], v[38:39], -v[50:51]
	v_add_f64 v[40:41], v[40:41], -v[48:49]
.LBB149_111:                            ;   in Loop: Header=BB149_73 Depth=1
	s_andn2_saveexec_b64 s[0:1], s[26:27]
	s_cbranch_execz .LBB149_113
; %bb.112:                              ;   in Loop: Header=BB149_73 Depth=1
	v_mul_f64 v[38:39], |v[36:37]|, s[20:21]
	s_mov_b32 s16, s22
	v_rndne_f64_e32 v[48:49], v[38:39]
	v_fma_f64 v[38:39], v[48:49], s[14:15], |v[36:37]|
	v_mul_f64 v[40:41], v[48:49], s[22:23]
	v_cvt_i32_f64_e32 v91, v[48:49]
	v_fma_f64 v[58:59], v[48:49], s[22:23], v[38:39]
	v_add_f64 v[50:51], v[38:39], v[40:41]
	v_add_f64 v[54:55], v[38:39], -v[50:51]
	v_add_f64 v[50:51], v[50:51], -v[58:59]
	v_add_f64 v[38:39], v[54:55], v[40:41]
	v_fma_f64 v[40:41], v[48:49], s[16:17], v[40:41]
	v_add_f64 v[38:39], v[50:51], v[38:39]
	v_add_f64 v[38:39], v[38:39], -v[40:41]
	v_fma_f64 v[40:41], v[48:49], s[24:25], v[38:39]
	v_add_f64 v[38:39], v[58:59], v[40:41]
	v_add_f64 v[50:51], v[38:39], -v[58:59]
	v_add_f64 v[40:41], v[40:41], -v[50:51]
.LBB149_113:                            ;   in Loop: Header=BB149_73 Depth=1
	s_or_b64 exec, exec, s[0:1]
	v_cmp_nlt_f64_e64 s[26:27], |v[4:5]|, s[6:7]
                                        ; implicit-def: $vgpr92
                                        ; implicit-def: $vgpr54_vgpr55
                                        ; implicit-def: $vgpr58_vgpr59
	s_and_saveexec_b64 s[0:1], s[26:27]
	s_xor_b64 s[30:31], exec, s[0:1]
	s_cbranch_execz .LBB149_115
; %bb.114:                              ;   in Loop: Header=BB149_73 Depth=1
	v_trig_preop_f64 v[48:49], |v[4:5]|, 0
	s_mov_b32 s0, 0
	s_mov_b32 s1, 0x7b000000
	v_cmp_ge_f64_e64 vcc, |v[4:5]|, s[0:1]
	v_ldexp_f64 v[54:55], |v[4:5]|, s33
	v_trig_preop_f64 v[50:51], |v[4:5]|, 1
	v_and_b32_e32 v19, 0x7fffffff, v5
	s_mov_b32 s12, s14
	s_mov_b32 s19, s17
	v_cndmask_b32_e32 v55, v19, v55, vcc
	v_cndmask_b32_e32 v54, v4, v54, vcc
	v_mul_f64 v[66:67], v[48:49], v[54:55]
	v_mul_f64 v[58:59], v[50:51], v[54:55]
	v_fma_f64 v[48:49], v[48:49], v[54:55], -v[66:67]
	v_fma_f64 v[50:51], v[50:51], v[54:55], -v[58:59]
	v_add_f64 v[68:69], v[58:59], v[48:49]
	v_add_f64 v[106:107], v[68:69], -v[58:59]
	v_add_f64 v[100:101], v[66:67], v[68:69]
	v_add_f64 v[48:49], v[48:49], -v[106:107]
	v_add_f64 v[106:107], v[68:69], -v[106:107]
	v_ldexp_f64 v[102:103], v[100:101], -2
	v_add_f64 v[66:67], v[100:101], -v[66:67]
	v_add_f64 v[106:107], v[58:59], -v[106:107]
	v_trig_preop_f64 v[58:59], |v[4:5]|, 2
	v_fract_f64_e32 v[104:105], v[102:103]
	v_add_f64 v[66:67], v[68:69], -v[66:67]
	v_cmp_neq_f64_e64 vcc, |v[102:103]|, s[10:11]
	v_add_f64 v[48:49], v[48:49], v[106:107]
	v_mul_f64 v[106:107], v[58:59], v[54:55]
	v_add_f64 v[108:109], v[106:107], v[50:51]
	v_add_f64 v[110:111], v[108:109], v[48:49]
	v_add_f64 v[100:101], v[110:111], -v[108:109]
	v_add_f64 v[68:69], v[66:67], v[110:111]
	v_add_f64 v[48:49], v[48:49], -v[100:101]
	v_add_f64 v[100:101], v[110:111], -v[100:101]
	;; [unrolled: 1-line block ×5, first 2 shown]
	v_add_f64 v[48:49], v[48:49], v[100:101]
	v_add_f64 v[100:101], v[108:109], -v[106:107]
	v_add_f64 v[50:51], v[50:51], -v[100:101]
	v_add_f64 v[100:101], v[108:109], -v[100:101]
	v_add_f64 v[100:101], v[106:107], -v[100:101]
	v_add_f64 v[50:51], v[50:51], v[100:101]
	v_add_f64 v[48:49], v[50:51], v[48:49]
	v_fma_f64 v[50:51], v[58:59], v[54:55], -v[106:107]
	v_add_f64 v[48:49], v[50:51], v[48:49]
	v_ldexp_f64 v[50:51], v[104:105], 2
	v_add_f64 v[48:49], v[66:67], v[48:49]
	v_cndmask_b32_e32 v51, 0, v51, vcc
	v_cndmask_b32_e32 v50, 0, v50, vcc
	v_add_f64 v[54:55], v[68:69], v[50:51]
	v_cmp_gt_f64_e32 vcc, 0, v[54:55]
	v_cndmask_b32_e32 v19, 0, v82, vcc
	v_add_f64 v[50:51], v[50:51], v[18:19]
	v_add_f64 v[54:55], v[68:69], v[50:51]
	v_cvt_i32_f64_e32 v19, v[54:55]
	v_cvt_f64_i32_e32 v[54:55], v19
	v_add_f64 v[50:51], v[50:51], -v[54:55]
	v_add_f64 v[54:55], v[68:69], v[50:51]
	v_add_f64 v[50:51], v[54:55], -v[50:51]
	v_cmp_le_f64_e32 vcc, 0.5, v[54:55]
	v_add_f64 v[50:51], v[68:69], -v[50:51]
	v_addc_co_u32_e64 v92, s[0:1], 0, v19, vcc
	v_cndmask_b32_e32 v19, 0, v83, vcc
	v_add_f64 v[48:49], v[48:49], v[50:51]
	v_add_f64 v[50:51], v[54:55], -v[18:19]
	v_add_f64 v[54:55], v[50:51], v[48:49]
	v_add_f64 v[50:51], v[54:55], -v[50:51]
	v_add_f64 v[48:49], v[48:49], -v[50:51]
	v_mul_f64 v[50:51], v[54:55], s[12:13]
	v_fma_f64 v[58:59], v[54:55], s[12:13], -v[50:51]
	v_fma_f64 v[54:55], v[54:55], s[18:19], v[58:59]
	v_fma_f64 v[48:49], v[48:49], s[12:13], v[54:55]
	v_add_f64 v[54:55], v[50:51], v[48:49]
	v_add_f64 v[50:51], v[54:55], -v[50:51]
	v_add_f64 v[58:59], v[48:49], -v[50:51]
	s_andn2_saveexec_b64 s[0:1], s[30:31]
	s_cbranch_execz .LBB149_117
	s_branch .LBB149_116
.LBB149_115:                            ;   in Loop: Header=BB149_73 Depth=1
	s_andn2_saveexec_b64 s[0:1], s[30:31]
	s_cbranch_execz .LBB149_117
.LBB149_116:                            ;   in Loop: Header=BB149_73 Depth=1
	v_mul_f64 v[48:49], |v[4:5]|, s[20:21]
	s_mov_b32 s16, s22
	v_rndne_f64_e32 v[48:49], v[48:49]
	v_fma_f64 v[50:51], v[48:49], s[14:15], |v[4:5]|
	v_mul_f64 v[54:55], v[48:49], s[22:23]
	v_cvt_i32_f64_e32 v92, v[48:49]
	v_add_f64 v[58:59], v[50:51], v[54:55]
	v_add_f64 v[66:67], v[50:51], -v[58:59]
	v_fma_f64 v[50:51], v[48:49], s[22:23], v[50:51]
	v_add_f64 v[66:67], v[66:67], v[54:55]
	v_add_f64 v[58:59], v[58:59], -v[50:51]
	v_fma_f64 v[54:55], v[48:49], s[16:17], v[54:55]
	v_add_f64 v[58:59], v[58:59], v[66:67]
	v_add_f64 v[54:55], v[58:59], -v[54:55]
	v_fma_f64 v[58:59], v[48:49], s[24:25], v[54:55]
	v_add_f64 v[54:55], v[50:51], v[58:59]
	v_add_f64 v[50:51], v[54:55], -v[50:51]
	v_add_f64 v[58:59], v[58:59], -v[50:51]
.LBB149_117:                            ;   in Loop: Header=BB149_73 Depth=1
	s_or_b64 exec, exec, s[0:1]
                                        ; implicit-def: $vgpr94
                                        ; implicit-def: $vgpr48_vgpr49
                                        ; implicit-def: $vgpr50_vgpr51
	s_and_saveexec_b64 s[0:1], s[26:27]
	s_xor_b64 s[26:27], exec, s[0:1]
	s_cbranch_execz .LBB149_119
; %bb.118:                              ;   in Loop: Header=BB149_73 Depth=1
	v_trig_preop_f64 v[48:49], |v[4:5]|, 0
	s_mov_b32 s0, 0
	s_mov_b32 s1, 0x7b000000
	v_ldexp_f64 v[66:67], |v[4:5]|, s33
	v_cmp_ge_f64_e64 vcc, |v[4:5]|, s[0:1]
	v_trig_preop_f64 v[50:51], |v[4:5]|, 1
	v_and_b32_e32 v19, 0x7fffffff, v5
	v_trig_preop_f64 v[104:105], |v[4:5]|, 2
	s_mov_b32 s12, s14
	s_mov_b32 s19, s17
	v_cndmask_b32_e32 v67, v19, v67, vcc
	v_cndmask_b32_e32 v66, v4, v66, vcc
	v_mul_f64 v[68:69], v[48:49], v[66:67]
	v_mul_f64 v[100:101], v[50:51], v[66:67]
	;; [unrolled: 1-line block ×3, first 2 shown]
	v_fma_f64 v[48:49], v[48:49], v[66:67], -v[68:69]
	v_fma_f64 v[50:51], v[50:51], v[66:67], -v[100:101]
	;; [unrolled: 1-line block ×3, first 2 shown]
	v_add_f64 v[102:103], v[100:101], v[48:49]
	v_add_f64 v[106:107], v[102:103], -v[100:101]
	v_add_f64 v[112:113], v[68:69], v[102:103]
	v_add_f64 v[108:109], v[102:103], -v[106:107]
	v_add_f64 v[48:49], v[48:49], -v[106:107]
	v_add_f64 v[106:107], v[110:111], v[50:51]
	v_add_f64 v[68:69], v[112:113], -v[68:69]
	v_add_f64 v[100:101], v[100:101], -v[108:109]
	v_ldexp_f64 v[108:109], v[112:113], -2
	v_add_f64 v[114:115], v[106:107], -v[110:111]
	v_add_f64 v[68:69], v[102:103], -v[68:69]
	v_add_f64 v[48:49], v[48:49], v[100:101]
	v_fract_f64_e32 v[100:101], v[108:109]
	v_cmp_neq_f64_e64 vcc, |v[108:109]|, s[10:11]
	v_add_f64 v[50:51], v[50:51], -v[114:115]
	v_add_f64 v[102:103], v[106:107], v[48:49]
	v_ldexp_f64 v[100:101], v[100:101], 2
	v_add_f64 v[108:109], v[68:69], v[102:103]
	v_cndmask_b32_e32 v101, 0, v101, vcc
	v_cndmask_b32_e32 v100, 0, v100, vcc
	v_add_f64 v[116:117], v[102:103], -v[106:107]
	v_add_f64 v[112:113], v[108:109], v[100:101]
	v_add_f64 v[68:69], v[108:109], -v[68:69]
	v_add_f64 v[118:119], v[102:103], -v[116:117]
	;; [unrolled: 1-line block ×3, first 2 shown]
	v_cmp_gt_f64_e32 vcc, 0, v[112:113]
	v_add_f64 v[112:113], v[106:107], -v[114:115]
	v_add_f64 v[68:69], v[102:103], -v[68:69]
	;; [unrolled: 1-line block ×3, first 2 shown]
	v_cndmask_b32_e32 v19, 0, v82, vcc
	v_add_f64 v[100:101], v[100:101], v[18:19]
	v_add_f64 v[112:113], v[110:111], -v[112:113]
	v_add_f64 v[48:49], v[48:49], v[106:107]
	v_add_f64 v[120:121], v[108:109], v[100:101]
	;; [unrolled: 1-line block ×3, first 2 shown]
	v_cvt_i32_f64_e32 v19, v[120:121]
	v_add_f64 v[48:49], v[50:51], v[48:49]
	v_cvt_f64_i32_e32 v[114:115], v19
	v_add_f64 v[100:101], v[100:101], -v[114:115]
	v_add_f64 v[48:49], v[66:67], v[48:49]
	v_add_f64 v[50:51], v[108:109], v[100:101]
	;; [unrolled: 1-line block ×3, first 2 shown]
	v_add_f64 v[66:67], v[50:51], -v[100:101]
	v_cmp_le_f64_e32 vcc, 0.5, v[50:51]
	v_add_f64 v[66:67], v[108:109], -v[66:67]
	v_addc_co_u32_e64 v94, s[0:1], 0, v19, vcc
	v_cndmask_b32_e32 v19, 0, v83, vcc
	v_add_f64 v[50:51], v[50:51], -v[18:19]
	v_add_f64 v[48:49], v[48:49], v[66:67]
	v_add_f64 v[66:67], v[50:51], v[48:49]
	v_mul_f64 v[68:69], v[66:67], s[12:13]
	v_add_f64 v[50:51], v[66:67], -v[50:51]
	v_fma_f64 v[100:101], v[66:67], s[12:13], -v[68:69]
	v_add_f64 v[48:49], v[48:49], -v[50:51]
	v_fma_f64 v[50:51], v[66:67], s[18:19], v[100:101]
	v_fma_f64 v[50:51], v[48:49], s[12:13], v[50:51]
	v_add_f64 v[48:49], v[68:69], v[50:51]
	v_add_f64 v[66:67], v[48:49], -v[68:69]
	v_add_f64 v[50:51], v[50:51], -v[66:67]
	s_andn2_saveexec_b64 s[0:1], s[26:27]
	s_cbranch_execz .LBB149_72
	s_branch .LBB149_120
.LBB149_119:                            ;   in Loop: Header=BB149_73 Depth=1
	s_andn2_saveexec_b64 s[0:1], s[26:27]
	s_cbranch_execz .LBB149_72
.LBB149_120:                            ;   in Loop: Header=BB149_73 Depth=1
	v_mul_f64 v[48:49], |v[4:5]|, s[20:21]
	s_mov_b32 s16, s22
	v_rndne_f64_e32 v[66:67], v[48:49]
	v_fma_f64 v[48:49], v[66:67], s[14:15], |v[4:5]|
	v_mul_f64 v[50:51], v[66:67], s[22:23]
	v_cvt_i32_f64_e32 v94, v[66:67]
	v_fma_f64 v[102:103], v[66:67], s[22:23], v[48:49]
	v_add_f64 v[68:69], v[48:49], v[50:51]
	v_add_f64 v[100:101], v[48:49], -v[68:69]
	v_add_f64 v[68:69], v[68:69], -v[102:103]
	v_add_f64 v[48:49], v[100:101], v[50:51]
	v_fma_f64 v[50:51], v[66:67], s[16:17], v[50:51]
	v_add_f64 v[48:49], v[68:69], v[48:49]
	v_add_f64 v[48:49], v[48:49], -v[50:51]
	v_fma_f64 v[50:51], v[66:67], s[24:25], v[48:49]
	v_add_f64 v[48:49], v[102:103], v[50:51]
	v_add_f64 v[68:69], v[48:49], -v[102:103]
	v_add_f64 v[50:51], v[50:51], -v[68:69]
	s_branch .LBB149_72
.LBB149_121:
	s_endpgm
	.section	.rodata,"a",@progbits
	.p2align	6, 0x0
	.amdhsa_kernel _ZN2at6native12_GLOBAL__N_125multi_tensor_apply_kernelINS1_18TensorListMetadataILi1EEENS1_14UnaryOpFunctorIN3c107complexIdEELi1ELi1ELi0EEEJNS0_5Expm1IS8_EEEEEvT_T0_DpT1_
		.amdhsa_group_segment_fixed_size 0
		.amdhsa_private_segment_fixed_size 8
		.amdhsa_kernarg_size 3632
		.amdhsa_user_sgpr_count 6
		.amdhsa_user_sgpr_private_segment_buffer 1
		.amdhsa_user_sgpr_dispatch_ptr 0
		.amdhsa_user_sgpr_queue_ptr 0
		.amdhsa_user_sgpr_kernarg_segment_ptr 1
		.amdhsa_user_sgpr_dispatch_id 0
		.amdhsa_user_sgpr_flat_scratch_init 0
		.amdhsa_user_sgpr_private_segment_size 0
		.amdhsa_uses_dynamic_stack 0
		.amdhsa_system_sgpr_private_segment_wavefront_offset 1
		.amdhsa_system_sgpr_workgroup_id_x 1
		.amdhsa_system_sgpr_workgroup_id_y 0
		.amdhsa_system_sgpr_workgroup_id_z 0
		.amdhsa_system_sgpr_workgroup_info 0
		.amdhsa_system_vgpr_workitem_id 0
		.amdhsa_next_free_vgpr 128
		.amdhsa_next_free_sgpr 100
		.amdhsa_reserve_vcc 1
		.amdhsa_reserve_flat_scratch 0
		.amdhsa_float_round_mode_32 0
		.amdhsa_float_round_mode_16_64 0
		.amdhsa_float_denorm_mode_32 3
		.amdhsa_float_denorm_mode_16_64 3
		.amdhsa_dx10_clamp 1
		.amdhsa_ieee_mode 1
		.amdhsa_fp16_overflow 0
		.amdhsa_exception_fp_ieee_invalid_op 0
		.amdhsa_exception_fp_denorm_src 0
		.amdhsa_exception_fp_ieee_div_zero 0
		.amdhsa_exception_fp_ieee_overflow 0
		.amdhsa_exception_fp_ieee_underflow 0
		.amdhsa_exception_fp_ieee_inexact 0
		.amdhsa_exception_int_div_zero 0
	.end_amdhsa_kernel
	.section	.text._ZN2at6native12_GLOBAL__N_125multi_tensor_apply_kernelINS1_18TensorListMetadataILi1EEENS1_14UnaryOpFunctorIN3c107complexIdEELi1ELi1ELi0EEEJNS0_5Expm1IS8_EEEEEvT_T0_DpT1_,"axG",@progbits,_ZN2at6native12_GLOBAL__N_125multi_tensor_apply_kernelINS1_18TensorListMetadataILi1EEENS1_14UnaryOpFunctorIN3c107complexIdEELi1ELi1ELi0EEEJNS0_5Expm1IS8_EEEEEvT_T0_DpT1_,comdat
.Lfunc_end149:
	.size	_ZN2at6native12_GLOBAL__N_125multi_tensor_apply_kernelINS1_18TensorListMetadataILi1EEENS1_14UnaryOpFunctorIN3c107complexIdEELi1ELi1ELi0EEEJNS0_5Expm1IS8_EEEEEvT_T0_DpT1_, .Lfunc_end149-_ZN2at6native12_GLOBAL__N_125multi_tensor_apply_kernelINS1_18TensorListMetadataILi1EEENS1_14UnaryOpFunctorIN3c107complexIdEELi1ELi1ELi0EEEJNS0_5Expm1IS8_EEEEEvT_T0_DpT1_
                                        ; -- End function
	.set _ZN2at6native12_GLOBAL__N_125multi_tensor_apply_kernelINS1_18TensorListMetadataILi1EEENS1_14UnaryOpFunctorIN3c107complexIdEELi1ELi1ELi0EEEJNS0_5Expm1IS8_EEEEEvT_T0_DpT1_.num_vgpr, 128
	.set _ZN2at6native12_GLOBAL__N_125multi_tensor_apply_kernelINS1_18TensorListMetadataILi1EEENS1_14UnaryOpFunctorIN3c107complexIdEELi1ELi1ELi0EEEJNS0_5Expm1IS8_EEEEEvT_T0_DpT1_.num_agpr, 0
	.set _ZN2at6native12_GLOBAL__N_125multi_tensor_apply_kernelINS1_18TensorListMetadataILi1EEENS1_14UnaryOpFunctorIN3c107complexIdEELi1ELi1ELi0EEEJNS0_5Expm1IS8_EEEEEvT_T0_DpT1_.numbered_sgpr, 100
	.set _ZN2at6native12_GLOBAL__N_125multi_tensor_apply_kernelINS1_18TensorListMetadataILi1EEENS1_14UnaryOpFunctorIN3c107complexIdEELi1ELi1ELi0EEEJNS0_5Expm1IS8_EEEEEvT_T0_DpT1_.num_named_barrier, 0
	.set _ZN2at6native12_GLOBAL__N_125multi_tensor_apply_kernelINS1_18TensorListMetadataILi1EEENS1_14UnaryOpFunctorIN3c107complexIdEELi1ELi1ELi0EEEJNS0_5Expm1IS8_EEEEEvT_T0_DpT1_.private_seg_size, 8
	.set _ZN2at6native12_GLOBAL__N_125multi_tensor_apply_kernelINS1_18TensorListMetadataILi1EEENS1_14UnaryOpFunctorIN3c107complexIdEELi1ELi1ELi0EEEJNS0_5Expm1IS8_EEEEEvT_T0_DpT1_.uses_vcc, 1
	.set _ZN2at6native12_GLOBAL__N_125multi_tensor_apply_kernelINS1_18TensorListMetadataILi1EEENS1_14UnaryOpFunctorIN3c107complexIdEELi1ELi1ELi0EEEJNS0_5Expm1IS8_EEEEEvT_T0_DpT1_.uses_flat_scratch, 0
	.set _ZN2at6native12_GLOBAL__N_125multi_tensor_apply_kernelINS1_18TensorListMetadataILi1EEENS1_14UnaryOpFunctorIN3c107complexIdEELi1ELi1ELi0EEEJNS0_5Expm1IS8_EEEEEvT_T0_DpT1_.has_dyn_sized_stack, 0
	.set _ZN2at6native12_GLOBAL__N_125multi_tensor_apply_kernelINS1_18TensorListMetadataILi1EEENS1_14UnaryOpFunctorIN3c107complexIdEELi1ELi1ELi0EEEJNS0_5Expm1IS8_EEEEEvT_T0_DpT1_.has_recursion, 0
	.set _ZN2at6native12_GLOBAL__N_125multi_tensor_apply_kernelINS1_18TensorListMetadataILi1EEENS1_14UnaryOpFunctorIN3c107complexIdEELi1ELi1ELi0EEEJNS0_5Expm1IS8_EEEEEvT_T0_DpT1_.has_indirect_call, 0
	.section	.AMDGPU.csdata,"",@progbits
; Kernel info:
; codeLenInByte = 30480
; TotalNumSgprs: 104
; NumVgprs: 128
; ScratchSize: 8
; MemoryBound: 1
; FloatMode: 240
; IeeeMode: 1
; LDSByteSize: 0 bytes/workgroup (compile time only)
; SGPRBlocks: 12
; VGPRBlocks: 31
; NumSGPRsForWavesPerEU: 104
; NumVGPRsForWavesPerEU: 128
; Occupancy: 2
; WaveLimiterHint : 0
; COMPUTE_PGM_RSRC2:SCRATCH_EN: 1
; COMPUTE_PGM_RSRC2:USER_SGPR: 6
; COMPUTE_PGM_RSRC2:TRAP_HANDLER: 0
; COMPUTE_PGM_RSRC2:TGID_X_EN: 1
; COMPUTE_PGM_RSRC2:TGID_Y_EN: 0
; COMPUTE_PGM_RSRC2:TGID_Z_EN: 0
; COMPUTE_PGM_RSRC2:TIDIG_COMP_CNT: 0
	.section	.text._ZN2at6native12_GLOBAL__N_125multi_tensor_apply_kernelINS1_18TensorListMetadataILi1EEENS1_14UnaryOpFunctorIN3c107complexIfEELi1ELi1ELi0EEEJNS0_5Expm1IS8_EEEEEvT_T0_DpT1_,"axG",@progbits,_ZN2at6native12_GLOBAL__N_125multi_tensor_apply_kernelINS1_18TensorListMetadataILi1EEENS1_14UnaryOpFunctorIN3c107complexIfEELi1ELi1ELi0EEEJNS0_5Expm1IS8_EEEEEvT_T0_DpT1_,comdat
	.globl	_ZN2at6native12_GLOBAL__N_125multi_tensor_apply_kernelINS1_18TensorListMetadataILi1EEENS1_14UnaryOpFunctorIN3c107complexIfEELi1ELi1ELi0EEEJNS0_5Expm1IS8_EEEEEvT_T0_DpT1_ ; -- Begin function _ZN2at6native12_GLOBAL__N_125multi_tensor_apply_kernelINS1_18TensorListMetadataILi1EEENS1_14UnaryOpFunctorIN3c107complexIfEELi1ELi1ELi0EEEJNS0_5Expm1IS8_EEEEEvT_T0_DpT1_
	.p2align	8
	.type	_ZN2at6native12_GLOBAL__N_125multi_tensor_apply_kernelINS1_18TensorListMetadataILi1EEENS1_14UnaryOpFunctorIN3c107complexIfEELi1ELi1ELi0EEEJNS0_5Expm1IS8_EEEEEvT_T0_DpT1_,@function
_ZN2at6native12_GLOBAL__N_125multi_tensor_apply_kernelINS1_18TensorListMetadataILi1EEENS1_14UnaryOpFunctorIN3c107complexIfEELi1ELi1ELi0EEEJNS0_5Expm1IS8_EEEEEvT_T0_DpT1_: ; @_ZN2at6native12_GLOBAL__N_125multi_tensor_apply_kernelINS1_18TensorListMetadataILi1EEENS1_14UnaryOpFunctorIN3c107complexIfEELi1ELi1ELi0EEEJNS0_5Expm1IS8_EEEEEvT_T0_DpT1_
; %bb.0:
	v_mov_b32_e32 v1, s6
	global_load_ubyte v1, v1, s[4:5] offset:1760
	s_add_u32 s0, s4, s6
	s_mul_hi_u32 s1, s6, 3
	s_mul_i32 s6, s6, 3
	s_addc_u32 s2, s5, 0
	s_add_u32 s0, s0, s6
	s_addc_u32 s1, s2, s1
	s_load_dword s0, s[0:1], 0x820
	s_mov_b32 s7, 0
	s_waitcnt vmcnt(0)
	v_readfirstlane_b32 s1, v1
	s_lshl_b32 s1, s1, 3
	s_load_dwordx2 s[16:17], s[4:5], s1 offset:0x0
	s_load_dwordx2 s[2:3], s[4:5], s1 offset:0x370
	s_waitcnt lgkmcnt(0)
	s_ashr_i32 s1, s0, 31
	s_lshl_b64 s[18:19], s[0:1], 19
	s_add_u32 s33, s16, s18
	s_addc_u32 s34, s17, s19
	s_lshl_b64 s[0:1], s[0:1], 16
	s_and_b32 s6, s33, 31
	s_sub_u32 s20, s2, s0
	s_subb_u32 s21, s3, s1
	s_and_b32 s0, s2, 3
	s_mov_b32 s1, s7
	s_or_b64 s[0:1], s[6:7], s[0:1]
	s_cmp_eq_u64 s[0:1], 0
	s_cbranch_scc1 .LBB150_69
; %bb.1:
	v_cmp_lt_i64_e64 s[0:1], s[20:21], 1
	s_and_b64 vcc, exec, s[0:1]
	s_cbranch_vccnz .LBB150_68
; %bb.2:
	v_mov_b32_e32 v3, 0x10000
	s_load_dword s2, s[4:5], 0xd3c
	v_mov_b32_e32 v4, 0
	v_cmp_lt_i64_e32 vcc, s[20:21], v[3:4]
	v_mov_b32_e32 v2, 0
	s_and_b64 s[0:1], vcc, exec
	v_cmp_lt_u64_e32 vcc, s[20:21], v[3:4]
	s_cselect_b32 s23, s21, 0
	s_cselect_b32 s22, s20, 0x10000
	s_waitcnt lgkmcnt(0)
	s_and_b32 s2, s2, 0xffff
	s_and_b64 s[0:1], vcc, exec
	s_mul_i32 s6, s2, 3
	v_add_co_u32_e32 v14, vcc, s2, v0
	v_lshlrev_b32_e32 v3, 3, v0
	v_mov_b32_e32 v4, v2
	v_addc_co_u32_e64 v15, s[0:1], 0, 0, vcc
	v_add_co_u32_e32 v16, vcc, s6, v0
	v_mad_u64_u32 v[4:5], s[0:1], s2, 24, v[3:4]
	v_addc_co_u32_e64 v17, s[0:1], 0, 0, vcc
	s_cselect_b32 s25, s21, 0
	s_cselect_b32 s24, s20, 0x10000
	s_lshl_b32 s0, s2, 4
	s_lshl_b32 s3, s2, 1
	v_add_co_u32_e32 v1, vcc, s0, v3
	v_addc_co_u32_e64 v19, s[0:1], 0, 0, vcc
	v_add_co_u32_e32 v21, vcc, s3, v0
	s_lshl_b32 s35, s2, 2
	s_lshl_b32 s36, s2, 5
	v_or_b32_e32 v4, 4, v4
	v_lshlrev_b32_e32 v18, 3, v14
	v_or_b32_e32 v20, 4, v1
	v_addc_co_u32_e64 v22, s[0:1], 0, 0, vcc
	s_mov_b64 s[26:27], 0
	s_brev_b32 s37, 18
	s_mov_b32 s38, 0xfe5163ab
	s_mov_b32 s39, 0x3c439041
	;; [unrolled: 1-line block ×14, first 2 shown]
	v_mov_b32_e32 v23, 0x3c0887f9
	v_mov_b32_e32 v24, 0x3d2aaa81
	;; [unrolled: 1-line block ×3, first 2 shown]
	s_mov_b32 s52, 0x42b17217
	s_mov_b32 s53, 0xc1880000
	s_movk_i32 s54, 0x1f8
	v_mov_b32_e32 v26, 0x3d2aabf7
	v_mov_b32_e32 v27, 0xbf000004
	;; [unrolled: 1-line block ×3, first 2 shown]
	v_not_b32_e32 v29, 63
	v_not_b32_e32 v30, 31
	v_mov_b32_e32 v31, 0x7f800000
	v_mov_b32_e32 v32, 0x7f000000
	;; [unrolled: 1-line block ×3, first 2 shown]
	s_branch .LBB150_4
.LBB150_3:                              ;   in Loop: Header=BB150_4 Depth=1
	s_or_b64 exec, exec, s[2:3]
	s_add_u32 s26, s26, s35
	v_mov_b32_e32 v6, s22
	s_addc_u32 s27, s27, 0
	v_mov_b32_e32 v7, s23
	v_cmp_ge_i64_e32 vcc, s[26:27], v[6:7]
	s_add_u32 s33, s33, s36
	s_addc_u32 s34, s34, 0
	s_cbranch_vccnz .LBB150_68
.LBB150_4:                              ; =>This Inner Loop Header: Depth=1
	v_mov_b32_e32 v1, s27
	v_add_co_u32_e32 v6, vcc, s26, v0
	v_addc_co_u32_e32 v7, vcc, 0, v1, vcc
	v_cmp_gt_u64_e64 s[6:7], s[24:25], v[6:7]
	v_mov_b32_e32 v13, 0
	v_mov_b32_e32 v12, 0
	s_and_saveexec_b64 s[0:1], s[6:7]
	s_cbranch_execz .LBB150_6
; %bb.5:                                ;   in Loop: Header=BB150_4 Depth=1
	v_mov_b32_e32 v1, s34
	v_add_co_u32_e32 v6, vcc, s33, v3
	v_addc_co_u32_e32 v7, vcc, 0, v1, vcc
	global_load_dwordx2 v[12:13], v[6:7], off
.LBB150_6:                              ;   in Loop: Header=BB150_4 Depth=1
	s_or_b64 exec, exec, s[0:1]
	v_mov_b32_e32 v1, s27
	v_add_co_u32_e32 v6, vcc, s26, v14
	v_addc_co_u32_e32 v7, vcc, v15, v1, vcc
	v_cmp_gt_u64_e64 s[2:3], s[24:25], v[6:7]
	v_mov_b32_e32 v9, 0
	v_mov_b32_e32 v11, 0
	;; [unrolled: 1-line block ×3, first 2 shown]
	s_and_saveexec_b64 s[0:1], s[2:3]
	s_cbranch_execz .LBB150_8
; %bb.7:                                ;   in Loop: Header=BB150_4 Depth=1
	v_mov_b32_e32 v1, s34
	v_add_co_u32_e32 v6, vcc, s33, v18
	v_addc_co_u32_e32 v7, vcc, 0, v1, vcc
	global_load_dwordx2 v[10:11], v[6:7], off
.LBB150_8:                              ;   in Loop: Header=BB150_4 Depth=1
	s_or_b64 exec, exec, s[0:1]
	v_mov_b32_e32 v1, s27
	v_add_co_u32_e32 v6, vcc, s26, v21
	v_addc_co_u32_e32 v7, vcc, v22, v1, vcc
	v_cmp_gt_u64_e64 s[0:1], s[24:25], v[6:7]
	v_mov_b32_e32 v8, 0
	s_and_saveexec_b64 s[8:9], s[0:1]
	s_cbranch_execz .LBB150_10
; %bb.9:                                ;   in Loop: Header=BB150_4 Depth=1
	v_mov_b32_e32 v1, s34
	v_add_co_u32_e32 v6, vcc, s33, v20
	v_addc_co_u32_e32 v7, vcc, v1, v19, vcc
	global_load_dwordx2 v[8:9], v[6:7], off offset:-4
.LBB150_10:                             ;   in Loop: Header=BB150_4 Depth=1
	s_or_b64 exec, exec, s[8:9]
	v_mov_b32_e32 v1, s27
	v_add_co_u32_e32 v6, vcc, s26, v16
	v_addc_co_u32_e32 v7, vcc, v17, v1, vcc
	v_cmp_gt_u64_e32 vcc, s[24:25], v[6:7]
	v_mov_b32_e32 v7, 0
	v_mov_b32_e32 v6, 0
	s_and_saveexec_b64 s[10:11], vcc
	s_cbranch_execz .LBB150_12
; %bb.11:                               ;   in Loop: Header=BB150_4 Depth=1
	v_mov_b32_e32 v1, s34
	v_add_co_u32_e64 v6, s[8:9], s33, v4
	v_addc_co_u32_e64 v7, s[8:9], v1, v5, s[8:9]
	global_load_dwordx2 v[6:7], v[6:7], off offset:-4
.LBB150_12:                             ;   in Loop: Header=BB150_4 Depth=1
	s_or_b64 exec, exec, s[10:11]
	s_waitcnt vmcnt(0)
	v_mul_f32_e32 v34, 0.5, v13
	v_and_b32_e32 v35, 0x7fffffff, v34
	v_cmp_nlt_f32_e64 s[8:9], |v34|, s37
                                        ; implicit-def: $vgpr37
                                        ; implicit-def: $vgpr36
	s_and_saveexec_b64 s[10:11], s[8:9]
	s_xor_b64 s[28:29], exec, s[10:11]
	s_cbranch_execz .LBB150_14
; %bb.13:                               ;   in Loop: Header=BB150_4 Depth=1
	v_and_b32_e32 v1, 0x7fffff, v35
	v_or_b32_e32 v43, 0x800000, v1
	v_mad_u64_u32 v[36:37], s[8:9], v43, s38, 0
	v_mov_b32_e32 v1, v37
	v_mad_u64_u32 v[37:38], s[8:9], v43, s39, v[1:2]
	v_mov_b32_e32 v1, v38
	;; [unrolled: 2-line block ×3, first 2 shown]
	v_mad_u64_u32 v[39:40], s[8:9], v43, s41, v[1:2]
	v_lshrrev_b32_e32 v1, 23, v35
	v_add_u32_e32 v42, 0xffffff88, v1
	v_mov_b32_e32 v1, v40
	v_mad_u64_u32 v[40:41], s[8:9], v43, s42, v[1:2]
	v_cmp_lt_u32_e64 s[8:9], 63, v42
	v_cndmask_b32_e64 v1, 0, v29, s[8:9]
	v_add_u32_e32 v44, v1, v42
	v_mov_b32_e32 v1, v41
	v_mad_u64_u32 v[41:42], s[10:11], v43, s43, v[1:2]
	v_cmp_lt_u32_e64 s[10:11], 31, v44
	v_cndmask_b32_e64 v1, 0, v30, s[10:11]
	;; [unrolled: 5-line block ×3, first 2 shown]
	v_add_u32_e32 v1, v1, v44
	v_cndmask_b32_e64 v44, v41, v39, s[8:9]
	v_cndmask_b32_e64 v42, v42, v40, s[8:9]
	;; [unrolled: 1-line block ×10, first 2 shown]
	v_sub_u32_e32 v44, 32, v1
	v_cndmask_b32_e64 v39, v40, v37, s[10:11]
	v_alignbit_b32 v45, v41, v43, v44
	v_cmp_eq_u32_e64 s[14:15], 0, v1
	v_cndmask_b32_e64 v40, v42, v39, s[12:13]
	v_cndmask_b32_e64 v1, v45, v41, s[14:15]
	v_alignbit_b32 v41, v43, v40, v44
	v_cndmask_b32_e64 v36, v38, v36, s[8:9]
	v_cndmask_b32_e64 v41, v41, v43, s[14:15]
	v_bfe_u32 v45, v1, 29, 1
	v_cndmask_b32_e64 v36, v37, v36, s[10:11]
	v_alignbit_b32 v42, v1, v41, 30
	v_sub_u32_e32 v46, 0, v45
	v_cndmask_b32_e64 v36, v39, v36, s[12:13]
	v_xor_b32_e32 v42, v42, v46
	v_alignbit_b32 v37, v40, v36, v44
	v_cndmask_b32_e64 v37, v37, v40, s[14:15]
	v_ffbh_u32_e32 v39, v42
	v_alignbit_b32 v38, v41, v37, 30
	v_min_u32_e32 v39, 32, v39
	v_alignbit_b32 v36, v37, v36, 30
	v_xor_b32_e32 v38, v38, v46
	v_sub_u32_e32 v40, 31, v39
	v_xor_b32_e32 v36, v36, v46
	v_alignbit_b32 v41, v42, v38, v40
	v_alignbit_b32 v36, v38, v36, v40
	v_alignbit_b32 v37, v41, v36, 9
	v_ffbh_u32_e32 v38, v37
	v_min_u32_e32 v38, 32, v38
	v_lshrrev_b32_e32 v43, 29, v1
	v_not_b32_e32 v40, v38
	v_alignbit_b32 v36, v37, v36, v40
	v_lshlrev_b32_e32 v37, 31, v43
	v_or_b32_e32 v40, 0x33000000, v37
	v_add_lshl_u32 v38, v38, v39, 23
	v_lshrrev_b32_e32 v36, 9, v36
	v_sub_u32_e32 v38, v40, v38
	v_or_b32_e32 v37, 0.5, v37
	v_lshlrev_b32_e32 v39, 23, v39
	v_or_b32_e32 v36, v38, v36
	v_lshrrev_b32_e32 v38, 9, v41
	v_sub_u32_e32 v37, v37, v39
	v_or_b32_e32 v37, v38, v37
	v_mul_f32_e32 v38, 0x3fc90fda, v37
	v_fma_f32 v39, v37, s45, -v38
	v_fmac_f32_e32 v39, 0x33a22168, v37
	v_fmac_f32_e32 v39, 0x3fc90fda, v36
	v_lshrrev_b32_e32 v1, 30, v1
	v_add_f32_e32 v36, v38, v39
	v_add_u32_e32 v37, v45, v1
.LBB150_14:                             ;   in Loop: Header=BB150_4 Depth=1
	s_andn2_saveexec_b64 s[8:9], s[28:29]
; %bb.15:                               ;   in Loop: Header=BB150_4 Depth=1
	v_mul_f32_e64 v1, |v34|, s46
	v_rndne_f32_e32 v1, v1
	v_cvt_i32_f32_e32 v37, v1
	v_fma_f32 v36, v1, s47, |v34|
	v_fmac_f32_e32 v36, 0xb3a22168, v1
	v_fmac_f32_e32 v36, 0xa7c234c4, v1
; %bb.16:                               ;   in Loop: Header=BB150_4 Depth=1
	s_or_b64 exec, exec, s[8:9]
	v_and_b32_e32 v38, 0x7fffffff, v13
	v_lshrrev_b32_e32 v1, 23, v38
	v_and_b32_e32 v39, 0x7fffff, v38
	v_cmp_nlt_f32_e64 s[28:29], |v13|, s37
	v_add_u32_e32 v42, 0xffffff88, v1
	v_or_b32_e32 v41, 0x800000, v39
                                        ; implicit-def: $vgpr40
                                        ; implicit-def: $vgpr39
	s_and_saveexec_b64 s[8:9], s[28:29]
	s_xor_b64 s[30:31], exec, s[8:9]
	s_cbranch_execz .LBB150_18
; %bb.17:                               ;   in Loop: Header=BB150_4 Depth=1
	v_mad_u64_u32 v[39:40], s[8:9], v41, s38, 0
	v_mov_b32_e32 v1, v40
	v_mad_u64_u32 v[43:44], s[8:9], v41, s39, v[1:2]
	v_mov_b32_e32 v1, v44
	;; [unrolled: 2-line block ×3, first 2 shown]
	v_mad_u64_u32 v[45:46], s[8:9], v41, s41, v[1:2]
	v_cmp_lt_u32_e64 s[8:9], 63, v42
	v_cndmask_b32_e64 v1, 0, v29, s[8:9]
	v_add_u32_e32 v40, v1, v42
	v_mov_b32_e32 v1, v46
	v_mad_u64_u32 v[46:47], s[10:11], v41, s42, v[1:2]
	v_cmp_lt_u32_e64 s[10:11], 31, v40
	v_cndmask_b32_e64 v1, 0, v30, s[10:11]
	v_add_u32_e32 v40, v1, v40
	v_mov_b32_e32 v1, v47
	;; [unrolled: 5-line block ×3, first 2 shown]
	v_mad_u64_u32 v[48:49], s[14:15], v41, s44, v[1:2]
	v_cndmask_b32_e64 v1, v46, v44, s[8:9]
	v_cndmask_b32_e64 v50, v47, v45, s[8:9]
	v_cndmask_b32_e64 v46, v48, v46, s[8:9]
	v_cndmask_b32_e64 v47, v49, v47, s[8:9]
	v_cndmask_b32_e64 v51, v50, v1, s[10:11]
	v_cndmask_b32_e64 v48, v46, v50, s[10:11]
	v_cndmask_b32_e64 v46, v47, v46, s[10:11]
	v_cndmask_b32_e64 v43, v45, v43, s[8:9]
	v_cndmask_b32_e64 v46, v46, v48, s[12:13]
	v_cndmask_b32_e64 v47, v48, v51, s[12:13]
	v_sub_u32_e32 v48, 32, v40
	v_cndmask_b32_e64 v1, v1, v43, s[10:11]
	v_alignbit_b32 v49, v46, v47, v48
	v_cmp_eq_u32_e64 s[14:15], 0, v40
	v_cndmask_b32_e64 v45, v51, v1, s[12:13]
	v_cndmask_b32_e64 v40, v49, v46, s[14:15]
	v_alignbit_b32 v46, v47, v45, v48
	v_cndmask_b32_e64 v39, v44, v39, s[8:9]
	v_cndmask_b32_e64 v46, v46, v47, s[14:15]
	v_bfe_u32 v50, v40, 29, 1
	v_cndmask_b32_e64 v39, v43, v39, s[10:11]
	v_alignbit_b32 v47, v40, v46, 30
	v_sub_u32_e32 v51, 0, v50
	v_cndmask_b32_e64 v1, v1, v39, s[12:13]
	v_xor_b32_e32 v47, v47, v51
	v_alignbit_b32 v39, v45, v1, v48
	v_cndmask_b32_e64 v39, v39, v45, s[14:15]
	v_ffbh_u32_e32 v44, v47
	v_alignbit_b32 v43, v46, v39, 30
	v_min_u32_e32 v44, 32, v44
	v_alignbit_b32 v1, v39, v1, 30
	v_xor_b32_e32 v43, v43, v51
	v_sub_u32_e32 v45, 31, v44
	v_xor_b32_e32 v1, v1, v51
	v_alignbit_b32 v46, v47, v43, v45
	v_alignbit_b32 v1, v43, v1, v45
	;; [unrolled: 1-line block ×3, first 2 shown]
	v_ffbh_u32_e32 v43, v39
	v_min_u32_e32 v43, 32, v43
	v_lshrrev_b32_e32 v49, 29, v40
	v_not_b32_e32 v45, v43
	v_alignbit_b32 v1, v39, v1, v45
	v_lshlrev_b32_e32 v39, 31, v49
	v_or_b32_e32 v45, 0x33000000, v39
	v_add_lshl_u32 v43, v43, v44, 23
	v_lshrrev_b32_e32 v1, 9, v1
	v_sub_u32_e32 v43, v45, v43
	v_or_b32_e32 v39, 0.5, v39
	v_lshlrev_b32_e32 v44, 23, v44
	v_or_b32_e32 v1, v43, v1
	v_lshrrev_b32_e32 v43, 9, v46
	v_sub_u32_e32 v39, v39, v44
	v_or_b32_e32 v39, v43, v39
	v_mul_f32_e32 v43, 0x3fc90fda, v39
	v_fma_f32 v44, v39, s45, -v43
	v_fmac_f32_e32 v44, 0x33a22168, v39
	v_fmac_f32_e32 v44, 0x3fc90fda, v1
	v_lshrrev_b32_e32 v1, 30, v40
	v_add_f32_e32 v39, v43, v44
	v_add_u32_e32 v40, v50, v1
.LBB150_18:                             ;   in Loop: Header=BB150_4 Depth=1
	s_or_saveexec_b64 s[8:9], s[30:31]
	v_mul_f32_e64 v1, |v13|, s46
	v_rndne_f32_e32 v1, v1
	s_xor_b64 exec, exec, s[8:9]
; %bb.19:                               ;   in Loop: Header=BB150_4 Depth=1
	v_cvt_i32_f32_e32 v40, v1
	v_fma_f32 v39, v1, s47, |v13|
	v_fmac_f32_e32 v39, 0xb3a22168, v1
	v_fmac_f32_e32 v39, 0xa7c234c4, v1
; %bb.20:                               ;   in Loop: Header=BB150_4 Depth=1
	s_or_b64 exec, exec, s[8:9]
                                        ; implicit-def: $vgpr43
                                        ; implicit-def: $vgpr44
	s_and_saveexec_b64 s[8:9], s[28:29]
	s_xor_b64 s[28:29], exec, s[8:9]
	s_cbranch_execz .LBB150_22
; %bb.21:                               ;   in Loop: Header=BB150_4 Depth=1
	v_mad_u64_u32 v[43:44], s[8:9], v41, s38, 0
	v_mov_b32_e32 v1, v44
	v_mad_u64_u32 v[44:45], s[8:9], v41, s39, v[1:2]
	v_mov_b32_e32 v1, v45
	;; [unrolled: 2-line block ×3, first 2 shown]
	v_mad_u64_u32 v[46:47], s[8:9], v41, s41, v[1:2]
	v_cmp_lt_u32_e64 s[8:9], 63, v42
	v_cndmask_b32_e64 v1, 0, v29, s[8:9]
	v_add_u32_e32 v42, v1, v42
	v_mov_b32_e32 v1, v47
	v_mad_u64_u32 v[47:48], s[10:11], v41, s42, v[1:2]
	v_cmp_lt_u32_e64 s[10:11], 31, v42
	v_cndmask_b32_e64 v1, 0, v30, s[10:11]
	v_add_u32_e32 v42, v1, v42
	v_mov_b32_e32 v1, v48
	;; [unrolled: 5-line block ×3, first 2 shown]
	v_mad_u64_u32 v[41:42], s[14:15], v41, s44, v[1:2]
	v_cndmask_b32_e64 v1, v47, v45, s[8:9]
	v_cndmask_b32_e64 v49, v48, v46, s[8:9]
	;; [unrolled: 1-line block ×10, first 2 shown]
	v_sub_u32_e32 v47, 32, v50
	v_cndmask_b32_e64 v1, v1, v44, s[10:11]
	v_alignbit_b32 v48, v41, v42, v47
	v_cmp_eq_u32_e64 s[14:15], 0, v50
	v_cndmask_b32_e64 v46, v51, v1, s[12:13]
	v_cndmask_b32_e64 v41, v48, v41, s[14:15]
	v_alignbit_b32 v48, v42, v46, v47
	v_cndmask_b32_e64 v43, v45, v43, s[8:9]
	v_cndmask_b32_e64 v42, v48, v42, s[14:15]
	v_bfe_u32 v50, v41, 29, 1
	v_cndmask_b32_e64 v43, v44, v43, s[10:11]
	v_alignbit_b32 v48, v41, v42, 30
	v_sub_u32_e32 v51, 0, v50
	v_cndmask_b32_e64 v1, v1, v43, s[12:13]
	v_xor_b32_e32 v48, v48, v51
	v_alignbit_b32 v43, v46, v1, v47
	v_cndmask_b32_e64 v43, v43, v46, s[14:15]
	v_ffbh_u32_e32 v44, v48
	v_alignbit_b32 v42, v42, v43, 30
	v_min_u32_e32 v44, 32, v44
	v_alignbit_b32 v1, v43, v1, 30
	v_xor_b32_e32 v42, v42, v51
	v_sub_u32_e32 v45, 31, v44
	v_xor_b32_e32 v1, v1, v51
	v_alignbit_b32 v46, v48, v42, v45
	v_alignbit_b32 v1, v42, v1, v45
	;; [unrolled: 1-line block ×3, first 2 shown]
	v_ffbh_u32_e32 v43, v42
	v_min_u32_e32 v43, 32, v43
	v_lshrrev_b32_e32 v49, 29, v41
	v_not_b32_e32 v45, v43
	v_alignbit_b32 v1, v42, v1, v45
	v_lshlrev_b32_e32 v42, 31, v49
	v_or_b32_e32 v45, 0x33000000, v42
	v_add_lshl_u32 v43, v43, v44, 23
	v_lshrrev_b32_e32 v1, 9, v1
	v_sub_u32_e32 v43, v45, v43
	v_or_b32_e32 v42, 0.5, v42
	v_lshlrev_b32_e32 v44, 23, v44
	v_or_b32_e32 v1, v43, v1
	v_lshrrev_b32_e32 v43, 9, v46
	v_sub_u32_e32 v42, v42, v44
	v_or_b32_e32 v42, v43, v42
	v_mul_f32_e32 v43, 0x3fc90fda, v42
	v_fma_f32 v44, v42, s45, -v43
	v_fmac_f32_e32 v44, 0x33a22168, v42
	v_fmac_f32_e32 v44, 0x3fc90fda, v1
	v_lshrrev_b32_e32 v1, 30, v41
	v_add_f32_e32 v44, v43, v44
	v_add_u32_e32 v43, v50, v1
                                        ; implicit-def: $vgpr1
	s_andn2_saveexec_b64 s[8:9], s[28:29]
	s_cbranch_execnz .LBB150_23
	s_branch .LBB150_24
.LBB150_22:                             ;   in Loop: Header=BB150_4 Depth=1
	s_andn2_saveexec_b64 s[8:9], s[28:29]
.LBB150_23:                             ;   in Loop: Header=BB150_4 Depth=1
	v_cvt_i32_f32_e32 v43, v1
	v_fma_f32 v44, v1, s47, |v13|
	v_fmac_f32_e32 v44, 0xb3a22168, v1
	v_fmac_f32_e32 v44, 0xa7c234c4, v1
.LBB150_24:                             ;   in Loop: Header=BB150_4 Depth=1
	s_or_b64 exec, exec, s[8:9]
	v_mul_f32_e32 v41, 0.5, v11
	v_and_b32_e32 v42, 0x7fffffff, v41
	v_cmp_nlt_f32_e64 s[8:9], |v41|, s37
                                        ; implicit-def: $vgpr46
                                        ; implicit-def: $vgpr45
	s_and_saveexec_b64 s[10:11], s[8:9]
	s_xor_b64 s[28:29], exec, s[10:11]
	s_cbranch_execz .LBB150_26
; %bb.25:                               ;   in Loop: Header=BB150_4 Depth=1
	v_and_b32_e32 v1, 0x7fffff, v42
	v_or_b32_e32 v52, 0x800000, v1
	v_mad_u64_u32 v[45:46], s[8:9], v52, s38, 0
	v_mov_b32_e32 v1, v46
	v_mad_u64_u32 v[46:47], s[8:9], v52, s39, v[1:2]
	v_mov_b32_e32 v1, v47
	;; [unrolled: 2-line block ×3, first 2 shown]
	v_mad_u64_u32 v[48:49], s[8:9], v52, s41, v[1:2]
	v_lshrrev_b32_e32 v1, 23, v42
	v_add_u32_e32 v51, 0xffffff88, v1
	v_mov_b32_e32 v1, v49
	v_mad_u64_u32 v[49:50], s[8:9], v52, s42, v[1:2]
	v_cmp_lt_u32_e64 s[8:9], 63, v51
	v_cndmask_b32_e64 v1, 0, v29, s[8:9]
	v_add_u32_e32 v53, v1, v51
	v_mov_b32_e32 v1, v50
	v_mad_u64_u32 v[50:51], s[10:11], v52, s43, v[1:2]
	v_cmp_lt_u32_e64 s[10:11], 31, v53
	v_cndmask_b32_e64 v1, 0, v30, s[10:11]
	;; [unrolled: 5-line block ×3, first 2 shown]
	v_add_u32_e32 v1, v1, v53
	v_cndmask_b32_e64 v53, v50, v48, s[8:9]
	v_cndmask_b32_e64 v51, v51, v49, s[8:9]
	;; [unrolled: 1-line block ×10, first 2 shown]
	v_sub_u32_e32 v53, 32, v1
	v_cndmask_b32_e64 v48, v49, v46, s[10:11]
	v_alignbit_b32 v54, v50, v52, v53
	v_cmp_eq_u32_e64 s[14:15], 0, v1
	v_cndmask_b32_e64 v49, v51, v48, s[12:13]
	v_cndmask_b32_e64 v1, v54, v50, s[14:15]
	v_alignbit_b32 v50, v52, v49, v53
	v_cndmask_b32_e64 v45, v47, v45, s[8:9]
	v_cndmask_b32_e64 v50, v50, v52, s[14:15]
	v_bfe_u32 v54, v1, 29, 1
	v_cndmask_b32_e64 v45, v46, v45, s[10:11]
	v_alignbit_b32 v51, v1, v50, 30
	v_sub_u32_e32 v55, 0, v54
	v_cndmask_b32_e64 v45, v48, v45, s[12:13]
	v_xor_b32_e32 v51, v51, v55
	v_alignbit_b32 v46, v49, v45, v53
	v_cndmask_b32_e64 v46, v46, v49, s[14:15]
	v_ffbh_u32_e32 v48, v51
	v_alignbit_b32 v47, v50, v46, 30
	v_min_u32_e32 v48, 32, v48
	v_alignbit_b32 v45, v46, v45, 30
	v_xor_b32_e32 v47, v47, v55
	v_sub_u32_e32 v49, 31, v48
	v_xor_b32_e32 v45, v45, v55
	v_alignbit_b32 v50, v51, v47, v49
	v_alignbit_b32 v45, v47, v45, v49
	;; [unrolled: 1-line block ×3, first 2 shown]
	v_ffbh_u32_e32 v47, v46
	v_min_u32_e32 v47, 32, v47
	v_lshrrev_b32_e32 v52, 29, v1
	v_not_b32_e32 v49, v47
	v_alignbit_b32 v45, v46, v45, v49
	v_lshlrev_b32_e32 v46, 31, v52
	v_or_b32_e32 v49, 0x33000000, v46
	v_add_lshl_u32 v47, v47, v48, 23
	v_lshrrev_b32_e32 v45, 9, v45
	v_sub_u32_e32 v47, v49, v47
	v_or_b32_e32 v46, 0.5, v46
	v_lshlrev_b32_e32 v48, 23, v48
	v_or_b32_e32 v45, v47, v45
	v_lshrrev_b32_e32 v47, 9, v50
	v_sub_u32_e32 v46, v46, v48
	v_or_b32_e32 v46, v47, v46
	v_mul_f32_e32 v47, 0x3fc90fda, v46
	v_fma_f32 v48, v46, s45, -v47
	v_fmac_f32_e32 v48, 0x33a22168, v46
	v_fmac_f32_e32 v48, 0x3fc90fda, v45
	v_lshrrev_b32_e32 v1, 30, v1
	v_add_f32_e32 v45, v47, v48
	v_add_u32_e32 v46, v54, v1
.LBB150_26:                             ;   in Loop: Header=BB150_4 Depth=1
	s_andn2_saveexec_b64 s[8:9], s[28:29]
; %bb.27:                               ;   in Loop: Header=BB150_4 Depth=1
	v_mul_f32_e64 v1, |v41|, s46
	v_rndne_f32_e32 v1, v1
	v_cvt_i32_f32_e32 v46, v1
	v_fma_f32 v45, v1, s47, |v41|
	v_fmac_f32_e32 v45, 0xb3a22168, v1
	v_fmac_f32_e32 v45, 0xa7c234c4, v1
; %bb.28:                               ;   in Loop: Header=BB150_4 Depth=1
	s_or_b64 exec, exec, s[8:9]
	v_and_b32_e32 v47, 0x7fffffff, v11
	v_lshrrev_b32_e32 v1, 23, v47
	v_and_b32_e32 v48, 0x7fffff, v47
	v_cmp_nlt_f32_e64 s[28:29], |v11|, s37
	v_add_u32_e32 v51, 0xffffff88, v1
	v_or_b32_e32 v50, 0x800000, v48
                                        ; implicit-def: $vgpr49
                                        ; implicit-def: $vgpr48
	s_and_saveexec_b64 s[8:9], s[28:29]
	s_xor_b64 s[30:31], exec, s[8:9]
	s_cbranch_execz .LBB150_30
; %bb.29:                               ;   in Loop: Header=BB150_4 Depth=1
	v_mad_u64_u32 v[48:49], s[8:9], v50, s38, 0
	v_mov_b32_e32 v1, v49
	v_mad_u64_u32 v[52:53], s[8:9], v50, s39, v[1:2]
	v_mov_b32_e32 v1, v53
	v_mad_u64_u32 v[53:54], s[8:9], v50, s40, v[1:2]
	v_mov_b32_e32 v1, v54
	v_mad_u64_u32 v[54:55], s[8:9], v50, s41, v[1:2]
	v_cmp_lt_u32_e64 s[8:9], 63, v51
	v_cndmask_b32_e64 v1, 0, v29, s[8:9]
	v_add_u32_e32 v49, v1, v51
	v_mov_b32_e32 v1, v55
	v_mad_u64_u32 v[55:56], s[10:11], v50, s42, v[1:2]
	v_cmp_lt_u32_e64 s[10:11], 31, v49
	v_cndmask_b32_e64 v1, 0, v30, s[10:11]
	v_add_u32_e32 v49, v1, v49
	v_mov_b32_e32 v1, v56
	;; [unrolled: 5-line block ×3, first 2 shown]
	v_mad_u64_u32 v[57:58], s[14:15], v50, s44, v[1:2]
	v_cndmask_b32_e64 v1, v55, v53, s[8:9]
	v_cndmask_b32_e64 v59, v56, v54, s[8:9]
	;; [unrolled: 1-line block ×10, first 2 shown]
	v_sub_u32_e32 v57, 32, v49
	v_cndmask_b32_e64 v1, v1, v52, s[10:11]
	v_alignbit_b32 v58, v55, v56, v57
	v_cmp_eq_u32_e64 s[14:15], 0, v49
	v_cndmask_b32_e64 v54, v60, v1, s[12:13]
	v_cndmask_b32_e64 v49, v58, v55, s[14:15]
	v_alignbit_b32 v55, v56, v54, v57
	v_cndmask_b32_e64 v48, v53, v48, s[8:9]
	v_cndmask_b32_e64 v55, v55, v56, s[14:15]
	v_bfe_u32 v59, v49, 29, 1
	v_cndmask_b32_e64 v48, v52, v48, s[10:11]
	v_alignbit_b32 v56, v49, v55, 30
	v_sub_u32_e32 v60, 0, v59
	v_cndmask_b32_e64 v1, v1, v48, s[12:13]
	v_xor_b32_e32 v56, v56, v60
	v_alignbit_b32 v48, v54, v1, v57
	v_cndmask_b32_e64 v48, v48, v54, s[14:15]
	v_ffbh_u32_e32 v53, v56
	v_alignbit_b32 v52, v55, v48, 30
	v_min_u32_e32 v53, 32, v53
	v_alignbit_b32 v1, v48, v1, 30
	v_xor_b32_e32 v52, v52, v60
	v_sub_u32_e32 v54, 31, v53
	v_xor_b32_e32 v1, v1, v60
	v_alignbit_b32 v55, v56, v52, v54
	v_alignbit_b32 v1, v52, v1, v54
	;; [unrolled: 1-line block ×3, first 2 shown]
	v_ffbh_u32_e32 v52, v48
	v_min_u32_e32 v52, 32, v52
	v_lshrrev_b32_e32 v58, 29, v49
	v_not_b32_e32 v54, v52
	v_alignbit_b32 v1, v48, v1, v54
	v_lshlrev_b32_e32 v48, 31, v58
	v_or_b32_e32 v54, 0x33000000, v48
	v_add_lshl_u32 v52, v52, v53, 23
	v_lshrrev_b32_e32 v1, 9, v1
	v_sub_u32_e32 v52, v54, v52
	v_or_b32_e32 v48, 0.5, v48
	v_lshlrev_b32_e32 v53, 23, v53
	v_or_b32_e32 v1, v52, v1
	v_lshrrev_b32_e32 v52, 9, v55
	v_sub_u32_e32 v48, v48, v53
	v_or_b32_e32 v48, v52, v48
	v_mul_f32_e32 v52, 0x3fc90fda, v48
	v_fma_f32 v53, v48, s45, -v52
	v_fmac_f32_e32 v53, 0x33a22168, v48
	v_fmac_f32_e32 v53, 0x3fc90fda, v1
	v_lshrrev_b32_e32 v1, 30, v49
	v_add_f32_e32 v48, v52, v53
	v_add_u32_e32 v49, v59, v1
.LBB150_30:                             ;   in Loop: Header=BB150_4 Depth=1
	s_or_saveexec_b64 s[8:9], s[30:31]
	v_mul_f32_e64 v1, |v11|, s46
	v_rndne_f32_e32 v1, v1
	s_xor_b64 exec, exec, s[8:9]
; %bb.31:                               ;   in Loop: Header=BB150_4 Depth=1
	v_cvt_i32_f32_e32 v49, v1
	v_fma_f32 v48, v1, s47, |v11|
	v_fmac_f32_e32 v48, 0xb3a22168, v1
	v_fmac_f32_e32 v48, 0xa7c234c4, v1
; %bb.32:                               ;   in Loop: Header=BB150_4 Depth=1
	s_or_b64 exec, exec, s[8:9]
                                        ; implicit-def: $vgpr52
                                        ; implicit-def: $vgpr53
	s_and_saveexec_b64 s[8:9], s[28:29]
	s_xor_b64 s[28:29], exec, s[8:9]
	s_cbranch_execz .LBB150_34
; %bb.33:                               ;   in Loop: Header=BB150_4 Depth=1
	v_mad_u64_u32 v[52:53], s[8:9], v50, s38, 0
	v_mov_b32_e32 v1, v53
	v_mad_u64_u32 v[53:54], s[8:9], v50, s39, v[1:2]
	v_mov_b32_e32 v1, v54
	;; [unrolled: 2-line block ×3, first 2 shown]
	v_mad_u64_u32 v[55:56], s[8:9], v50, s41, v[1:2]
	v_cmp_lt_u32_e64 s[8:9], 63, v51
	v_cndmask_b32_e64 v1, 0, v29, s[8:9]
	v_add_u32_e32 v51, v1, v51
	v_mov_b32_e32 v1, v56
	v_mad_u64_u32 v[56:57], s[10:11], v50, s42, v[1:2]
	v_cmp_lt_u32_e64 s[10:11], 31, v51
	v_cndmask_b32_e64 v1, 0, v30, s[10:11]
	v_add_u32_e32 v51, v1, v51
	v_mov_b32_e32 v1, v57
	;; [unrolled: 5-line block ×3, first 2 shown]
	v_mad_u64_u32 v[50:51], s[14:15], v50, s44, v[1:2]
	v_cndmask_b32_e64 v1, v56, v54, s[8:9]
	v_cndmask_b32_e64 v58, v57, v55, s[8:9]
	;; [unrolled: 1-line block ×10, first 2 shown]
	v_sub_u32_e32 v56, 32, v59
	v_cndmask_b32_e64 v1, v1, v53, s[10:11]
	v_alignbit_b32 v57, v50, v51, v56
	v_cmp_eq_u32_e64 s[14:15], 0, v59
	v_cndmask_b32_e64 v55, v60, v1, s[12:13]
	v_cndmask_b32_e64 v50, v57, v50, s[14:15]
	v_alignbit_b32 v57, v51, v55, v56
	v_cndmask_b32_e64 v52, v54, v52, s[8:9]
	v_cndmask_b32_e64 v51, v57, v51, s[14:15]
	v_bfe_u32 v59, v50, 29, 1
	v_cndmask_b32_e64 v52, v53, v52, s[10:11]
	v_alignbit_b32 v57, v50, v51, 30
	v_sub_u32_e32 v60, 0, v59
	v_cndmask_b32_e64 v1, v1, v52, s[12:13]
	v_xor_b32_e32 v57, v57, v60
	v_alignbit_b32 v52, v55, v1, v56
	v_cndmask_b32_e64 v52, v52, v55, s[14:15]
	v_ffbh_u32_e32 v53, v57
	v_alignbit_b32 v51, v51, v52, 30
	v_min_u32_e32 v53, 32, v53
	v_alignbit_b32 v1, v52, v1, 30
	v_xor_b32_e32 v51, v51, v60
	v_sub_u32_e32 v54, 31, v53
	v_xor_b32_e32 v1, v1, v60
	v_alignbit_b32 v55, v57, v51, v54
	v_alignbit_b32 v1, v51, v1, v54
	;; [unrolled: 1-line block ×3, first 2 shown]
	v_ffbh_u32_e32 v52, v51
	v_min_u32_e32 v52, 32, v52
	v_lshrrev_b32_e32 v58, 29, v50
	v_not_b32_e32 v54, v52
	v_alignbit_b32 v1, v51, v1, v54
	v_lshlrev_b32_e32 v51, 31, v58
	v_or_b32_e32 v54, 0x33000000, v51
	v_add_lshl_u32 v52, v52, v53, 23
	v_lshrrev_b32_e32 v1, 9, v1
	v_sub_u32_e32 v52, v54, v52
	v_or_b32_e32 v51, 0.5, v51
	v_lshlrev_b32_e32 v53, 23, v53
	v_or_b32_e32 v1, v52, v1
	v_lshrrev_b32_e32 v52, 9, v55
	v_sub_u32_e32 v51, v51, v53
	v_or_b32_e32 v51, v52, v51
	v_mul_f32_e32 v52, 0x3fc90fda, v51
	v_fma_f32 v53, v51, s45, -v52
	v_fmac_f32_e32 v53, 0x33a22168, v51
	v_fmac_f32_e32 v53, 0x3fc90fda, v1
	v_lshrrev_b32_e32 v1, 30, v50
	v_add_f32_e32 v53, v52, v53
	v_add_u32_e32 v52, v59, v1
                                        ; implicit-def: $vgpr1
	s_andn2_saveexec_b64 s[8:9], s[28:29]
	s_cbranch_execnz .LBB150_35
	s_branch .LBB150_36
.LBB150_34:                             ;   in Loop: Header=BB150_4 Depth=1
	s_andn2_saveexec_b64 s[8:9], s[28:29]
.LBB150_35:                             ;   in Loop: Header=BB150_4 Depth=1
	v_cvt_i32_f32_e32 v52, v1
	v_fma_f32 v53, v1, s47, |v11|
	v_fmac_f32_e32 v53, 0xb3a22168, v1
	v_fmac_f32_e32 v53, 0xa7c234c4, v1
.LBB150_36:                             ;   in Loop: Header=BB150_4 Depth=1
	s_or_b64 exec, exec, s[8:9]
	v_mul_f32_e32 v50, 0.5, v9
	v_and_b32_e32 v51, 0x7fffffff, v50
	v_cmp_nlt_f32_e64 s[8:9], |v50|, s37
                                        ; implicit-def: $vgpr55
                                        ; implicit-def: $vgpr54
	s_and_saveexec_b64 s[10:11], s[8:9]
	s_xor_b64 s[28:29], exec, s[10:11]
	s_cbranch_execz .LBB150_38
; %bb.37:                               ;   in Loop: Header=BB150_4 Depth=1
	v_and_b32_e32 v1, 0x7fffff, v51
	v_or_b32_e32 v61, 0x800000, v1
	v_mad_u64_u32 v[54:55], s[8:9], v61, s38, 0
	v_mov_b32_e32 v1, v55
	v_mad_u64_u32 v[55:56], s[8:9], v61, s39, v[1:2]
	v_mov_b32_e32 v1, v56
	;; [unrolled: 2-line block ×3, first 2 shown]
	v_mad_u64_u32 v[57:58], s[8:9], v61, s41, v[1:2]
	v_lshrrev_b32_e32 v1, 23, v51
	v_add_u32_e32 v60, 0xffffff88, v1
	v_mov_b32_e32 v1, v58
	v_mad_u64_u32 v[58:59], s[8:9], v61, s42, v[1:2]
	v_cmp_lt_u32_e64 s[8:9], 63, v60
	v_cndmask_b32_e64 v1, 0, v29, s[8:9]
	v_add_u32_e32 v62, v1, v60
	v_mov_b32_e32 v1, v59
	v_mad_u64_u32 v[59:60], s[10:11], v61, s43, v[1:2]
	v_cmp_lt_u32_e64 s[10:11], 31, v62
	v_cndmask_b32_e64 v1, 0, v30, s[10:11]
	;; [unrolled: 5-line block ×3, first 2 shown]
	v_add_u32_e32 v1, v1, v62
	v_cndmask_b32_e64 v62, v59, v57, s[8:9]
	v_cndmask_b32_e64 v60, v60, v58, s[8:9]
	;; [unrolled: 1-line block ×10, first 2 shown]
	v_sub_u32_e32 v62, 32, v1
	v_cndmask_b32_e64 v57, v58, v55, s[10:11]
	v_alignbit_b32 v63, v59, v61, v62
	v_cmp_eq_u32_e64 s[14:15], 0, v1
	v_cndmask_b32_e64 v58, v60, v57, s[12:13]
	v_cndmask_b32_e64 v1, v63, v59, s[14:15]
	v_alignbit_b32 v59, v61, v58, v62
	v_cndmask_b32_e64 v54, v56, v54, s[8:9]
	v_cndmask_b32_e64 v59, v59, v61, s[14:15]
	v_bfe_u32 v63, v1, 29, 1
	v_cndmask_b32_e64 v54, v55, v54, s[10:11]
	v_alignbit_b32 v60, v1, v59, 30
	v_sub_u32_e32 v64, 0, v63
	v_cndmask_b32_e64 v54, v57, v54, s[12:13]
	v_xor_b32_e32 v60, v60, v64
	v_alignbit_b32 v55, v58, v54, v62
	v_cndmask_b32_e64 v55, v55, v58, s[14:15]
	v_ffbh_u32_e32 v57, v60
	v_alignbit_b32 v56, v59, v55, 30
	v_min_u32_e32 v57, 32, v57
	v_alignbit_b32 v54, v55, v54, 30
	v_xor_b32_e32 v56, v56, v64
	v_sub_u32_e32 v58, 31, v57
	v_xor_b32_e32 v54, v54, v64
	v_alignbit_b32 v59, v60, v56, v58
	v_alignbit_b32 v54, v56, v54, v58
	;; [unrolled: 1-line block ×3, first 2 shown]
	v_ffbh_u32_e32 v56, v55
	v_min_u32_e32 v56, 32, v56
	v_lshrrev_b32_e32 v61, 29, v1
	v_not_b32_e32 v58, v56
	v_alignbit_b32 v54, v55, v54, v58
	v_lshlrev_b32_e32 v55, 31, v61
	v_or_b32_e32 v58, 0x33000000, v55
	v_add_lshl_u32 v56, v56, v57, 23
	v_lshrrev_b32_e32 v54, 9, v54
	v_sub_u32_e32 v56, v58, v56
	v_or_b32_e32 v55, 0.5, v55
	v_lshlrev_b32_e32 v57, 23, v57
	v_or_b32_e32 v54, v56, v54
	v_lshrrev_b32_e32 v56, 9, v59
	v_sub_u32_e32 v55, v55, v57
	v_or_b32_e32 v55, v56, v55
	v_mul_f32_e32 v56, 0x3fc90fda, v55
	v_fma_f32 v57, v55, s45, -v56
	v_fmac_f32_e32 v57, 0x33a22168, v55
	v_fmac_f32_e32 v57, 0x3fc90fda, v54
	v_lshrrev_b32_e32 v1, 30, v1
	v_add_f32_e32 v54, v56, v57
	v_add_u32_e32 v55, v63, v1
.LBB150_38:                             ;   in Loop: Header=BB150_4 Depth=1
	s_andn2_saveexec_b64 s[8:9], s[28:29]
; %bb.39:                               ;   in Loop: Header=BB150_4 Depth=1
	v_mul_f32_e64 v1, |v50|, s46
	v_rndne_f32_e32 v1, v1
	v_cvt_i32_f32_e32 v55, v1
	v_fma_f32 v54, v1, s47, |v50|
	v_fmac_f32_e32 v54, 0xb3a22168, v1
	v_fmac_f32_e32 v54, 0xa7c234c4, v1
; %bb.40:                               ;   in Loop: Header=BB150_4 Depth=1
	s_or_b64 exec, exec, s[8:9]
	v_and_b32_e32 v56, 0x7fffffff, v9
	v_lshrrev_b32_e32 v1, 23, v56
	v_and_b32_e32 v57, 0x7fffff, v56
	v_cmp_nlt_f32_e64 s[28:29], |v9|, s37
	v_add_u32_e32 v60, 0xffffff88, v1
	v_or_b32_e32 v59, 0x800000, v57
                                        ; implicit-def: $vgpr58
                                        ; implicit-def: $vgpr57
	s_and_saveexec_b64 s[8:9], s[28:29]
	s_xor_b64 s[30:31], exec, s[8:9]
	s_cbranch_execz .LBB150_42
; %bb.41:                               ;   in Loop: Header=BB150_4 Depth=1
	v_mad_u64_u32 v[57:58], s[8:9], v59, s38, 0
	v_mov_b32_e32 v1, v58
	v_mad_u64_u32 v[61:62], s[8:9], v59, s39, v[1:2]
	v_mov_b32_e32 v1, v62
	v_mad_u64_u32 v[62:63], s[8:9], v59, s40, v[1:2]
	v_mov_b32_e32 v1, v63
	v_mad_u64_u32 v[63:64], s[8:9], v59, s41, v[1:2]
	v_cmp_lt_u32_e64 s[8:9], 63, v60
	v_cndmask_b32_e64 v1, 0, v29, s[8:9]
	v_add_u32_e32 v58, v1, v60
	v_mov_b32_e32 v1, v64
	v_mad_u64_u32 v[64:65], s[10:11], v59, s42, v[1:2]
	v_cmp_lt_u32_e64 s[10:11], 31, v58
	v_cndmask_b32_e64 v1, 0, v30, s[10:11]
	v_add_u32_e32 v58, v1, v58
	v_mov_b32_e32 v1, v65
	;; [unrolled: 5-line block ×3, first 2 shown]
	v_mad_u64_u32 v[66:67], s[14:15], v59, s44, v[1:2]
	v_cndmask_b32_e64 v1, v64, v62, s[8:9]
	v_cndmask_b32_e64 v68, v65, v63, s[8:9]
	;; [unrolled: 1-line block ×10, first 2 shown]
	v_sub_u32_e32 v66, 32, v58
	v_cndmask_b32_e64 v1, v1, v61, s[10:11]
	v_alignbit_b32 v67, v64, v65, v66
	v_cmp_eq_u32_e64 s[14:15], 0, v58
	v_cndmask_b32_e64 v63, v69, v1, s[12:13]
	v_cndmask_b32_e64 v58, v67, v64, s[14:15]
	v_alignbit_b32 v64, v65, v63, v66
	v_cndmask_b32_e64 v57, v62, v57, s[8:9]
	v_cndmask_b32_e64 v64, v64, v65, s[14:15]
	v_bfe_u32 v68, v58, 29, 1
	v_cndmask_b32_e64 v57, v61, v57, s[10:11]
	v_alignbit_b32 v65, v58, v64, 30
	v_sub_u32_e32 v69, 0, v68
	v_cndmask_b32_e64 v1, v1, v57, s[12:13]
	v_xor_b32_e32 v65, v65, v69
	v_alignbit_b32 v57, v63, v1, v66
	v_cndmask_b32_e64 v57, v57, v63, s[14:15]
	v_ffbh_u32_e32 v62, v65
	v_alignbit_b32 v61, v64, v57, 30
	v_min_u32_e32 v62, 32, v62
	v_alignbit_b32 v1, v57, v1, 30
	v_xor_b32_e32 v61, v61, v69
	v_sub_u32_e32 v63, 31, v62
	v_xor_b32_e32 v1, v1, v69
	v_alignbit_b32 v64, v65, v61, v63
	v_alignbit_b32 v1, v61, v1, v63
	;; [unrolled: 1-line block ×3, first 2 shown]
	v_ffbh_u32_e32 v61, v57
	v_min_u32_e32 v61, 32, v61
	v_lshrrev_b32_e32 v67, 29, v58
	v_not_b32_e32 v63, v61
	v_alignbit_b32 v1, v57, v1, v63
	v_lshlrev_b32_e32 v57, 31, v67
	v_or_b32_e32 v63, 0x33000000, v57
	v_add_lshl_u32 v61, v61, v62, 23
	v_lshrrev_b32_e32 v1, 9, v1
	v_sub_u32_e32 v61, v63, v61
	v_or_b32_e32 v57, 0.5, v57
	v_lshlrev_b32_e32 v62, 23, v62
	v_or_b32_e32 v1, v61, v1
	v_lshrrev_b32_e32 v61, 9, v64
	v_sub_u32_e32 v57, v57, v62
	v_or_b32_e32 v57, v61, v57
	v_mul_f32_e32 v61, 0x3fc90fda, v57
	v_fma_f32 v62, v57, s45, -v61
	v_fmac_f32_e32 v62, 0x33a22168, v57
	v_fmac_f32_e32 v62, 0x3fc90fda, v1
	v_lshrrev_b32_e32 v1, 30, v58
	v_add_f32_e32 v57, v61, v62
	v_add_u32_e32 v58, v68, v1
.LBB150_42:                             ;   in Loop: Header=BB150_4 Depth=1
	s_or_saveexec_b64 s[8:9], s[30:31]
	v_mul_f32_e64 v1, |v9|, s46
	v_rndne_f32_e32 v1, v1
	s_xor_b64 exec, exec, s[8:9]
; %bb.43:                               ;   in Loop: Header=BB150_4 Depth=1
	v_cvt_i32_f32_e32 v58, v1
	v_fma_f32 v57, v1, s47, |v9|
	v_fmac_f32_e32 v57, 0xb3a22168, v1
	v_fmac_f32_e32 v57, 0xa7c234c4, v1
; %bb.44:                               ;   in Loop: Header=BB150_4 Depth=1
	s_or_b64 exec, exec, s[8:9]
                                        ; implicit-def: $vgpr61
                                        ; implicit-def: $vgpr62
	s_and_saveexec_b64 s[8:9], s[28:29]
	s_xor_b64 s[28:29], exec, s[8:9]
	s_cbranch_execz .LBB150_46
; %bb.45:                               ;   in Loop: Header=BB150_4 Depth=1
	v_mad_u64_u32 v[61:62], s[8:9], v59, s38, 0
	v_mov_b32_e32 v1, v62
	v_mad_u64_u32 v[62:63], s[8:9], v59, s39, v[1:2]
	v_mov_b32_e32 v1, v63
	;; [unrolled: 2-line block ×3, first 2 shown]
	v_mad_u64_u32 v[64:65], s[8:9], v59, s41, v[1:2]
	v_cmp_lt_u32_e64 s[8:9], 63, v60
	v_cndmask_b32_e64 v1, 0, v29, s[8:9]
	v_add_u32_e32 v60, v1, v60
	v_mov_b32_e32 v1, v65
	v_mad_u64_u32 v[65:66], s[10:11], v59, s42, v[1:2]
	v_cmp_lt_u32_e64 s[10:11], 31, v60
	v_cndmask_b32_e64 v1, 0, v30, s[10:11]
	v_add_u32_e32 v60, v1, v60
	v_mov_b32_e32 v1, v66
	;; [unrolled: 5-line block ×3, first 2 shown]
	v_mad_u64_u32 v[59:60], s[14:15], v59, s44, v[1:2]
	v_cndmask_b32_e64 v1, v65, v63, s[8:9]
	v_cndmask_b32_e64 v67, v66, v64, s[8:9]
	;; [unrolled: 1-line block ×10, first 2 shown]
	v_sub_u32_e32 v65, 32, v68
	v_cndmask_b32_e64 v1, v1, v62, s[10:11]
	v_alignbit_b32 v66, v59, v60, v65
	v_cmp_eq_u32_e64 s[14:15], 0, v68
	v_cndmask_b32_e64 v64, v69, v1, s[12:13]
	v_cndmask_b32_e64 v59, v66, v59, s[14:15]
	v_alignbit_b32 v66, v60, v64, v65
	v_cndmask_b32_e64 v61, v63, v61, s[8:9]
	v_cndmask_b32_e64 v60, v66, v60, s[14:15]
	v_bfe_u32 v68, v59, 29, 1
	v_cndmask_b32_e64 v61, v62, v61, s[10:11]
	v_alignbit_b32 v66, v59, v60, 30
	v_sub_u32_e32 v69, 0, v68
	v_cndmask_b32_e64 v1, v1, v61, s[12:13]
	v_xor_b32_e32 v66, v66, v69
	v_alignbit_b32 v61, v64, v1, v65
	v_cndmask_b32_e64 v61, v61, v64, s[14:15]
	v_ffbh_u32_e32 v62, v66
	v_alignbit_b32 v60, v60, v61, 30
	v_min_u32_e32 v62, 32, v62
	v_alignbit_b32 v1, v61, v1, 30
	v_xor_b32_e32 v60, v60, v69
	v_sub_u32_e32 v63, 31, v62
	v_xor_b32_e32 v1, v1, v69
	v_alignbit_b32 v64, v66, v60, v63
	v_alignbit_b32 v1, v60, v1, v63
	;; [unrolled: 1-line block ×3, first 2 shown]
	v_ffbh_u32_e32 v61, v60
	v_min_u32_e32 v61, 32, v61
	v_lshrrev_b32_e32 v67, 29, v59
	v_not_b32_e32 v63, v61
	v_alignbit_b32 v1, v60, v1, v63
	v_lshlrev_b32_e32 v60, 31, v67
	v_or_b32_e32 v63, 0x33000000, v60
	v_add_lshl_u32 v61, v61, v62, 23
	v_lshrrev_b32_e32 v1, 9, v1
	v_sub_u32_e32 v61, v63, v61
	v_or_b32_e32 v60, 0.5, v60
	v_lshlrev_b32_e32 v62, 23, v62
	v_or_b32_e32 v1, v61, v1
	v_lshrrev_b32_e32 v61, 9, v64
	v_sub_u32_e32 v60, v60, v62
	v_or_b32_e32 v60, v61, v60
	v_mul_f32_e32 v61, 0x3fc90fda, v60
	v_fma_f32 v62, v60, s45, -v61
	v_fmac_f32_e32 v62, 0x33a22168, v60
	v_fmac_f32_e32 v62, 0x3fc90fda, v1
	v_lshrrev_b32_e32 v1, 30, v59
	v_add_f32_e32 v62, v61, v62
	v_add_u32_e32 v61, v68, v1
                                        ; implicit-def: $vgpr1
	s_andn2_saveexec_b64 s[8:9], s[28:29]
	s_cbranch_execnz .LBB150_47
	s_branch .LBB150_48
.LBB150_46:                             ;   in Loop: Header=BB150_4 Depth=1
	s_andn2_saveexec_b64 s[8:9], s[28:29]
.LBB150_47:                             ;   in Loop: Header=BB150_4 Depth=1
	v_cvt_i32_f32_e32 v61, v1
	v_fma_f32 v62, v1, s47, |v9|
	v_fmac_f32_e32 v62, 0xb3a22168, v1
	v_fmac_f32_e32 v62, 0xa7c234c4, v1
.LBB150_48:                             ;   in Loop: Header=BB150_4 Depth=1
	s_or_b64 exec, exec, s[8:9]
	v_mul_f32_e32 v59, 0.5, v7
	v_and_b32_e32 v60, 0x7fffffff, v59
	v_cmp_nlt_f32_e64 s[8:9], |v59|, s37
                                        ; implicit-def: $vgpr64
                                        ; implicit-def: $vgpr63
	s_and_saveexec_b64 s[10:11], s[8:9]
	s_xor_b64 s[28:29], exec, s[10:11]
	s_cbranch_execz .LBB150_50
; %bb.49:                               ;   in Loop: Header=BB150_4 Depth=1
	v_and_b32_e32 v1, 0x7fffff, v60
	v_or_b32_e32 v70, 0x800000, v1
	v_mad_u64_u32 v[63:64], s[8:9], v70, s38, 0
	v_mov_b32_e32 v1, v64
	v_mad_u64_u32 v[64:65], s[8:9], v70, s39, v[1:2]
	v_mov_b32_e32 v1, v65
	;; [unrolled: 2-line block ×3, first 2 shown]
	v_mad_u64_u32 v[66:67], s[8:9], v70, s41, v[1:2]
	v_lshrrev_b32_e32 v1, 23, v60
	v_add_u32_e32 v69, 0xffffff88, v1
	v_mov_b32_e32 v1, v67
	v_mad_u64_u32 v[67:68], s[8:9], v70, s42, v[1:2]
	v_cmp_lt_u32_e64 s[8:9], 63, v69
	v_cndmask_b32_e64 v1, 0, v29, s[8:9]
	v_add_u32_e32 v71, v1, v69
	v_mov_b32_e32 v1, v68
	v_mad_u64_u32 v[68:69], s[10:11], v70, s43, v[1:2]
	v_cmp_lt_u32_e64 s[10:11], 31, v71
	v_cndmask_b32_e64 v1, 0, v30, s[10:11]
	;; [unrolled: 5-line block ×3, first 2 shown]
	v_add_u32_e32 v1, v1, v71
	v_cndmask_b32_e64 v71, v68, v66, s[8:9]
	v_cndmask_b32_e64 v69, v69, v67, s[8:9]
	;; [unrolled: 1-line block ×10, first 2 shown]
	v_sub_u32_e32 v71, 32, v1
	v_cndmask_b32_e64 v66, v67, v64, s[10:11]
	v_alignbit_b32 v72, v68, v70, v71
	v_cmp_eq_u32_e64 s[14:15], 0, v1
	v_cndmask_b32_e64 v67, v69, v66, s[12:13]
	v_cndmask_b32_e64 v1, v72, v68, s[14:15]
	v_alignbit_b32 v68, v70, v67, v71
	v_cndmask_b32_e64 v63, v65, v63, s[8:9]
	v_cndmask_b32_e64 v68, v68, v70, s[14:15]
	v_bfe_u32 v72, v1, 29, 1
	v_cndmask_b32_e64 v63, v64, v63, s[10:11]
	v_alignbit_b32 v69, v1, v68, 30
	v_sub_u32_e32 v73, 0, v72
	v_cndmask_b32_e64 v63, v66, v63, s[12:13]
	v_xor_b32_e32 v69, v69, v73
	v_alignbit_b32 v64, v67, v63, v71
	v_cndmask_b32_e64 v64, v64, v67, s[14:15]
	v_ffbh_u32_e32 v66, v69
	v_alignbit_b32 v65, v68, v64, 30
	v_min_u32_e32 v66, 32, v66
	v_alignbit_b32 v63, v64, v63, 30
	v_xor_b32_e32 v65, v65, v73
	v_sub_u32_e32 v67, 31, v66
	v_xor_b32_e32 v63, v63, v73
	v_alignbit_b32 v68, v69, v65, v67
	v_alignbit_b32 v63, v65, v63, v67
	;; [unrolled: 1-line block ×3, first 2 shown]
	v_ffbh_u32_e32 v65, v64
	v_min_u32_e32 v65, 32, v65
	v_lshrrev_b32_e32 v70, 29, v1
	v_not_b32_e32 v67, v65
	v_alignbit_b32 v63, v64, v63, v67
	v_lshlrev_b32_e32 v64, 31, v70
	v_or_b32_e32 v67, 0x33000000, v64
	v_add_lshl_u32 v65, v65, v66, 23
	v_lshrrev_b32_e32 v63, 9, v63
	v_sub_u32_e32 v65, v67, v65
	v_or_b32_e32 v64, 0.5, v64
	v_lshlrev_b32_e32 v66, 23, v66
	v_or_b32_e32 v63, v65, v63
	v_lshrrev_b32_e32 v65, 9, v68
	v_sub_u32_e32 v64, v64, v66
	v_or_b32_e32 v64, v65, v64
	v_mul_f32_e32 v65, 0x3fc90fda, v64
	v_fma_f32 v66, v64, s45, -v65
	v_fmac_f32_e32 v66, 0x33a22168, v64
	v_fmac_f32_e32 v66, 0x3fc90fda, v63
	v_lshrrev_b32_e32 v1, 30, v1
	v_add_f32_e32 v63, v65, v66
	v_add_u32_e32 v64, v72, v1
.LBB150_50:                             ;   in Loop: Header=BB150_4 Depth=1
	s_andn2_saveexec_b64 s[8:9], s[28:29]
; %bb.51:                               ;   in Loop: Header=BB150_4 Depth=1
	v_mul_f32_e64 v1, |v59|, s46
	v_rndne_f32_e32 v1, v1
	v_cvt_i32_f32_e32 v64, v1
	v_fma_f32 v63, v1, s47, |v59|
	v_fmac_f32_e32 v63, 0xb3a22168, v1
	v_fmac_f32_e32 v63, 0xa7c234c4, v1
; %bb.52:                               ;   in Loop: Header=BB150_4 Depth=1
	s_or_b64 exec, exec, s[8:9]
	v_and_b32_e32 v65, 0x7fffffff, v7
	v_lshrrev_b32_e32 v1, 23, v65
	v_and_b32_e32 v66, 0x7fffff, v65
	v_cmp_nlt_f32_e64 s[28:29], |v7|, s37
	v_add_u32_e32 v70, 0xffffff88, v1
	v_or_b32_e32 v69, 0x800000, v66
                                        ; implicit-def: $vgpr67
                                        ; implicit-def: $vgpr66
	s_and_saveexec_b64 s[8:9], s[28:29]
	s_xor_b64 s[30:31], exec, s[8:9]
	s_cbranch_execz .LBB150_54
; %bb.53:                               ;   in Loop: Header=BB150_4 Depth=1
	v_mad_u64_u32 v[66:67], s[8:9], v69, s38, 0
	v_mov_b32_e32 v1, v67
	v_mad_u64_u32 v[67:68], s[8:9], v69, s39, v[1:2]
	v_mov_b32_e32 v1, v68
	;; [unrolled: 2-line block ×3, first 2 shown]
	v_mad_u64_u32 v[72:73], s[8:9], v69, s41, v[1:2]
	v_cmp_lt_u32_e64 s[8:9], 63, v70
	v_cndmask_b32_e64 v1, 0, v29, s[8:9]
	v_add_u32_e32 v68, v1, v70
	v_mov_b32_e32 v1, v73
	v_mad_u64_u32 v[73:74], s[10:11], v69, s42, v[1:2]
	v_cmp_lt_u32_e64 s[10:11], 31, v68
	v_cndmask_b32_e64 v1, 0, v30, s[10:11]
	v_add_u32_e32 v68, v1, v68
	v_mov_b32_e32 v1, v74
	;; [unrolled: 5-line block ×3, first 2 shown]
	v_mad_u64_u32 v[75:76], s[14:15], v69, s44, v[1:2]
	v_cndmask_b32_e64 v1, v73, v71, s[8:9]
	v_cndmask_b32_e64 v77, v74, v72, s[8:9]
	;; [unrolled: 1-line block ×10, first 2 shown]
	v_sub_u32_e32 v75, 32, v68
	v_cndmask_b32_e64 v1, v1, v67, s[10:11]
	v_alignbit_b32 v76, v73, v74, v75
	v_cmp_eq_u32_e64 s[14:15], 0, v68
	v_cndmask_b32_e64 v72, v78, v1, s[12:13]
	v_cndmask_b32_e64 v68, v76, v73, s[14:15]
	v_alignbit_b32 v73, v74, v72, v75
	v_cndmask_b32_e64 v66, v71, v66, s[8:9]
	v_cndmask_b32_e64 v73, v73, v74, s[14:15]
	v_bfe_u32 v77, v68, 29, 1
	v_cndmask_b32_e64 v66, v67, v66, s[10:11]
	v_alignbit_b32 v74, v68, v73, 30
	v_sub_u32_e32 v78, 0, v77
	v_cndmask_b32_e64 v1, v1, v66, s[12:13]
	v_xor_b32_e32 v74, v74, v78
	v_alignbit_b32 v66, v72, v1, v75
	v_cndmask_b32_e64 v66, v66, v72, s[14:15]
	v_ffbh_u32_e32 v71, v74
	v_alignbit_b32 v67, v73, v66, 30
	v_min_u32_e32 v71, 32, v71
	v_alignbit_b32 v1, v66, v1, 30
	v_xor_b32_e32 v67, v67, v78
	v_sub_u32_e32 v72, 31, v71
	v_xor_b32_e32 v1, v1, v78
	v_alignbit_b32 v73, v74, v67, v72
	v_alignbit_b32 v1, v67, v1, v72
	;; [unrolled: 1-line block ×3, first 2 shown]
	v_ffbh_u32_e32 v67, v66
	v_min_u32_e32 v67, 32, v67
	v_lshrrev_b32_e32 v76, 29, v68
	v_not_b32_e32 v72, v67
	v_alignbit_b32 v1, v66, v1, v72
	v_lshlrev_b32_e32 v66, 31, v76
	v_or_b32_e32 v72, 0x33000000, v66
	v_add_lshl_u32 v67, v67, v71, 23
	v_lshrrev_b32_e32 v1, 9, v1
	v_sub_u32_e32 v67, v72, v67
	v_or_b32_e32 v66, 0.5, v66
	v_lshlrev_b32_e32 v71, 23, v71
	v_or_b32_e32 v1, v67, v1
	v_lshrrev_b32_e32 v67, 9, v73
	v_sub_u32_e32 v66, v66, v71
	v_or_b32_e32 v66, v67, v66
	v_mul_f32_e32 v67, 0x3fc90fda, v66
	v_fma_f32 v71, v66, s45, -v67
	v_fmac_f32_e32 v71, 0x33a22168, v66
	v_fmac_f32_e32 v71, 0x3fc90fda, v1
	v_lshrrev_b32_e32 v1, 30, v68
	v_add_f32_e32 v66, v67, v71
	v_add_u32_e32 v67, v77, v1
.LBB150_54:                             ;   in Loop: Header=BB150_4 Depth=1
	s_or_saveexec_b64 s[8:9], s[30:31]
	v_mul_f32_e64 v1, |v7|, s46
	v_rndne_f32_e32 v71, v1
	s_xor_b64 exec, exec, s[8:9]
; %bb.55:                               ;   in Loop: Header=BB150_4 Depth=1
	v_cvt_i32_f32_e32 v67, v71
	v_fma_f32 v66, v71, s47, |v7|
	v_fmac_f32_e32 v66, 0xb3a22168, v71
	v_fmac_f32_e32 v66, 0xa7c234c4, v71
; %bb.56:                               ;   in Loop: Header=BB150_4 Depth=1
	s_or_b64 exec, exec, s[8:9]
                                        ; implicit-def: $vgpr1
                                        ; implicit-def: $vgpr68
	s_and_saveexec_b64 s[8:9], s[28:29]
	s_xor_b64 s[28:29], exec, s[8:9]
	s_cbranch_execz .LBB150_62
; %bb.57:                               ;   in Loop: Header=BB150_4 Depth=1
	v_mad_u64_u32 v[71:72], s[8:9], v69, s38, 0
	v_mov_b32_e32 v1, v72
	v_mad_u64_u32 v[72:73], s[8:9], v69, s39, v[1:2]
	v_mov_b32_e32 v1, v73
	;; [unrolled: 2-line block ×3, first 2 shown]
	v_mad_u64_u32 v[74:75], s[8:9], v69, s41, v[1:2]
	v_cmp_lt_u32_e64 s[8:9], 63, v70
	v_cndmask_b32_e64 v1, 0, v29, s[8:9]
	v_add_u32_e32 v68, v1, v70
	v_mov_b32_e32 v1, v75
	v_mad_u64_u32 v[75:76], s[10:11], v69, s42, v[1:2]
	v_cmp_lt_u32_e64 s[10:11], 31, v68
	v_cndmask_b32_e64 v1, 0, v30, s[10:11]
	v_add_u32_e32 v68, v1, v68
	v_mov_b32_e32 v1, v76
	;; [unrolled: 5-line block ×3, first 2 shown]
	v_mad_u64_u32 v[68:69], s[14:15], v69, s44, v[1:2]
	v_cndmask_b32_e64 v1, v75, v73, s[8:9]
	v_cndmask_b32_e64 v77, v76, v74, s[8:9]
	;; [unrolled: 1-line block ×9, first 2 shown]
	v_sub_u32_e32 v75, 32, v70
	v_alignbit_b32 v76, v68, v69, v75
	v_cmp_eq_u32_e64 s[14:15], 0, v70
	v_cndmask_b32_e64 v70, v76, v68, s[14:15]
	v_cndmask_b32_e64 v68, v74, v72, s[8:9]
	v_cndmask_b32_e64 v1, v1, v68, s[10:11]
	v_cndmask_b32_e64 v72, v78, v1, s[12:13]
	v_alignbit_b32 v74, v69, v72, v75
	v_cndmask_b32_e64 v71, v73, v71, s[8:9]
	v_cndmask_b32_e64 v69, v74, v69, s[14:15]
	v_bfe_u32 v77, v70, 29, 1
	v_cndmask_b32_e64 v68, v68, v71, s[10:11]
	v_alignbit_b32 v74, v70, v69, 30
	v_sub_u32_e32 v78, 0, v77
	v_cndmask_b32_e64 v1, v1, v68, s[12:13]
	v_xor_b32_e32 v74, v74, v78
	v_alignbit_b32 v68, v72, v1, v75
	v_cndmask_b32_e64 v68, v68, v72, s[14:15]
	v_ffbh_u32_e32 v71, v74
	v_alignbit_b32 v69, v69, v68, 30
	v_min_u32_e32 v71, 32, v71
	v_alignbit_b32 v1, v68, v1, 30
	v_xor_b32_e32 v69, v69, v78
	v_sub_u32_e32 v72, 31, v71
	v_xor_b32_e32 v1, v1, v78
	v_alignbit_b32 v73, v74, v69, v72
	v_alignbit_b32 v1, v69, v1, v72
	;; [unrolled: 1-line block ×3, first 2 shown]
	v_ffbh_u32_e32 v69, v68
	v_min_u32_e32 v69, 32, v69
	v_lshrrev_b32_e32 v76, 29, v70
	v_not_b32_e32 v72, v69
	v_alignbit_b32 v1, v68, v1, v72
	v_lshlrev_b32_e32 v68, 31, v76
	v_or_b32_e32 v72, 0x33000000, v68
	v_add_lshl_u32 v69, v69, v71, 23
	v_lshrrev_b32_e32 v1, 9, v1
	v_sub_u32_e32 v69, v72, v69
	v_or_b32_e32 v68, 0.5, v68
	v_lshlrev_b32_e32 v71, 23, v71
	v_or_b32_e32 v1, v69, v1
	v_lshrrev_b32_e32 v69, 9, v73
	v_sub_u32_e32 v68, v68, v71
	v_or_b32_e32 v68, v69, v68
	v_mul_f32_e32 v69, 0x3fc90fda, v68
	v_fma_f32 v71, v68, s45, -v69
	v_fmac_f32_e32 v71, 0x33a22168, v68
	v_fmac_f32_e32 v71, 0x3fc90fda, v1
	v_lshrrev_b32_e32 v1, 30, v70
	v_add_f32_e32 v68, v69, v71
	v_add_u32_e32 v1, v77, v1
                                        ; implicit-def: $vgpr71
	s_andn2_saveexec_b64 s[8:9], s[28:29]
	s_cbranch_execnz .LBB150_63
.LBB150_58:                             ;   in Loop: Header=BB150_4 Depth=1
	s_or_b64 exec, exec, s[8:9]
	s_and_saveexec_b64 s[8:9], s[6:7]
	s_xor_b64 s[10:11], exec, s[8:9]
	s_cbranch_execz .LBB150_64
.LBB150_59:                             ;   in Loop: Header=BB150_4 Depth=1
	v_mul_f32_e32 v69, 0x3fb8aa3b, v12
	v_rndne_f32_e32 v70, v69
	v_sub_f32_e32 v71, v69, v70
	v_fma_f32 v69, v12, s48, -v69
	v_fmac_f32_e32 v69, 0x32a5705f, v12
	v_add_f32_e32 v69, v71, v69
	v_cvt_i32_f32_e32 v71, v70
	v_exp_f32_e32 v69, v69
	v_cmp_ngt_f32_e64 s[6:7], s49, v12
	v_mov_b32_e32 v72, v12
	v_fmac_f32_e32 v72, 0xbf317218, v70
	v_ldexp_f32 v69, v69, v71
	v_cndmask_b32_e64 v69, 0, v69, s[6:7]
	v_cmp_nlt_f32_e64 s[6:7], s50, v12
	v_cndmask_b32_e64 v69, v31, v69, s[6:7]
	v_cmp_eq_f32_e64 s[6:7], s51, v70
	v_fmac_f32_e32 v72, 0x3102e308, v70
	v_mov_b32_e32 v70, 0x3ab69700
	v_fmac_f32_e32 v70, 0x395133b1, v72
	v_fma_f32 v70, v72, v70, v23
	v_fma_f32 v70, v72, v70, v24
	v_fma_f32 v70, v72, v70, v25
	v_ldexp_f32 v71, 1.0, v71
	v_fma_f32 v70, v72, v70, 0.5
	v_cndmask_b32_e64 v71, v71, v32, s[6:7]
	v_mul_f32_e32 v70, v72, v70
	v_fmac_f32_e32 v72, v72, v70
	v_add_f32_e32 v70, -1.0, v71
	v_fmac_f32_e32 v70, v71, v72
	v_add_f32_e32 v71, v70, v70
	v_cndmask_b32_e64 v70, v70, v71, s[6:7]
	v_mul_f32_e32 v71, v39, v39
	v_mov_b32_e32 v72, 0xbab64f3b
	v_fmac_f32_e32 v72, 0x37d75334, v71
	v_mov_b32_e32 v73, 0x3c0881c4
	v_cmp_nlt_f32_e64 s[6:7], s52, v12
	v_fma_f32 v72, v71, v72, v26
	v_fmac_f32_e32 v73, 0xb94c1982, v71
	v_cndmask_b32_e64 v70, v31, v70, s[6:7]
	v_cmp_ngt_f32_e64 s[6:7], s53, v12
	v_fma_f32 v72, v71, v72, v27
	v_fma_f32 v73, v71, v73, v28
	v_cndmask_b32_e64 v12, -1.0, v70, s[6:7]
	v_lshlrev_b32_e32 v70, 30, v40
	v_and_b32_e32 v40, 1, v40
	v_fma_f32 v72, v71, v72, 1.0
	v_mul_f32_e32 v71, v71, v73
	v_fmac_f32_e32 v39, v39, v71
	v_cmp_eq_u32_e64 s[6:7], 0, v40
	v_lshlrev_b32_e32 v40, 30, v37
	v_and_b32_e32 v70, 0x80000000, v70
	v_cndmask_b32_e64 v39, -v39, v72, s[6:7]
	v_xor_b32_e32 v35, v35, v34
	v_and_b32_e32 v40, 0x80000000, v40
	v_xor_b32_e32 v39, v70, v39
	v_xor_b32_e32 v35, v35, v40
	v_mul_f32_e32 v40, v36, v36
	v_mov_b32_e32 v70, 0x3c0881c4
	v_fmac_f32_e32 v70, 0xb94c1982, v40
	v_fma_f32 v70, v40, v70, v28
	v_mul_f32_e32 v70, v40, v70
	v_fmac_f32_e32 v36, v36, v70
	v_mov_b32_e32 v70, 0xbab64f3b
	v_fmac_f32_e32 v70, 0x37d75334, v40
	v_fma_f32 v70, v40, v70, v26
	v_and_b32_e32 v37, 1, v37
	v_fma_f32 v70, v40, v70, v27
	v_fma_f32 v40, v40, v70, 1.0
	v_cmp_eq_u32_e64 s[8:9], 0, v37
	v_cndmask_b32_e64 v36, v40, v36, s[8:9]
	v_xor_b32_e32 v35, v35, v36
	v_cmp_class_f32_e64 s[8:9], v34, s54
	v_cndmask_b32_e64 v34, v33, v35, s[8:9]
	v_cmp_class_f32_e64 s[6:7], v13, s54
	v_add_f32_e32 v35, v34, v34
	v_cndmask_b32_e64 v39, v33, v39, s[6:7]
	v_mul_f32_e32 v34, v34, v35
	v_fma_f32 v12, v12, v39, -v34
	v_mul_f32_e32 v34, v44, v44
	v_mov_b32_e32 v35, 0x3c0881c4
	v_fmac_f32_e32 v35, 0xb94c1982, v34
	v_fma_f32 v35, v34, v35, v28
	v_mul_f32_e32 v35, v34, v35
	v_fmac_f32_e32 v44, v44, v35
	v_mov_b32_e32 v35, 0xbab64f3b
	v_fmac_f32_e32 v35, 0x37d75334, v34
	v_fma_f32 v35, v34, v35, v26
	v_fma_f32 v35, v34, v35, v27
	v_fma_f32 v34, v34, v35, 1.0
	v_and_b32_e32 v35, 1, v43
	v_cmp_eq_u32_e64 s[8:9], 0, v35
	v_lshlrev_b32_e32 v35, 30, v43
	v_and_b32_e32 v35, 0x80000000, v35
	v_xor_b32_e32 v13, v38, v13
	v_cndmask_b32_e64 v34, v34, v44, s[8:9]
	v_xor_b32_e32 v13, v13, v35
	v_xor_b32_e32 v13, v13, v34
	v_cndmask_b32_e64 v13, v33, v13, s[6:7]
	v_mov_b32_e32 v35, s34
	v_add_co_u32_e64 v34, s[6:7], s33, v3
	v_mul_f32_e32 v13, v69, v13
	v_addc_co_u32_e64 v35, s[6:7], 0, v35, s[6:7]
	global_store_dwordx2 v[34:35], v[12:13], off
	s_or_b64 exec, exec, s[10:11]
	s_and_saveexec_b64 s[8:9], s[2:3]
	s_cbranch_execnz .LBB150_65
.LBB150_60:                             ;   in Loop: Header=BB150_4 Depth=1
	s_or_b64 exec, exec, s[8:9]
	s_and_saveexec_b64 s[6:7], s[0:1]
	s_cbranch_execz .LBB150_66
.LBB150_61:                             ;   in Loop: Header=BB150_4 Depth=1
	v_mul_f32_e32 v10, 0x3fb8aa3b, v8
	v_rndne_f32_e32 v11, v10
	v_sub_f32_e32 v12, v10, v11
	v_fma_f32 v10, v8, s48, -v10
	v_fmac_f32_e32 v10, 0x32a5705f, v8
	v_add_f32_e32 v10, v12, v10
	v_cvt_i32_f32_e32 v12, v11
	v_exp_f32_e32 v10, v10
	v_cmp_ngt_f32_e64 s[0:1], s49, v8
	v_mov_b32_e32 v13, v8
	v_fmac_f32_e32 v13, 0xbf317218, v11
	v_ldexp_f32 v10, v10, v12
	v_cndmask_b32_e64 v10, 0, v10, s[0:1]
	v_cmp_nlt_f32_e64 s[0:1], s50, v8
	v_cndmask_b32_e64 v10, v31, v10, s[0:1]
	v_cmp_eq_f32_e64 s[0:1], s51, v11
	v_fmac_f32_e32 v13, 0x3102e308, v11
	v_mov_b32_e32 v11, 0x3ab69700
	v_fmac_f32_e32 v11, 0x395133b1, v13
	v_fma_f32 v11, v13, v11, v23
	v_fma_f32 v11, v13, v11, v24
	;; [unrolled: 1-line block ×3, first 2 shown]
	v_ldexp_f32 v12, 1.0, v12
	v_fma_f32 v11, v13, v11, 0.5
	v_cndmask_b32_e64 v12, v12, v32, s[0:1]
	v_mul_f32_e32 v11, v13, v11
	v_fmac_f32_e32 v13, v13, v11
	v_add_f32_e32 v11, -1.0, v12
	v_fmac_f32_e32 v11, v12, v13
	v_mul_f32_e32 v13, v57, v57
	v_mov_b32_e32 v34, 0xbab64f3b
	v_fmac_f32_e32 v34, 0x37d75334, v13
	v_mov_b32_e32 v35, 0x3c0881c4
	v_add_f32_e32 v12, v11, v11
	v_fma_f32 v34, v13, v34, v26
	v_fmac_f32_e32 v35, 0xb94c1982, v13
	v_cndmask_b32_e64 v11, v11, v12, s[0:1]
	v_cmp_nlt_f32_e64 s[0:1], s52, v8
	v_fma_f32 v34, v13, v34, v27
	v_fma_f32 v35, v13, v35, v28
	v_cndmask_b32_e64 v11, v31, v11, s[0:1]
	v_cmp_ngt_f32_e64 s[0:1], s53, v8
	v_and_b32_e32 v12, 1, v58
	v_fma_f32 v34, v13, v34, 1.0
	v_mul_f32_e32 v13, v13, v35
	v_cndmask_b32_e64 v8, -1.0, v11, s[0:1]
	v_fmac_f32_e32 v57, v57, v13
	v_cmp_eq_u32_e64 s[0:1], 0, v12
	v_cndmask_b32_e64 v12, -v57, v34, s[0:1]
	v_mul_f32_e32 v34, v54, v54
	v_mov_b32_e32 v35, 0x3c0881c4
	v_fmac_f32_e32 v35, 0xb94c1982, v34
	v_fma_f32 v35, v34, v35, v28
	v_mul_f32_e32 v35, v34, v35
	v_lshlrev_b32_e32 v11, 30, v58
	v_fmac_f32_e32 v54, v54, v35
	v_mov_b32_e32 v35, 0xbab64f3b
	v_and_b32_e32 v11, 0x80000000, v11
	v_lshlrev_b32_e32 v13, 30, v55
	v_fmac_f32_e32 v35, 0x37d75334, v34
	v_xor_b32_e32 v11, v11, v12
	v_xor_b32_e32 v12, v51, v50
	v_and_b32_e32 v13, 0x80000000, v13
	v_fma_f32 v35, v34, v35, v26
	v_xor_b32_e32 v12, v12, v13
	v_and_b32_e32 v13, 1, v55
	v_fma_f32 v35, v34, v35, v27
	v_fma_f32 v34, v34, v35, 1.0
	v_cmp_eq_u32_e64 s[2:3], 0, v13
	v_cndmask_b32_e64 v13, v34, v54, s[2:3]
	v_xor_b32_e32 v12, v12, v13
	v_cmp_class_f32_e64 s[2:3], v50, s54
	v_cndmask_b32_e64 v12, v33, v12, s[2:3]
	v_cmp_class_f32_e64 s[0:1], v9, s54
	v_add_f32_e32 v13, v12, v12
	v_cndmask_b32_e64 v11, v33, v11, s[0:1]
	v_mul_f32_e32 v12, v12, v13
	v_fma_f32 v8, v8, v11, -v12
	v_mul_f32_e32 v11, v62, v62
	v_mov_b32_e32 v12, 0x3c0881c4
	v_fmac_f32_e32 v12, 0xb94c1982, v11
	v_fma_f32 v12, v11, v12, v28
	v_mul_f32_e32 v12, v11, v12
	v_fmac_f32_e32 v62, v62, v12
	v_mov_b32_e32 v12, 0xbab64f3b
	v_fmac_f32_e32 v12, 0x37d75334, v11
	v_fma_f32 v12, v11, v12, v26
	v_fma_f32 v12, v11, v12, v27
	v_fma_f32 v11, v11, v12, 1.0
	v_and_b32_e32 v12, 1, v61
	v_cmp_eq_u32_e64 s[2:3], 0, v12
	v_lshlrev_b32_e32 v12, 30, v61
	v_and_b32_e32 v12, 0x80000000, v12
	v_xor_b32_e32 v9, v56, v9
	v_cndmask_b32_e64 v11, v11, v62, s[2:3]
	v_xor_b32_e32 v9, v9, v12
	v_xor_b32_e32 v9, v9, v11
	v_cndmask_b32_e64 v9, v33, v9, s[0:1]
	v_mul_f32_e32 v9, v10, v9
	v_mov_b32_e32 v11, s34
	v_add_co_u32_e64 v10, s[0:1], s33, v20
	v_addc_co_u32_e64 v11, s[0:1], v11, v19, s[0:1]
	global_store_dwordx2 v[10:11], v[8:9], off offset:-4
	s_or_b64 exec, exec, s[6:7]
	s_and_saveexec_b64 s[2:3], vcc
	s_cbranch_execz .LBB150_3
	s_branch .LBB150_67
.LBB150_62:                             ;   in Loop: Header=BB150_4 Depth=1
	s_andn2_saveexec_b64 s[8:9], s[28:29]
	s_cbranch_execz .LBB150_58
.LBB150_63:                             ;   in Loop: Header=BB150_4 Depth=1
	v_cvt_i32_f32_e32 v1, v71
	v_fma_f32 v68, v71, s47, |v7|
	v_fmac_f32_e32 v68, 0xb3a22168, v71
	v_fmac_f32_e32 v68, 0xa7c234c4, v71
	s_or_b64 exec, exec, s[8:9]
	s_and_saveexec_b64 s[8:9], s[6:7]
	s_xor_b64 s[10:11], exec, s[8:9]
	s_cbranch_execnz .LBB150_59
.LBB150_64:                             ;   in Loop: Header=BB150_4 Depth=1
	s_or_b64 exec, exec, s[10:11]
	s_and_saveexec_b64 s[8:9], s[2:3]
	s_cbranch_execz .LBB150_60
.LBB150_65:                             ;   in Loop: Header=BB150_4 Depth=1
	v_mul_f32_e32 v12, 0x3fb8aa3b, v10
	v_rndne_f32_e32 v13, v12
	v_sub_f32_e32 v34, v12, v13
	v_fma_f32 v12, v10, s48, -v12
	v_fmac_f32_e32 v12, 0x32a5705f, v10
	v_add_f32_e32 v12, v34, v12
	v_cvt_i32_f32_e32 v34, v13
	v_exp_f32_e32 v12, v12
	v_cmp_ngt_f32_e64 s[2:3], s49, v10
	v_mov_b32_e32 v35, v10
	v_fmac_f32_e32 v35, 0xbf317218, v13
	v_ldexp_f32 v12, v12, v34
	v_cndmask_b32_e64 v12, 0, v12, s[2:3]
	v_cmp_nlt_f32_e64 s[2:3], s50, v10
	v_cndmask_b32_e64 v12, v31, v12, s[2:3]
	v_cmp_eq_f32_e64 s[2:3], s51, v13
	v_fmac_f32_e32 v35, 0x3102e308, v13
	v_mov_b32_e32 v13, 0x3ab69700
	v_fmac_f32_e32 v13, 0x395133b1, v35
	v_fma_f32 v13, v35, v13, v23
	v_fma_f32 v13, v35, v13, v24
	;; [unrolled: 1-line block ×3, first 2 shown]
	v_ldexp_f32 v34, 1.0, v34
	v_fma_f32 v13, v35, v13, 0.5
	v_cndmask_b32_e64 v34, v34, v32, s[2:3]
	v_mul_f32_e32 v13, v35, v13
	v_fmac_f32_e32 v35, v35, v13
	v_add_f32_e32 v13, -1.0, v34
	v_fmac_f32_e32 v13, v34, v35
	v_mul_f32_e32 v35, v48, v48
	v_mov_b32_e32 v36, 0xbab64f3b
	v_fmac_f32_e32 v36, 0x37d75334, v35
	v_mov_b32_e32 v37, 0x3c0881c4
	v_add_f32_e32 v34, v13, v13
	v_fma_f32 v36, v35, v36, v26
	v_fmac_f32_e32 v37, 0xb94c1982, v35
	v_cndmask_b32_e64 v13, v13, v34, s[2:3]
	v_cmp_nlt_f32_e64 s[2:3], s52, v10
	v_fma_f32 v36, v35, v36, v27
	v_fma_f32 v37, v35, v37, v28
	v_cndmask_b32_e64 v13, v31, v13, s[2:3]
	v_cmp_ngt_f32_e64 s[2:3], s53, v10
	v_and_b32_e32 v34, 1, v49
	v_fma_f32 v36, v35, v36, 1.0
	v_mul_f32_e32 v35, v35, v37
	v_cndmask_b32_e64 v10, -1.0, v13, s[2:3]
	v_fmac_f32_e32 v48, v48, v35
	v_cmp_eq_u32_e64 s[2:3], 0, v34
	v_cndmask_b32_e64 v34, -v48, v36, s[2:3]
	v_mul_f32_e32 v36, v45, v45
	v_mov_b32_e32 v37, 0x3c0881c4
	v_fmac_f32_e32 v37, 0xb94c1982, v36
	v_fma_f32 v37, v36, v37, v28
	v_mul_f32_e32 v37, v36, v37
	v_lshlrev_b32_e32 v13, 30, v49
	v_fmac_f32_e32 v45, v45, v37
	v_mov_b32_e32 v37, 0xbab64f3b
	v_and_b32_e32 v13, 0x80000000, v13
	v_lshlrev_b32_e32 v35, 30, v46
	v_fmac_f32_e32 v37, 0x37d75334, v36
	v_xor_b32_e32 v13, v13, v34
	v_xor_b32_e32 v34, v42, v41
	v_and_b32_e32 v35, 0x80000000, v35
	v_fma_f32 v37, v36, v37, v26
	v_xor_b32_e32 v34, v34, v35
	v_and_b32_e32 v35, 1, v46
	v_fma_f32 v37, v36, v37, v27
	v_fma_f32 v36, v36, v37, 1.0
	v_cmp_eq_u32_e64 s[6:7], 0, v35
	v_cndmask_b32_e64 v35, v36, v45, s[6:7]
	v_xor_b32_e32 v34, v34, v35
	v_cmp_class_f32_e64 s[6:7], v41, s54
	v_cndmask_b32_e64 v34, v33, v34, s[6:7]
	v_cmp_class_f32_e64 s[2:3], v11, s54
	v_add_f32_e32 v35, v34, v34
	v_cndmask_b32_e64 v13, v33, v13, s[2:3]
	v_mul_f32_e32 v34, v34, v35
	v_fma_f32 v10, v10, v13, -v34
	v_mul_f32_e32 v13, v53, v53
	v_mov_b32_e32 v34, 0x3c0881c4
	v_fmac_f32_e32 v34, 0xb94c1982, v13
	v_fma_f32 v34, v13, v34, v28
	v_mul_f32_e32 v34, v13, v34
	v_fmac_f32_e32 v53, v53, v34
	v_mov_b32_e32 v34, 0xbab64f3b
	v_fmac_f32_e32 v34, 0x37d75334, v13
	v_fma_f32 v34, v13, v34, v26
	v_fma_f32 v34, v13, v34, v27
	v_fma_f32 v13, v13, v34, 1.0
	v_and_b32_e32 v34, 1, v52
	v_cmp_eq_u32_e64 s[6:7], 0, v34
	v_lshlrev_b32_e32 v34, 30, v52
	v_and_b32_e32 v34, 0x80000000, v34
	v_xor_b32_e32 v11, v47, v11
	v_cndmask_b32_e64 v13, v13, v53, s[6:7]
	v_xor_b32_e32 v11, v11, v34
	v_xor_b32_e32 v11, v11, v13
	v_cndmask_b32_e64 v11, v33, v11, s[2:3]
	v_mul_f32_e32 v11, v12, v11
	v_mov_b32_e32 v13, s34
	v_add_co_u32_e64 v12, s[2:3], s33, v18
	v_addc_co_u32_e64 v13, s[2:3], 0, v13, s[2:3]
	global_store_dwordx2 v[12:13], v[10:11], off
	s_or_b64 exec, exec, s[8:9]
	s_and_saveexec_b64 s[6:7], s[0:1]
	s_cbranch_execnz .LBB150_61
.LBB150_66:                             ;   in Loop: Header=BB150_4 Depth=1
	s_or_b64 exec, exec, s[6:7]
	s_and_saveexec_b64 s[2:3], vcc
	s_cbranch_execz .LBB150_3
.LBB150_67:                             ;   in Loop: Header=BB150_4 Depth=1
	v_mul_f32_e32 v8, 0x3fb8aa3b, v6
	v_rndne_f32_e32 v9, v8
	v_sub_f32_e32 v10, v8, v9
	v_fma_f32 v8, v6, s48, -v8
	v_fmac_f32_e32 v8, 0x32a5705f, v6
	v_add_f32_e32 v8, v10, v8
	v_cvt_i32_f32_e32 v10, v9
	v_exp_f32_e32 v8, v8
	v_cmp_ngt_f32_e32 vcc, s49, v6
	v_mov_b32_e32 v11, v6
	v_fmac_f32_e32 v11, 0xbf317218, v9
	v_ldexp_f32 v8, v8, v10
	v_cndmask_b32_e32 v8, 0, v8, vcc
	v_cmp_nlt_f32_e32 vcc, s50, v6
	v_cndmask_b32_e32 v8, v31, v8, vcc
	v_cmp_eq_f32_e32 vcc, s51, v9
	v_fmac_f32_e32 v11, 0x3102e308, v9
	v_mov_b32_e32 v9, 0x3ab69700
	v_fmac_f32_e32 v9, 0x395133b1, v11
	v_fma_f32 v9, v11, v9, v23
	v_fma_f32 v9, v11, v9, v24
	;; [unrolled: 1-line block ×3, first 2 shown]
	v_ldexp_f32 v10, 1.0, v10
	v_fma_f32 v9, v11, v9, 0.5
	v_cndmask_b32_e32 v10, v10, v32, vcc
	v_mul_f32_e32 v9, v11, v9
	v_fmac_f32_e32 v11, v11, v9
	v_add_f32_e32 v9, -1.0, v10
	v_fmac_f32_e32 v9, v10, v11
	v_mul_f32_e32 v11, v66, v66
	v_mov_b32_e32 v12, 0xbab64f3b
	v_fmac_f32_e32 v12, 0x37d75334, v11
	v_mov_b32_e32 v13, 0x3c0881c4
	v_add_f32_e32 v10, v9, v9
	v_fma_f32 v12, v11, v12, v26
	v_fmac_f32_e32 v13, 0xb94c1982, v11
	v_cndmask_b32_e32 v9, v9, v10, vcc
	v_cmp_nlt_f32_e32 vcc, s52, v6
	v_fma_f32 v12, v11, v12, v27
	v_fma_f32 v13, v11, v13, v28
	v_cndmask_b32_e32 v9, v31, v9, vcc
	v_cmp_ngt_f32_e32 vcc, s53, v6
	v_and_b32_e32 v10, 1, v67
	v_fma_f32 v12, v11, v12, 1.0
	v_mul_f32_e32 v11, v11, v13
	v_cndmask_b32_e32 v6, -1.0, v9, vcc
	v_fmac_f32_e32 v66, v66, v11
	v_cmp_eq_u32_e32 vcc, 0, v10
	v_cndmask_b32_e64 v10, -v66, v12, vcc
	v_mul_f32_e32 v12, v63, v63
	v_mov_b32_e32 v13, 0x3c0881c4
	v_fmac_f32_e32 v13, 0xb94c1982, v12
	v_fma_f32 v13, v12, v13, v28
	v_mul_f32_e32 v13, v12, v13
	v_lshlrev_b32_e32 v9, 30, v67
	v_fmac_f32_e32 v63, v63, v13
	v_mov_b32_e32 v13, 0xbab64f3b
	v_and_b32_e32 v9, 0x80000000, v9
	v_lshlrev_b32_e32 v11, 30, v64
	v_fmac_f32_e32 v13, 0x37d75334, v12
	v_xor_b32_e32 v9, v9, v10
	v_xor_b32_e32 v10, v60, v59
	v_and_b32_e32 v11, 0x80000000, v11
	v_fma_f32 v13, v12, v13, v26
	v_xor_b32_e32 v10, v10, v11
	v_and_b32_e32 v11, 1, v64
	v_fma_f32 v13, v12, v13, v27
	v_fma_f32 v12, v12, v13, 1.0
	v_cmp_eq_u32_e64 s[0:1], 0, v11
	v_cndmask_b32_e64 v11, v12, v63, s[0:1]
	v_xor_b32_e32 v10, v10, v11
	v_cmp_class_f32_e64 s[0:1], v59, s54
	v_cndmask_b32_e64 v10, v33, v10, s[0:1]
	v_cmp_class_f32_e64 vcc, v7, s54
	v_add_f32_e32 v11, v10, v10
	v_cndmask_b32_e32 v9, v33, v9, vcc
	v_mul_f32_e32 v10, v10, v11
	v_fma_f32 v6, v6, v9, -v10
	v_mul_f32_e32 v9, v68, v68
	v_mov_b32_e32 v10, 0x3c0881c4
	v_fmac_f32_e32 v10, 0xb94c1982, v9
	v_fma_f32 v10, v9, v10, v28
	v_mul_f32_e32 v10, v9, v10
	v_fmac_f32_e32 v68, v68, v10
	v_mov_b32_e32 v10, 0xbab64f3b
	v_fmac_f32_e32 v10, 0x37d75334, v9
	v_fma_f32 v10, v9, v10, v26
	v_fma_f32 v10, v9, v10, v27
	v_fma_f32 v9, v9, v10, 1.0
	v_and_b32_e32 v10, 1, v1
	v_lshlrev_b32_e32 v1, 30, v1
	v_cmp_eq_u32_e64 s[0:1], 0, v10
	v_and_b32_e32 v1, 0x80000000, v1
	v_xor_b32_e32 v7, v65, v7
	v_cndmask_b32_e64 v9, v9, v68, s[0:1]
	v_xor_b32_e32 v1, v7, v1
	v_xor_b32_e32 v1, v1, v9
	v_cndmask_b32_e32 v1, v33, v1, vcc
	v_mul_f32_e32 v7, v8, v1
	v_mov_b32_e32 v1, s34
	v_add_co_u32_e32 v8, vcc, s33, v4
	v_addc_co_u32_e32 v9, vcc, v1, v5, vcc
	global_store_dwordx2 v[8:9], v[6:7], off offset:-4
	s_branch .LBB150_3
.LBB150_68:
	s_cbranch_execz .LBB150_70
	s_branch .LBB150_121
.LBB150_69:
.LBB150_70:
	v_mov_b32_e32 v1, 0x10000
	v_mov_b32_e32 v2, 0
	v_cmp_lt_i64_e32 vcc, s[20:21], v[1:2]
	v_mov_b32_e32 v11, 0
	s_and_b64 s[0:1], vcc, exec
	s_cselect_b32 s7, s21, 0
	s_cselect_b32 s6, s20, 0x10000
	v_lshlrev_b32_e32 v10, 2, v0
	v_cmp_gt_i64_e32 vcc, s[6:7], v[10:11]
	s_and_saveexec_b64 s[0:1], vcc
	s_cbranch_execz .LBB150_121
; %bb.71:
	s_load_dword s0, s[4:5], 0xd3c
	v_lshlrev_b32_e32 v2, 5, v0
	v_mov_b32_e32 v1, v11
	s_mov_b64 s[8:9], 0
	s_mov_b32 s20, 0xf534ddc0
	s_waitcnt lgkmcnt(0)
	s_and_b32 s14, s0, 0xffff
	s_add_u32 s0, s16, s18
	s_addc_u32 s1, s17, s19
	v_mov_b32_e32 v3, s1
	v_add_co_u32_e32 v12, vcc, s0, v2
	v_addc_co_u32_e32 v13, vcc, 0, v3, vcc
	s_lshl_b32 s15, s14, 5
	s_brev_b32 s16, 18
	s_mov_b32 s17, 0xfe5163ab
	s_mov_b32 s18, 0x3c439041
	;; [unrolled: 1-line block ×13, first 2 shown]
	v_mov_b32_e32 v14, 0x3c0887f9
	v_mov_b32_e32 v15, 0x3d2aaa81
	;; [unrolled: 1-line block ×3, first 2 shown]
	s_mov_b32 s31, 0x42b17217
	s_mov_b32 s33, 0xc1880000
	s_movk_i32 s34, 0x1f8
	v_mov_b32_e32 v17, 0x3d2aabf7
	v_mov_b32_e32 v18, 0xbf000004
	;; [unrolled: 1-line block ×3, first 2 shown]
	v_not_b32_e32 v20, 63
	v_not_b32_e32 v21, 31
	v_mov_b32_e32 v22, 0x7f800000
	v_mov_b32_e32 v23, 0x7f000000
	;; [unrolled: 1-line block ×3, first 2 shown]
	s_branch .LBB150_73
.LBB150_72:                             ;   in Loop: Header=BB150_73 Depth=1
	s_or_b64 exec, exec, s[0:1]
	v_mul_f32_e32 v60, 0x3fb8aa3b, v2
	v_rndne_f32_e32 v61, v60
	v_sub_f32_e32 v62, v60, v61
	v_fma_f32 v60, v2, s27, -v60
	v_fmac_f32_e32 v60, 0x32a5705f, v2
	v_add_f32_e32 v60, v62, v60
	v_cvt_i32_f32_e32 v62, v61
	v_exp_f32_e32 v60, v60
	v_cmp_ngt_f32_e32 vcc, s28, v2
	v_mov_b32_e32 v63, v2
	v_fmac_f32_e32 v63, 0xbf317218, v61
	v_ldexp_f32 v60, v60, v62
	v_cndmask_b32_e32 v60, 0, v60, vcc
	v_cmp_nlt_f32_e32 vcc, s29, v2
	v_cndmask_b32_e32 v60, v22, v60, vcc
	v_cmp_eq_f32_e32 vcc, s30, v61
	v_fmac_f32_e32 v63, 0x3102e308, v61
	v_mov_b32_e32 v61, 0x3ab69700
	v_fmac_f32_e32 v61, 0x395133b1, v63
	v_fma_f32 v61, v63, v61, v14
	v_fma_f32 v61, v63, v61, v15
	;; [unrolled: 1-line block ×3, first 2 shown]
	v_ldexp_f32 v62, 1.0, v62
	v_fma_f32 v61, v63, v61, 0.5
	v_cndmask_b32_e32 v62, v62, v23, vcc
	v_mul_f32_e32 v61, v63, v61
	v_fmac_f32_e32 v63, v63, v61
	v_add_f32_e32 v61, -1.0, v62
	v_fmac_f32_e32 v61, v62, v63
	v_add_f32_e32 v62, v61, v61
	v_cndmask_b32_e32 v61, v61, v62, vcc
	v_mul_f32_e32 v62, v53, v53
	v_mov_b32_e32 v63, 0xbab64f3b
	v_fmac_f32_e32 v63, 0x37d75334, v62
	v_mov_b32_e32 v64, 0x3c0881c4
	v_cmp_nlt_f32_e32 vcc, s31, v2
	v_fma_f32 v63, v62, v63, v17
	v_fmac_f32_e32 v64, 0xb94c1982, v62
	v_cndmask_b32_e32 v61, v22, v61, vcc
	v_cmp_ngt_f32_e32 vcc, s33, v2
	v_fma_f32 v63, v62, v63, v18
	v_fma_f32 v64, v62, v64, v19
	v_cndmask_b32_e32 v2, -1.0, v61, vcc
	v_lshlrev_b32_e32 v61, 30, v54
	v_and_b32_e32 v54, 1, v54
	v_fma_f32 v63, v62, v63, 1.0
	v_mul_f32_e32 v62, v62, v64
	v_fmac_f32_e32 v53, v53, v62
	v_cmp_eq_u32_e32 vcc, 0, v54
	v_lshlrev_b32_e32 v54, 30, v47
	v_and_b32_e32 v61, 0x80000000, v61
	v_cndmask_b32_e64 v53, -v53, v63, vcc
	v_xor_b32_e32 v44, v44, v43
	v_and_b32_e32 v54, 0x80000000, v54
	v_xor_b32_e32 v53, v61, v53
	v_xor_b32_e32 v44, v44, v54
	v_mul_f32_e32 v54, v45, v45
	v_mov_b32_e32 v61, 0x3c0881c4
	v_fmac_f32_e32 v61, 0xb94c1982, v54
	v_fma_f32 v61, v54, v61, v19
	v_mul_f32_e32 v61, v54, v61
	v_fmac_f32_e32 v45, v45, v61
	v_mov_b32_e32 v61, 0xbab64f3b
	v_fmac_f32_e32 v61, 0x37d75334, v54
	v_fma_f32 v61, v54, v61, v17
	v_and_b32_e32 v47, 1, v47
	v_fma_f32 v61, v54, v61, v18
	v_fma_f32 v54, v54, v61, 1.0
	v_cmp_eq_u32_e64 s[0:1], 0, v47
	v_cndmask_b32_e64 v45, v54, v45, s[0:1]
	v_xor_b32_e32 v44, v44, v45
	v_cmp_class_f32_e64 s[0:1], v43, s34
	v_cndmask_b32_e64 v43, v24, v44, s[0:1]
	v_cmp_class_f32_e64 vcc, v3, s34
	v_add_f32_e32 v44, v43, v43
	v_cndmask_b32_e32 v53, v24, v53, vcc
	v_mul_f32_e32 v43, v43, v44
	v_fma_f32 v2, v2, v53, -v43
	v_mul_f32_e32 v43, v56, v56
	v_mov_b32_e32 v44, 0x3c0881c4
	v_fmac_f32_e32 v44, 0xb94c1982, v43
	v_fma_f32 v44, v43, v44, v19
	v_mul_f32_e32 v44, v43, v44
	v_fmac_f32_e32 v56, v56, v44
	v_mov_b32_e32 v44, 0xbab64f3b
	v_fmac_f32_e32 v44, 0x37d75334, v43
	v_fma_f32 v44, v43, v44, v17
	v_fma_f32 v44, v43, v44, v18
	v_fma_f32 v43, v43, v44, 1.0
	v_and_b32_e32 v44, 1, v55
	v_cmp_eq_u32_e64 s[0:1], 0, v44
	v_lshlrev_b32_e32 v44, 30, v55
	v_and_b32_e32 v44, 0x80000000, v44
	v_xor_b32_e32 v3, v48, v3
	v_xor_b32_e32 v3, v3, v44
	v_mul_f32_e32 v44, 0x3fb8aa3b, v8
	v_rndne_f32_e32 v45, v44
	v_sub_f32_e32 v47, v44, v45
	v_fma_f32 v44, v8, s27, -v44
	v_fmac_f32_e32 v44, 0x32a5705f, v8
	v_add_f32_e32 v44, v47, v44
	v_exp_f32_e32 v44, v44
	v_cvt_i32_f32_e32 v47, v45
	v_cndmask_b32_e64 v43, v43, v56, s[0:1]
	v_xor_b32_e32 v3, v3, v43
	v_cndmask_b32_e32 v3, v24, v3, vcc
	v_ldexp_f32 v43, v44, v47
	v_cmp_ngt_f32_e32 vcc, s28, v8
	v_ldexp_f32 v44, 1.0, v47
	v_mov_b32_e32 v47, v8
	v_cndmask_b32_e32 v43, 0, v43, vcc
	v_cmp_nlt_f32_e32 vcc, s29, v8
	v_fmac_f32_e32 v47, 0xbf317218, v45
	v_cndmask_b32_e32 v43, v22, v43, vcc
	v_cmp_eq_f32_e32 vcc, s30, v45
	v_fmac_f32_e32 v47, 0x3102e308, v45
	v_mov_b32_e32 v45, 0x3ab69700
	v_fmac_f32_e32 v45, 0x395133b1, v47
	v_fma_f32 v45, v47, v45, v14
	v_fma_f32 v45, v47, v45, v15
	;; [unrolled: 1-line block ×3, first 2 shown]
	v_fma_f32 v45, v47, v45, 0.5
	v_cndmask_b32_e32 v44, v44, v23, vcc
	v_mul_f32_e32 v45, v47, v45
	v_fmac_f32_e32 v47, v47, v45
	v_add_f32_e32 v45, -1.0, v44
	v_fmac_f32_e32 v45, v44, v47
	v_add_f32_e32 v44, v45, v45
	v_cndmask_b32_e32 v44, v45, v44, vcc
	v_mul_f32_e32 v45, v39, v39
	v_mov_b32_e32 v47, 0xbab64f3b
	v_fmac_f32_e32 v47, 0x37d75334, v45
	v_mov_b32_e32 v48, 0x3c0881c4
	v_cmp_nlt_f32_e32 vcc, s31, v8
	v_fma_f32 v47, v45, v47, v17
	v_fmac_f32_e32 v48, 0xb94c1982, v45
	v_cndmask_b32_e32 v44, v22, v44, vcc
	v_cmp_ngt_f32_e32 vcc, s33, v8
	v_fma_f32 v47, v45, v47, v18
	v_fma_f32 v48, v45, v48, v19
	v_cndmask_b32_e32 v8, -1.0, v44, vcc
	v_lshlrev_b32_e32 v44, 30, v40
	v_and_b32_e32 v40, 1, v40
	v_fma_f32 v47, v45, v47, 1.0
	v_mul_f32_e32 v45, v45, v48
	v_fmac_f32_e32 v39, v39, v45
	v_cmp_eq_u32_e32 vcc, 0, v40
	v_lshlrev_b32_e32 v40, 30, v37
	v_and_b32_e32 v44, 0x80000000, v44
	v_cndmask_b32_e64 v39, -v39, v47, vcc
	v_xor_b32_e32 v35, v35, v34
	v_and_b32_e32 v40, 0x80000000, v40
	v_xor_b32_e32 v39, v44, v39
	v_xor_b32_e32 v35, v35, v40
	v_mul_f32_e32 v40, v36, v36
	v_mov_b32_e32 v44, 0x3c0881c4
	v_fmac_f32_e32 v44, 0xb94c1982, v40
	v_fma_f32 v44, v40, v44, v19
	v_mul_f32_e32 v44, v40, v44
	v_fmac_f32_e32 v36, v36, v44
	v_mov_b32_e32 v44, 0xbab64f3b
	v_fmac_f32_e32 v44, 0x37d75334, v40
	v_fma_f32 v44, v40, v44, v17
	v_and_b32_e32 v37, 1, v37
	v_fma_f32 v44, v40, v44, v18
	v_fma_f32 v40, v40, v44, 1.0
	v_cmp_eq_u32_e64 s[0:1], 0, v37
	v_cndmask_b32_e64 v36, v40, v36, s[0:1]
	v_xor_b32_e32 v35, v35, v36
	v_cmp_class_f32_e64 s[0:1], v34, s34
	v_cndmask_b32_e64 v34, v24, v35, s[0:1]
	v_cmp_class_f32_e64 vcc, v9, s34
	v_add_f32_e32 v35, v34, v34
	v_cndmask_b32_e32 v39, v24, v39, vcc
	v_mul_f32_e32 v34, v34, v35
	v_fma_f32 v8, v8, v39, -v34
	v_mul_f32_e32 v34, v42, v42
	v_mov_b32_e32 v35, 0x3c0881c4
	v_fmac_f32_e32 v35, 0xb94c1982, v34
	v_fma_f32 v35, v34, v35, v19
	v_mul_f32_e32 v35, v34, v35
	v_fmac_f32_e32 v42, v42, v35
	v_mov_b32_e32 v35, 0xbab64f3b
	v_fmac_f32_e32 v35, 0x37d75334, v34
	v_fma_f32 v35, v34, v35, v17
	v_fma_f32 v35, v34, v35, v18
	v_fma_f32 v34, v34, v35, 1.0
	v_and_b32_e32 v35, 1, v41
	v_cmp_eq_u32_e64 s[0:1], 0, v35
	v_lshlrev_b32_e32 v35, 30, v41
	v_and_b32_e32 v35, 0x80000000, v35
	v_xor_b32_e32 v9, v38, v9
	v_xor_b32_e32 v9, v9, v35
	v_mul_f32_e32 v35, 0x3fb8aa3b, v6
	v_rndne_f32_e32 v36, v35
	v_sub_f32_e32 v37, v35, v36
	v_fma_f32 v35, v6, s27, -v35
	v_fmac_f32_e32 v35, 0x32a5705f, v6
	v_add_f32_e32 v35, v37, v35
	v_exp_f32_e32 v35, v35
	v_cvt_i32_f32_e32 v37, v36
	v_cndmask_b32_e64 v34, v34, v42, s[0:1]
	v_xor_b32_e32 v9, v9, v34
	v_cndmask_b32_e32 v9, v24, v9, vcc
	v_ldexp_f32 v34, v35, v37
	v_cmp_ngt_f32_e32 vcc, s28, v6
	v_ldexp_f32 v35, 1.0, v37
	v_mov_b32_e32 v37, v6
	v_cndmask_b32_e32 v34, 0, v34, vcc
	v_cmp_nlt_f32_e32 vcc, s29, v6
	v_fmac_f32_e32 v37, 0xbf317218, v36
	v_cndmask_b32_e32 v34, v22, v34, vcc
	v_cmp_eq_f32_e32 vcc, s30, v36
	v_fmac_f32_e32 v37, 0x3102e308, v36
	v_mov_b32_e32 v36, 0x3ab69700
	v_fmac_f32_e32 v36, 0x395133b1, v37
	v_fma_f32 v36, v37, v36, v14
	v_fma_f32 v36, v37, v36, v15
	;; [unrolled: 1-line block ×3, first 2 shown]
	v_fma_f32 v36, v37, v36, 0.5
	v_cndmask_b32_e32 v35, v35, v23, vcc
	v_mul_f32_e32 v36, v37, v36
	v_fmac_f32_e32 v37, v37, v36
	v_add_f32_e32 v36, -1.0, v35
	v_fmac_f32_e32 v36, v35, v37
	v_add_f32_e32 v35, v36, v36
	v_cndmask_b32_e32 v35, v36, v35, vcc
	v_mul_f32_e32 v36, v30, v30
	v_mov_b32_e32 v37, 0xbab64f3b
	v_fmac_f32_e32 v37, 0x37d75334, v36
	v_mov_b32_e32 v38, 0x3c0881c4
	v_cmp_nlt_f32_e32 vcc, s31, v6
	v_fma_f32 v37, v36, v37, v17
	v_fmac_f32_e32 v38, 0xb94c1982, v36
	v_cndmask_b32_e32 v35, v22, v35, vcc
	v_cmp_ngt_f32_e32 vcc, s33, v6
	v_fma_f32 v37, v36, v37, v18
	v_fma_f32 v38, v36, v38, v19
	v_cndmask_b32_e32 v6, -1.0, v35, vcc
	v_lshlrev_b32_e32 v35, 30, v31
	v_and_b32_e32 v31, 1, v31
	v_fma_f32 v37, v36, v37, 1.0
	v_mul_f32_e32 v36, v36, v38
	v_fmac_f32_e32 v30, v30, v36
	v_cmp_eq_u32_e32 vcc, 0, v31
	v_lshlrev_b32_e32 v31, 30, v28
	v_and_b32_e32 v35, 0x80000000, v35
	v_cndmask_b32_e64 v30, -v30, v37, vcc
	v_xor_b32_e32 v26, v26, v25
	v_and_b32_e32 v31, 0x80000000, v31
	v_xor_b32_e32 v30, v35, v30
	v_xor_b32_e32 v26, v26, v31
	v_mul_f32_e32 v31, v27, v27
	v_mov_b32_e32 v35, 0x3c0881c4
	v_fmac_f32_e32 v35, 0xb94c1982, v31
	v_fma_f32 v35, v31, v35, v19
	v_mul_f32_e32 v35, v31, v35
	v_fmac_f32_e32 v27, v27, v35
	v_mov_b32_e32 v35, 0xbab64f3b
	v_fmac_f32_e32 v35, 0x37d75334, v31
	v_fma_f32 v35, v31, v35, v17
	v_and_b32_e32 v28, 1, v28
	v_fma_f32 v35, v31, v35, v18
	v_fma_f32 v31, v31, v35, 1.0
	v_cmp_eq_u32_e64 s[0:1], 0, v28
	v_cndmask_b32_e64 v27, v31, v27, s[0:1]
	v_xor_b32_e32 v26, v26, v27
	v_cmp_class_f32_e64 s[0:1], v25, s34
	v_cndmask_b32_e64 v25, v24, v26, s[0:1]
	v_cmp_class_f32_e64 vcc, v7, s34
	v_add_f32_e32 v26, v25, v25
	v_cndmask_b32_e32 v30, v24, v30, vcc
	v_mul_f32_e32 v25, v25, v26
	v_fma_f32 v6, v6, v30, -v25
	v_mul_f32_e32 v25, v33, v33
	v_mov_b32_e32 v26, 0x3c0881c4
	v_fmac_f32_e32 v26, 0xb94c1982, v25
	v_fma_f32 v26, v25, v26, v19
	v_mul_f32_e32 v26, v25, v26
	v_fmac_f32_e32 v33, v33, v26
	v_mov_b32_e32 v26, 0xbab64f3b
	v_fmac_f32_e32 v26, 0x37d75334, v25
	v_fma_f32 v26, v25, v26, v17
	v_fma_f32 v26, v25, v26, v18
	v_fma_f32 v25, v25, v26, 1.0
	v_and_b32_e32 v26, 1, v32
	v_cmp_eq_u32_e64 s[0:1], 0, v26
	v_lshlrev_b32_e32 v26, 30, v32
	v_and_b32_e32 v26, 0x80000000, v26
	v_xor_b32_e32 v7, v29, v7
	v_xor_b32_e32 v7, v7, v26
	v_mul_f32_e32 v26, 0x3fb8aa3b, v4
	v_rndne_f32_e32 v27, v26
	v_sub_f32_e32 v28, v26, v27
	v_fma_f32 v26, v4, s27, -v26
	v_fmac_f32_e32 v26, 0x32a5705f, v4
	v_add_f32_e32 v26, v28, v26
	v_exp_f32_e32 v26, v26
	v_cvt_i32_f32_e32 v28, v27
	v_cndmask_b32_e64 v25, v25, v33, s[0:1]
	v_xor_b32_e32 v7, v7, v25
	v_cndmask_b32_e32 v7, v24, v7, vcc
	v_ldexp_f32 v25, v26, v28
	v_cmp_ngt_f32_e32 vcc, s28, v4
	v_ldexp_f32 v26, 1.0, v28
	v_mov_b32_e32 v28, v4
	v_cndmask_b32_e32 v25, 0, v25, vcc
	v_cmp_nlt_f32_e32 vcc, s29, v4
	v_fmac_f32_e32 v28, 0xbf317218, v27
	v_cndmask_b32_e32 v25, v22, v25, vcc
	v_cmp_eq_f32_e32 vcc, s30, v27
	v_fmac_f32_e32 v28, 0x3102e308, v27
	v_mov_b32_e32 v27, 0x3ab69700
	v_fmac_f32_e32 v27, 0x395133b1, v28
	v_fma_f32 v27, v28, v27, v14
	v_fma_f32 v27, v28, v27, v15
	;; [unrolled: 1-line block ×3, first 2 shown]
	v_fma_f32 v27, v28, v27, 0.5
	v_cndmask_b32_e32 v26, v26, v23, vcc
	v_mul_f32_e32 v27, v28, v27
	v_fmac_f32_e32 v28, v28, v27
	v_add_f32_e32 v27, -1.0, v26
	v_fmac_f32_e32 v27, v26, v28
	v_mul_f32_e32 v28, v57, v57
	v_mov_b32_e32 v29, 0xbab64f3b
	v_fmac_f32_e32 v29, 0x37d75334, v28
	v_mov_b32_e32 v30, 0x3c0881c4
	v_add_f32_e32 v26, v27, v27
	v_fma_f32 v29, v28, v29, v17
	v_fmac_f32_e32 v30, 0xb94c1982, v28
	v_cndmask_b32_e32 v26, v27, v26, vcc
	v_cmp_nlt_f32_e32 vcc, s31, v4
	v_fma_f32 v29, v28, v29, v18
	v_fma_f32 v30, v28, v30, v19
	v_cndmask_b32_e32 v26, v22, v26, vcc
	v_cmp_ngt_f32_e32 vcc, s33, v4
	v_and_b32_e32 v27, 1, v58
	v_fma_f32 v29, v28, v29, 1.0
	v_mul_f32_e32 v28, v28, v30
	v_cndmask_b32_e32 v4, -1.0, v26, vcc
	v_fmac_f32_e32 v57, v57, v28
	v_cmp_eq_u32_e32 vcc, 0, v27
	v_cndmask_b32_e64 v27, -v57, v29, vcc
	v_mul_f32_e32 v29, v50, v50
	v_mov_b32_e32 v30, 0x3c0881c4
	v_fmac_f32_e32 v30, 0xb94c1982, v29
	v_fma_f32 v30, v29, v30, v19
	v_mul_f32_e32 v30, v29, v30
	v_lshlrev_b32_e32 v26, 30, v58
	v_fmac_f32_e32 v50, v50, v30
	v_mov_b32_e32 v30, 0xbab64f3b
	v_and_b32_e32 v26, 0x80000000, v26
	v_lshlrev_b32_e32 v28, 30, v51
	v_fmac_f32_e32 v30, 0x37d75334, v29
	v_xor_b32_e32 v26, v26, v27
	v_xor_b32_e32 v27, v49, v46
	v_and_b32_e32 v28, 0x80000000, v28
	v_fma_f32 v30, v29, v30, v17
	v_xor_b32_e32 v27, v27, v28
	v_and_b32_e32 v28, 1, v51
	v_fma_f32 v30, v29, v30, v18
	v_fma_f32 v29, v29, v30, 1.0
	v_cmp_eq_u32_e64 s[0:1], 0, v28
	v_cndmask_b32_e64 v28, v29, v50, s[0:1]
	v_xor_b32_e32 v27, v27, v28
	v_cmp_class_f32_e64 s[0:1], v46, s34
	v_cndmask_b32_e64 v27, v24, v27, s[0:1]
	v_cmp_class_f32_e64 vcc, v5, s34
	v_add_f32_e32 v28, v27, v27
	v_cndmask_b32_e32 v26, v24, v26, vcc
	v_mul_f32_e32 v27, v27, v28
	v_fma_f32 v4, v4, v26, -v27
	v_mul_f32_e32 v26, v59, v59
	v_mov_b32_e32 v27, 0x3c0881c4
	v_fmac_f32_e32 v27, 0xb94c1982, v26
	v_fma_f32 v27, v26, v27, v19
	v_mul_f32_e32 v27, v26, v27
	v_fmac_f32_e32 v59, v59, v27
	v_mov_b32_e32 v27, 0xbab64f3b
	v_fmac_f32_e32 v27, 0x37d75334, v26
	v_fma_f32 v27, v26, v27, v17
	v_fma_f32 v27, v26, v27, v18
	v_fma_f32 v26, v26, v27, 1.0
	v_and_b32_e32 v27, 1, v10
	v_lshlrev_b32_e32 v10, 30, v10
	v_cmp_eq_u32_e64 s[0:1], 0, v27
	v_and_b32_e32 v10, 0x80000000, v10
	v_xor_b32_e32 v5, v52, v5
	v_cndmask_b32_e64 v26, v26, v59, s[0:1]
	v_xor_b32_e32 v5, v5, v10
	v_xor_b32_e32 v5, v5, v26
	v_cndmask_b32_e32 v5, v24, v5, vcc
	v_add_co_u32_e32 v0, vcc, s14, v0
	v_addc_co_u32_e32 v1, vcc, 0, v1, vcc
	v_mul_f32_e32 v5, v25, v5
	v_lshlrev_b64 v[25:26], 2, v[0:1]
	v_mul_f32_e32 v3, v60, v3
	v_cmp_le_i64_e32 vcc, s[6:7], v[25:26]
	v_mul_f32_e32 v9, v43, v9
	v_mul_f32_e32 v7, v34, v7
	global_store_dwordx4 v[12:13], v[6:9], off
	global_store_dwordx4 v[12:13], v[2:5], off offset:16
	s_or_b64 s[8:9], vcc, s[8:9]
	v_add_co_u32_e32 v12, vcc, s15, v12
	v_addc_co_u32_e32 v13, vcc, 0, v13, vcc
	s_andn2_b64 exec, exec, s[8:9]
	s_cbranch_execz .LBB150_121
.LBB150_73:                             ; =>This Inner Loop Header: Depth=1
	global_load_dwordx4 v[6:9], v[12:13], off
	global_load_dwordx4 v[2:5], v[12:13], off offset:16
                                        ; implicit-def: $vgpr28
                                        ; implicit-def: $vgpr27
	s_waitcnt vmcnt(1)
	v_mul_f32_e32 v25, 0.5, v7
	v_and_b32_e32 v26, 0x7fffffff, v25
	v_cmp_nlt_f32_e64 s[0:1], |v25|, s16
	s_and_saveexec_b64 s[2:3], s[0:1]
	s_xor_b64 s[10:11], exec, s[2:3]
	s_cbranch_execz .LBB150_75
; %bb.74:                               ;   in Loop: Header=BB150_73 Depth=1
	v_and_b32_e32 v10, 0x7fffff, v26
	v_or_b32_e32 v34, 0x800000, v10
	v_mad_u64_u32 v[27:28], s[0:1], v34, s17, 0
	v_mov_b32_e32 v10, v28
	v_mad_u64_u32 v[28:29], s[0:1], v34, s18, v[10:11]
	v_mov_b32_e32 v10, v29
	;; [unrolled: 2-line block ×3, first 2 shown]
	v_mad_u64_u32 v[30:31], s[0:1], v34, s20, v[10:11]
	v_lshrrev_b32_e32 v10, 23, v26
	v_add_u32_e32 v33, 0xffffff88, v10
	v_mov_b32_e32 v10, v31
	v_mad_u64_u32 v[31:32], s[0:1], v34, s21, v[10:11]
	v_cmp_lt_u32_e32 vcc, 63, v33
	v_cndmask_b32_e32 v10, 0, v20, vcc
	v_add_u32_e32 v35, v10, v33
	v_mov_b32_e32 v10, v32
	v_mad_u64_u32 v[32:33], s[0:1], v34, s22, v[10:11]
	v_cmp_lt_u32_e64 s[0:1], 31, v35
	v_cndmask_b32_e64 v10, 0, v21, s[0:1]
	v_add_u32_e32 v35, v10, v35
	v_mov_b32_e32 v10, v33
	v_mad_u64_u32 v[33:34], s[2:3], v34, s23, v[10:11]
	v_cmp_lt_u32_e64 s[2:3], 31, v35
	v_cndmask_b32_e64 v10, 0, v21, s[2:3]
	v_add_u32_e32 v10, v10, v35
	v_cndmask_b32_e32 v35, v32, v30, vcc
	v_cndmask_b32_e32 v33, v33, v31, vcc
	;; [unrolled: 1-line block ×4, first 2 shown]
	v_cndmask_b32_e64 v34, v33, v35, s[0:1]
	v_cndmask_b32_e64 v32, v32, v33, s[0:1]
	;; [unrolled: 1-line block ×3, first 2 shown]
	v_cndmask_b32_e32 v28, v30, v28, vcc
	v_cndmask_b32_e64 v32, v32, v34, s[2:3]
	v_cndmask_b32_e64 v34, v34, v33, s[2:3]
	v_sub_u32_e32 v35, 32, v10
	v_cndmask_b32_e64 v30, v31, v28, s[0:1]
	v_alignbit_b32 v36, v32, v34, v35
	v_cmp_eq_u32_e64 s[4:5], 0, v10
	v_cndmask_b32_e64 v31, v33, v30, s[2:3]
	v_cndmask_b32_e64 v10, v36, v32, s[4:5]
	v_alignbit_b32 v32, v34, v31, v35
	v_cndmask_b32_e32 v27, v29, v27, vcc
	v_cndmask_b32_e64 v32, v32, v34, s[4:5]
	v_bfe_u32 v36, v10, 29, 1
	v_cndmask_b32_e64 v27, v28, v27, s[0:1]
	v_alignbit_b32 v33, v10, v32, 30
	v_sub_u32_e32 v37, 0, v36
	v_cndmask_b32_e64 v27, v30, v27, s[2:3]
	v_xor_b32_e32 v33, v33, v37
	v_alignbit_b32 v28, v31, v27, v35
	v_cndmask_b32_e64 v28, v28, v31, s[4:5]
	v_ffbh_u32_e32 v30, v33
	v_alignbit_b32 v29, v32, v28, 30
	v_min_u32_e32 v30, 32, v30
	v_alignbit_b32 v27, v28, v27, 30
	v_xor_b32_e32 v29, v29, v37
	v_sub_u32_e32 v31, 31, v30
	v_xor_b32_e32 v27, v27, v37
	v_alignbit_b32 v32, v33, v29, v31
	v_alignbit_b32 v27, v29, v27, v31
	;; [unrolled: 1-line block ×3, first 2 shown]
	v_ffbh_u32_e32 v29, v28
	v_min_u32_e32 v29, 32, v29
	v_lshrrev_b32_e32 v34, 29, v10
	v_not_b32_e32 v31, v29
	v_alignbit_b32 v27, v28, v27, v31
	v_lshlrev_b32_e32 v28, 31, v34
	v_or_b32_e32 v31, 0x33000000, v28
	v_add_lshl_u32 v29, v29, v30, 23
	v_lshrrev_b32_e32 v27, 9, v27
	v_sub_u32_e32 v29, v31, v29
	v_or_b32_e32 v28, 0.5, v28
	v_lshlrev_b32_e32 v30, 23, v30
	v_or_b32_e32 v27, v29, v27
	v_lshrrev_b32_e32 v29, 9, v32
	v_sub_u32_e32 v28, v28, v30
	v_or_b32_e32 v28, v29, v28
	v_mul_f32_e32 v29, 0x3fc90fda, v28
	v_fma_f32 v30, v28, s24, -v29
	v_fmac_f32_e32 v30, 0x33a22168, v28
	v_fmac_f32_e32 v30, 0x3fc90fda, v27
	v_lshrrev_b32_e32 v10, 30, v10
	v_add_f32_e32 v27, v29, v30
	v_add_u32_e32 v28, v36, v10
.LBB150_75:                             ;   in Loop: Header=BB150_73 Depth=1
	s_andn2_saveexec_b64 s[0:1], s[10:11]
; %bb.76:                               ;   in Loop: Header=BB150_73 Depth=1
	v_mul_f32_e64 v10, |v25|, s25
	v_rndne_f32_e32 v10, v10
	v_cvt_i32_f32_e32 v28, v10
	v_fma_f32 v27, v10, s26, |v25|
	v_fmac_f32_e32 v27, 0xb3a22168, v10
	v_fmac_f32_e32 v27, 0xa7c234c4, v10
; %bb.77:                               ;   in Loop: Header=BB150_73 Depth=1
	s_or_b64 exec, exec, s[0:1]
	v_and_b32_e32 v29, 0x7fffffff, v7
	v_cmp_nlt_f32_e64 s[10:11], |v7|, s16
                                        ; implicit-def: $vgpr31
                                        ; implicit-def: $vgpr30
	s_and_saveexec_b64 s[0:1], s[10:11]
	s_xor_b64 s[12:13], exec, s[0:1]
	s_cbranch_execz .LBB150_79
; %bb.78:                               ;   in Loop: Header=BB150_73 Depth=1
	v_and_b32_e32 v10, 0x7fffff, v29
	v_or_b32_e32 v37, 0x800000, v10
	v_mad_u64_u32 v[30:31], s[0:1], v37, s17, 0
	v_mov_b32_e32 v10, v31
	v_mad_u64_u32 v[31:32], s[0:1], v37, s18, v[10:11]
	v_mov_b32_e32 v10, v32
	;; [unrolled: 2-line block ×3, first 2 shown]
	v_mad_u64_u32 v[33:34], s[0:1], v37, s20, v[10:11]
	v_lshrrev_b32_e32 v10, 23, v29
	v_add_u32_e32 v36, 0xffffff88, v10
	v_mov_b32_e32 v10, v34
	v_mad_u64_u32 v[34:35], s[0:1], v37, s21, v[10:11]
	v_cmp_lt_u32_e32 vcc, 63, v36
	v_cndmask_b32_e32 v10, 0, v20, vcc
	v_add_u32_e32 v38, v10, v36
	v_mov_b32_e32 v10, v35
	v_mad_u64_u32 v[35:36], s[0:1], v37, s22, v[10:11]
	v_cmp_lt_u32_e64 s[0:1], 31, v38
	v_cndmask_b32_e64 v10, 0, v21, s[0:1]
	v_add_u32_e32 v38, v10, v38
	v_mov_b32_e32 v10, v36
	v_mad_u64_u32 v[36:37], s[2:3], v37, s23, v[10:11]
	v_cmp_lt_u32_e64 s[2:3], 31, v38
	v_cndmask_b32_e64 v10, 0, v21, s[2:3]
	v_add_u32_e32 v10, v10, v38
	v_cndmask_b32_e32 v38, v35, v33, vcc
	v_cndmask_b32_e32 v36, v36, v34, vcc
	;; [unrolled: 1-line block ×4, first 2 shown]
	v_cndmask_b32_e64 v37, v36, v38, s[0:1]
	v_cndmask_b32_e64 v35, v35, v36, s[0:1]
	;; [unrolled: 1-line block ×3, first 2 shown]
	v_cndmask_b32_e32 v31, v33, v31, vcc
	v_cndmask_b32_e64 v35, v35, v37, s[2:3]
	v_cndmask_b32_e64 v37, v37, v36, s[2:3]
	v_sub_u32_e32 v38, 32, v10
	v_cndmask_b32_e64 v33, v34, v31, s[0:1]
	v_alignbit_b32 v39, v35, v37, v38
	v_cmp_eq_u32_e64 s[4:5], 0, v10
	v_cndmask_b32_e64 v34, v36, v33, s[2:3]
	v_cndmask_b32_e64 v10, v39, v35, s[4:5]
	v_alignbit_b32 v35, v37, v34, v38
	v_cndmask_b32_e32 v30, v32, v30, vcc
	v_cndmask_b32_e64 v35, v35, v37, s[4:5]
	v_bfe_u32 v39, v10, 29, 1
	v_cndmask_b32_e64 v30, v31, v30, s[0:1]
	v_alignbit_b32 v36, v10, v35, 30
	v_sub_u32_e32 v40, 0, v39
	v_cndmask_b32_e64 v30, v33, v30, s[2:3]
	v_xor_b32_e32 v36, v36, v40
	v_alignbit_b32 v31, v34, v30, v38
	v_cndmask_b32_e64 v31, v31, v34, s[4:5]
	v_ffbh_u32_e32 v33, v36
	v_alignbit_b32 v32, v35, v31, 30
	v_min_u32_e32 v33, 32, v33
	v_alignbit_b32 v30, v31, v30, 30
	v_xor_b32_e32 v32, v32, v40
	v_sub_u32_e32 v34, 31, v33
	v_xor_b32_e32 v30, v30, v40
	v_alignbit_b32 v35, v36, v32, v34
	v_alignbit_b32 v30, v32, v30, v34
	;; [unrolled: 1-line block ×3, first 2 shown]
	v_ffbh_u32_e32 v32, v31
	v_min_u32_e32 v32, 32, v32
	v_lshrrev_b32_e32 v37, 29, v10
	v_not_b32_e32 v34, v32
	v_alignbit_b32 v30, v31, v30, v34
	v_lshlrev_b32_e32 v31, 31, v37
	v_or_b32_e32 v34, 0x33000000, v31
	v_add_lshl_u32 v32, v32, v33, 23
	v_lshrrev_b32_e32 v30, 9, v30
	v_sub_u32_e32 v32, v34, v32
	v_or_b32_e32 v31, 0.5, v31
	v_lshlrev_b32_e32 v33, 23, v33
	v_or_b32_e32 v30, v32, v30
	v_lshrrev_b32_e32 v32, 9, v35
	v_sub_u32_e32 v31, v31, v33
	v_or_b32_e32 v31, v32, v31
	v_mul_f32_e32 v32, 0x3fc90fda, v31
	v_fma_f32 v33, v31, s24, -v32
	v_fmac_f32_e32 v33, 0x33a22168, v31
	v_fmac_f32_e32 v33, 0x3fc90fda, v30
	v_lshrrev_b32_e32 v10, 30, v10
	v_add_f32_e32 v30, v32, v33
	v_add_u32_e32 v31, v39, v10
	s_andn2_saveexec_b64 s[0:1], s[12:13]
	s_branch .LBB150_80
.LBB150_79:                             ;   in Loop: Header=BB150_73 Depth=1
	s_andn2_saveexec_b64 s[0:1], s[12:13]
.LBB150_80:                             ;   in Loop: Header=BB150_73 Depth=1
	v_mul_f32_e64 v10, |v7|, s25
	v_rndne_f32_e32 v10, v10
	v_cvt_i32_f32_e32 v31, v10
	v_fma_f32 v30, v10, s26, |v7|
	v_fmac_f32_e32 v30, 0xb3a22168, v10
	v_fmac_f32_e32 v30, 0xa7c234c4, v10
; %bb.81:                               ;   in Loop: Header=BB150_73 Depth=1
	s_or_b64 exec, exec, s[0:1]
                                        ; implicit-def: $vgpr32
                                        ; implicit-def: $vgpr33
	s_and_saveexec_b64 s[0:1], s[10:11]
	s_xor_b64 s[10:11], exec, s[0:1]
	s_cbranch_execz .LBB150_83
; %bb.82:                               ;   in Loop: Header=BB150_73 Depth=1
	v_and_b32_e32 v10, 0x7fffff, v29
	v_or_b32_e32 v39, 0x800000, v10
	v_mad_u64_u32 v[32:33], s[0:1], v39, s17, 0
	v_mov_b32_e32 v10, v33
	v_mad_u64_u32 v[33:34], s[0:1], v39, s18, v[10:11]
	v_mov_b32_e32 v10, v34
	;; [unrolled: 2-line block ×3, first 2 shown]
	v_mad_u64_u32 v[35:36], s[0:1], v39, s20, v[10:11]
	v_lshrrev_b32_e32 v10, 23, v29
	v_add_u32_e32 v38, 0xffffff88, v10
	v_mov_b32_e32 v10, v36
	v_mad_u64_u32 v[36:37], s[0:1], v39, s21, v[10:11]
	v_cmp_lt_u32_e32 vcc, 63, v38
	v_cndmask_b32_e32 v10, 0, v20, vcc
	v_add_u32_e32 v40, v10, v38
	v_mov_b32_e32 v10, v37
	v_mad_u64_u32 v[37:38], s[0:1], v39, s22, v[10:11]
	v_cmp_lt_u32_e64 s[0:1], 31, v40
	v_cndmask_b32_e64 v10, 0, v21, s[0:1]
	v_add_u32_e32 v40, v10, v40
	v_mov_b32_e32 v10, v38
	v_mad_u64_u32 v[38:39], s[2:3], v39, s23, v[10:11]
	v_cmp_lt_u32_e64 s[2:3], 31, v40
	v_cndmask_b32_e64 v10, 0, v21, s[2:3]
	v_add_u32_e32 v10, v10, v40
	v_cndmask_b32_e32 v40, v37, v35, vcc
	v_cndmask_b32_e32 v38, v38, v36, vcc
	v_cndmask_b32_e32 v37, v39, v37, vcc
	v_cndmask_b32_e32 v36, v36, v34, vcc
	v_cndmask_b32_e64 v39, v38, v40, s[0:1]
	v_cndmask_b32_e64 v37, v37, v38, s[0:1]
	;; [unrolled: 1-line block ×3, first 2 shown]
	v_cndmask_b32_e32 v33, v35, v33, vcc
	v_cndmask_b32_e64 v37, v37, v39, s[2:3]
	v_cndmask_b32_e64 v39, v39, v38, s[2:3]
	v_sub_u32_e32 v40, 32, v10
	v_cndmask_b32_e64 v35, v36, v33, s[0:1]
	v_alignbit_b32 v41, v37, v39, v40
	v_cmp_eq_u32_e64 s[4:5], 0, v10
	v_cndmask_b32_e64 v36, v38, v35, s[2:3]
	v_cndmask_b32_e64 v10, v41, v37, s[4:5]
	v_alignbit_b32 v37, v39, v36, v40
	v_cndmask_b32_e32 v32, v34, v32, vcc
	v_cndmask_b32_e64 v37, v37, v39, s[4:5]
	v_bfe_u32 v41, v10, 29, 1
	v_cndmask_b32_e64 v32, v33, v32, s[0:1]
	v_alignbit_b32 v38, v10, v37, 30
	v_sub_u32_e32 v42, 0, v41
	v_cndmask_b32_e64 v32, v35, v32, s[2:3]
	v_xor_b32_e32 v38, v38, v42
	v_alignbit_b32 v33, v36, v32, v40
	v_cndmask_b32_e64 v33, v33, v36, s[4:5]
	v_ffbh_u32_e32 v35, v38
	v_alignbit_b32 v34, v37, v33, 30
	v_min_u32_e32 v35, 32, v35
	v_alignbit_b32 v32, v33, v32, 30
	v_xor_b32_e32 v34, v34, v42
	v_sub_u32_e32 v36, 31, v35
	v_xor_b32_e32 v32, v32, v42
	v_alignbit_b32 v37, v38, v34, v36
	v_alignbit_b32 v32, v34, v32, v36
	;; [unrolled: 1-line block ×3, first 2 shown]
	v_ffbh_u32_e32 v34, v33
	v_min_u32_e32 v34, 32, v34
	v_lshrrev_b32_e32 v39, 29, v10
	v_not_b32_e32 v36, v34
	v_alignbit_b32 v32, v33, v32, v36
	v_lshlrev_b32_e32 v33, 31, v39
	v_or_b32_e32 v36, 0x33000000, v33
	v_add_lshl_u32 v34, v34, v35, 23
	v_lshrrev_b32_e32 v32, 9, v32
	v_sub_u32_e32 v34, v36, v34
	v_or_b32_e32 v33, 0.5, v33
	v_lshlrev_b32_e32 v35, 23, v35
	v_or_b32_e32 v32, v34, v32
	v_lshrrev_b32_e32 v34, 9, v37
	v_sub_u32_e32 v33, v33, v35
	v_or_b32_e32 v33, v34, v33
	v_mul_f32_e32 v34, 0x3fc90fda, v33
	v_fma_f32 v35, v33, s24, -v34
	v_fmac_f32_e32 v35, 0x33a22168, v33
	v_fmac_f32_e32 v35, 0x3fc90fda, v32
	v_lshrrev_b32_e32 v10, 30, v10
	v_add_f32_e32 v33, v34, v35
	v_add_u32_e32 v32, v41, v10
	s_andn2_saveexec_b64 s[0:1], s[10:11]
	s_cbranch_execnz .LBB150_84
	s_branch .LBB150_85
.LBB150_83:                             ;   in Loop: Header=BB150_73 Depth=1
	s_andn2_saveexec_b64 s[0:1], s[10:11]
.LBB150_84:                             ;   in Loop: Header=BB150_73 Depth=1
	v_mul_f32_e64 v10, |v7|, s25
	v_rndne_f32_e32 v10, v10
	v_cvt_i32_f32_e32 v32, v10
	v_fma_f32 v33, v10, s26, |v7|
	v_fmac_f32_e32 v33, 0xb3a22168, v10
	v_fmac_f32_e32 v33, 0xa7c234c4, v10
.LBB150_85:                             ;   in Loop: Header=BB150_73 Depth=1
	s_or_b64 exec, exec, s[0:1]
	v_mul_f32_e32 v34, 0.5, v9
	v_and_b32_e32 v35, 0x7fffffff, v34
	v_cmp_nlt_f32_e64 s[0:1], |v34|, s16
                                        ; implicit-def: $vgpr37
                                        ; implicit-def: $vgpr36
	s_and_saveexec_b64 s[2:3], s[0:1]
	s_xor_b64 s[10:11], exec, s[2:3]
	s_cbranch_execz .LBB150_87
; %bb.86:                               ;   in Loop: Header=BB150_73 Depth=1
	v_and_b32_e32 v10, 0x7fffff, v35
	v_or_b32_e32 v43, 0x800000, v10
	v_mad_u64_u32 v[36:37], s[0:1], v43, s17, 0
	v_mov_b32_e32 v10, v37
	v_mad_u64_u32 v[37:38], s[0:1], v43, s18, v[10:11]
	v_mov_b32_e32 v10, v38
	;; [unrolled: 2-line block ×3, first 2 shown]
	v_mad_u64_u32 v[39:40], s[0:1], v43, s20, v[10:11]
	v_lshrrev_b32_e32 v10, 23, v35
	v_add_u32_e32 v42, 0xffffff88, v10
	v_mov_b32_e32 v10, v40
	v_mad_u64_u32 v[40:41], s[0:1], v43, s21, v[10:11]
	v_cmp_lt_u32_e32 vcc, 63, v42
	v_cndmask_b32_e32 v10, 0, v20, vcc
	v_add_u32_e32 v44, v10, v42
	v_mov_b32_e32 v10, v41
	v_mad_u64_u32 v[41:42], s[0:1], v43, s22, v[10:11]
	v_cmp_lt_u32_e64 s[0:1], 31, v44
	v_cndmask_b32_e64 v10, 0, v21, s[0:1]
	v_add_u32_e32 v44, v10, v44
	v_mov_b32_e32 v10, v42
	v_mad_u64_u32 v[42:43], s[2:3], v43, s23, v[10:11]
	v_cmp_lt_u32_e64 s[2:3], 31, v44
	v_cndmask_b32_e64 v10, 0, v21, s[2:3]
	v_add_u32_e32 v10, v10, v44
	v_cndmask_b32_e32 v44, v41, v39, vcc
	v_cndmask_b32_e32 v42, v42, v40, vcc
	;; [unrolled: 1-line block ×4, first 2 shown]
	v_cndmask_b32_e64 v43, v42, v44, s[0:1]
	v_cndmask_b32_e64 v41, v41, v42, s[0:1]
	;; [unrolled: 1-line block ×3, first 2 shown]
	v_cndmask_b32_e32 v37, v39, v37, vcc
	v_cndmask_b32_e64 v41, v41, v43, s[2:3]
	v_cndmask_b32_e64 v43, v43, v42, s[2:3]
	v_sub_u32_e32 v44, 32, v10
	v_cndmask_b32_e64 v39, v40, v37, s[0:1]
	v_alignbit_b32 v45, v41, v43, v44
	v_cmp_eq_u32_e64 s[4:5], 0, v10
	v_cndmask_b32_e64 v40, v42, v39, s[2:3]
	v_cndmask_b32_e64 v10, v45, v41, s[4:5]
	v_alignbit_b32 v41, v43, v40, v44
	v_cndmask_b32_e32 v36, v38, v36, vcc
	v_cndmask_b32_e64 v41, v41, v43, s[4:5]
	v_bfe_u32 v45, v10, 29, 1
	v_cndmask_b32_e64 v36, v37, v36, s[0:1]
	v_alignbit_b32 v42, v10, v41, 30
	v_sub_u32_e32 v46, 0, v45
	v_cndmask_b32_e64 v36, v39, v36, s[2:3]
	v_xor_b32_e32 v42, v42, v46
	v_alignbit_b32 v37, v40, v36, v44
	v_cndmask_b32_e64 v37, v37, v40, s[4:5]
	v_ffbh_u32_e32 v39, v42
	v_alignbit_b32 v38, v41, v37, 30
	v_min_u32_e32 v39, 32, v39
	v_alignbit_b32 v36, v37, v36, 30
	v_xor_b32_e32 v38, v38, v46
	v_sub_u32_e32 v40, 31, v39
	v_xor_b32_e32 v36, v36, v46
	v_alignbit_b32 v41, v42, v38, v40
	v_alignbit_b32 v36, v38, v36, v40
	;; [unrolled: 1-line block ×3, first 2 shown]
	v_ffbh_u32_e32 v38, v37
	v_min_u32_e32 v38, 32, v38
	v_lshrrev_b32_e32 v43, 29, v10
	v_not_b32_e32 v40, v38
	v_alignbit_b32 v36, v37, v36, v40
	v_lshlrev_b32_e32 v37, 31, v43
	v_or_b32_e32 v40, 0x33000000, v37
	v_add_lshl_u32 v38, v38, v39, 23
	v_lshrrev_b32_e32 v36, 9, v36
	v_sub_u32_e32 v38, v40, v38
	v_or_b32_e32 v37, 0.5, v37
	v_lshlrev_b32_e32 v39, 23, v39
	v_or_b32_e32 v36, v38, v36
	v_lshrrev_b32_e32 v38, 9, v41
	v_sub_u32_e32 v37, v37, v39
	v_or_b32_e32 v37, v38, v37
	v_mul_f32_e32 v38, 0x3fc90fda, v37
	v_fma_f32 v39, v37, s24, -v38
	v_fmac_f32_e32 v39, 0x33a22168, v37
	v_fmac_f32_e32 v39, 0x3fc90fda, v36
	v_lshrrev_b32_e32 v10, 30, v10
	v_add_f32_e32 v36, v38, v39
	v_add_u32_e32 v37, v45, v10
.LBB150_87:                             ;   in Loop: Header=BB150_73 Depth=1
	s_andn2_saveexec_b64 s[0:1], s[10:11]
; %bb.88:                               ;   in Loop: Header=BB150_73 Depth=1
	v_mul_f32_e64 v10, |v34|, s25
	v_rndne_f32_e32 v10, v10
	v_cvt_i32_f32_e32 v37, v10
	v_fma_f32 v36, v10, s26, |v34|
	v_fmac_f32_e32 v36, 0xb3a22168, v10
	v_fmac_f32_e32 v36, 0xa7c234c4, v10
; %bb.89:                               ;   in Loop: Header=BB150_73 Depth=1
	s_or_b64 exec, exec, s[0:1]
	v_and_b32_e32 v38, 0x7fffffff, v9
	v_cmp_nlt_f32_e64 s[10:11], |v9|, s16
                                        ; implicit-def: $vgpr40
                                        ; implicit-def: $vgpr39
	s_and_saveexec_b64 s[0:1], s[10:11]
	s_xor_b64 s[12:13], exec, s[0:1]
	s_cbranch_execz .LBB150_91
; %bb.90:                               ;   in Loop: Header=BB150_73 Depth=1
	v_and_b32_e32 v10, 0x7fffff, v38
	v_or_b32_e32 v46, 0x800000, v10
	v_mad_u64_u32 v[39:40], s[0:1], v46, s17, 0
	v_mov_b32_e32 v10, v40
	v_mad_u64_u32 v[40:41], s[0:1], v46, s18, v[10:11]
	v_mov_b32_e32 v10, v41
	;; [unrolled: 2-line block ×3, first 2 shown]
	v_mad_u64_u32 v[42:43], s[0:1], v46, s20, v[10:11]
	v_lshrrev_b32_e32 v10, 23, v38
	v_add_u32_e32 v45, 0xffffff88, v10
	v_mov_b32_e32 v10, v43
	v_mad_u64_u32 v[43:44], s[0:1], v46, s21, v[10:11]
	v_cmp_lt_u32_e32 vcc, 63, v45
	v_cndmask_b32_e32 v10, 0, v20, vcc
	v_add_u32_e32 v47, v10, v45
	v_mov_b32_e32 v10, v44
	v_mad_u64_u32 v[44:45], s[0:1], v46, s22, v[10:11]
	v_cmp_lt_u32_e64 s[0:1], 31, v47
	v_cndmask_b32_e64 v10, 0, v21, s[0:1]
	v_add_u32_e32 v47, v10, v47
	v_mov_b32_e32 v10, v45
	v_mad_u64_u32 v[45:46], s[2:3], v46, s23, v[10:11]
	v_cmp_lt_u32_e64 s[2:3], 31, v47
	v_cndmask_b32_e64 v10, 0, v21, s[2:3]
	v_add_u32_e32 v10, v10, v47
	v_cndmask_b32_e32 v47, v44, v42, vcc
	v_cndmask_b32_e32 v45, v45, v43, vcc
	;; [unrolled: 1-line block ×4, first 2 shown]
	v_cndmask_b32_e64 v46, v45, v47, s[0:1]
	v_cndmask_b32_e64 v44, v44, v45, s[0:1]
	;; [unrolled: 1-line block ×3, first 2 shown]
	v_cndmask_b32_e32 v40, v42, v40, vcc
	v_cndmask_b32_e64 v44, v44, v46, s[2:3]
	v_cndmask_b32_e64 v46, v46, v45, s[2:3]
	v_sub_u32_e32 v47, 32, v10
	v_cndmask_b32_e64 v42, v43, v40, s[0:1]
	v_alignbit_b32 v48, v44, v46, v47
	v_cmp_eq_u32_e64 s[4:5], 0, v10
	v_cndmask_b32_e64 v43, v45, v42, s[2:3]
	v_cndmask_b32_e64 v10, v48, v44, s[4:5]
	v_alignbit_b32 v44, v46, v43, v47
	v_cndmask_b32_e32 v39, v41, v39, vcc
	v_cndmask_b32_e64 v44, v44, v46, s[4:5]
	v_bfe_u32 v48, v10, 29, 1
	v_cndmask_b32_e64 v39, v40, v39, s[0:1]
	v_alignbit_b32 v45, v10, v44, 30
	v_sub_u32_e32 v49, 0, v48
	v_cndmask_b32_e64 v39, v42, v39, s[2:3]
	v_xor_b32_e32 v45, v45, v49
	v_alignbit_b32 v40, v43, v39, v47
	v_cndmask_b32_e64 v40, v40, v43, s[4:5]
	v_ffbh_u32_e32 v42, v45
	v_alignbit_b32 v41, v44, v40, 30
	v_min_u32_e32 v42, 32, v42
	v_alignbit_b32 v39, v40, v39, 30
	v_xor_b32_e32 v41, v41, v49
	v_sub_u32_e32 v43, 31, v42
	v_xor_b32_e32 v39, v39, v49
	v_alignbit_b32 v44, v45, v41, v43
	v_alignbit_b32 v39, v41, v39, v43
	;; [unrolled: 1-line block ×3, first 2 shown]
	v_ffbh_u32_e32 v41, v40
	v_min_u32_e32 v41, 32, v41
	v_lshrrev_b32_e32 v46, 29, v10
	v_not_b32_e32 v43, v41
	v_alignbit_b32 v39, v40, v39, v43
	v_lshlrev_b32_e32 v40, 31, v46
	v_or_b32_e32 v43, 0x33000000, v40
	v_add_lshl_u32 v41, v41, v42, 23
	v_lshrrev_b32_e32 v39, 9, v39
	v_sub_u32_e32 v41, v43, v41
	v_or_b32_e32 v40, 0.5, v40
	v_lshlrev_b32_e32 v42, 23, v42
	v_or_b32_e32 v39, v41, v39
	v_lshrrev_b32_e32 v41, 9, v44
	v_sub_u32_e32 v40, v40, v42
	v_or_b32_e32 v40, v41, v40
	v_mul_f32_e32 v41, 0x3fc90fda, v40
	v_fma_f32 v42, v40, s24, -v41
	v_fmac_f32_e32 v42, 0x33a22168, v40
	v_fmac_f32_e32 v42, 0x3fc90fda, v39
	v_lshrrev_b32_e32 v10, 30, v10
	v_add_f32_e32 v39, v41, v42
	v_add_u32_e32 v40, v48, v10
	s_andn2_saveexec_b64 s[0:1], s[12:13]
	s_branch .LBB150_92
.LBB150_91:                             ;   in Loop: Header=BB150_73 Depth=1
	s_andn2_saveexec_b64 s[0:1], s[12:13]
.LBB150_92:                             ;   in Loop: Header=BB150_73 Depth=1
	v_mul_f32_e64 v10, |v9|, s25
	v_rndne_f32_e32 v10, v10
	v_cvt_i32_f32_e32 v40, v10
	v_fma_f32 v39, v10, s26, |v9|
	v_fmac_f32_e32 v39, 0xb3a22168, v10
	v_fmac_f32_e32 v39, 0xa7c234c4, v10
; %bb.93:                               ;   in Loop: Header=BB150_73 Depth=1
	s_or_b64 exec, exec, s[0:1]
                                        ; implicit-def: $vgpr41
                                        ; implicit-def: $vgpr42
	s_and_saveexec_b64 s[0:1], s[10:11]
	s_xor_b64 s[10:11], exec, s[0:1]
	s_cbranch_execz .LBB150_95
; %bb.94:                               ;   in Loop: Header=BB150_73 Depth=1
	v_and_b32_e32 v10, 0x7fffff, v38
	v_or_b32_e32 v48, 0x800000, v10
	v_mad_u64_u32 v[41:42], s[0:1], v48, s17, 0
	v_mov_b32_e32 v10, v42
	v_mad_u64_u32 v[42:43], s[0:1], v48, s18, v[10:11]
	v_mov_b32_e32 v10, v43
	;; [unrolled: 2-line block ×3, first 2 shown]
	v_mad_u64_u32 v[44:45], s[0:1], v48, s20, v[10:11]
	v_lshrrev_b32_e32 v10, 23, v38
	v_add_u32_e32 v47, 0xffffff88, v10
	v_mov_b32_e32 v10, v45
	v_mad_u64_u32 v[45:46], s[0:1], v48, s21, v[10:11]
	v_cmp_lt_u32_e32 vcc, 63, v47
	v_cndmask_b32_e32 v10, 0, v20, vcc
	v_add_u32_e32 v49, v10, v47
	v_mov_b32_e32 v10, v46
	v_mad_u64_u32 v[46:47], s[0:1], v48, s22, v[10:11]
	v_cmp_lt_u32_e64 s[0:1], 31, v49
	v_cndmask_b32_e64 v10, 0, v21, s[0:1]
	v_add_u32_e32 v49, v10, v49
	v_mov_b32_e32 v10, v47
	v_mad_u64_u32 v[47:48], s[2:3], v48, s23, v[10:11]
	v_cmp_lt_u32_e64 s[2:3], 31, v49
	v_cndmask_b32_e64 v10, 0, v21, s[2:3]
	v_add_u32_e32 v10, v10, v49
	v_cndmask_b32_e32 v49, v46, v44, vcc
	v_cndmask_b32_e32 v47, v47, v45, vcc
	;; [unrolled: 1-line block ×4, first 2 shown]
	v_cndmask_b32_e64 v48, v47, v49, s[0:1]
	v_cndmask_b32_e64 v46, v46, v47, s[0:1]
	v_cndmask_b32_e64 v47, v49, v45, s[0:1]
	v_cndmask_b32_e32 v42, v44, v42, vcc
	v_cndmask_b32_e64 v46, v46, v48, s[2:3]
	v_cndmask_b32_e64 v48, v48, v47, s[2:3]
	v_sub_u32_e32 v49, 32, v10
	v_cndmask_b32_e64 v44, v45, v42, s[0:1]
	v_alignbit_b32 v50, v46, v48, v49
	v_cmp_eq_u32_e64 s[4:5], 0, v10
	v_cndmask_b32_e64 v45, v47, v44, s[2:3]
	v_cndmask_b32_e64 v10, v50, v46, s[4:5]
	v_alignbit_b32 v46, v48, v45, v49
	v_cndmask_b32_e32 v41, v43, v41, vcc
	v_cndmask_b32_e64 v46, v46, v48, s[4:5]
	v_bfe_u32 v50, v10, 29, 1
	v_cndmask_b32_e64 v41, v42, v41, s[0:1]
	v_alignbit_b32 v47, v10, v46, 30
	v_sub_u32_e32 v51, 0, v50
	v_cndmask_b32_e64 v41, v44, v41, s[2:3]
	v_xor_b32_e32 v47, v47, v51
	v_alignbit_b32 v42, v45, v41, v49
	v_cndmask_b32_e64 v42, v42, v45, s[4:5]
	v_ffbh_u32_e32 v44, v47
	v_alignbit_b32 v43, v46, v42, 30
	v_min_u32_e32 v44, 32, v44
	v_alignbit_b32 v41, v42, v41, 30
	v_xor_b32_e32 v43, v43, v51
	v_sub_u32_e32 v45, 31, v44
	v_xor_b32_e32 v41, v41, v51
	v_alignbit_b32 v46, v47, v43, v45
	v_alignbit_b32 v41, v43, v41, v45
	;; [unrolled: 1-line block ×3, first 2 shown]
	v_ffbh_u32_e32 v43, v42
	v_min_u32_e32 v43, 32, v43
	v_lshrrev_b32_e32 v48, 29, v10
	v_not_b32_e32 v45, v43
	v_alignbit_b32 v41, v42, v41, v45
	v_lshlrev_b32_e32 v42, 31, v48
	v_or_b32_e32 v45, 0x33000000, v42
	v_add_lshl_u32 v43, v43, v44, 23
	v_lshrrev_b32_e32 v41, 9, v41
	v_sub_u32_e32 v43, v45, v43
	v_or_b32_e32 v42, 0.5, v42
	v_lshlrev_b32_e32 v44, 23, v44
	v_or_b32_e32 v41, v43, v41
	v_lshrrev_b32_e32 v43, 9, v46
	v_sub_u32_e32 v42, v42, v44
	v_or_b32_e32 v42, v43, v42
	v_mul_f32_e32 v43, 0x3fc90fda, v42
	v_fma_f32 v44, v42, s24, -v43
	v_fmac_f32_e32 v44, 0x33a22168, v42
	v_fmac_f32_e32 v44, 0x3fc90fda, v41
	v_lshrrev_b32_e32 v10, 30, v10
	v_add_f32_e32 v42, v43, v44
	v_add_u32_e32 v41, v50, v10
	s_andn2_saveexec_b64 s[0:1], s[10:11]
	s_cbranch_execnz .LBB150_96
	s_branch .LBB150_97
.LBB150_95:                             ;   in Loop: Header=BB150_73 Depth=1
	s_andn2_saveexec_b64 s[0:1], s[10:11]
.LBB150_96:                             ;   in Loop: Header=BB150_73 Depth=1
	v_mul_f32_e64 v10, |v9|, s25
	v_rndne_f32_e32 v10, v10
	v_cvt_i32_f32_e32 v41, v10
	v_fma_f32 v42, v10, s26, |v9|
	v_fmac_f32_e32 v42, 0xb3a22168, v10
	v_fmac_f32_e32 v42, 0xa7c234c4, v10
.LBB150_97:                             ;   in Loop: Header=BB150_73 Depth=1
	s_or_b64 exec, exec, s[0:1]
	s_waitcnt vmcnt(0)
	v_mul_f32_e32 v43, 0.5, v3
	v_and_b32_e32 v44, 0x7fffffff, v43
	v_cmp_nlt_f32_e64 s[0:1], |v43|, s16
                                        ; implicit-def: $vgpr47
                                        ; implicit-def: $vgpr45
	s_and_saveexec_b64 s[2:3], s[0:1]
	s_xor_b64 s[10:11], exec, s[2:3]
	s_cbranch_execz .LBB150_99
; %bb.98:                               ;   in Loop: Header=BB150_73 Depth=1
	v_and_b32_e32 v10, 0x7fffff, v44
	v_or_b32_e32 v52, 0x800000, v10
	v_mad_u64_u32 v[45:46], s[0:1], v52, s17, 0
	v_mov_b32_e32 v10, v46
	v_mad_u64_u32 v[46:47], s[0:1], v52, s18, v[10:11]
	v_mov_b32_e32 v10, v47
	v_mad_u64_u32 v[47:48], s[0:1], v52, s19, v[10:11]
	v_mov_b32_e32 v10, v48
	v_mad_u64_u32 v[48:49], s[0:1], v52, s20, v[10:11]
	v_lshrrev_b32_e32 v10, 23, v44
	v_add_u32_e32 v51, 0xffffff88, v10
	v_mov_b32_e32 v10, v49
	v_mad_u64_u32 v[49:50], s[0:1], v52, s21, v[10:11]
	v_cmp_lt_u32_e32 vcc, 63, v51
	v_cndmask_b32_e32 v10, 0, v20, vcc
	v_add_u32_e32 v53, v10, v51
	v_mov_b32_e32 v10, v50
	v_mad_u64_u32 v[50:51], s[0:1], v52, s22, v[10:11]
	v_cmp_lt_u32_e64 s[0:1], 31, v53
	v_cndmask_b32_e64 v10, 0, v21, s[0:1]
	v_add_u32_e32 v53, v10, v53
	v_mov_b32_e32 v10, v51
	v_mad_u64_u32 v[51:52], s[2:3], v52, s23, v[10:11]
	v_cmp_lt_u32_e64 s[2:3], 31, v53
	v_cndmask_b32_e64 v10, 0, v21, s[2:3]
	v_add_u32_e32 v10, v10, v53
	v_cndmask_b32_e32 v53, v50, v48, vcc
	v_cndmask_b32_e32 v51, v51, v49, vcc
	;; [unrolled: 1-line block ×4, first 2 shown]
	v_cndmask_b32_e64 v52, v51, v53, s[0:1]
	v_cndmask_b32_e64 v50, v50, v51, s[0:1]
	;; [unrolled: 1-line block ×3, first 2 shown]
	v_cndmask_b32_e32 v46, v48, v46, vcc
	v_cndmask_b32_e64 v50, v50, v52, s[2:3]
	v_cndmask_b32_e64 v52, v52, v51, s[2:3]
	v_sub_u32_e32 v53, 32, v10
	v_cndmask_b32_e64 v48, v49, v46, s[0:1]
	v_alignbit_b32 v54, v50, v52, v53
	v_cmp_eq_u32_e64 s[4:5], 0, v10
	v_cndmask_b32_e64 v49, v51, v48, s[2:3]
	v_cndmask_b32_e64 v10, v54, v50, s[4:5]
	v_alignbit_b32 v50, v52, v49, v53
	v_cndmask_b32_e32 v45, v47, v45, vcc
	v_cndmask_b32_e64 v50, v50, v52, s[4:5]
	v_bfe_u32 v54, v10, 29, 1
	v_cndmask_b32_e64 v45, v46, v45, s[0:1]
	v_alignbit_b32 v51, v10, v50, 30
	v_sub_u32_e32 v55, 0, v54
	v_cndmask_b32_e64 v45, v48, v45, s[2:3]
	v_xor_b32_e32 v51, v51, v55
	v_alignbit_b32 v46, v49, v45, v53
	v_cndmask_b32_e64 v46, v46, v49, s[4:5]
	v_ffbh_u32_e32 v48, v51
	v_alignbit_b32 v47, v50, v46, 30
	v_min_u32_e32 v48, 32, v48
	v_alignbit_b32 v45, v46, v45, 30
	v_xor_b32_e32 v47, v47, v55
	v_sub_u32_e32 v49, 31, v48
	v_xor_b32_e32 v45, v45, v55
	v_alignbit_b32 v50, v51, v47, v49
	v_alignbit_b32 v45, v47, v45, v49
	;; [unrolled: 1-line block ×3, first 2 shown]
	v_ffbh_u32_e32 v47, v46
	v_min_u32_e32 v47, 32, v47
	v_lshrrev_b32_e32 v52, 29, v10
	v_not_b32_e32 v49, v47
	v_alignbit_b32 v45, v46, v45, v49
	v_lshlrev_b32_e32 v46, 31, v52
	v_or_b32_e32 v49, 0x33000000, v46
	v_add_lshl_u32 v47, v47, v48, 23
	v_lshrrev_b32_e32 v45, 9, v45
	v_sub_u32_e32 v47, v49, v47
	v_or_b32_e32 v46, 0.5, v46
	v_lshlrev_b32_e32 v48, 23, v48
	v_or_b32_e32 v45, v47, v45
	v_lshrrev_b32_e32 v47, 9, v50
	v_sub_u32_e32 v46, v46, v48
	v_or_b32_e32 v46, v47, v46
	v_mul_f32_e32 v47, 0x3fc90fda, v46
	v_fma_f32 v48, v46, s24, -v47
	v_fmac_f32_e32 v48, 0x33a22168, v46
	v_fmac_f32_e32 v48, 0x3fc90fda, v45
	v_lshrrev_b32_e32 v10, 30, v10
	v_add_f32_e32 v45, v47, v48
	v_add_u32_e32 v47, v54, v10
.LBB150_99:                             ;   in Loop: Header=BB150_73 Depth=1
	s_andn2_saveexec_b64 s[0:1], s[10:11]
; %bb.100:                              ;   in Loop: Header=BB150_73 Depth=1
	v_mul_f32_e64 v10, |v43|, s25
	v_rndne_f32_e32 v10, v10
	v_cvt_i32_f32_e32 v47, v10
	v_fma_f32 v45, v10, s26, |v43|
	v_fmac_f32_e32 v45, 0xb3a22168, v10
	v_fmac_f32_e32 v45, 0xa7c234c4, v10
; %bb.101:                              ;   in Loop: Header=BB150_73 Depth=1
	s_or_b64 exec, exec, s[0:1]
	v_and_b32_e32 v48, 0x7fffffff, v3
	v_cmp_nlt_f32_e64 s[10:11], |v3|, s16
                                        ; implicit-def: $vgpr54
                                        ; implicit-def: $vgpr53
	s_and_saveexec_b64 s[0:1], s[10:11]
	s_xor_b64 s[12:13], exec, s[0:1]
	s_cbranch_execz .LBB150_103
; %bb.102:                              ;   in Loop: Header=BB150_73 Depth=1
	v_and_b32_e32 v10, 0x7fffff, v48
	v_or_b32_e32 v46, 0x800000, v10
	v_mad_u64_u32 v[49:50], s[0:1], v46, s17, 0
	v_mov_b32_e32 v10, v50
	v_mad_u64_u32 v[50:51], s[0:1], v46, s18, v[10:11]
	v_mov_b32_e32 v10, v51
	;; [unrolled: 2-line block ×3, first 2 shown]
	v_mad_u64_u32 v[52:53], s[0:1], v46, s20, v[10:11]
	v_lshrrev_b32_e32 v10, 23, v48
	v_add_u32_e32 v55, 0xffffff88, v10
	v_mov_b32_e32 v10, v53
	v_mad_u64_u32 v[53:54], s[0:1], v46, s21, v[10:11]
	v_cmp_lt_u32_e32 vcc, 63, v55
	v_cndmask_b32_e32 v10, 0, v20, vcc
	v_add_u32_e32 v56, v10, v55
	v_mov_b32_e32 v10, v54
	v_mad_u64_u32 v[54:55], s[0:1], v46, s22, v[10:11]
	v_cmp_lt_u32_e64 s[0:1], 31, v56
	v_cndmask_b32_e64 v10, 0, v21, s[0:1]
	v_add_u32_e32 v57, v10, v56
	v_mov_b32_e32 v10, v55
	v_mad_u64_u32 v[55:56], s[2:3], v46, s23, v[10:11]
	v_cmp_lt_u32_e64 s[2:3], 31, v57
	v_cndmask_b32_e64 v10, 0, v21, s[2:3]
	v_cndmask_b32_e32 v46, v54, v52, vcc
	v_cndmask_b32_e32 v55, v55, v53, vcc
	;; [unrolled: 1-line block ×4, first 2 shown]
	v_add_u32_e32 v10, v10, v57
	v_cndmask_b32_e64 v56, v55, v46, s[0:1]
	v_cndmask_b32_e64 v54, v54, v55, s[0:1]
	;; [unrolled: 1-line block ×3, first 2 shown]
	v_cndmask_b32_e32 v50, v52, v50, vcc
	v_cndmask_b32_e64 v54, v54, v56, s[2:3]
	v_cndmask_b32_e64 v55, v56, v46, s[2:3]
	v_sub_u32_e32 v56, 32, v10
	v_cndmask_b32_e64 v52, v53, v50, s[0:1]
	v_alignbit_b32 v57, v54, v55, v56
	v_cmp_eq_u32_e64 s[4:5], 0, v10
	v_cndmask_b32_e64 v46, v46, v52, s[2:3]
	v_cndmask_b32_e64 v10, v57, v54, s[4:5]
	v_alignbit_b32 v53, v55, v46, v56
	v_cndmask_b32_e32 v49, v51, v49, vcc
	v_cndmask_b32_e64 v53, v53, v55, s[4:5]
	v_bfe_u32 v57, v10, 29, 1
	v_cndmask_b32_e64 v49, v50, v49, s[0:1]
	v_alignbit_b32 v54, v10, v53, 30
	v_sub_u32_e32 v58, 0, v57
	v_cndmask_b32_e64 v49, v52, v49, s[2:3]
	v_xor_b32_e32 v54, v54, v58
	v_alignbit_b32 v50, v46, v49, v56
	v_cndmask_b32_e64 v46, v50, v46, s[4:5]
	v_ffbh_u32_e32 v51, v54
	v_alignbit_b32 v50, v53, v46, 30
	v_min_u32_e32 v51, 32, v51
	v_alignbit_b32 v46, v46, v49, 30
	v_xor_b32_e32 v50, v50, v58
	v_sub_u32_e32 v52, 31, v51
	v_xor_b32_e32 v46, v46, v58
	v_alignbit_b32 v53, v54, v50, v52
	v_alignbit_b32 v46, v50, v46, v52
	;; [unrolled: 1-line block ×3, first 2 shown]
	v_ffbh_u32_e32 v50, v49
	v_min_u32_e32 v50, 32, v50
	v_lshrrev_b32_e32 v55, 29, v10
	v_not_b32_e32 v52, v50
	v_alignbit_b32 v46, v49, v46, v52
	v_lshlrev_b32_e32 v49, 31, v55
	v_or_b32_e32 v52, 0x33000000, v49
	v_add_lshl_u32 v50, v50, v51, 23
	v_lshrrev_b32_e32 v46, 9, v46
	v_sub_u32_e32 v50, v52, v50
	v_or_b32_e32 v49, 0.5, v49
	v_lshlrev_b32_e32 v51, 23, v51
	v_or_b32_e32 v46, v50, v46
	v_lshrrev_b32_e32 v50, 9, v53
	v_sub_u32_e32 v49, v49, v51
	v_or_b32_e32 v49, v50, v49
	v_mul_f32_e32 v50, 0x3fc90fda, v49
	v_fma_f32 v51, v49, s24, -v50
	v_fmac_f32_e32 v51, 0x33a22168, v49
	v_fmac_f32_e32 v51, 0x3fc90fda, v46
	v_lshrrev_b32_e32 v10, 30, v10
	v_add_f32_e32 v53, v50, v51
	v_add_u32_e32 v54, v57, v10
	s_andn2_saveexec_b64 s[0:1], s[12:13]
	s_branch .LBB150_104
.LBB150_103:                            ;   in Loop: Header=BB150_73 Depth=1
	s_andn2_saveexec_b64 s[0:1], s[12:13]
.LBB150_104:                            ;   in Loop: Header=BB150_73 Depth=1
	v_mul_f32_e64 v10, |v3|, s25
	v_rndne_f32_e32 v10, v10
	v_cvt_i32_f32_e32 v54, v10
	v_fma_f32 v53, v10, s26, |v3|
	v_fmac_f32_e32 v53, 0xb3a22168, v10
	v_fmac_f32_e32 v53, 0xa7c234c4, v10
; %bb.105:                              ;   in Loop: Header=BB150_73 Depth=1
	s_or_b64 exec, exec, s[0:1]
                                        ; implicit-def: $vgpr55
                                        ; implicit-def: $vgpr56
	s_and_saveexec_b64 s[0:1], s[10:11]
	s_xor_b64 s[10:11], exec, s[0:1]
	s_cbranch_execz .LBB150_107
; %bb.106:                              ;   in Loop: Header=BB150_73 Depth=1
	v_and_b32_e32 v10, 0x7fffff, v48
	v_or_b32_e32 v46, 0x800000, v10
	v_mad_u64_u32 v[49:50], s[0:1], v46, s17, 0
	v_mov_b32_e32 v10, v50
	v_mad_u64_u32 v[50:51], s[0:1], v46, s18, v[10:11]
	v_mov_b32_e32 v10, v51
	;; [unrolled: 2-line block ×3, first 2 shown]
	v_mad_u64_u32 v[55:56], s[0:1], v46, s20, v[10:11]
	v_lshrrev_b32_e32 v10, 23, v48
	v_add_u32_e32 v52, 0xffffff88, v10
	v_mov_b32_e32 v10, v56
	v_mad_u64_u32 v[56:57], s[0:1], v46, s21, v[10:11]
	v_cmp_lt_u32_e32 vcc, 63, v52
	v_cndmask_b32_e32 v10, 0, v20, vcc
	v_add_u32_e32 v52, v10, v52
	v_mov_b32_e32 v10, v57
	v_mad_u64_u32 v[57:58], s[0:1], v46, s22, v[10:11]
	v_cmp_lt_u32_e64 s[0:1], 31, v52
	v_cndmask_b32_e64 v10, 0, v21, s[0:1]
	v_add_u32_e32 v52, v10, v52
	v_mov_b32_e32 v10, v58
	v_mad_u64_u32 v[58:59], s[2:3], v46, s23, v[10:11]
	v_cmp_lt_u32_e64 s[2:3], 31, v52
	v_cndmask_b32_e64 v10, 0, v21, s[2:3]
	v_add_u32_e32 v10, v10, v52
	v_cndmask_b32_e32 v46, v57, v55, vcc
	v_cndmask_b32_e32 v52, v58, v56, vcc
	;; [unrolled: 1-line block ×4, first 2 shown]
	v_cndmask_b32_e64 v58, v52, v46, s[0:1]
	v_cndmask_b32_e64 v52, v57, v52, s[0:1]
	;; [unrolled: 1-line block ×5, first 2 shown]
	v_sub_u32_e32 v58, 32, v10
	v_alignbit_b32 v59, v52, v57, v58
	v_cmp_eq_u32_e64 s[4:5], 0, v10
	v_cndmask_b32_e32 v50, v55, v50, vcc
	v_cndmask_b32_e64 v10, v59, v52, s[4:5]
	v_cndmask_b32_e64 v52, v56, v50, s[0:1]
	v_cndmask_b32_e64 v46, v46, v52, s[2:3]
	v_alignbit_b32 v55, v57, v46, v58
	v_cndmask_b32_e32 v49, v51, v49, vcc
	v_cndmask_b32_e64 v55, v55, v57, s[4:5]
	v_bfe_u32 v59, v10, 29, 1
	v_cndmask_b32_e64 v49, v50, v49, s[0:1]
	v_alignbit_b32 v56, v10, v55, 30
	v_sub_u32_e32 v60, 0, v59
	v_cndmask_b32_e64 v49, v52, v49, s[2:3]
	v_xor_b32_e32 v56, v56, v60
	v_alignbit_b32 v50, v46, v49, v58
	v_cndmask_b32_e64 v46, v50, v46, s[4:5]
	v_ffbh_u32_e32 v51, v56
	v_alignbit_b32 v50, v55, v46, 30
	v_min_u32_e32 v51, 32, v51
	v_alignbit_b32 v46, v46, v49, 30
	v_xor_b32_e32 v50, v50, v60
	v_sub_u32_e32 v52, 31, v51
	v_xor_b32_e32 v46, v46, v60
	v_alignbit_b32 v55, v56, v50, v52
	v_alignbit_b32 v46, v50, v46, v52
	v_alignbit_b32 v49, v55, v46, 9
	v_ffbh_u32_e32 v50, v49
	v_min_u32_e32 v50, 32, v50
	v_lshrrev_b32_e32 v57, 29, v10
	v_not_b32_e32 v52, v50
	v_alignbit_b32 v46, v49, v46, v52
	v_lshlrev_b32_e32 v49, 31, v57
	v_or_b32_e32 v52, 0x33000000, v49
	v_add_lshl_u32 v50, v50, v51, 23
	v_lshrrev_b32_e32 v46, 9, v46
	v_sub_u32_e32 v50, v52, v50
	v_or_b32_e32 v49, 0.5, v49
	v_lshlrev_b32_e32 v51, 23, v51
	v_or_b32_e32 v46, v50, v46
	v_lshrrev_b32_e32 v50, 9, v55
	v_sub_u32_e32 v49, v49, v51
	v_or_b32_e32 v49, v50, v49
	v_mul_f32_e32 v50, 0x3fc90fda, v49
	v_fma_f32 v51, v49, s24, -v50
	v_fmac_f32_e32 v51, 0x33a22168, v49
	v_fmac_f32_e32 v51, 0x3fc90fda, v46
	v_lshrrev_b32_e32 v10, 30, v10
	v_add_f32_e32 v56, v50, v51
	v_add_u32_e32 v55, v59, v10
	s_andn2_saveexec_b64 s[0:1], s[10:11]
	s_cbranch_execnz .LBB150_108
	s_branch .LBB150_109
.LBB150_107:                            ;   in Loop: Header=BB150_73 Depth=1
	s_andn2_saveexec_b64 s[0:1], s[10:11]
.LBB150_108:                            ;   in Loop: Header=BB150_73 Depth=1
	v_mul_f32_e64 v10, |v3|, s25
	v_rndne_f32_e32 v10, v10
	v_cvt_i32_f32_e32 v55, v10
	v_fma_f32 v56, v10, s26, |v3|
	v_fmac_f32_e32 v56, 0xb3a22168, v10
	v_fmac_f32_e32 v56, 0xa7c234c4, v10
.LBB150_109:                            ;   in Loop: Header=BB150_73 Depth=1
	s_or_b64 exec, exec, s[0:1]
	v_mul_f32_e32 v46, 0.5, v5
	v_and_b32_e32 v49, 0x7fffffff, v46
	v_cmp_nlt_f32_e64 s[0:1], |v46|, s16
                                        ; implicit-def: $vgpr51
                                        ; implicit-def: $vgpr50
	s_and_saveexec_b64 s[2:3], s[0:1]
	s_xor_b64 s[10:11], exec, s[2:3]
	s_cbranch_execz .LBB150_111
; %bb.110:                              ;   in Loop: Header=BB150_73 Depth=1
	v_and_b32_e32 v10, 0x7fffff, v49
	v_or_b32_e32 v62, 0x800000, v10
	v_mad_u64_u32 v[50:51], s[0:1], v62, s17, 0
	v_mov_b32_e32 v10, v51
	v_mad_u64_u32 v[51:52], s[0:1], v62, s18, v[10:11]
	v_mov_b32_e32 v10, v52
	;; [unrolled: 2-line block ×3, first 2 shown]
	v_mad_u64_u32 v[58:59], s[0:1], v62, s20, v[10:11]
	v_lshrrev_b32_e32 v10, 23, v49
	v_add_u32_e32 v52, 0xffffff88, v10
	v_mov_b32_e32 v10, v59
	v_mad_u64_u32 v[59:60], s[0:1], v62, s21, v[10:11]
	v_cmp_lt_u32_e32 vcc, 63, v52
	v_cndmask_b32_e32 v10, 0, v20, vcc
	v_add_u32_e32 v52, v10, v52
	v_mov_b32_e32 v10, v60
	v_mad_u64_u32 v[60:61], s[2:3], v62, s22, v[10:11]
	v_cmp_lt_u32_e64 s[0:1], 31, v52
	v_cndmask_b32_e64 v10, 0, v21, s[0:1]
	v_add_u32_e32 v52, v10, v52
	v_mov_b32_e32 v10, v61
	v_mad_u64_u32 v[61:62], s[4:5], v62, s23, v[10:11]
	v_cmp_lt_u32_e64 s[2:3], 31, v52
	v_cndmask_b32_e64 v10, 0, v21, s[2:3]
	v_add_u32_e32 v10, v10, v52
	v_cndmask_b32_e32 v52, v60, v58, vcc
	v_cndmask_b32_e32 v61, v61, v59, vcc
	;; [unrolled: 1-line block ×4, first 2 shown]
	v_cndmask_b32_e64 v62, v61, v52, s[0:1]
	v_cndmask_b32_e64 v60, v60, v61, s[0:1]
	;; [unrolled: 1-line block ×3, first 2 shown]
	v_cndmask_b32_e32 v51, v58, v51, vcc
	v_cndmask_b32_e64 v60, v60, v62, s[2:3]
	v_cndmask_b32_e64 v61, v62, v52, s[2:3]
	v_sub_u32_e32 v62, 32, v10
	v_cndmask_b32_e64 v58, v59, v51, s[0:1]
	v_alignbit_b32 v63, v60, v61, v62
	v_cmp_eq_u32_e64 s[4:5], 0, v10
	v_cndmask_b32_e64 v52, v52, v58, s[2:3]
	v_cndmask_b32_e64 v10, v63, v60, s[4:5]
	v_alignbit_b32 v59, v61, v52, v62
	v_cndmask_b32_e32 v50, v57, v50, vcc
	v_cndmask_b32_e64 v59, v59, v61, s[4:5]
	v_bfe_u32 v63, v10, 29, 1
	v_cndmask_b32_e64 v50, v51, v50, s[0:1]
	v_alignbit_b32 v60, v10, v59, 30
	v_sub_u32_e32 v64, 0, v63
	v_cndmask_b32_e64 v50, v58, v50, s[2:3]
	v_xor_b32_e32 v60, v60, v64
	v_alignbit_b32 v51, v52, v50, v62
	v_cndmask_b32_e64 v51, v51, v52, s[4:5]
	v_ffbh_u32_e32 v57, v60
	v_alignbit_b32 v52, v59, v51, 30
	v_min_u32_e32 v57, 32, v57
	v_alignbit_b32 v50, v51, v50, 30
	v_xor_b32_e32 v52, v52, v64
	v_sub_u32_e32 v58, 31, v57
	v_xor_b32_e32 v50, v50, v64
	v_alignbit_b32 v59, v60, v52, v58
	v_alignbit_b32 v50, v52, v50, v58
	;; [unrolled: 1-line block ×3, first 2 shown]
	v_ffbh_u32_e32 v52, v51
	v_min_u32_e32 v52, 32, v52
	v_lshrrev_b32_e32 v61, 29, v10
	v_not_b32_e32 v58, v52
	v_alignbit_b32 v50, v51, v50, v58
	v_lshlrev_b32_e32 v51, 31, v61
	v_or_b32_e32 v58, 0x33000000, v51
	v_add_lshl_u32 v52, v52, v57, 23
	v_lshrrev_b32_e32 v50, 9, v50
	v_sub_u32_e32 v52, v58, v52
	v_or_b32_e32 v51, 0.5, v51
	v_lshlrev_b32_e32 v57, 23, v57
	v_or_b32_e32 v50, v52, v50
	v_lshrrev_b32_e32 v52, 9, v59
	v_sub_u32_e32 v51, v51, v57
	v_or_b32_e32 v51, v52, v51
	v_mul_f32_e32 v52, 0x3fc90fda, v51
	v_fma_f32 v57, v51, s24, -v52
	v_fmac_f32_e32 v57, 0x33a22168, v51
	v_fmac_f32_e32 v57, 0x3fc90fda, v50
	v_lshrrev_b32_e32 v10, 30, v10
	v_add_f32_e32 v50, v52, v57
	v_add_u32_e32 v51, v63, v10
.LBB150_111:                            ;   in Loop: Header=BB150_73 Depth=1
	s_andn2_saveexec_b64 s[0:1], s[10:11]
; %bb.112:                              ;   in Loop: Header=BB150_73 Depth=1
	v_mul_f32_e64 v10, |v46|, s25
	v_rndne_f32_e32 v10, v10
	v_cvt_i32_f32_e32 v51, v10
	v_fma_f32 v50, v10, s26, |v46|
	v_fmac_f32_e32 v50, 0xb3a22168, v10
	v_fmac_f32_e32 v50, 0xa7c234c4, v10
; %bb.113:                              ;   in Loop: Header=BB150_73 Depth=1
	s_or_b64 exec, exec, s[0:1]
	v_and_b32_e32 v52, 0x7fffffff, v5
	v_cmp_nlt_f32_e64 s[10:11], |v5|, s16
                                        ; implicit-def: $vgpr58
                                        ; implicit-def: $vgpr57
	s_and_saveexec_b64 s[0:1], s[10:11]
	s_xor_b64 s[12:13], exec, s[0:1]
	s_cbranch_execz .LBB150_115
; %bb.114:                              ;   in Loop: Header=BB150_73 Depth=1
	v_and_b32_e32 v10, 0x7fffff, v52
	v_or_b32_e32 v64, 0x800000, v10
	v_mad_u64_u32 v[57:58], s[0:1], v64, s17, 0
	v_mov_b32_e32 v10, v58
	v_mad_u64_u32 v[58:59], s[0:1], v64, s18, v[10:11]
	v_mov_b32_e32 v10, v59
	;; [unrolled: 2-line block ×3, first 2 shown]
	v_mad_u64_u32 v[60:61], s[0:1], v64, s20, v[10:11]
	v_lshrrev_b32_e32 v10, 23, v52
	v_add_u32_e32 v63, 0xffffff88, v10
	v_mov_b32_e32 v10, v61
	v_mad_u64_u32 v[61:62], s[0:1], v64, s21, v[10:11]
	v_cmp_lt_u32_e32 vcc, 63, v63
	v_cndmask_b32_e32 v10, 0, v20, vcc
	v_add_u32_e32 v65, v10, v63
	v_mov_b32_e32 v10, v62
	v_mad_u64_u32 v[62:63], s[0:1], v64, s22, v[10:11]
	v_cmp_lt_u32_e64 s[0:1], 31, v65
	v_cndmask_b32_e64 v10, 0, v21, s[0:1]
	v_add_u32_e32 v65, v10, v65
	v_mov_b32_e32 v10, v63
	v_mad_u64_u32 v[63:64], s[2:3], v64, s23, v[10:11]
	v_cmp_lt_u32_e64 s[2:3], 31, v65
	v_cndmask_b32_e64 v10, 0, v21, s[2:3]
	v_add_u32_e32 v10, v10, v65
	v_cndmask_b32_e32 v65, v62, v60, vcc
	v_cndmask_b32_e32 v63, v63, v61, vcc
	;; [unrolled: 1-line block ×4, first 2 shown]
	v_cndmask_b32_e64 v64, v63, v65, s[0:1]
	v_cndmask_b32_e64 v62, v62, v63, s[0:1]
	;; [unrolled: 1-line block ×3, first 2 shown]
	v_cndmask_b32_e32 v58, v60, v58, vcc
	v_cndmask_b32_e64 v62, v62, v64, s[2:3]
	v_cndmask_b32_e64 v64, v64, v63, s[2:3]
	v_sub_u32_e32 v65, 32, v10
	v_cndmask_b32_e64 v60, v61, v58, s[0:1]
	v_alignbit_b32 v66, v62, v64, v65
	v_cmp_eq_u32_e64 s[4:5], 0, v10
	v_cndmask_b32_e64 v61, v63, v60, s[2:3]
	v_cndmask_b32_e64 v10, v66, v62, s[4:5]
	v_alignbit_b32 v62, v64, v61, v65
	v_cndmask_b32_e32 v57, v59, v57, vcc
	v_cndmask_b32_e64 v62, v62, v64, s[4:5]
	v_bfe_u32 v66, v10, 29, 1
	v_cndmask_b32_e64 v57, v58, v57, s[0:1]
	v_alignbit_b32 v63, v10, v62, 30
	v_sub_u32_e32 v67, 0, v66
	v_cndmask_b32_e64 v57, v60, v57, s[2:3]
	v_xor_b32_e32 v63, v63, v67
	v_alignbit_b32 v58, v61, v57, v65
	v_cndmask_b32_e64 v58, v58, v61, s[4:5]
	v_ffbh_u32_e32 v60, v63
	v_alignbit_b32 v59, v62, v58, 30
	v_min_u32_e32 v60, 32, v60
	v_alignbit_b32 v57, v58, v57, 30
	v_xor_b32_e32 v59, v59, v67
	v_sub_u32_e32 v61, 31, v60
	v_xor_b32_e32 v57, v57, v67
	v_alignbit_b32 v62, v63, v59, v61
	v_alignbit_b32 v57, v59, v57, v61
	;; [unrolled: 1-line block ×3, first 2 shown]
	v_ffbh_u32_e32 v59, v58
	v_min_u32_e32 v59, 32, v59
	v_lshrrev_b32_e32 v64, 29, v10
	v_not_b32_e32 v61, v59
	v_alignbit_b32 v57, v58, v57, v61
	v_lshlrev_b32_e32 v58, 31, v64
	v_or_b32_e32 v61, 0x33000000, v58
	v_add_lshl_u32 v59, v59, v60, 23
	v_lshrrev_b32_e32 v57, 9, v57
	v_sub_u32_e32 v59, v61, v59
	v_or_b32_e32 v58, 0.5, v58
	v_lshlrev_b32_e32 v60, 23, v60
	v_or_b32_e32 v57, v59, v57
	v_lshrrev_b32_e32 v59, 9, v62
	v_sub_u32_e32 v58, v58, v60
	v_or_b32_e32 v58, v59, v58
	v_mul_f32_e32 v59, 0x3fc90fda, v58
	v_fma_f32 v60, v58, s24, -v59
	v_fmac_f32_e32 v60, 0x33a22168, v58
	v_fmac_f32_e32 v60, 0x3fc90fda, v57
	v_lshrrev_b32_e32 v10, 30, v10
	v_add_f32_e32 v57, v59, v60
	v_add_u32_e32 v58, v66, v10
	s_andn2_saveexec_b64 s[0:1], s[12:13]
	s_branch .LBB150_116
.LBB150_115:                            ;   in Loop: Header=BB150_73 Depth=1
	s_andn2_saveexec_b64 s[0:1], s[12:13]
.LBB150_116:                            ;   in Loop: Header=BB150_73 Depth=1
	v_mul_f32_e64 v10, |v5|, s25
	v_rndne_f32_e32 v10, v10
	v_cvt_i32_f32_e32 v58, v10
	v_fma_f32 v57, v10, s26, |v5|
	v_fmac_f32_e32 v57, 0xb3a22168, v10
	v_fmac_f32_e32 v57, 0xa7c234c4, v10
; %bb.117:                              ;   in Loop: Header=BB150_73 Depth=1
	s_or_b64 exec, exec, s[0:1]
                                        ; implicit-def: $vgpr10
                                        ; implicit-def: $vgpr59
	s_and_saveexec_b64 s[0:1], s[10:11]
	s_xor_b64 s[10:11], exec, s[0:1]
	s_cbranch_execz .LBB150_119
; %bb.118:                              ;   in Loop: Header=BB150_73 Depth=1
	v_and_b32_e32 v10, 0x7fffff, v52
	v_or_b32_e32 v66, 0x800000, v10
	v_mad_u64_u32 v[59:60], s[0:1], v66, s17, 0
	v_mov_b32_e32 v10, v60
	v_mad_u64_u32 v[60:61], s[0:1], v66, s18, v[10:11]
	v_mov_b32_e32 v10, v61
	;; [unrolled: 2-line block ×3, first 2 shown]
	v_mad_u64_u32 v[62:63], s[0:1], v66, s20, v[10:11]
	v_lshrrev_b32_e32 v10, 23, v52
	v_add_u32_e32 v65, 0xffffff88, v10
	v_mov_b32_e32 v10, v63
	v_mad_u64_u32 v[63:64], s[0:1], v66, s21, v[10:11]
	v_cmp_lt_u32_e32 vcc, 63, v65
	v_cndmask_b32_e32 v10, 0, v20, vcc
	v_add_u32_e32 v67, v10, v65
	v_mov_b32_e32 v10, v64
	v_mad_u64_u32 v[64:65], s[0:1], v66, s22, v[10:11]
	v_cmp_lt_u32_e64 s[0:1], 31, v67
	v_cndmask_b32_e64 v10, 0, v21, s[0:1]
	v_add_u32_e32 v67, v10, v67
	v_mov_b32_e32 v10, v65
	v_mad_u64_u32 v[65:66], s[2:3], v66, s23, v[10:11]
	v_cmp_lt_u32_e64 s[2:3], 31, v67
	v_cndmask_b32_e64 v10, 0, v21, s[2:3]
	v_add_u32_e32 v10, v10, v67
	v_cndmask_b32_e32 v67, v64, v62, vcc
	v_cndmask_b32_e32 v65, v65, v63, vcc
	;; [unrolled: 1-line block ×4, first 2 shown]
	v_cndmask_b32_e64 v66, v65, v67, s[0:1]
	v_cndmask_b32_e64 v64, v64, v65, s[0:1]
	;; [unrolled: 1-line block ×3, first 2 shown]
	v_cndmask_b32_e32 v60, v62, v60, vcc
	v_cndmask_b32_e64 v64, v64, v66, s[2:3]
	v_cndmask_b32_e64 v66, v66, v65, s[2:3]
	v_sub_u32_e32 v67, 32, v10
	v_cndmask_b32_e64 v62, v63, v60, s[0:1]
	v_alignbit_b32 v68, v64, v66, v67
	v_cmp_eq_u32_e64 s[4:5], 0, v10
	v_cndmask_b32_e64 v63, v65, v62, s[2:3]
	v_cndmask_b32_e64 v10, v68, v64, s[4:5]
	v_alignbit_b32 v64, v66, v63, v67
	v_cndmask_b32_e32 v59, v61, v59, vcc
	v_cndmask_b32_e64 v64, v64, v66, s[4:5]
	v_bfe_u32 v68, v10, 29, 1
	v_cndmask_b32_e64 v59, v60, v59, s[0:1]
	v_alignbit_b32 v65, v10, v64, 30
	v_sub_u32_e32 v69, 0, v68
	v_cndmask_b32_e64 v59, v62, v59, s[2:3]
	v_xor_b32_e32 v65, v65, v69
	v_alignbit_b32 v60, v63, v59, v67
	v_cndmask_b32_e64 v60, v60, v63, s[4:5]
	v_ffbh_u32_e32 v62, v65
	v_alignbit_b32 v61, v64, v60, 30
	v_min_u32_e32 v62, 32, v62
	v_alignbit_b32 v59, v60, v59, 30
	v_xor_b32_e32 v61, v61, v69
	v_sub_u32_e32 v63, 31, v62
	v_xor_b32_e32 v59, v59, v69
	v_alignbit_b32 v64, v65, v61, v63
	v_alignbit_b32 v59, v61, v59, v63
	;; [unrolled: 1-line block ×3, first 2 shown]
	v_ffbh_u32_e32 v61, v60
	v_min_u32_e32 v61, 32, v61
	v_lshrrev_b32_e32 v66, 29, v10
	v_not_b32_e32 v63, v61
	v_alignbit_b32 v59, v60, v59, v63
	v_lshlrev_b32_e32 v60, 31, v66
	v_or_b32_e32 v63, 0x33000000, v60
	v_add_lshl_u32 v61, v61, v62, 23
	v_lshrrev_b32_e32 v59, 9, v59
	v_sub_u32_e32 v61, v63, v61
	v_or_b32_e32 v60, 0.5, v60
	v_lshlrev_b32_e32 v62, 23, v62
	v_or_b32_e32 v59, v61, v59
	v_lshrrev_b32_e32 v61, 9, v64
	v_sub_u32_e32 v60, v60, v62
	v_or_b32_e32 v60, v61, v60
	v_mul_f32_e32 v61, 0x3fc90fda, v60
	v_fma_f32 v62, v60, s24, -v61
	v_fmac_f32_e32 v62, 0x33a22168, v60
	v_fmac_f32_e32 v62, 0x3fc90fda, v59
	v_lshrrev_b32_e32 v10, 30, v10
	v_add_f32_e32 v59, v61, v62
	v_add_u32_e32 v10, v68, v10
	s_andn2_saveexec_b64 s[0:1], s[10:11]
	s_cbranch_execz .LBB150_72
	s_branch .LBB150_120
.LBB150_119:                            ;   in Loop: Header=BB150_73 Depth=1
	s_andn2_saveexec_b64 s[0:1], s[10:11]
	s_cbranch_execz .LBB150_72
.LBB150_120:                            ;   in Loop: Header=BB150_73 Depth=1
	v_mul_f32_e64 v10, |v5|, s25
	v_rndne_f32_e32 v60, v10
	v_cvt_i32_f32_e32 v10, v60
	v_fma_f32 v59, v60, s26, |v5|
	v_fmac_f32_e32 v59, 0xb3a22168, v60
	v_fmac_f32_e32 v59, 0xa7c234c4, v60
	s_branch .LBB150_72
.LBB150_121:
	s_endpgm
	.section	.rodata,"a",@progbits
	.p2align	6, 0x0
	.amdhsa_kernel _ZN2at6native12_GLOBAL__N_125multi_tensor_apply_kernelINS1_18TensorListMetadataILi1EEENS1_14UnaryOpFunctorIN3c107complexIfEELi1ELi1ELi0EEEJNS0_5Expm1IS8_EEEEEvT_T0_DpT1_
		.amdhsa_group_segment_fixed_size 0
		.amdhsa_private_segment_fixed_size 0
		.amdhsa_kernarg_size 3632
		.amdhsa_user_sgpr_count 6
		.amdhsa_user_sgpr_private_segment_buffer 1
		.amdhsa_user_sgpr_dispatch_ptr 0
		.amdhsa_user_sgpr_queue_ptr 0
		.amdhsa_user_sgpr_kernarg_segment_ptr 1
		.amdhsa_user_sgpr_dispatch_id 0
		.amdhsa_user_sgpr_flat_scratch_init 0
		.amdhsa_user_sgpr_private_segment_size 0
		.amdhsa_uses_dynamic_stack 0
		.amdhsa_system_sgpr_private_segment_wavefront_offset 0
		.amdhsa_system_sgpr_workgroup_id_x 1
		.amdhsa_system_sgpr_workgroup_id_y 0
		.amdhsa_system_sgpr_workgroup_id_z 0
		.amdhsa_system_sgpr_workgroup_info 0
		.amdhsa_system_vgpr_workitem_id 0
		.amdhsa_next_free_vgpr 79
		.amdhsa_next_free_sgpr 55
		.amdhsa_reserve_vcc 1
		.amdhsa_reserve_flat_scratch 0
		.amdhsa_float_round_mode_32 0
		.amdhsa_float_round_mode_16_64 0
		.amdhsa_float_denorm_mode_32 3
		.amdhsa_float_denorm_mode_16_64 3
		.amdhsa_dx10_clamp 1
		.amdhsa_ieee_mode 1
		.amdhsa_fp16_overflow 0
		.amdhsa_exception_fp_ieee_invalid_op 0
		.amdhsa_exception_fp_denorm_src 0
		.amdhsa_exception_fp_ieee_div_zero 0
		.amdhsa_exception_fp_ieee_overflow 0
		.amdhsa_exception_fp_ieee_underflow 0
		.amdhsa_exception_fp_ieee_inexact 0
		.amdhsa_exception_int_div_zero 0
	.end_amdhsa_kernel
	.section	.text._ZN2at6native12_GLOBAL__N_125multi_tensor_apply_kernelINS1_18TensorListMetadataILi1EEENS1_14UnaryOpFunctorIN3c107complexIfEELi1ELi1ELi0EEEJNS0_5Expm1IS8_EEEEEvT_T0_DpT1_,"axG",@progbits,_ZN2at6native12_GLOBAL__N_125multi_tensor_apply_kernelINS1_18TensorListMetadataILi1EEENS1_14UnaryOpFunctorIN3c107complexIfEELi1ELi1ELi0EEEJNS0_5Expm1IS8_EEEEEvT_T0_DpT1_,comdat
.Lfunc_end150:
	.size	_ZN2at6native12_GLOBAL__N_125multi_tensor_apply_kernelINS1_18TensorListMetadataILi1EEENS1_14UnaryOpFunctorIN3c107complexIfEELi1ELi1ELi0EEEJNS0_5Expm1IS8_EEEEEvT_T0_DpT1_, .Lfunc_end150-_ZN2at6native12_GLOBAL__N_125multi_tensor_apply_kernelINS1_18TensorListMetadataILi1EEENS1_14UnaryOpFunctorIN3c107complexIfEELi1ELi1ELi0EEEJNS0_5Expm1IS8_EEEEEvT_T0_DpT1_
                                        ; -- End function
	.set _ZN2at6native12_GLOBAL__N_125multi_tensor_apply_kernelINS1_18TensorListMetadataILi1EEENS1_14UnaryOpFunctorIN3c107complexIfEELi1ELi1ELi0EEEJNS0_5Expm1IS8_EEEEEvT_T0_DpT1_.num_vgpr, 79
	.set _ZN2at6native12_GLOBAL__N_125multi_tensor_apply_kernelINS1_18TensorListMetadataILi1EEENS1_14UnaryOpFunctorIN3c107complexIfEELi1ELi1ELi0EEEJNS0_5Expm1IS8_EEEEEvT_T0_DpT1_.num_agpr, 0
	.set _ZN2at6native12_GLOBAL__N_125multi_tensor_apply_kernelINS1_18TensorListMetadataILi1EEENS1_14UnaryOpFunctorIN3c107complexIfEELi1ELi1ELi0EEEJNS0_5Expm1IS8_EEEEEvT_T0_DpT1_.numbered_sgpr, 55
	.set _ZN2at6native12_GLOBAL__N_125multi_tensor_apply_kernelINS1_18TensorListMetadataILi1EEENS1_14UnaryOpFunctorIN3c107complexIfEELi1ELi1ELi0EEEJNS0_5Expm1IS8_EEEEEvT_T0_DpT1_.num_named_barrier, 0
	.set _ZN2at6native12_GLOBAL__N_125multi_tensor_apply_kernelINS1_18TensorListMetadataILi1EEENS1_14UnaryOpFunctorIN3c107complexIfEELi1ELi1ELi0EEEJNS0_5Expm1IS8_EEEEEvT_T0_DpT1_.private_seg_size, 0
	.set _ZN2at6native12_GLOBAL__N_125multi_tensor_apply_kernelINS1_18TensorListMetadataILi1EEENS1_14UnaryOpFunctorIN3c107complexIfEELi1ELi1ELi0EEEJNS0_5Expm1IS8_EEEEEvT_T0_DpT1_.uses_vcc, 1
	.set _ZN2at6native12_GLOBAL__N_125multi_tensor_apply_kernelINS1_18TensorListMetadataILi1EEENS1_14UnaryOpFunctorIN3c107complexIfEELi1ELi1ELi0EEEJNS0_5Expm1IS8_EEEEEvT_T0_DpT1_.uses_flat_scratch, 0
	.set _ZN2at6native12_GLOBAL__N_125multi_tensor_apply_kernelINS1_18TensorListMetadataILi1EEENS1_14UnaryOpFunctorIN3c107complexIfEELi1ELi1ELi0EEEJNS0_5Expm1IS8_EEEEEvT_T0_DpT1_.has_dyn_sized_stack, 0
	.set _ZN2at6native12_GLOBAL__N_125multi_tensor_apply_kernelINS1_18TensorListMetadataILi1EEENS1_14UnaryOpFunctorIN3c107complexIfEELi1ELi1ELi0EEEJNS0_5Expm1IS8_EEEEEvT_T0_DpT1_.has_recursion, 0
	.set _ZN2at6native12_GLOBAL__N_125multi_tensor_apply_kernelINS1_18TensorListMetadataILi1EEENS1_14UnaryOpFunctorIN3c107complexIfEELi1ELi1ELi0EEEJNS0_5Expm1IS8_EEEEEvT_T0_DpT1_.has_indirect_call, 0
	.section	.AMDGPU.csdata,"",@progbits
; Kernel info:
; codeLenInByte = 20948
; TotalNumSgprs: 59
; NumVgprs: 79
; ScratchSize: 0
; MemoryBound: 1
; FloatMode: 240
; IeeeMode: 1
; LDSByteSize: 0 bytes/workgroup (compile time only)
; SGPRBlocks: 7
; VGPRBlocks: 19
; NumSGPRsForWavesPerEU: 59
; NumVGPRsForWavesPerEU: 79
; Occupancy: 3
; WaveLimiterHint : 0
; COMPUTE_PGM_RSRC2:SCRATCH_EN: 0
; COMPUTE_PGM_RSRC2:USER_SGPR: 6
; COMPUTE_PGM_RSRC2:TRAP_HANDLER: 0
; COMPUTE_PGM_RSRC2:TGID_X_EN: 1
; COMPUTE_PGM_RSRC2:TGID_Y_EN: 0
; COMPUTE_PGM_RSRC2:TGID_Z_EN: 0
; COMPUTE_PGM_RSRC2:TIDIG_COMP_CNT: 0
	.section	.text._ZN2at6native12_GLOBAL__N_125multi_tensor_apply_kernelINS1_18TensorListMetadataILi1EEENS1_14UnaryOpFunctorIN3c104HalfELi1ELi1ELi0EEEJNS0_5Expm1IfEEEEEvT_T0_DpT1_,"axG",@progbits,_ZN2at6native12_GLOBAL__N_125multi_tensor_apply_kernelINS1_18TensorListMetadataILi1EEENS1_14UnaryOpFunctorIN3c104HalfELi1ELi1ELi0EEEJNS0_5Expm1IfEEEEEvT_T0_DpT1_,comdat
	.globl	_ZN2at6native12_GLOBAL__N_125multi_tensor_apply_kernelINS1_18TensorListMetadataILi1EEENS1_14UnaryOpFunctorIN3c104HalfELi1ELi1ELi0EEEJNS0_5Expm1IfEEEEEvT_T0_DpT1_ ; -- Begin function _ZN2at6native12_GLOBAL__N_125multi_tensor_apply_kernelINS1_18TensorListMetadataILi1EEENS1_14UnaryOpFunctorIN3c104HalfELi1ELi1ELi0EEEJNS0_5Expm1IfEEEEEvT_T0_DpT1_
	.p2align	8
	.type	_ZN2at6native12_GLOBAL__N_125multi_tensor_apply_kernelINS1_18TensorListMetadataILi1EEENS1_14UnaryOpFunctorIN3c104HalfELi1ELi1ELi0EEEJNS0_5Expm1IfEEEEEvT_T0_DpT1_,@function
_ZN2at6native12_GLOBAL__N_125multi_tensor_apply_kernelINS1_18TensorListMetadataILi1EEENS1_14UnaryOpFunctorIN3c104HalfELi1ELi1ELi0EEEJNS0_5Expm1IfEEEEEvT_T0_DpT1_: ; @_ZN2at6native12_GLOBAL__N_125multi_tensor_apply_kernelINS1_18TensorListMetadataILi1EEENS1_14UnaryOpFunctorIN3c104HalfELi1ELi1ELi0EEEJNS0_5Expm1IfEEEEEvT_T0_DpT1_
; %bb.0:
	v_mov_b32_e32 v1, s6
	global_load_ubyte v1, v1, s[4:5] offset:1760
	s_add_u32 s0, s4, s6
	s_mul_hi_u32 s1, s6, 3
	s_mul_i32 s6, s6, 3
	s_addc_u32 s2, s5, 0
	s_add_u32 s0, s0, s6
	s_addc_u32 s1, s2, s1
	s_load_dword s0, s[0:1], 0x820
	s_mov_b32 s7, 0
	s_waitcnt vmcnt(0)
	v_readfirstlane_b32 s1, v1
	s_lshl_b32 s1, s1, 3
	s_load_dwordx2 s[2:3], s[4:5], s1 offset:0x370
	s_load_dwordx2 s[10:11], s[4:5], s1 offset:0x0
	s_waitcnt lgkmcnt(0)
	s_ashr_i32 s1, s0, 31
	s_lshl_b64 s[12:13], s[0:1], 17
	s_lshl_b64 s[0:1], s[0:1], 16
	s_and_b32 s6, s10, 7
	s_sub_u32 s14, s2, s0
	s_subb_u32 s15, s3, s1
	s_and_b32 s0, s2, 3
	s_mov_b32 s1, s7
	s_or_b64 s[0:1], s[6:7], s[0:1]
	s_cmp_eq_u64 s[0:1], 0
	s_cbranch_scc1 .LBB151_21
; %bb.1:
	v_cmp_lt_i64_e64 s[0:1], s[14:15], 1
	s_and_b64 vcc, exec, s[0:1]
	s_cbranch_vccnz .LBB151_20
; %bb.2:
	v_mov_b32_e32 v1, 0x10000
	s_load_dword s2, s[4:5], 0xd3c
	v_mov_b32_e32 v2, 0
	v_cmp_lt_i64_e32 vcc, s[14:15], v[1:2]
	s_mov_b64 s[20:21], 0
	s_and_b64 s[0:1], vcc, exec
	v_cmp_lt_u64_e32 vcc, s[14:15], v[1:2]
	s_cselect_b32 s17, s15, 0
	s_cselect_b32 s16, s14, 0x10000
	s_waitcnt lgkmcnt(0)
	s_and_b32 s2, s2, 0xffff
	s_and_b64 s[0:1], vcc, exec
	s_cselect_b32 s19, s15, 0
	s_cselect_b32 s18, s14, 0x10000
	s_lshl_b32 s3, s2, 1
	s_lshl_b32 s24, s2, 2
	s_add_u32 s6, s10, s12
	v_lshlrev_b32_e32 v1, 1, v0
	s_addc_u32 s7, s11, s13
	v_mov_b32_e32 v2, s7
	v_add_co_u32_e32 v1, vcc, s6, v1
	s_mul_i32 s0, s2, 3
	v_addc_co_u32_e32 v2, vcc, 0, v2, vcc
	v_add_co_u32_e32 v5, vcc, s0, v0
	v_addc_co_u32_e64 v6, s[0:1], 0, 0, vcc
	v_add_co_u32_e32 v7, vcc, s3, v0
	v_addc_co_u32_e64 v8, s[0:1], 0, 0, vcc
	v_add_co_u32_e32 v9, vcc, s2, v0
	v_lshlrev_b32_e32 v3, 1, v9
	v_addc_co_u32_e64 v10, s[0:1], 0, 0, vcc
	v_mov_b32_e32 v4, s7
	v_add_co_u32_e32 v3, vcc, s6, v3
	s_lshl_b32 s25, s2, 3
	s_mul_i32 s26, s2, 6
	v_addc_co_u32_e32 v4, vcc, 0, v4, vcc
	s_mov_b32 s27, 0x43000000
	s_mov_b32 s28, 0xbf317218
	v_mov_b32_e32 v11, 0x3c0887f9
	v_mov_b32_e32 v12, 0x3d2aaa81
	;; [unrolled: 1-line block ×3, first 2 shown]
	s_mov_b32 s29, 0x42b17217
	s_mov_b32 s30, 0xcc40
	v_mov_b32_e32 v14, 0x7f000000
	v_mov_b32_e32 v15, 0x7f800000
	;; [unrolled: 1-line block ×3, first 2 shown]
	s_branch .LBB151_4
.LBB151_3:                              ;   in Loop: Header=BB151_4 Depth=1
	s_or_b64 exec, exec, s[0:1]
	s_add_u32 s20, s20, s24
	v_add_co_u32_e32 v1, vcc, s25, v1
	s_waitcnt vmcnt(0)
	v_mov_b32_e32 v18, s17
	s_addc_u32 s21, s21, 0
	v_addc_co_u32_e32 v2, vcc, 0, v2, vcc
	v_mov_b32_e32 v17, s16
	v_cmp_lt_i64_e32 vcc, s[20:21], v[17:18]
	v_add_co_u32_e64 v3, s[0:1], s25, v3
	v_addc_co_u32_e64 v4, s[0:1], 0, v4, s[0:1]
	s_cbranch_vccz .LBB151_20
.LBB151_4:                              ; =>This Inner Loop Header: Depth=1
	v_mov_b32_e32 v18, s21
	v_add_co_u32_e32 v17, vcc, s20, v0
	v_addc_co_u32_e32 v18, vcc, 0, v18, vcc
	v_cmp_gt_u64_e64 s[6:7], s[18:19], v[17:18]
	v_mov_b32_e32 v20, 0
	s_and_saveexec_b64 s[0:1], s[6:7]
	s_cbranch_execz .LBB151_6
; %bb.5:                                ;   in Loop: Header=BB151_4 Depth=1
	global_load_ushort v20, v[1:2], off
.LBB151_6:                              ;   in Loop: Header=BB151_4 Depth=1
	s_or_b64 exec, exec, s[0:1]
	v_mov_b32_e32 v18, s21
	v_add_co_u32_e32 v17, vcc, s20, v9
	v_addc_co_u32_e32 v18, vcc, v10, v18, vcc
	v_cmp_gt_u64_e64 s[2:3], s[18:19], v[17:18]
	v_mov_b32_e32 v18, 0
	v_mov_b32_e32 v19, 0
	s_and_saveexec_b64 s[0:1], s[2:3]
	s_cbranch_execz .LBB151_8
; %bb.7:                                ;   in Loop: Header=BB151_4 Depth=1
	global_load_ushort v19, v[3:4], off
.LBB151_8:                              ;   in Loop: Header=BB151_4 Depth=1
	s_or_b64 exec, exec, s[0:1]
	v_mov_b32_e32 v17, s21
	v_add_co_u32_e32 v21, vcc, s20, v7
	v_addc_co_u32_e32 v22, vcc, v8, v17, vcc
	v_cmp_gt_u64_e64 s[0:1], s[18:19], v[21:22]
	s_and_saveexec_b64 s[8:9], s[0:1]
	s_cbranch_execz .LBB151_10
; %bb.9:                                ;   in Loop: Header=BB151_4 Depth=1
	v_add_co_u32_e32 v17, vcc, s24, v1
	v_addc_co_u32_e32 v18, vcc, 0, v2, vcc
	global_load_ushort v18, v[17:18], off
.LBB151_10:                             ;   in Loop: Header=BB151_4 Depth=1
	s_or_b64 exec, exec, s[8:9]
	v_mov_b32_e32 v17, s21
	v_add_co_u32_e32 v21, vcc, s20, v5
	v_addc_co_u32_e32 v22, vcc, v6, v17, vcc
	v_cmp_gt_u64_e32 vcc, s[18:19], v[21:22]
	v_mov_b32_e32 v17, 0
	s_and_saveexec_b64 s[22:23], vcc
	s_cbranch_execnz .LBB151_15
; %bb.11:                               ;   in Loop: Header=BB151_4 Depth=1
	s_or_b64 exec, exec, s[22:23]
	s_and_saveexec_b64 s[8:9], s[6:7]
	s_cbranch_execnz .LBB151_16
.LBB151_12:                             ;   in Loop: Header=BB151_4 Depth=1
	s_or_b64 exec, exec, s[8:9]
	s_and_saveexec_b64 s[6:7], s[2:3]
	s_cbranch_execnz .LBB151_17
.LBB151_13:                             ;   in Loop: Header=BB151_4 Depth=1
	s_or_b64 exec, exec, s[6:7]
	s_and_saveexec_b64 s[2:3], s[0:1]
	s_cbranch_execnz .LBB151_18
.LBB151_14:                             ;   in Loop: Header=BB151_4 Depth=1
	s_or_b64 exec, exec, s[2:3]
	s_and_saveexec_b64 s[0:1], vcc
	s_cbranch_execz .LBB151_3
	s_branch .LBB151_19
.LBB151_15:                             ;   in Loop: Header=BB151_4 Depth=1
	v_add_co_u32_e64 v21, s[8:9], s26, v1
	v_addc_co_u32_e64 v22, s[8:9], 0, v2, s[8:9]
	global_load_ushort v17, v[21:22], off
	s_or_b64 exec, exec, s[22:23]
	s_and_saveexec_b64 s[8:9], s[6:7]
	s_cbranch_execz .LBB151_12
.LBB151_16:                             ;   in Loop: Header=BB151_4 Depth=1
	s_waitcnt vmcnt(0)
	v_cvt_f32_f16_e32 v21, v20
	v_mov_b32_e32 v22, 0x3ab69700
	v_mul_f32_e32 v23, 0x3fb8aa3b, v21
	v_rndne_f32_e32 v23, v23
	v_fma_mix_f32 v25, v23, s28, v20 op_sel_hi:[0,0,1]
	v_fmac_f32_e32 v25, 0x3102e308, v23
	v_cvt_i32_f32_e32 v24, v23
	v_fmac_f32_e32 v22, 0x395133b1, v25
	v_fma_f32 v22, v25, v22, v11
	v_fma_f32 v22, v25, v22, v12
	;; [unrolled: 1-line block ×3, first 2 shown]
	v_ldexp_f32 v24, 1.0, v24
	v_cmp_eq_f32_e64 s[6:7], s27, v23
	v_fma_f32 v22, v25, v22, 0.5
	v_cndmask_b32_e64 v23, v24, v14, s[6:7]
	v_mul_f32_e32 v22, v25, v22
	v_fmac_f32_e32 v25, v25, v22
	v_add_f32_e32 v22, -1.0, v23
	v_fmac_f32_e32 v22, v23, v25
	v_add_f32_e32 v23, v22, v22
	v_cndmask_b32_e64 v22, v22, v23, s[6:7]
	v_cmp_nlt_f32_e64 s[6:7], s29, v21
	v_cndmask_b32_e64 v21, v15, v22, s[6:7]
	v_cvt_f16_f32_e32 v21, v21
	v_cmp_ngt_f16_e64 s[6:7], s30, v20
	v_cndmask_b32_e64 v20, v16, v21, s[6:7]
	global_store_short v[1:2], v20, off
	s_or_b64 exec, exec, s[8:9]
	s_and_saveexec_b64 s[6:7], s[2:3]
	s_cbranch_execz .LBB151_13
.LBB151_17:                             ;   in Loop: Header=BB151_4 Depth=1
	s_waitcnt vmcnt(0)
	v_cvt_f32_f16_e32 v20, v19
	v_mov_b32_e32 v21, 0x3ab69700
	v_mul_f32_e32 v22, 0x3fb8aa3b, v20
	v_rndne_f32_e32 v22, v22
	v_fma_mix_f32 v23, v22, s28, v19 op_sel_hi:[0,0,1]
	v_fmac_f32_e32 v23, 0x3102e308, v22
	v_fmac_f32_e32 v21, 0x395133b1, v23
	v_cvt_i32_f32_e32 v24, v22
	v_fma_f32 v21, v23, v21, v11
	v_fma_f32 v21, v23, v21, v12
	;; [unrolled: 1-line block ×3, first 2 shown]
	v_fma_f32 v21, v23, v21, 0.5
	v_ldexp_f32 v24, 1.0, v24
	v_mul_f32_e32 v21, v23, v21
	v_cmp_eq_f32_e64 s[2:3], s27, v22
	v_fmac_f32_e32 v23, v23, v21
	v_cndmask_b32_e64 v21, v24, v14, s[2:3]
	v_add_f32_e32 v22, -1.0, v21
	v_fmac_f32_e32 v22, v21, v23
	v_add_f32_e32 v21, v22, v22
	v_cndmask_b32_e64 v21, v22, v21, s[2:3]
	v_cmp_nlt_f32_e64 s[2:3], s29, v20
	v_cndmask_b32_e64 v20, v15, v21, s[2:3]
	v_cvt_f16_f32_e32 v20, v20
	v_cmp_ngt_f16_e64 s[2:3], s30, v19
	v_cndmask_b32_e64 v19, v16, v20, s[2:3]
	global_store_short v[3:4], v19, off
	s_or_b64 exec, exec, s[6:7]
	s_and_saveexec_b64 s[2:3], s[0:1]
	s_cbranch_execz .LBB151_14
.LBB151_18:                             ;   in Loop: Header=BB151_4 Depth=1
	s_waitcnt vmcnt(0)
	v_cvt_f32_f16_e32 v19, v18
	v_mov_b32_e32 v20, 0x3ab69700
	v_mul_f32_e32 v21, 0x3fb8aa3b, v19
	v_rndne_f32_e32 v21, v21
	v_fma_mix_f32 v22, v21, s28, v18 op_sel_hi:[0,0,1]
	v_fmac_f32_e32 v22, 0x3102e308, v21
	v_fmac_f32_e32 v20, 0x395133b1, v22
	v_cvt_i32_f32_e32 v23, v21
	v_fma_f32 v20, v22, v20, v11
	v_fma_f32 v20, v22, v20, v12
	;; [unrolled: 1-line block ×3, first 2 shown]
	v_fma_f32 v20, v22, v20, 0.5
	v_ldexp_f32 v23, 1.0, v23
	v_mul_f32_e32 v20, v22, v20
	v_cmp_eq_f32_e64 s[0:1], s27, v21
	v_fmac_f32_e32 v22, v22, v20
	v_cndmask_b32_e64 v20, v23, v14, s[0:1]
	v_add_f32_e32 v21, -1.0, v20
	v_fmac_f32_e32 v21, v20, v22
	v_add_f32_e32 v20, v21, v21
	v_cndmask_b32_e64 v20, v21, v20, s[0:1]
	v_cmp_nlt_f32_e64 s[0:1], s29, v19
	v_cndmask_b32_e64 v19, v15, v20, s[0:1]
	v_cvt_f16_f32_e32 v19, v19
	v_cmp_ngt_f16_e64 s[0:1], s30, v18
	v_cndmask_b32_e64 v20, v16, v19, s[0:1]
	v_add_co_u32_e64 v18, s[0:1], s24, v1
	v_addc_co_u32_e64 v19, s[0:1], 0, v2, s[0:1]
	global_store_short v[18:19], v20, off
	s_or_b64 exec, exec, s[2:3]
	s_and_saveexec_b64 s[0:1], vcc
	s_cbranch_execz .LBB151_3
.LBB151_19:                             ;   in Loop: Header=BB151_4 Depth=1
	s_waitcnt vmcnt(0)
	v_cvt_f32_f16_e32 v18, v17
	v_mov_b32_e32 v19, 0x3ab69700
	v_mul_f32_e32 v20, 0x3fb8aa3b, v18
	v_rndne_f32_e32 v20, v20
	v_fma_mix_f32 v21, v20, s28, v17 op_sel_hi:[0,0,1]
	v_fmac_f32_e32 v21, 0x3102e308, v20
	v_fmac_f32_e32 v19, 0x395133b1, v21
	v_cvt_i32_f32_e32 v22, v20
	v_fma_f32 v19, v21, v19, v11
	v_fma_f32 v19, v21, v19, v12
	;; [unrolled: 1-line block ×3, first 2 shown]
	v_fma_f32 v19, v21, v19, 0.5
	v_ldexp_f32 v22, 1.0, v22
	v_mul_f32_e32 v19, v21, v19
	v_cmp_eq_f32_e32 vcc, s27, v20
	v_fmac_f32_e32 v21, v21, v19
	v_cndmask_b32_e32 v19, v22, v14, vcc
	v_add_f32_e32 v20, -1.0, v19
	v_fmac_f32_e32 v20, v19, v21
	v_add_f32_e32 v19, v20, v20
	v_cndmask_b32_e32 v19, v20, v19, vcc
	v_cmp_nlt_f32_e32 vcc, s29, v18
	v_cndmask_b32_e32 v18, v15, v19, vcc
	v_cvt_f16_f32_e32 v18, v18
	v_cmp_ngt_f16_e32 vcc, s30, v17
	v_cndmask_b32_e32 v19, v16, v18, vcc
	v_add_co_u32_e32 v17, vcc, s26, v1
	v_addc_co_u32_e32 v18, vcc, 0, v2, vcc
	global_store_short v[17:18], v19, off
	s_branch .LBB151_3
.LBB151_20:
	s_cbranch_execz .LBB151_22
	s_branch .LBB151_25
.LBB151_21:
.LBB151_22:
	v_mov_b32_e32 v1, 0x10000
	v_mov_b32_e32 v2, 0
	v_cmp_lt_i64_e32 vcc, s[14:15], v[1:2]
	v_mov_b32_e32 v2, 0
	s_and_b64 s[0:1], vcc, exec
	s_cselect_b32 s7, s15, 0
	s_cselect_b32 s6, s14, 0x10000
	v_lshlrev_b32_e32 v1, 2, v0
	v_cmp_gt_i64_e32 vcc, s[6:7], v[1:2]
	s_and_saveexec_b64 s[0:1], vcc
	s_cbranch_execz .LBB151_25
; %bb.23:
	s_load_dword s0, s[4:5], 0xd3c
	v_mov_b32_e32 v1, v2
	v_lshlrev_b32_e32 v2, 3, v0
	s_mov_b64 s[8:9], 0
	v_mov_b32_e32 v4, 0x3c0887f9
	s_waitcnt lgkmcnt(0)
	s_and_b32 s14, s0, 0xffff
	s_add_u32 s0, s10, s12
	s_addc_u32 s1, s11, s13
	v_mov_b32_e32 v3, s1
	v_add_co_u32_e32 v2, vcc, s0, v2
	v_addc_co_u32_e32 v3, vcc, 0, v3, vcc
	v_add_co_u32_e32 v2, vcc, 4, v2
	v_addc_co_u32_e32 v3, vcc, 0, v3, vcc
	s_lshl_b32 s10, s14, 3
	s_mov_b32 s11, 0xbf317218
	v_mov_b32_e32 v5, 0x3d2aaa81
	v_mov_b32_e32 v6, 0x3e2aaaab
	s_mov_b32 s12, 0x43000000
	v_mov_b32_e32 v7, 0x7f000000
	s_mov_b32 s13, 0x42b17217
	;; [unrolled: 2-line block ×3, first 2 shown]
	v_mov_b32_e32 v9, 0xbc00
.LBB151_24:                             ; =>This Inner Loop Header: Depth=1
	global_load_dwordx2 v[10:11], v[2:3], off offset:-4
	v_mov_b32_e32 v12, 0x3ab69700
	v_mov_b32_e32 v13, 0x3ab69700
	;; [unrolled: 1-line block ×3, first 2 shown]
	s_waitcnt vmcnt(0)
	v_cvt_f32_f16_e32 v15, v10
	v_cvt_f32_f16_sdwa v16, v10 dst_sel:DWORD dst_unused:UNUSED_PAD src0_sel:WORD_1
	v_cvt_f32_f16_e32 v17, v11
	v_cvt_f32_f16_sdwa v18, v11 dst_sel:DWORD dst_unused:UNUSED_PAD src0_sel:WORD_1
	v_mul_f32_e32 v19, 0x3fb8aa3b, v15
	v_rndne_f32_e32 v19, v19
	v_fma_mix_f32 v23, v19, s11, v10 op_sel_hi:[0,0,1]
	v_fmac_f32_e32 v23, 0x3102e308, v19
	v_cvt_i32_f32_e32 v21, v19
	v_fmac_f32_e32 v12, 0x395133b1, v23
	v_fma_f32 v12, v23, v12, v4
	v_fma_f32 v12, v23, v12, v5
	;; [unrolled: 1-line block ×3, first 2 shown]
	v_ldexp_f32 v21, 1.0, v21
	v_cmp_eq_f32_e32 vcc, s12, v19
	v_fma_f32 v12, v23, v12, 0.5
	v_mul_f32_e32 v20, 0x3fb8aa3b, v16
	v_cndmask_b32_e32 v21, v21, v7, vcc
	v_mul_f32_e32 v12, v23, v12
	v_rndne_f32_e32 v20, v20
	v_fmac_f32_e32 v23, v23, v12
	v_add_f32_e32 v12, -1.0, v21
	v_fmac_f32_e32 v12, v21, v23
	v_fma_mix_f32 v23, v20, s11, v10 op_sel:[0,0,1] op_sel_hi:[0,0,1]
	v_fmac_f32_e32 v23, 0x3102e308, v20
	v_cvt_i32_f32_e32 v21, v20
	v_fmac_f32_e32 v13, 0x395133b1, v23
	v_fma_f32 v13, v23, v13, v4
	v_fma_f32 v13, v23, v13, v5
	;; [unrolled: 1-line block ×3, first 2 shown]
	v_ldexp_f32 v21, 1.0, v21
	v_cmp_eq_f32_e64 s[0:1], s12, v20
	v_fma_f32 v13, v23, v13, 0.5
	v_mul_f32_e32 v22, 0x3fb8aa3b, v17
	v_cndmask_b32_e64 v21, v21, v7, s[0:1]
	v_mul_f32_e32 v13, v23, v13
	v_rndne_f32_e32 v22, v22
	v_fmac_f32_e32 v23, v23, v13
	v_add_f32_e32 v13, -1.0, v21
	v_mul_f32_e32 v19, 0x3fb8aa3b, v18
	v_fmac_f32_e32 v13, v21, v23
	v_fma_mix_f32 v21, v22, s11, v11 op_sel_hi:[0,0,1]
	v_rndne_f32_e32 v19, v19
	v_fmac_f32_e32 v21, 0x3102e308, v22
	v_cvt_i32_f32_e32 v20, v22
	v_cmp_eq_f32_e64 s[2:3], s12, v22
	v_fma_mix_f32 v22, v19, s11, v11 op_sel:[0,0,1] op_sel_hi:[0,0,1]
	v_fmac_f32_e32 v14, 0x395133b1, v21
	v_cvt_i32_f32_e32 v23, v19
	v_fmac_f32_e32 v22, 0x3102e308, v19
	v_cmp_eq_f32_e64 s[4:5], s12, v19
	v_mov_b32_e32 v19, 0x3ab69700
	v_fma_f32 v14, v21, v14, v4
	v_fmac_f32_e32 v19, 0x395133b1, v22
	v_fma_f32 v14, v21, v14, v5
	v_fma_f32 v19, v22, v19, v4
	;; [unrolled: 1-line block ×3, first 2 shown]
	v_ldexp_f32 v20, 1.0, v20
	v_fma_f32 v19, v22, v19, v5
	v_fma_f32 v14, v21, v14, 0.5
	v_cndmask_b32_e64 v20, v20, v7, s[2:3]
	v_fma_f32 v19, v22, v19, v6
	v_mul_f32_e32 v14, v21, v14
	v_ldexp_f32 v23, 1.0, v23
	v_fmac_f32_e32 v21, v21, v14
	v_add_f32_e32 v14, -1.0, v20
	v_fma_f32 v19, v22, v19, 0.5
	v_cndmask_b32_e64 v23, v23, v7, s[4:5]
	v_mul_f32_e32 v19, v22, v19
	v_fmac_f32_e32 v14, v20, v21
	v_add_f32_e32 v20, v12, v12
	v_fmac_f32_e32 v22, v22, v19
	v_add_f32_e32 v19, -1.0, v23
	v_add_f32_e32 v21, v13, v13
	v_cndmask_b32_e32 v12, v12, v20, vcc
	v_cmp_nlt_f32_e32 vcc, s13, v15
	v_fmac_f32_e32 v19, v23, v22
	v_add_f32_e32 v22, v14, v14
	v_cndmask_b32_e64 v13, v13, v21, s[0:1]
	v_cndmask_b32_e32 v12, v8, v12, vcc
	v_cmp_nlt_f32_e32 vcc, s13, v16
	v_add_f32_e32 v23, v19, v19
	v_cndmask_b32_e64 v14, v14, v22, s[2:3]
	v_cndmask_b32_e32 v13, v8, v13, vcc
	v_cmp_nlt_f32_e32 vcc, s13, v17
	v_cvt_f16_f32_e32 v12, v12
	v_cndmask_b32_e64 v19, v19, v23, s[4:5]
	v_cndmask_b32_e32 v14, v8, v14, vcc
	v_cmp_nlt_f32_e32 vcc, s13, v18
	v_cvt_f16_f32_e32 v13, v13
	v_cndmask_b32_e32 v15, v8, v19, vcc
	v_cvt_f16_f32_e32 v14, v14
	v_cvt_f16_f32_e32 v15, v15
	v_cmp_ngt_f16_e32 vcc, s15, v10
	v_cndmask_b32_e32 v16, v9, v12, vcc
	v_cmp_nlt_f16_sdwa vcc, v10, s15 src0_sel:WORD_1 src1_sel:DWORD
	v_cndmask_b32_e32 v10, v9, v13, vcc
	v_cmp_ngt_f16_e32 vcc, s15, v11
	v_cndmask_b32_e32 v12, v9, v14, vcc
	v_cmp_nlt_f16_sdwa vcc, v11, s15 src0_sel:WORD_1 src1_sel:DWORD
	v_cndmask_b32_e32 v11, v9, v15, vcc
	v_add_co_u32_e32 v0, vcc, s14, v0
	v_addc_co_u32_e32 v1, vcc, 0, v1, vcc
	v_pack_b32_f16 v11, v12, v11
	v_lshlrev_b64 v[12:13], 2, v[0:1]
	v_pack_b32_f16 v10, v16, v10
	v_cmp_le_i64_e32 vcc, s[6:7], v[12:13]
	global_store_dwordx2 v[2:3], v[10:11], off offset:-4
	s_or_b64 s[8:9], vcc, s[8:9]
	v_add_co_u32_e32 v2, vcc, s10, v2
	v_addc_co_u32_e32 v3, vcc, 0, v3, vcc
	s_andn2_b64 exec, exec, s[8:9]
	s_cbranch_execnz .LBB151_24
.LBB151_25:
	s_endpgm
	.section	.rodata,"a",@progbits
	.p2align	6, 0x0
	.amdhsa_kernel _ZN2at6native12_GLOBAL__N_125multi_tensor_apply_kernelINS1_18TensorListMetadataILi1EEENS1_14UnaryOpFunctorIN3c104HalfELi1ELi1ELi0EEEJNS0_5Expm1IfEEEEEvT_T0_DpT1_
		.amdhsa_group_segment_fixed_size 0
		.amdhsa_private_segment_fixed_size 0
		.amdhsa_kernarg_size 3632
		.amdhsa_user_sgpr_count 6
		.amdhsa_user_sgpr_private_segment_buffer 1
		.amdhsa_user_sgpr_dispatch_ptr 0
		.amdhsa_user_sgpr_queue_ptr 0
		.amdhsa_user_sgpr_kernarg_segment_ptr 1
		.amdhsa_user_sgpr_dispatch_id 0
		.amdhsa_user_sgpr_flat_scratch_init 0
		.amdhsa_user_sgpr_private_segment_size 0
		.amdhsa_uses_dynamic_stack 0
		.amdhsa_system_sgpr_private_segment_wavefront_offset 0
		.amdhsa_system_sgpr_workgroup_id_x 1
		.amdhsa_system_sgpr_workgroup_id_y 0
		.amdhsa_system_sgpr_workgroup_id_z 0
		.amdhsa_system_sgpr_workgroup_info 0
		.amdhsa_system_vgpr_workitem_id 0
		.amdhsa_next_free_vgpr 26
		.amdhsa_next_free_sgpr 31
		.amdhsa_reserve_vcc 1
		.amdhsa_reserve_flat_scratch 0
		.amdhsa_float_round_mode_32 0
		.amdhsa_float_round_mode_16_64 0
		.amdhsa_float_denorm_mode_32 3
		.amdhsa_float_denorm_mode_16_64 3
		.amdhsa_dx10_clamp 1
		.amdhsa_ieee_mode 1
		.amdhsa_fp16_overflow 0
		.amdhsa_exception_fp_ieee_invalid_op 0
		.amdhsa_exception_fp_denorm_src 0
		.amdhsa_exception_fp_ieee_div_zero 0
		.amdhsa_exception_fp_ieee_overflow 0
		.amdhsa_exception_fp_ieee_underflow 0
		.amdhsa_exception_fp_ieee_inexact 0
		.amdhsa_exception_int_div_zero 0
	.end_amdhsa_kernel
	.section	.text._ZN2at6native12_GLOBAL__N_125multi_tensor_apply_kernelINS1_18TensorListMetadataILi1EEENS1_14UnaryOpFunctorIN3c104HalfELi1ELi1ELi0EEEJNS0_5Expm1IfEEEEEvT_T0_DpT1_,"axG",@progbits,_ZN2at6native12_GLOBAL__N_125multi_tensor_apply_kernelINS1_18TensorListMetadataILi1EEENS1_14UnaryOpFunctorIN3c104HalfELi1ELi1ELi0EEEJNS0_5Expm1IfEEEEEvT_T0_DpT1_,comdat
.Lfunc_end151:
	.size	_ZN2at6native12_GLOBAL__N_125multi_tensor_apply_kernelINS1_18TensorListMetadataILi1EEENS1_14UnaryOpFunctorIN3c104HalfELi1ELi1ELi0EEEJNS0_5Expm1IfEEEEEvT_T0_DpT1_, .Lfunc_end151-_ZN2at6native12_GLOBAL__N_125multi_tensor_apply_kernelINS1_18TensorListMetadataILi1EEENS1_14UnaryOpFunctorIN3c104HalfELi1ELi1ELi0EEEJNS0_5Expm1IfEEEEEvT_T0_DpT1_
                                        ; -- End function
	.set _ZN2at6native12_GLOBAL__N_125multi_tensor_apply_kernelINS1_18TensorListMetadataILi1EEENS1_14UnaryOpFunctorIN3c104HalfELi1ELi1ELi0EEEJNS0_5Expm1IfEEEEEvT_T0_DpT1_.num_vgpr, 26
	.set _ZN2at6native12_GLOBAL__N_125multi_tensor_apply_kernelINS1_18TensorListMetadataILi1EEENS1_14UnaryOpFunctorIN3c104HalfELi1ELi1ELi0EEEJNS0_5Expm1IfEEEEEvT_T0_DpT1_.num_agpr, 0
	.set _ZN2at6native12_GLOBAL__N_125multi_tensor_apply_kernelINS1_18TensorListMetadataILi1EEENS1_14UnaryOpFunctorIN3c104HalfELi1ELi1ELi0EEEJNS0_5Expm1IfEEEEEvT_T0_DpT1_.numbered_sgpr, 31
	.set _ZN2at6native12_GLOBAL__N_125multi_tensor_apply_kernelINS1_18TensorListMetadataILi1EEENS1_14UnaryOpFunctorIN3c104HalfELi1ELi1ELi0EEEJNS0_5Expm1IfEEEEEvT_T0_DpT1_.num_named_barrier, 0
	.set _ZN2at6native12_GLOBAL__N_125multi_tensor_apply_kernelINS1_18TensorListMetadataILi1EEENS1_14UnaryOpFunctorIN3c104HalfELi1ELi1ELi0EEEJNS0_5Expm1IfEEEEEvT_T0_DpT1_.private_seg_size, 0
	.set _ZN2at6native12_GLOBAL__N_125multi_tensor_apply_kernelINS1_18TensorListMetadataILi1EEENS1_14UnaryOpFunctorIN3c104HalfELi1ELi1ELi0EEEJNS0_5Expm1IfEEEEEvT_T0_DpT1_.uses_vcc, 1
	.set _ZN2at6native12_GLOBAL__N_125multi_tensor_apply_kernelINS1_18TensorListMetadataILi1EEENS1_14UnaryOpFunctorIN3c104HalfELi1ELi1ELi0EEEJNS0_5Expm1IfEEEEEvT_T0_DpT1_.uses_flat_scratch, 0
	.set _ZN2at6native12_GLOBAL__N_125multi_tensor_apply_kernelINS1_18TensorListMetadataILi1EEENS1_14UnaryOpFunctorIN3c104HalfELi1ELi1ELi0EEEJNS0_5Expm1IfEEEEEvT_T0_DpT1_.has_dyn_sized_stack, 0
	.set _ZN2at6native12_GLOBAL__N_125multi_tensor_apply_kernelINS1_18TensorListMetadataILi1EEENS1_14UnaryOpFunctorIN3c104HalfELi1ELi1ELi0EEEJNS0_5Expm1IfEEEEEvT_T0_DpT1_.has_recursion, 0
	.set _ZN2at6native12_GLOBAL__N_125multi_tensor_apply_kernelINS1_18TensorListMetadataILi1EEENS1_14UnaryOpFunctorIN3c104HalfELi1ELi1ELi0EEEJNS0_5Expm1IfEEEEEvT_T0_DpT1_.has_indirect_call, 0
	.section	.AMDGPU.csdata,"",@progbits
; Kernel info:
; codeLenInByte = 2392
; TotalNumSgprs: 35
; NumVgprs: 26
; ScratchSize: 0
; MemoryBound: 0
; FloatMode: 240
; IeeeMode: 1
; LDSByteSize: 0 bytes/workgroup (compile time only)
; SGPRBlocks: 4
; VGPRBlocks: 6
; NumSGPRsForWavesPerEU: 35
; NumVGPRsForWavesPerEU: 26
; Occupancy: 9
; WaveLimiterHint : 0
; COMPUTE_PGM_RSRC2:SCRATCH_EN: 0
; COMPUTE_PGM_RSRC2:USER_SGPR: 6
; COMPUTE_PGM_RSRC2:TRAP_HANDLER: 0
; COMPUTE_PGM_RSRC2:TGID_X_EN: 1
; COMPUTE_PGM_RSRC2:TGID_Y_EN: 0
; COMPUTE_PGM_RSRC2:TGID_Z_EN: 0
; COMPUTE_PGM_RSRC2:TIDIG_COMP_CNT: 0
	.section	.text._ZN2at6native12_GLOBAL__N_125multi_tensor_apply_kernelINS1_18TensorListMetadataILi1EEENS1_14UnaryOpFunctorIN3c108BFloat16ELi1ELi1ELi0EEEJNS0_5Expm1IfEEEEEvT_T0_DpT1_,"axG",@progbits,_ZN2at6native12_GLOBAL__N_125multi_tensor_apply_kernelINS1_18TensorListMetadataILi1EEENS1_14UnaryOpFunctorIN3c108BFloat16ELi1ELi1ELi0EEEJNS0_5Expm1IfEEEEEvT_T0_DpT1_,comdat
	.globl	_ZN2at6native12_GLOBAL__N_125multi_tensor_apply_kernelINS1_18TensorListMetadataILi1EEENS1_14UnaryOpFunctorIN3c108BFloat16ELi1ELi1ELi0EEEJNS0_5Expm1IfEEEEEvT_T0_DpT1_ ; -- Begin function _ZN2at6native12_GLOBAL__N_125multi_tensor_apply_kernelINS1_18TensorListMetadataILi1EEENS1_14UnaryOpFunctorIN3c108BFloat16ELi1ELi1ELi0EEEJNS0_5Expm1IfEEEEEvT_T0_DpT1_
	.p2align	8
	.type	_ZN2at6native12_GLOBAL__N_125multi_tensor_apply_kernelINS1_18TensorListMetadataILi1EEENS1_14UnaryOpFunctorIN3c108BFloat16ELi1ELi1ELi0EEEJNS0_5Expm1IfEEEEEvT_T0_DpT1_,@function
_ZN2at6native12_GLOBAL__N_125multi_tensor_apply_kernelINS1_18TensorListMetadataILi1EEENS1_14UnaryOpFunctorIN3c108BFloat16ELi1ELi1ELi0EEEJNS0_5Expm1IfEEEEEvT_T0_DpT1_: ; @_ZN2at6native12_GLOBAL__N_125multi_tensor_apply_kernelINS1_18TensorListMetadataILi1EEENS1_14UnaryOpFunctorIN3c108BFloat16ELi1ELi1ELi0EEEJNS0_5Expm1IfEEEEEvT_T0_DpT1_
; %bb.0:
	v_mov_b32_e32 v1, s6
	global_load_ubyte v1, v1, s[4:5] offset:1760
	s_add_u32 s0, s4, s6
	s_mul_hi_u32 s1, s6, 3
	s_mul_i32 s6, s6, 3
	s_addc_u32 s2, s5, 0
	s_add_u32 s0, s0, s6
	s_addc_u32 s1, s2, s1
	s_load_dword s0, s[0:1], 0x820
	s_mov_b32 s7, 0
	s_waitcnt vmcnt(0)
	v_readfirstlane_b32 s1, v1
	s_lshl_b32 s1, s1, 3
	s_load_dwordx2 s[2:3], s[4:5], s1 offset:0x370
	s_load_dwordx2 s[10:11], s[4:5], s1 offset:0x0
	s_waitcnt lgkmcnt(0)
	s_ashr_i32 s1, s0, 31
	s_lshl_b64 s[12:13], s[0:1], 17
	s_lshl_b64 s[0:1], s[0:1], 16
	s_and_b32 s6, s10, 7
	s_sub_u32 s14, s2, s0
	s_subb_u32 s15, s3, s1
	s_and_b32 s0, s2, 3
	s_mov_b32 s1, s7
	s_or_b64 s[0:1], s[6:7], s[0:1]
	s_cmp_eq_u64 s[0:1], 0
	s_cbranch_scc1 .LBB152_21
; %bb.1:
	v_cmp_lt_i64_e64 s[0:1], s[14:15], 1
	s_and_b64 vcc, exec, s[0:1]
	s_cbranch_vccnz .LBB152_20
; %bb.2:
	v_mov_b32_e32 v1, 0x10000
	s_load_dword s2, s[4:5], 0xd3c
	v_mov_b32_e32 v2, 0
	v_cmp_lt_i64_e32 vcc, s[14:15], v[1:2]
	s_mov_b64 s[20:21], 0
	s_and_b64 s[0:1], vcc, exec
	v_cmp_lt_u64_e32 vcc, s[14:15], v[1:2]
	s_cselect_b32 s17, s15, 0
	s_cselect_b32 s16, s14, 0x10000
	s_waitcnt lgkmcnt(0)
	s_and_b32 s2, s2, 0xffff
	s_and_b64 s[0:1], vcc, exec
	s_cselect_b32 s19, s15, 0
	s_cselect_b32 s18, s14, 0x10000
	s_lshl_b32 s3, s2, 1
	s_lshl_b32 s24, s2, 2
	s_add_u32 s6, s10, s12
	v_lshlrev_b32_e32 v1, 1, v0
	s_addc_u32 s7, s11, s13
	v_mov_b32_e32 v2, s7
	v_add_co_u32_e32 v1, vcc, s6, v1
	s_mul_i32 s0, s2, 3
	v_addc_co_u32_e32 v2, vcc, 0, v2, vcc
	v_add_co_u32_e32 v5, vcc, s0, v0
	v_addc_co_u32_e64 v6, s[0:1], 0, 0, vcc
	v_add_co_u32_e32 v7, vcc, s3, v0
	v_addc_co_u32_e64 v8, s[0:1], 0, 0, vcc
	v_add_co_u32_e32 v9, vcc, s2, v0
	v_lshlrev_b32_e32 v3, 1, v9
	v_addc_co_u32_e64 v10, s[0:1], 0, 0, vcc
	v_mov_b32_e32 v4, s7
	v_add_co_u32_e32 v3, vcc, s6, v3
	s_lshl_b32 s25, s2, 3
	s_mul_i32 s26, s2, 6
	v_addc_co_u32_e32 v4, vcc, 0, v4, vcc
	s_mov_b32 s27, 0x43000000
	v_mov_b32_e32 v11, 0x3c0887f9
	v_mov_b32_e32 v12, 0x3d2aaa81
	v_mov_b32_e32 v13, 0x3e2aaaab
	s_mov_b32 s28, 0x42b17217
	s_mov_b32 s29, 0xc1880000
	s_movk_i32 s30, 0x7fff
	v_mov_b32_e32 v14, 0x7f000000
	v_mov_b32_e32 v15, 0x7f800000
	;; [unrolled: 1-line block ×3, first 2 shown]
	s_branch .LBB152_4
.LBB152_3:                              ;   in Loop: Header=BB152_4 Depth=1
	s_or_b64 exec, exec, s[2:3]
	s_add_u32 s20, s20, s24
	v_add_co_u32_e32 v1, vcc, s25, v1
	v_mov_b32_e32 v18, s17
	s_addc_u32 s21, s21, 0
	v_addc_co_u32_e32 v2, vcc, 0, v2, vcc
	v_mov_b32_e32 v17, s16
	v_cmp_lt_i64_e32 vcc, s[20:21], v[17:18]
	v_add_co_u32_e64 v3, s[0:1], s25, v3
	v_addc_co_u32_e64 v4, s[0:1], 0, v4, s[0:1]
	s_cbranch_vccz .LBB152_20
.LBB152_4:                              ; =>This Inner Loop Header: Depth=1
	v_mov_b32_e32 v18, s21
	v_add_co_u32_e32 v17, vcc, s20, v0
	v_addc_co_u32_e32 v18, vcc, 0, v18, vcc
	v_cmp_gt_u64_e32 vcc, s[18:19], v[17:18]
	v_mov_b32_e32 v20, 0
	s_and_saveexec_b64 s[0:1], vcc
	s_cbranch_execz .LBB152_6
; %bb.5:                                ;   in Loop: Header=BB152_4 Depth=1
	global_load_ushort v17, v[1:2], off
	s_waitcnt vmcnt(0)
	v_lshlrev_b32_e32 v20, 16, v17
.LBB152_6:                              ;   in Loop: Header=BB152_4 Depth=1
	s_or_b64 exec, exec, s[0:1]
	v_mov_b32_e32 v18, s21
	v_add_co_u32_e64 v17, s[0:1], s20, v9
	v_addc_co_u32_e64 v18, s[0:1], v10, v18, s[0:1]
	v_cmp_gt_u64_e64 s[6:7], s[18:19], v[17:18]
	v_mov_b32_e32 v18, 0
	v_mov_b32_e32 v19, 0
	s_and_saveexec_b64 s[0:1], s[6:7]
	s_cbranch_execz .LBB152_8
; %bb.7:                                ;   in Loop: Header=BB152_4 Depth=1
	global_load_ushort v17, v[3:4], off
	s_waitcnt vmcnt(0)
	v_lshlrev_b32_e32 v19, 16, v17
.LBB152_8:                              ;   in Loop: Header=BB152_4 Depth=1
	s_or_b64 exec, exec, s[0:1]
	v_mov_b32_e32 v17, s21
	v_add_co_u32_e64 v21, s[0:1], s20, v7
	v_addc_co_u32_e64 v22, s[0:1], v8, v17, s[0:1]
	v_cmp_gt_u64_e64 s[2:3], s[18:19], v[21:22]
	s_and_saveexec_b64 s[8:9], s[2:3]
	s_cbranch_execz .LBB152_10
; %bb.9:                                ;   in Loop: Header=BB152_4 Depth=1
	v_add_co_u32_e64 v17, s[0:1], s24, v1
	v_addc_co_u32_e64 v18, s[0:1], 0, v2, s[0:1]
	global_load_ushort v17, v[17:18], off
	s_waitcnt vmcnt(0)
	v_lshlrev_b32_e32 v18, 16, v17
.LBB152_10:                             ;   in Loop: Header=BB152_4 Depth=1
	s_or_b64 exec, exec, s[8:9]
	v_mov_b32_e32 v17, s21
	v_add_co_u32_e64 v21, s[0:1], s20, v5
	v_addc_co_u32_e64 v22, s[0:1], v6, v17, s[0:1]
	v_cmp_gt_u64_e64 s[0:1], s[18:19], v[21:22]
	v_mov_b32_e32 v17, 0
	s_and_saveexec_b64 s[22:23], s[0:1]
	s_cbranch_execnz .LBB152_15
; %bb.11:                               ;   in Loop: Header=BB152_4 Depth=1
	s_or_b64 exec, exec, s[22:23]
	s_and_saveexec_b64 s[8:9], vcc
	s_cbranch_execnz .LBB152_16
.LBB152_12:                             ;   in Loop: Header=BB152_4 Depth=1
	s_or_b64 exec, exec, s[8:9]
	s_and_saveexec_b64 s[8:9], s[6:7]
	s_cbranch_execnz .LBB152_17
.LBB152_13:                             ;   in Loop: Header=BB152_4 Depth=1
	s_or_b64 exec, exec, s[8:9]
	s_and_saveexec_b64 s[6:7], s[2:3]
	s_cbranch_execnz .LBB152_18
.LBB152_14:                             ;   in Loop: Header=BB152_4 Depth=1
	s_or_b64 exec, exec, s[6:7]
	s_and_saveexec_b64 s[2:3], s[0:1]
	s_cbranch_execz .LBB152_3
	s_branch .LBB152_19
.LBB152_15:                             ;   in Loop: Header=BB152_4 Depth=1
	v_add_co_u32_e64 v21, s[8:9], s26, v1
	v_addc_co_u32_e64 v22, s[8:9], 0, v2, s[8:9]
	global_load_ushort v17, v[21:22], off
	s_waitcnt vmcnt(0)
	v_lshlrev_b32_e32 v17, 16, v17
	s_or_b64 exec, exec, s[22:23]
	s_and_saveexec_b64 s[8:9], vcc
	s_cbranch_execz .LBB152_12
.LBB152_16:                             ;   in Loop: Header=BB152_4 Depth=1
	v_mul_f32_e32 v21, 0x3fb8aa3b, v20
	v_rndne_f32_e32 v21, v21
	v_mov_b32_e32 v23, v20
	v_fmac_f32_e32 v23, 0xbf317218, v21
	v_cvt_i32_f32_e32 v22, v21
	v_cmp_eq_f32_e32 vcc, s27, v21
	v_fmac_f32_e32 v23, 0x3102e308, v21
	v_mov_b32_e32 v21, 0x3ab69700
	v_fmac_f32_e32 v21, 0x395133b1, v23
	v_fma_f32 v21, v23, v21, v11
	v_fma_f32 v21, v23, v21, v12
	;; [unrolled: 1-line block ×3, first 2 shown]
	v_ldexp_f32 v22, 1.0, v22
	v_fma_f32 v21, v23, v21, 0.5
	v_cndmask_b32_e32 v22, v22, v14, vcc
	v_mul_f32_e32 v21, v23, v21
	v_fmac_f32_e32 v23, v23, v21
	v_add_f32_e32 v21, -1.0, v22
	v_fmac_f32_e32 v21, v22, v23
	v_add_f32_e32 v22, v21, v21
	v_cndmask_b32_e32 v21, v21, v22, vcc
	v_cmp_nlt_f32_e32 vcc, s28, v20
	v_cndmask_b32_e32 v21, v15, v21, vcc
	v_cmp_ngt_f32_e32 vcc, s29, v20
	v_cndmask_b32_e32 v20, -1.0, v21, vcc
	v_bfe_u32 v21, v20, 16, 1
	v_add3_u32 v21, v20, v21, s30
	v_cmp_o_f32_e32 vcc, v20, v20
	v_cndmask_b32_sdwa v20, v16, v21, vcc dst_sel:DWORD dst_unused:UNUSED_PAD src0_sel:DWORD src1_sel:WORD_1
	global_store_short v[1:2], v20, off
	s_or_b64 exec, exec, s[8:9]
	s_and_saveexec_b64 s[8:9], s[6:7]
	s_cbranch_execz .LBB152_13
.LBB152_17:                             ;   in Loop: Header=BB152_4 Depth=1
	v_mul_f32_e32 v20, 0x3fb8aa3b, v19
	v_rndne_f32_e32 v20, v20
	v_mov_b32_e32 v21, v19
	v_fmac_f32_e32 v21, 0xbf317218, v20
	v_fmac_f32_e32 v21, 0x3102e308, v20
	v_mov_b32_e32 v22, 0x3ab69700
	v_fmac_f32_e32 v22, 0x395133b1, v21
	v_fma_f32 v22, v21, v22, v11
	v_fma_f32 v22, v21, v22, v12
	v_cvt_i32_f32_e32 v23, v20
	v_fma_f32 v22, v21, v22, v13
	v_fma_f32 v22, v21, v22, 0.5
	v_mul_f32_e32 v22, v21, v22
	v_fmac_f32_e32 v21, v21, v22
	v_ldexp_f32 v22, 1.0, v23
	v_cmp_eq_f32_e32 vcc, s27, v20
	v_cndmask_b32_e32 v20, v22, v14, vcc
	v_add_f32_e32 v22, -1.0, v20
	v_fmac_f32_e32 v22, v20, v21
	v_add_f32_e32 v20, v22, v22
	v_cndmask_b32_e32 v20, v22, v20, vcc
	v_cmp_nlt_f32_e32 vcc, s28, v19
	v_cndmask_b32_e32 v20, v15, v20, vcc
	v_cmp_ngt_f32_e32 vcc, s29, v19
	v_cndmask_b32_e32 v19, -1.0, v20, vcc
	v_bfe_u32 v20, v19, 16, 1
	v_add3_u32 v20, v19, v20, s30
	v_cmp_o_f32_e32 vcc, v19, v19
	v_cndmask_b32_sdwa v19, v16, v20, vcc dst_sel:DWORD dst_unused:UNUSED_PAD src0_sel:DWORD src1_sel:WORD_1
	global_store_short v[3:4], v19, off
	s_or_b64 exec, exec, s[8:9]
	s_and_saveexec_b64 s[6:7], s[2:3]
	s_cbranch_execz .LBB152_14
.LBB152_18:                             ;   in Loop: Header=BB152_4 Depth=1
	v_mul_f32_e32 v19, 0x3fb8aa3b, v18
	v_rndne_f32_e32 v19, v19
	v_mov_b32_e32 v20, v18
	v_fmac_f32_e32 v20, 0xbf317218, v19
	v_fmac_f32_e32 v20, 0x3102e308, v19
	v_mov_b32_e32 v21, 0x3ab69700
	v_fmac_f32_e32 v21, 0x395133b1, v20
	v_fma_f32 v21, v20, v21, v11
	v_fma_f32 v21, v20, v21, v12
	v_cvt_i32_f32_e32 v22, v19
	v_fma_f32 v21, v20, v21, v13
	v_fma_f32 v21, v20, v21, 0.5
	v_mul_f32_e32 v21, v20, v21
	v_fmac_f32_e32 v20, v20, v21
	v_ldexp_f32 v21, 1.0, v22
	v_cmp_eq_f32_e32 vcc, s27, v19
	v_cndmask_b32_e32 v19, v21, v14, vcc
	v_add_f32_e32 v21, -1.0, v19
	v_fmac_f32_e32 v21, v19, v20
	v_add_f32_e32 v19, v21, v21
	v_cndmask_b32_e32 v19, v21, v19, vcc
	v_cmp_nlt_f32_e32 vcc, s28, v18
	v_cndmask_b32_e32 v19, v15, v19, vcc
	v_cmp_ngt_f32_e32 vcc, s29, v18
	v_cndmask_b32_e32 v18, -1.0, v19, vcc
	v_bfe_u32 v19, v18, 16, 1
	v_add3_u32 v19, v18, v19, s30
	v_cmp_o_f32_e32 vcc, v18, v18
	v_cndmask_b32_sdwa v20, v16, v19, vcc dst_sel:DWORD dst_unused:UNUSED_PAD src0_sel:DWORD src1_sel:WORD_1
	v_add_co_u32_e32 v18, vcc, s24, v1
	v_addc_co_u32_e32 v19, vcc, 0, v2, vcc
	global_store_short v[18:19], v20, off
	s_or_b64 exec, exec, s[6:7]
	s_and_saveexec_b64 s[2:3], s[0:1]
	s_cbranch_execz .LBB152_3
.LBB152_19:                             ;   in Loop: Header=BB152_4 Depth=1
	v_mul_f32_e32 v18, 0x3fb8aa3b, v17
	v_rndne_f32_e32 v18, v18
	v_mov_b32_e32 v19, v17
	v_fmac_f32_e32 v19, 0xbf317218, v18
	v_fmac_f32_e32 v19, 0x3102e308, v18
	v_mov_b32_e32 v20, 0x3ab69700
	v_fmac_f32_e32 v20, 0x395133b1, v19
	v_fma_f32 v20, v19, v20, v11
	v_fma_f32 v20, v19, v20, v12
	v_cvt_i32_f32_e32 v21, v18
	v_fma_f32 v20, v19, v20, v13
	v_fma_f32 v20, v19, v20, 0.5
	v_mul_f32_e32 v20, v19, v20
	v_fmac_f32_e32 v19, v19, v20
	v_ldexp_f32 v20, 1.0, v21
	v_cmp_eq_f32_e32 vcc, s27, v18
	v_cndmask_b32_e32 v18, v20, v14, vcc
	v_add_f32_e32 v20, -1.0, v18
	v_fmac_f32_e32 v20, v18, v19
	v_add_f32_e32 v18, v20, v20
	v_cndmask_b32_e32 v18, v20, v18, vcc
	v_cmp_nlt_f32_e32 vcc, s28, v17
	v_cndmask_b32_e32 v18, v15, v18, vcc
	v_cmp_ngt_f32_e32 vcc, s29, v17
	v_cndmask_b32_e32 v17, -1.0, v18, vcc
	v_bfe_u32 v18, v17, 16, 1
	v_add3_u32 v18, v17, v18, s30
	v_cmp_o_f32_e32 vcc, v17, v17
	v_cndmask_b32_sdwa v19, v16, v18, vcc dst_sel:DWORD dst_unused:UNUSED_PAD src0_sel:DWORD src1_sel:WORD_1
	v_add_co_u32_e32 v17, vcc, s26, v1
	v_addc_co_u32_e32 v18, vcc, 0, v2, vcc
	global_store_short v[17:18], v19, off
	s_branch .LBB152_3
.LBB152_20:
	s_cbranch_execz .LBB152_22
	s_branch .LBB152_25
.LBB152_21:
.LBB152_22:
	v_mov_b32_e32 v1, 0x10000
	v_mov_b32_e32 v2, 0
	v_cmp_lt_i64_e32 vcc, s[14:15], v[1:2]
	v_mov_b32_e32 v2, 0
	s_and_b64 s[0:1], vcc, exec
	s_cselect_b32 s7, s15, 0
	s_cselect_b32 s6, s14, 0x10000
	v_lshlrev_b32_e32 v1, 2, v0
	v_cmp_gt_i64_e32 vcc, s[6:7], v[1:2]
	s_and_saveexec_b64 s[0:1], vcc
	s_cbranch_execz .LBB152_25
; %bb.23:
	s_load_dword s0, s[4:5], 0xd3c
	v_mov_b32_e32 v1, v2
	v_lshlrev_b32_e32 v2, 3, v0
	s_mov_b64 s[4:5], 0
	v_mov_b32_e32 v4, 0x3c0887f9
	s_waitcnt lgkmcnt(0)
	s_and_b32 s8, s0, 0xffff
	s_add_u32 s0, s10, s12
	s_addc_u32 s1, s11, s13
	v_mov_b32_e32 v3, s1
	v_add_co_u32_e32 v2, vcc, s0, v2
	v_addc_co_u32_e32 v3, vcc, 0, v3, vcc
	s_lshl_b32 s9, s8, 3
	v_mov_b32_e32 v5, 0x3d2aaa81
	v_mov_b32_e32 v6, 0x3e2aaaab
	s_mov_b32 s10, 0x43000000
	v_mov_b32_e32 v7, 0x7f000000
	s_mov_b32 s11, 0x42b17217
	;; [unrolled: 2-line block ×3, first 2 shown]
	s_movk_i32 s13, 0x7fff
	v_mov_b32_e32 v9, 0x7fc00000
	v_mov_b32_e32 v10, 0x7fc0
.LBB152_24:                             ; =>This Inner Loop Header: Depth=1
	global_load_dwordx2 v[11:12], v[2:3], off
	v_mov_b32_e32 v13, 0x3ab69700
	v_mov_b32_e32 v14, 0x3ab69700
	;; [unrolled: 1-line block ×4, first 2 shown]
	s_waitcnt vmcnt(0)
	v_lshlrev_b32_e32 v18, 16, v11
	v_mul_f32_e32 v19, 0x3fb8aa3b, v18
	v_mov_b32_e32 v20, v18
	v_rndne_f32_e32 v19, v19
	v_fmac_f32_e32 v20, 0xbf317218, v19
	v_fmac_f32_e32 v20, 0x3102e308, v19
	v_cvt_i32_f32_e32 v23, v19
	v_fmac_f32_e32 v13, 0x395133b1, v20
	v_fma_f32 v13, v20, v13, v4
	v_and_b32_e32 v17, 0xffff0000, v11
	v_fma_f32 v13, v20, v13, v5
	v_mul_f32_e32 v21, 0x3fb8aa3b, v17
	v_fma_f32 v13, v20, v13, v6
	v_mov_b32_e32 v22, v17
	v_ldexp_f32 v23, 1.0, v23
	v_cmp_eq_f32_e32 vcc, s10, v19
	v_rndne_f32_e32 v21, v21
	v_fma_f32 v13, v20, v13, 0.5
	v_cndmask_b32_e32 v23, v23, v7, vcc
	v_mul_f32_e32 v13, v20, v13
	v_fmac_f32_e32 v22, 0xbf317218, v21
	v_fmac_f32_e32 v20, v20, v13
	v_add_f32_e32 v13, -1.0, v23
	v_fmac_f32_e32 v22, 0x3102e308, v21
	v_fmac_f32_e32 v13, v23, v20
	v_cvt_i32_f32_e32 v20, v21
	v_fmac_f32_e32 v14, 0x395133b1, v22
	v_fma_f32 v14, v22, v14, v4
	v_fma_f32 v14, v22, v14, v5
	;; [unrolled: 1-line block ×3, first 2 shown]
	v_alignbit_b32 v11, v12, v11, 16
	v_ldexp_f32 v20, 1.0, v20
	v_cmp_eq_f32_e64 s[0:1], s10, v21
	v_fma_f32 v14, v22, v14, 0.5
	v_and_b32_e32 v12, 0xffff0000, v12
	v_and_b32_e32 v11, 0xffff0000, v11
	v_cndmask_b32_e64 v20, v20, v7, s[0:1]
	v_mul_f32_e32 v14, v22, v14
	v_mul_f32_e32 v19, 0x3fb8aa3b, v12
	;; [unrolled: 1-line block ×3, first 2 shown]
	v_fmac_f32_e32 v22, v22, v14
	v_add_f32_e32 v14, -1.0, v20
	v_mov_b32_e32 v23, v12
	v_fmac_f32_e32 v14, v20, v22
	v_mov_b32_e32 v20, v11
	v_rndne_f32_e32 v19, v19
	v_rndne_f32_e32 v21, v21
	v_fmac_f32_e32 v23, 0xbf317218, v19
	v_fmac_f32_e32 v20, 0xbf317218, v21
	;; [unrolled: 1-line block ×4, first 2 shown]
	v_cvt_i32_f32_e32 v22, v21
	v_fmac_f32_e32 v16, 0x395133b1, v23
	v_fmac_f32_e32 v15, 0x395133b1, v20
	v_fma_f32 v16, v23, v16, v4
	v_fma_f32 v15, v20, v15, v4
	;; [unrolled: 1-line block ×6, first 2 shown]
	v_ldexp_f32 v22, 1.0, v22
	v_cmp_eq_f32_e64 s[2:3], s10, v21
	v_fma_f32 v16, v23, v16, 0.5
	v_fma_f32 v15, v20, v15, 0.5
	v_cndmask_b32_e64 v22, v22, v7, s[2:3]
	v_mul_f32_e32 v16, v23, v16
	v_mul_f32_e32 v15, v20, v15
	v_fmac_f32_e32 v23, v23, v16
	v_add_f32_e32 v16, -1.0, v22
	v_fmac_f32_e32 v20, v20, v15
	v_add_f32_e32 v15, v13, v13
	v_fmac_f32_e32 v16, v22, v20
	v_add_f32_e32 v20, v14, v14
	v_cndmask_b32_e32 v13, v13, v15, vcc
	v_cmp_nlt_f32_e32 vcc, s11, v18
	v_cndmask_b32_e64 v14, v14, v20, s[0:1]
	v_cndmask_b32_e32 v13, v8, v13, vcc
	v_cmp_nlt_f32_e32 vcc, s11, v17
	v_cvt_i32_f32_e32 v21, v19
	v_cndmask_b32_e32 v14, v8, v14, vcc
	v_cmp_ngt_f32_e32 vcc, s12, v18
	v_add_f32_e32 v15, v16, v16
	v_cndmask_b32_e32 v13, -1.0, v13, vcc
	v_cmp_ngt_f32_e32 vcc, s12, v17
	v_cndmask_b32_e64 v15, v16, v15, s[2:3]
	v_cndmask_b32_e32 v14, -1.0, v14, vcc
	v_cmp_nlt_f32_e32 vcc, s11, v11
	v_cndmask_b32_e32 v15, v8, v15, vcc
	v_cmp_ngt_f32_e32 vcc, s12, v11
	v_cndmask_b32_e32 v11, -1.0, v15, vcc
	v_ldexp_f32 v15, 1.0, v21
	v_cmp_eq_f32_e32 vcc, s10, v19
	v_cndmask_b32_e32 v15, v15, v7, vcc
	v_add_f32_e32 v18, -1.0, v15
	v_fmac_f32_e32 v18, v15, v23
	v_add_f32_e32 v19, v18, v18
	v_cndmask_b32_e32 v18, v18, v19, vcc
	v_cmp_nlt_f32_e32 vcc, s11, v12
	v_cndmask_b32_e32 v18, v8, v18, vcc
	v_cmp_ngt_f32_e32 vcc, s12, v12
	v_cndmask_b32_e32 v12, -1.0, v18, vcc
	v_bfe_u32 v18, v12, 16, 1
	v_bfe_u32 v15, v11, 16, 1
	v_add3_u32 v18, v12, v18, s13
	v_bfe_u32 v17, v14, 16, 1
	v_add3_u32 v15, v11, v15, s13
	v_and_b32_e32 v18, 0xffff0000, v18
	v_cmp_o_f32_e32 vcc, v12, v12
	v_bfe_u32 v16, v13, 16, 1
	v_add3_u32 v17, v14, v17, s13
	v_lshrrev_b32_e32 v15, 16, v15
	v_cndmask_b32_e32 v12, v9, v18, vcc
	v_cmp_o_f32_e32 vcc, v11, v11
	v_add3_u32 v16, v13, v16, s13
	v_and_b32_e32 v17, 0xffff0000, v17
	v_cndmask_b32_e32 v11, v10, v15, vcc
	v_cmp_o_f32_e32 vcc, v14, v14
	v_lshrrev_b32_e32 v16, 16, v16
	v_cndmask_b32_e32 v14, v9, v17, vcc
	v_cmp_o_f32_e32 vcc, v13, v13
	v_cndmask_b32_e32 v13, v10, v16, vcc
	v_add_co_u32_e32 v0, vcc, s8, v0
	v_addc_co_u32_e32 v1, vcc, 0, v1, vcc
	v_or_b32_e32 v15, v13, v14
	v_lshlrev_b64 v[13:14], 2, v[0:1]
	v_or3_b32 v12, 0, v11, v12
	v_cmp_le_i64_e32 vcc, s[6:7], v[13:14]
	v_or3_b32 v11, v15, 0, 0
	global_store_dwordx2 v[2:3], v[11:12], off
	s_or_b64 s[4:5], vcc, s[4:5]
	v_add_co_u32_e32 v2, vcc, s9, v2
	v_addc_co_u32_e32 v3, vcc, 0, v3, vcc
	s_andn2_b64 exec, exec, s[4:5]
	s_cbranch_execnz .LBB152_24
.LBB152_25:
	s_endpgm
	.section	.rodata,"a",@progbits
	.p2align	6, 0x0
	.amdhsa_kernel _ZN2at6native12_GLOBAL__N_125multi_tensor_apply_kernelINS1_18TensorListMetadataILi1EEENS1_14UnaryOpFunctorIN3c108BFloat16ELi1ELi1ELi0EEEJNS0_5Expm1IfEEEEEvT_T0_DpT1_
		.amdhsa_group_segment_fixed_size 0
		.amdhsa_private_segment_fixed_size 0
		.amdhsa_kernarg_size 3632
		.amdhsa_user_sgpr_count 6
		.amdhsa_user_sgpr_private_segment_buffer 1
		.amdhsa_user_sgpr_dispatch_ptr 0
		.amdhsa_user_sgpr_queue_ptr 0
		.amdhsa_user_sgpr_kernarg_segment_ptr 1
		.amdhsa_user_sgpr_dispatch_id 0
		.amdhsa_user_sgpr_flat_scratch_init 0
		.amdhsa_user_sgpr_private_segment_size 0
		.amdhsa_uses_dynamic_stack 0
		.amdhsa_system_sgpr_private_segment_wavefront_offset 0
		.amdhsa_system_sgpr_workgroup_id_x 1
		.amdhsa_system_sgpr_workgroup_id_y 0
		.amdhsa_system_sgpr_workgroup_id_z 0
		.amdhsa_system_sgpr_workgroup_info 0
		.amdhsa_system_vgpr_workitem_id 0
		.amdhsa_next_free_vgpr 24
		.amdhsa_next_free_sgpr 31
		.amdhsa_reserve_vcc 1
		.amdhsa_reserve_flat_scratch 0
		.amdhsa_float_round_mode_32 0
		.amdhsa_float_round_mode_16_64 0
		.amdhsa_float_denorm_mode_32 3
		.amdhsa_float_denorm_mode_16_64 3
		.amdhsa_dx10_clamp 1
		.amdhsa_ieee_mode 1
		.amdhsa_fp16_overflow 0
		.amdhsa_exception_fp_ieee_invalid_op 0
		.amdhsa_exception_fp_denorm_src 0
		.amdhsa_exception_fp_ieee_div_zero 0
		.amdhsa_exception_fp_ieee_overflow 0
		.amdhsa_exception_fp_ieee_underflow 0
		.amdhsa_exception_fp_ieee_inexact 0
		.amdhsa_exception_int_div_zero 0
	.end_amdhsa_kernel
	.section	.text._ZN2at6native12_GLOBAL__N_125multi_tensor_apply_kernelINS1_18TensorListMetadataILi1EEENS1_14UnaryOpFunctorIN3c108BFloat16ELi1ELi1ELi0EEEJNS0_5Expm1IfEEEEEvT_T0_DpT1_,"axG",@progbits,_ZN2at6native12_GLOBAL__N_125multi_tensor_apply_kernelINS1_18TensorListMetadataILi1EEENS1_14UnaryOpFunctorIN3c108BFloat16ELi1ELi1ELi0EEEJNS0_5Expm1IfEEEEEvT_T0_DpT1_,comdat
.Lfunc_end152:
	.size	_ZN2at6native12_GLOBAL__N_125multi_tensor_apply_kernelINS1_18TensorListMetadataILi1EEENS1_14UnaryOpFunctorIN3c108BFloat16ELi1ELi1ELi0EEEJNS0_5Expm1IfEEEEEvT_T0_DpT1_, .Lfunc_end152-_ZN2at6native12_GLOBAL__N_125multi_tensor_apply_kernelINS1_18TensorListMetadataILi1EEENS1_14UnaryOpFunctorIN3c108BFloat16ELi1ELi1ELi0EEEJNS0_5Expm1IfEEEEEvT_T0_DpT1_
                                        ; -- End function
	.set _ZN2at6native12_GLOBAL__N_125multi_tensor_apply_kernelINS1_18TensorListMetadataILi1EEENS1_14UnaryOpFunctorIN3c108BFloat16ELi1ELi1ELi0EEEJNS0_5Expm1IfEEEEEvT_T0_DpT1_.num_vgpr, 24
	.set _ZN2at6native12_GLOBAL__N_125multi_tensor_apply_kernelINS1_18TensorListMetadataILi1EEENS1_14UnaryOpFunctorIN3c108BFloat16ELi1ELi1ELi0EEEJNS0_5Expm1IfEEEEEvT_T0_DpT1_.num_agpr, 0
	.set _ZN2at6native12_GLOBAL__N_125multi_tensor_apply_kernelINS1_18TensorListMetadataILi1EEENS1_14UnaryOpFunctorIN3c108BFloat16ELi1ELi1ELi0EEEJNS0_5Expm1IfEEEEEvT_T0_DpT1_.numbered_sgpr, 31
	.set _ZN2at6native12_GLOBAL__N_125multi_tensor_apply_kernelINS1_18TensorListMetadataILi1EEENS1_14UnaryOpFunctorIN3c108BFloat16ELi1ELi1ELi0EEEJNS0_5Expm1IfEEEEEvT_T0_DpT1_.num_named_barrier, 0
	.set _ZN2at6native12_GLOBAL__N_125multi_tensor_apply_kernelINS1_18TensorListMetadataILi1EEENS1_14UnaryOpFunctorIN3c108BFloat16ELi1ELi1ELi0EEEJNS0_5Expm1IfEEEEEvT_T0_DpT1_.private_seg_size, 0
	.set _ZN2at6native12_GLOBAL__N_125multi_tensor_apply_kernelINS1_18TensorListMetadataILi1EEENS1_14UnaryOpFunctorIN3c108BFloat16ELi1ELi1ELi0EEEJNS0_5Expm1IfEEEEEvT_T0_DpT1_.uses_vcc, 1
	.set _ZN2at6native12_GLOBAL__N_125multi_tensor_apply_kernelINS1_18TensorListMetadataILi1EEENS1_14UnaryOpFunctorIN3c108BFloat16ELi1ELi1ELi0EEEJNS0_5Expm1IfEEEEEvT_T0_DpT1_.uses_flat_scratch, 0
	.set _ZN2at6native12_GLOBAL__N_125multi_tensor_apply_kernelINS1_18TensorListMetadataILi1EEENS1_14UnaryOpFunctorIN3c108BFloat16ELi1ELi1ELi0EEEJNS0_5Expm1IfEEEEEvT_T0_DpT1_.has_dyn_sized_stack, 0
	.set _ZN2at6native12_GLOBAL__N_125multi_tensor_apply_kernelINS1_18TensorListMetadataILi1EEENS1_14UnaryOpFunctorIN3c108BFloat16ELi1ELi1ELi0EEEJNS0_5Expm1IfEEEEEvT_T0_DpT1_.has_recursion, 0
	.set _ZN2at6native12_GLOBAL__N_125multi_tensor_apply_kernelINS1_18TensorListMetadataILi1EEENS1_14UnaryOpFunctorIN3c108BFloat16ELi1ELi1ELi0EEEJNS0_5Expm1IfEEEEEvT_T0_DpT1_.has_indirect_call, 0
	.section	.AMDGPU.csdata,"",@progbits
; Kernel info:
; codeLenInByte = 2548
; TotalNumSgprs: 35
; NumVgprs: 24
; ScratchSize: 0
; MemoryBound: 0
; FloatMode: 240
; IeeeMode: 1
; LDSByteSize: 0 bytes/workgroup (compile time only)
; SGPRBlocks: 4
; VGPRBlocks: 5
; NumSGPRsForWavesPerEU: 35
; NumVGPRsForWavesPerEU: 24
; Occupancy: 10
; WaveLimiterHint : 0
; COMPUTE_PGM_RSRC2:SCRATCH_EN: 0
; COMPUTE_PGM_RSRC2:USER_SGPR: 6
; COMPUTE_PGM_RSRC2:TRAP_HANDLER: 0
; COMPUTE_PGM_RSRC2:TGID_X_EN: 1
; COMPUTE_PGM_RSRC2:TGID_Y_EN: 0
; COMPUTE_PGM_RSRC2:TGID_Z_EN: 0
; COMPUTE_PGM_RSRC2:TIDIG_COMP_CNT: 0
	.section	.text._ZN2at6native12_GLOBAL__N_125multi_tensor_apply_kernelINS1_18TensorListMetadataILi2EEENS1_14UnaryOpFunctorIdLi2ELi1ELi1EEEJNS0_4TanhIdEEEEEvT_T0_DpT1_,"axG",@progbits,_ZN2at6native12_GLOBAL__N_125multi_tensor_apply_kernelINS1_18TensorListMetadataILi2EEENS1_14UnaryOpFunctorIdLi2ELi1ELi1EEEJNS0_4TanhIdEEEEEvT_T0_DpT1_,comdat
	.globl	_ZN2at6native12_GLOBAL__N_125multi_tensor_apply_kernelINS1_18TensorListMetadataILi2EEENS1_14UnaryOpFunctorIdLi2ELi1ELi1EEEJNS0_4TanhIdEEEEEvT_T0_DpT1_ ; -- Begin function _ZN2at6native12_GLOBAL__N_125multi_tensor_apply_kernelINS1_18TensorListMetadataILi2EEENS1_14UnaryOpFunctorIdLi2ELi1ELi1EEEJNS0_4TanhIdEEEEEvT_T0_DpT1_
	.p2align	8
	.type	_ZN2at6native12_GLOBAL__N_125multi_tensor_apply_kernelINS1_18TensorListMetadataILi2EEENS1_14UnaryOpFunctorIdLi2ELi1ELi1EEEJNS0_4TanhIdEEEEEvT_T0_DpT1_,@function
_ZN2at6native12_GLOBAL__N_125multi_tensor_apply_kernelINS1_18TensorListMetadataILi2EEENS1_14UnaryOpFunctorIdLi2ELi1ELi1EEEJNS0_4TanhIdEEEEEvT_T0_DpT1_: ; @_ZN2at6native12_GLOBAL__N_125multi_tensor_apply_kernelINS1_18TensorListMetadataILi2EEENS1_14UnaryOpFunctorIdLi2ELi1ELi1EEEJNS0_4TanhIdEEEEEvT_T0_DpT1_
; %bb.0:
	v_mov_b32_e32 v1, s6
	global_load_ubyte v1, v1, s[4:5] offset:1536
	s_add_u32 s0, s4, s6
	s_mul_hi_u32 s1, s6, 3
	s_mul_i32 s6, s6, 3
	s_addc_u32 s2, s5, 0
	s_add_u32 s0, s0, s6
	s_addc_u32 s1, s2, s1
	s_load_dword s6, s[0:1], 0x740
	s_mov_b32 s9, 0
	s_mov_b32 s13, s9
	s_waitcnt vmcnt(0)
	v_readfirstlane_b32 s0, v1
	s_lshl_b32 s7, s0, 3
	s_load_dwordx2 s[14:15], s[4:5], s7 offset:0x400
	s_load_dwordx2 s[2:3], s[4:5], s7 offset:0x0
	s_load_dwordx2 s[0:1], s[4:5], s7 offset:0x200
	s_waitcnt lgkmcnt(0)
	s_ashr_i32 s7, s6, 31
	s_lshl_b64 s[10:11], s[6:7], 19
	s_lshl_b64 s[6:7], s[6:7], 16
	s_add_u32 s8, s2, s10
	s_and_b32 s12, s0, 31
	s_and_b32 s8, s8, 31
	s_sub_u32 s6, s14, s6
	s_subb_u32 s7, s15, s7
	s_and_b32 s14, s14, 3
	s_mov_b32 s15, s9
	s_or_b64 s[12:13], s[12:13], s[14:15]
	s_or_b64 s[8:9], s[12:13], s[8:9]
	s_cmp_eq_u64 s[8:9], 0
	s_mov_b64 s[8:9], -1
	s_cbranch_scc0 .LBB153_5
; %bb.1:
	v_mov_b32_e32 v1, 0x10000
	v_mov_b32_e32 v2, 0
	v_cmp_lt_i64_e32 vcc, s[6:7], v[1:2]
	v_mov_b32_e32 v2, 0
	s_and_b64 s[8:9], vcc, exec
	s_cselect_b32 s9, s7, 0
	s_cselect_b32 s8, s6, 0x10000
	v_lshlrev_b32_e32 v1, 2, v0
	v_cmp_gt_i64_e32 vcc, s[8:9], v[1:2]
	s_and_saveexec_b64 s[12:13], vcc
	s_cbranch_execz .LBB153_4
; %bb.2:
	s_load_dword s14, s[4:5], 0xc5c
	s_mov_b32 s26, 0xfca7ab0c
	v_mov_b32_e32 v1, v2
	v_lshlrev_b32_e32 v2, 5, v0
	s_mov_b32 s27, 0x3e928af3
	v_mov_b32_e32 v9, s26
	v_mov_b32_e32 v3, s11
	s_waitcnt lgkmcnt(0)
	s_and_b32 s33, s14, 0xffff
	v_add_co_u32_e32 v13, vcc, s10, v2
	s_mov_b32 s16, 0x652b82fe
	s_mov_b32 s18, 0xfefa3000
	;; [unrolled: 1-line block ×5, first 2 shown]
	v_mov_b32_e32 v10, s27
	s_mov_b32 s26, 0x623fde64
	s_mov_b32 s28, 0x7c89e6b0
	;; [unrolled: 1-line block ×10, first 2 shown]
	v_mov_b32_e32 v12, v1
	v_addc_co_u32_e32 v14, vcc, 0, v3, vcc
	s_lshl_b32 s48, s33, 5
	s_mov_b64 s[14:15], 0
	v_mov_b32_e32 v15, s3
	s_brev_b32 s49, -2
	s_mov_b32 s17, 0x3ff71547
	s_mov_b32 s19, 0xbfe62e42
	;; [unrolled: 1-line block ×14, first 2 shown]
	v_mov_b32_e32 v16, 0x3ff00000
	s_mov_b32 s47, 0x3e400000
	v_mov_b32_e32 v17, s1
	v_mov_b32_e32 v11, v0
.LBB153_3:                              ; =>This Inner Loop Header: Depth=1
	v_add_co_u32_e32 v5, vcc, s2, v13
	v_addc_co_u32_e32 v6, vcc, v15, v14, vcc
	global_load_dwordx4 v[1:4], v[5:6], off offset:16
	s_nop 0
	global_load_dwordx4 v[5:8], v[5:6], off
	s_waitcnt vmcnt(0)
	v_mul_f64 v[18:19], |v[5:6]|, s[16:17]
	v_cmp_ngt_f64_e64 vcc, |v[5:6]|, s[44:45]
	v_and_b32_e32 v38, 0x7fffffff, v6
	v_rndne_f64_e32 v[18:19], v[18:19]
	v_fma_f64 v[20:21], v[18:19], s[18:19], |v[5:6]|
	v_mul_f64 v[24:25], v[18:19], s[20:21]
	v_add_f64 v[22:23], v[20:21], 0
	v_add_f64 v[26:27], v[22:23], -v[24:25]
	v_add_f64 v[20:21], v[20:21], -v[22:23]
	;; [unrolled: 1-line block ×3, first 2 shown]
	v_add_f64 v[20:21], v[20:21], 0
	v_add_f64 v[22:23], v[22:23], -v[24:25]
	v_add_f64 v[20:21], v[20:21], v[22:23]
	v_add_f64 v[22:23], v[26:27], v[20:21]
	v_add_f64 v[24:25], v[26:27], -v[22:23]
	v_add_f64 v[20:21], v[20:21], v[24:25]
	v_mul_f64 v[24:25], v[18:19], s[22:23]
	v_add_f64 v[26:27], v[22:23], -v[24:25]
	v_add_f64 v[22:23], v[22:23], -v[26:27]
	;; [unrolled: 1-line block ×3, first 2 shown]
	v_add_f64 v[20:21], v[20:21], v[22:23]
	v_add_f64 v[22:23], v[26:27], v[20:21]
	v_add_f64 v[24:25], v[26:27], -v[22:23]
	v_mul_f64 v[26:27], v[22:23], v[22:23]
	v_add_f64 v[20:21], v[20:21], v[24:25]
	v_fma_f64 v[24:25], v[22:23], s[24:25], v[9:10]
	v_fma_f64 v[28:29], v[22:23], v[22:23], -v[26:27]
	v_add_f64 v[30:31], v[20:21], v[20:21]
	v_fma_f64 v[24:25], v[22:23], v[24:25], s[26:27]
	v_fma_f64 v[28:29], v[22:23], v[30:31], v[28:29]
	;; [unrolled: 1-line block ×3, first 2 shown]
	v_add_f64 v[30:31], v[26:27], v[28:29]
	v_fma_f64 v[24:25], v[22:23], v[24:25], s[30:31]
	v_add_f64 v[26:27], v[30:31], -v[26:27]
	v_fma_f64 v[24:25], v[22:23], v[24:25], s[34:35]
	v_add_f64 v[26:27], v[28:29], -v[26:27]
	v_fma_f64 v[24:25], v[22:23], v[24:25], s[36:37]
	v_fma_f64 v[24:25], v[22:23], v[24:25], s[38:39]
	;; [unrolled: 1-line block ×4, first 2 shown]
	v_mul_f64 v[28:29], v[30:31], v[24:25]
	v_fma_f64 v[30:31], v[30:31], v[24:25], -v[28:29]
	v_fma_f64 v[24:25], v[26:27], v[24:25], v[30:31]
	v_add_f64 v[26:27], v[28:29], v[24:25]
	v_add_f64 v[28:29], v[26:27], -v[28:29]
	v_add_f64 v[24:25], v[24:25], -v[28:29]
	v_add_f64 v[28:29], v[22:23], v[26:27]
	v_add_f64 v[20:21], v[20:21], v[24:25]
	v_add_f64 v[22:23], v[28:29], -v[22:23]
	v_add_f64 v[22:23], v[26:27], -v[22:23]
	v_add_f64 v[20:21], v[20:21], v[22:23]
	v_add_f64 v[22:23], v[28:29], v[20:21]
	v_add_f64 v[24:25], v[22:23], -v[28:29]
	v_add_f64 v[20:21], v[20:21], -v[24:25]
	v_add_f64 v[24:25], v[22:23], 1.0
	v_add_f64 v[26:27], v[24:25], -1.0
	v_add_f64 v[22:23], v[22:23], -v[26:27]
	v_add_f64 v[20:21], v[20:21], v[22:23]
	v_add_f64 v[22:23], v[24:25], v[20:21]
	v_add_f64 v[24:25], v[22:23], -v[24:25]
	v_add_f64 v[20:21], v[20:21], -v[24:25]
	v_cvt_i32_f64_e32 v24, v[18:19]
	v_ldexp_f64 v[18:19], v[22:23], v24
	v_ldexp_f64 v[20:21], v[20:21], v24
	v_rcp_f64_e32 v[22:23], v[18:19]
	v_fma_f64 v[24:25], -v[18:19], v[22:23], 1.0
	v_fma_f64 v[22:23], v[24:25], v[22:23], v[22:23]
	v_fma_f64 v[24:25], -v[18:19], v[22:23], 1.0
	v_fma_f64 v[22:23], v[24:25], v[22:23], v[22:23]
	v_mul_f64 v[24:25], v[18:19], v[22:23]
	v_fma_f64 v[26:27], v[22:23], v[18:19], -v[24:25]
	v_fma_f64 v[26:27], v[22:23], v[20:21], v[26:27]
	v_add_f64 v[28:29], v[24:25], v[26:27]
	v_add_f64 v[30:31], -v[28:29], 1.0
	v_add_f64 v[24:25], v[28:29], -v[24:25]
	v_add_f64 v[32:33], -v[30:31], 1.0
	v_add_f64 v[24:25], v[24:25], -v[26:27]
	v_add_f64 v[28:29], v[32:33], -v[28:29]
	v_add_f64 v[24:25], v[24:25], v[28:29]
	v_add_f64 v[26:27], v[30:31], v[24:25]
	v_add_f64 v[28:29], v[30:31], -v[26:27]
	v_add_f64 v[24:25], v[24:25], v[28:29]
	v_mul_f64 v[28:29], v[22:23], v[26:27]
	v_mul_f64 v[30:31], v[18:19], v[28:29]
	v_fma_f64 v[32:33], v[28:29], v[18:19], -v[30:31]
	v_fma_f64 v[32:33], v[28:29], v[20:21], v[32:33]
	v_add_f64 v[34:35], v[30:31], v[32:33]
	v_add_f64 v[36:37], v[26:27], -v[34:35]
	v_add_f64 v[30:31], v[34:35], -v[30:31]
	;; [unrolled: 1-line block ×4, first 2 shown]
	v_add_f64 v[24:25], v[24:25], v[26:27]
	v_add_f64 v[26:27], v[30:31], -v[32:33]
	v_add_f64 v[24:25], v[26:27], v[24:25]
	v_add_f64 v[26:27], v[22:23], v[28:29]
	;; [unrolled: 1-line block ×3, first 2 shown]
	v_mul_f64 v[24:25], v[22:23], v[24:25]
	v_add_f64 v[22:23], v[26:27], -v[22:23]
	v_add_f64 v[22:23], v[28:29], -v[22:23]
	v_add_f64 v[22:23], v[22:23], v[24:25]
	v_add_f64 v[24:25], v[26:27], v[22:23]
	v_add_f64 v[26:27], v[24:25], -v[26:27]
	v_add_f64 v[22:23], v[22:23], -v[26:27]
	;; [unrolled: 1-line block ×5, first 2 shown]
	v_add_f64 v[28:29], v[20:21], v[28:29]
	v_add_f64 v[20:21], v[20:21], v[22:23]
	v_add_f64 v[28:29], v[28:29], -v[22:23]
	v_add_f64 v[30:31], v[26:27], v[28:29]
	v_add_f64 v[26:27], v[30:31], -v[26:27]
	v_add_f64 v[26:27], v[28:29], -v[26:27]
	v_add_f64 v[28:29], v[18:19], v[24:25]
	v_add_f64 v[18:19], v[28:29], -v[18:19]
	v_add_f64 v[18:19], v[24:25], -v[18:19]
	v_add_f64 v[18:19], v[20:21], v[18:19]
	v_add_f64 v[20:21], v[28:29], v[18:19]
	v_add_f64 v[22:23], v[20:21], -v[28:29]
	v_add_f64 v[18:19], v[18:19], -v[22:23]
	v_rcp_f64_e32 v[22:23], v[20:21]
	v_fma_f64 v[24:25], -v[20:21], v[22:23], 1.0
	v_fma_f64 v[22:23], v[24:25], v[22:23], v[22:23]
	v_fma_f64 v[24:25], -v[20:21], v[22:23], 1.0
	v_fma_f64 v[22:23], v[24:25], v[22:23], v[22:23]
	v_mul_f64 v[24:25], v[30:31], v[22:23]
	v_mul_f64 v[28:29], v[20:21], v[24:25]
	v_fma_f64 v[20:21], v[24:25], v[20:21], -v[28:29]
	v_fma_f64 v[18:19], v[24:25], v[18:19], v[20:21]
	v_add_f64 v[20:21], v[28:29], v[18:19]
	v_add_f64 v[28:29], v[20:21], -v[28:29]
	v_add_f64 v[18:19], v[18:19], -v[28:29]
	;; [unrolled: 1-line block ×6, first 2 shown]
	v_add_f64 v[18:19], v[26:27], v[18:19]
	v_add_f64 v[18:19], v[28:29], v[18:19]
	v_mul_f64 v[18:19], v[22:23], v[18:19]
	v_add_f64 v[18:19], v[24:25], v[18:19]
	v_cndmask_b32_e32 v19, v16, v19, vcc
	v_cndmask_b32_e32 v18, 0, v18, vcc
	v_cmp_lt_f64_e64 vcc, |v[5:6]|, s[46:47]
	v_cndmask_b32_e32 v5, v18, v5, vcc
	v_cndmask_b32_e32 v18, v19, v38, vcc
	v_bfi_b32 v6, s49, v18, v6
	v_mul_f64 v[18:19], |v[7:8]|, s[16:17]
	v_cmp_ngt_f64_e64 vcc, |v[7:8]|, s[44:45]
	v_and_b32_e32 v38, 0x7fffffff, v8
	v_rndne_f64_e32 v[18:19], v[18:19]
	v_fma_f64 v[20:21], v[18:19], s[18:19], |v[7:8]|
	v_mul_f64 v[24:25], v[18:19], s[20:21]
	v_add_f64 v[22:23], v[20:21], 0
	v_add_f64 v[26:27], v[22:23], -v[24:25]
	v_add_f64 v[20:21], v[20:21], -v[22:23]
	;; [unrolled: 1-line block ×3, first 2 shown]
	v_add_f64 v[20:21], v[20:21], 0
	v_add_f64 v[22:23], v[22:23], -v[24:25]
	v_add_f64 v[20:21], v[20:21], v[22:23]
	v_add_f64 v[22:23], v[26:27], v[20:21]
	v_add_f64 v[24:25], v[26:27], -v[22:23]
	v_add_f64 v[20:21], v[20:21], v[24:25]
	v_mul_f64 v[24:25], v[18:19], s[22:23]
	v_add_f64 v[26:27], v[22:23], -v[24:25]
	v_add_f64 v[22:23], v[22:23], -v[26:27]
	;; [unrolled: 1-line block ×3, first 2 shown]
	v_add_f64 v[20:21], v[20:21], v[22:23]
	v_add_f64 v[22:23], v[26:27], v[20:21]
	v_add_f64 v[24:25], v[26:27], -v[22:23]
	v_mul_f64 v[26:27], v[22:23], v[22:23]
	v_add_f64 v[20:21], v[20:21], v[24:25]
	v_fma_f64 v[24:25], v[22:23], s[24:25], v[9:10]
	v_fma_f64 v[28:29], v[22:23], v[22:23], -v[26:27]
	v_add_f64 v[30:31], v[20:21], v[20:21]
	v_fma_f64 v[24:25], v[22:23], v[24:25], s[26:27]
	v_fma_f64 v[28:29], v[22:23], v[30:31], v[28:29]
	;; [unrolled: 1-line block ×3, first 2 shown]
	v_add_f64 v[30:31], v[26:27], v[28:29]
	v_fma_f64 v[24:25], v[22:23], v[24:25], s[30:31]
	v_add_f64 v[26:27], v[30:31], -v[26:27]
	v_fma_f64 v[24:25], v[22:23], v[24:25], s[34:35]
	v_add_f64 v[26:27], v[28:29], -v[26:27]
	v_fma_f64 v[24:25], v[22:23], v[24:25], s[36:37]
	v_fma_f64 v[24:25], v[22:23], v[24:25], s[38:39]
	;; [unrolled: 1-line block ×4, first 2 shown]
	v_mul_f64 v[28:29], v[30:31], v[24:25]
	v_fma_f64 v[30:31], v[30:31], v[24:25], -v[28:29]
	v_fma_f64 v[24:25], v[26:27], v[24:25], v[30:31]
	v_add_f64 v[26:27], v[28:29], v[24:25]
	v_add_f64 v[28:29], v[26:27], -v[28:29]
	v_add_f64 v[24:25], v[24:25], -v[28:29]
	v_add_f64 v[28:29], v[22:23], v[26:27]
	v_add_f64 v[20:21], v[20:21], v[24:25]
	v_add_f64 v[22:23], v[28:29], -v[22:23]
	v_add_f64 v[22:23], v[26:27], -v[22:23]
	v_add_f64 v[20:21], v[20:21], v[22:23]
	v_add_f64 v[22:23], v[28:29], v[20:21]
	v_add_f64 v[24:25], v[22:23], -v[28:29]
	v_add_f64 v[20:21], v[20:21], -v[24:25]
	v_add_f64 v[24:25], v[22:23], 1.0
	v_add_f64 v[26:27], v[24:25], -1.0
	v_add_f64 v[22:23], v[22:23], -v[26:27]
	v_add_f64 v[20:21], v[20:21], v[22:23]
	v_add_f64 v[22:23], v[24:25], v[20:21]
	v_add_f64 v[24:25], v[22:23], -v[24:25]
	v_add_f64 v[20:21], v[20:21], -v[24:25]
	v_cvt_i32_f64_e32 v24, v[18:19]
	v_ldexp_f64 v[18:19], v[22:23], v24
	v_ldexp_f64 v[20:21], v[20:21], v24
	v_rcp_f64_e32 v[22:23], v[18:19]
	v_fma_f64 v[24:25], -v[18:19], v[22:23], 1.0
	v_fma_f64 v[22:23], v[24:25], v[22:23], v[22:23]
	v_fma_f64 v[24:25], -v[18:19], v[22:23], 1.0
	v_fma_f64 v[22:23], v[24:25], v[22:23], v[22:23]
	v_mul_f64 v[24:25], v[18:19], v[22:23]
	v_fma_f64 v[26:27], v[22:23], v[18:19], -v[24:25]
	v_fma_f64 v[26:27], v[22:23], v[20:21], v[26:27]
	v_add_f64 v[28:29], v[24:25], v[26:27]
	v_add_f64 v[30:31], -v[28:29], 1.0
	v_add_f64 v[24:25], v[28:29], -v[24:25]
	v_add_f64 v[32:33], -v[30:31], 1.0
	v_add_f64 v[24:25], v[24:25], -v[26:27]
	v_add_f64 v[28:29], v[32:33], -v[28:29]
	v_add_f64 v[24:25], v[24:25], v[28:29]
	v_add_f64 v[26:27], v[30:31], v[24:25]
	v_add_f64 v[28:29], v[30:31], -v[26:27]
	v_add_f64 v[24:25], v[24:25], v[28:29]
	v_mul_f64 v[28:29], v[22:23], v[26:27]
	v_mul_f64 v[30:31], v[18:19], v[28:29]
	v_fma_f64 v[32:33], v[28:29], v[18:19], -v[30:31]
	v_fma_f64 v[32:33], v[28:29], v[20:21], v[32:33]
	v_add_f64 v[34:35], v[30:31], v[32:33]
	v_add_f64 v[36:37], v[26:27], -v[34:35]
	v_add_f64 v[30:31], v[34:35], -v[30:31]
	;; [unrolled: 1-line block ×4, first 2 shown]
	v_add_f64 v[24:25], v[24:25], v[26:27]
	v_add_f64 v[26:27], v[30:31], -v[32:33]
	v_add_f64 v[24:25], v[26:27], v[24:25]
	v_add_f64 v[26:27], v[22:23], v[28:29]
	v_add_f64 v[24:25], v[36:37], v[24:25]
	v_mul_f64 v[24:25], v[22:23], v[24:25]
	v_add_f64 v[22:23], v[26:27], -v[22:23]
	v_add_f64 v[22:23], v[28:29], -v[22:23]
	v_add_f64 v[22:23], v[22:23], v[24:25]
	v_add_f64 v[24:25], v[26:27], v[22:23]
	v_add_f64 v[26:27], v[24:25], -v[26:27]
	v_add_f64 v[22:23], v[22:23], -v[26:27]
	;; [unrolled: 1-line block ×5, first 2 shown]
	v_add_f64 v[28:29], v[20:21], v[28:29]
	v_add_f64 v[20:21], v[20:21], v[22:23]
	v_add_f64 v[28:29], v[28:29], -v[22:23]
	v_add_f64 v[30:31], v[26:27], v[28:29]
	v_add_f64 v[26:27], v[30:31], -v[26:27]
	v_add_f64 v[26:27], v[28:29], -v[26:27]
	v_add_f64 v[28:29], v[18:19], v[24:25]
	v_add_f64 v[18:19], v[28:29], -v[18:19]
	v_add_f64 v[18:19], v[24:25], -v[18:19]
	v_add_f64 v[18:19], v[20:21], v[18:19]
	v_add_f64 v[20:21], v[28:29], v[18:19]
	v_add_f64 v[22:23], v[20:21], -v[28:29]
	v_add_f64 v[18:19], v[18:19], -v[22:23]
	v_rcp_f64_e32 v[22:23], v[20:21]
	v_fma_f64 v[24:25], -v[20:21], v[22:23], 1.0
	v_fma_f64 v[22:23], v[24:25], v[22:23], v[22:23]
	v_fma_f64 v[24:25], -v[20:21], v[22:23], 1.0
	v_fma_f64 v[22:23], v[24:25], v[22:23], v[22:23]
	v_mul_f64 v[24:25], v[30:31], v[22:23]
	v_mul_f64 v[28:29], v[20:21], v[24:25]
	v_fma_f64 v[20:21], v[24:25], v[20:21], -v[28:29]
	v_fma_f64 v[18:19], v[24:25], v[18:19], v[20:21]
	v_add_f64 v[20:21], v[28:29], v[18:19]
	v_add_f64 v[28:29], v[20:21], -v[28:29]
	v_add_f64 v[18:19], v[18:19], -v[28:29]
	;; [unrolled: 1-line block ×6, first 2 shown]
	v_add_f64 v[18:19], v[26:27], v[18:19]
	v_add_f64 v[18:19], v[28:29], v[18:19]
	v_mul_f64 v[18:19], v[22:23], v[18:19]
	v_add_f64 v[18:19], v[24:25], v[18:19]
	v_cndmask_b32_e32 v19, v16, v19, vcc
	v_cndmask_b32_e32 v18, 0, v18, vcc
	v_cmp_lt_f64_e64 vcc, |v[7:8]|, s[46:47]
	v_cndmask_b32_e32 v7, v18, v7, vcc
	v_cndmask_b32_e32 v18, v19, v38, vcc
	v_bfi_b32 v8, s49, v18, v8
	v_mul_f64 v[18:19], |v[1:2]|, s[16:17]
	v_cmp_ngt_f64_e64 vcc, |v[1:2]|, s[44:45]
	v_and_b32_e32 v38, 0x7fffffff, v2
	v_rndne_f64_e32 v[18:19], v[18:19]
	v_fma_f64 v[20:21], v[18:19], s[18:19], |v[1:2]|
	v_mul_f64 v[24:25], v[18:19], s[20:21]
	v_add_f64 v[22:23], v[20:21], 0
	v_add_f64 v[26:27], v[22:23], -v[24:25]
	v_add_f64 v[20:21], v[20:21], -v[22:23]
	;; [unrolled: 1-line block ×3, first 2 shown]
	v_add_f64 v[20:21], v[20:21], 0
	v_add_f64 v[22:23], v[22:23], -v[24:25]
	v_add_f64 v[20:21], v[20:21], v[22:23]
	v_add_f64 v[22:23], v[26:27], v[20:21]
	v_add_f64 v[24:25], v[26:27], -v[22:23]
	v_add_f64 v[20:21], v[20:21], v[24:25]
	v_mul_f64 v[24:25], v[18:19], s[22:23]
	v_add_f64 v[26:27], v[22:23], -v[24:25]
	v_add_f64 v[22:23], v[22:23], -v[26:27]
	;; [unrolled: 1-line block ×3, first 2 shown]
	v_add_f64 v[20:21], v[20:21], v[22:23]
	v_add_f64 v[22:23], v[26:27], v[20:21]
	v_add_f64 v[24:25], v[26:27], -v[22:23]
	v_mul_f64 v[26:27], v[22:23], v[22:23]
	v_add_f64 v[20:21], v[20:21], v[24:25]
	v_fma_f64 v[24:25], v[22:23], s[24:25], v[9:10]
	v_fma_f64 v[28:29], v[22:23], v[22:23], -v[26:27]
	v_add_f64 v[30:31], v[20:21], v[20:21]
	v_fma_f64 v[24:25], v[22:23], v[24:25], s[26:27]
	v_fma_f64 v[28:29], v[22:23], v[30:31], v[28:29]
	;; [unrolled: 1-line block ×3, first 2 shown]
	v_add_f64 v[30:31], v[26:27], v[28:29]
	v_fma_f64 v[24:25], v[22:23], v[24:25], s[30:31]
	v_add_f64 v[26:27], v[30:31], -v[26:27]
	v_fma_f64 v[24:25], v[22:23], v[24:25], s[34:35]
	v_add_f64 v[26:27], v[28:29], -v[26:27]
	v_fma_f64 v[24:25], v[22:23], v[24:25], s[36:37]
	v_fma_f64 v[24:25], v[22:23], v[24:25], s[38:39]
	;; [unrolled: 1-line block ×4, first 2 shown]
	v_mul_f64 v[28:29], v[30:31], v[24:25]
	v_fma_f64 v[30:31], v[30:31], v[24:25], -v[28:29]
	v_fma_f64 v[24:25], v[26:27], v[24:25], v[30:31]
	v_add_f64 v[26:27], v[28:29], v[24:25]
	v_add_f64 v[28:29], v[26:27], -v[28:29]
	v_add_f64 v[24:25], v[24:25], -v[28:29]
	v_add_f64 v[28:29], v[22:23], v[26:27]
	v_add_f64 v[20:21], v[20:21], v[24:25]
	v_add_f64 v[22:23], v[28:29], -v[22:23]
	v_add_f64 v[22:23], v[26:27], -v[22:23]
	v_add_f64 v[20:21], v[20:21], v[22:23]
	v_add_f64 v[22:23], v[28:29], v[20:21]
	v_add_f64 v[24:25], v[22:23], -v[28:29]
	v_add_f64 v[20:21], v[20:21], -v[24:25]
	v_add_f64 v[24:25], v[22:23], 1.0
	v_add_f64 v[26:27], v[24:25], -1.0
	v_add_f64 v[22:23], v[22:23], -v[26:27]
	v_add_f64 v[20:21], v[20:21], v[22:23]
	v_add_f64 v[22:23], v[24:25], v[20:21]
	v_add_f64 v[24:25], v[22:23], -v[24:25]
	v_add_f64 v[20:21], v[20:21], -v[24:25]
	v_cvt_i32_f64_e32 v24, v[18:19]
	v_ldexp_f64 v[18:19], v[22:23], v24
	v_ldexp_f64 v[20:21], v[20:21], v24
	v_rcp_f64_e32 v[22:23], v[18:19]
	v_fma_f64 v[24:25], -v[18:19], v[22:23], 1.0
	v_fma_f64 v[22:23], v[24:25], v[22:23], v[22:23]
	v_fma_f64 v[24:25], -v[18:19], v[22:23], 1.0
	v_fma_f64 v[22:23], v[24:25], v[22:23], v[22:23]
	v_mul_f64 v[24:25], v[18:19], v[22:23]
	v_fma_f64 v[26:27], v[22:23], v[18:19], -v[24:25]
	v_fma_f64 v[26:27], v[22:23], v[20:21], v[26:27]
	v_add_f64 v[28:29], v[24:25], v[26:27]
	v_add_f64 v[30:31], -v[28:29], 1.0
	v_add_f64 v[24:25], v[28:29], -v[24:25]
	v_add_f64 v[32:33], -v[30:31], 1.0
	v_add_f64 v[24:25], v[24:25], -v[26:27]
	v_add_f64 v[28:29], v[32:33], -v[28:29]
	v_add_f64 v[24:25], v[24:25], v[28:29]
	v_add_f64 v[26:27], v[30:31], v[24:25]
	v_add_f64 v[28:29], v[30:31], -v[26:27]
	v_add_f64 v[24:25], v[24:25], v[28:29]
	v_mul_f64 v[28:29], v[22:23], v[26:27]
	v_mul_f64 v[30:31], v[18:19], v[28:29]
	v_fma_f64 v[32:33], v[28:29], v[18:19], -v[30:31]
	v_fma_f64 v[32:33], v[28:29], v[20:21], v[32:33]
	v_add_f64 v[34:35], v[30:31], v[32:33]
	v_add_f64 v[36:37], v[26:27], -v[34:35]
	v_add_f64 v[30:31], v[34:35], -v[30:31]
	;; [unrolled: 1-line block ×4, first 2 shown]
	v_add_f64 v[24:25], v[24:25], v[26:27]
	v_add_f64 v[26:27], v[30:31], -v[32:33]
	v_add_f64 v[24:25], v[26:27], v[24:25]
	v_add_f64 v[26:27], v[22:23], v[28:29]
	v_add_f64 v[24:25], v[36:37], v[24:25]
	v_mul_f64 v[24:25], v[22:23], v[24:25]
	v_add_f64 v[22:23], v[26:27], -v[22:23]
	v_add_f64 v[22:23], v[28:29], -v[22:23]
	v_add_f64 v[22:23], v[22:23], v[24:25]
	v_add_f64 v[24:25], v[26:27], v[22:23]
	v_add_f64 v[26:27], v[24:25], -v[26:27]
	v_add_f64 v[22:23], v[22:23], -v[26:27]
	;; [unrolled: 1-line block ×5, first 2 shown]
	v_add_f64 v[28:29], v[20:21], v[28:29]
	v_add_f64 v[20:21], v[20:21], v[22:23]
	v_add_f64 v[28:29], v[28:29], -v[22:23]
	v_add_f64 v[30:31], v[26:27], v[28:29]
	v_add_f64 v[26:27], v[30:31], -v[26:27]
	v_add_f64 v[26:27], v[28:29], -v[26:27]
	v_add_f64 v[28:29], v[18:19], v[24:25]
	v_add_f64 v[18:19], v[28:29], -v[18:19]
	v_add_f64 v[18:19], v[24:25], -v[18:19]
	v_add_f64 v[18:19], v[20:21], v[18:19]
	v_add_f64 v[20:21], v[28:29], v[18:19]
	v_add_f64 v[22:23], v[20:21], -v[28:29]
	v_add_f64 v[18:19], v[18:19], -v[22:23]
	v_rcp_f64_e32 v[22:23], v[20:21]
	v_fma_f64 v[24:25], -v[20:21], v[22:23], 1.0
	v_fma_f64 v[22:23], v[24:25], v[22:23], v[22:23]
	v_fma_f64 v[24:25], -v[20:21], v[22:23], 1.0
	v_fma_f64 v[22:23], v[24:25], v[22:23], v[22:23]
	v_mul_f64 v[24:25], v[30:31], v[22:23]
	v_mul_f64 v[28:29], v[20:21], v[24:25]
	v_fma_f64 v[20:21], v[24:25], v[20:21], -v[28:29]
	v_fma_f64 v[18:19], v[24:25], v[18:19], v[20:21]
	v_add_f64 v[20:21], v[28:29], v[18:19]
	v_add_f64 v[28:29], v[20:21], -v[28:29]
	v_add_f64 v[18:19], v[18:19], -v[28:29]
	v_add_f64 v[28:29], v[30:31], -v[20:21]
	v_add_f64 v[30:31], v[30:31], -v[28:29]
	v_add_f64 v[20:21], v[30:31], -v[20:21]
	v_add_f64 v[18:19], v[20:21], -v[18:19]
	v_add_f64 v[18:19], v[26:27], v[18:19]
	v_add_f64 v[18:19], v[28:29], v[18:19]
	v_mul_f64 v[18:19], v[22:23], v[18:19]
	v_add_f64 v[18:19], v[24:25], v[18:19]
	v_cndmask_b32_e32 v19, v16, v19, vcc
	v_cndmask_b32_e32 v18, 0, v18, vcc
	v_cmp_lt_f64_e64 vcc, |v[1:2]|, s[46:47]
	v_cndmask_b32_e32 v1, v18, v1, vcc
	v_cndmask_b32_e32 v18, v19, v38, vcc
	v_bfi_b32 v2, s49, v18, v2
	v_mul_f64 v[18:19], |v[3:4]|, s[16:17]
	v_cmp_ngt_f64_e64 vcc, |v[3:4]|, s[44:45]
	v_and_b32_e32 v38, 0x7fffffff, v4
	v_rndne_f64_e32 v[18:19], v[18:19]
	v_fma_f64 v[20:21], v[18:19], s[18:19], |v[3:4]|
	v_mul_f64 v[24:25], v[18:19], s[20:21]
	v_add_f64 v[22:23], v[20:21], 0
	v_add_f64 v[26:27], v[22:23], -v[24:25]
	v_add_f64 v[20:21], v[20:21], -v[22:23]
	;; [unrolled: 1-line block ×3, first 2 shown]
	v_add_f64 v[20:21], v[20:21], 0
	v_add_f64 v[22:23], v[22:23], -v[24:25]
	v_add_f64 v[20:21], v[20:21], v[22:23]
	v_add_f64 v[22:23], v[26:27], v[20:21]
	v_add_f64 v[24:25], v[26:27], -v[22:23]
	v_add_f64 v[20:21], v[20:21], v[24:25]
	v_mul_f64 v[24:25], v[18:19], s[22:23]
	v_add_f64 v[26:27], v[22:23], -v[24:25]
	v_add_f64 v[22:23], v[22:23], -v[26:27]
	;; [unrolled: 1-line block ×3, first 2 shown]
	v_add_f64 v[20:21], v[20:21], v[22:23]
	v_add_f64 v[22:23], v[26:27], v[20:21]
	v_add_f64 v[24:25], v[26:27], -v[22:23]
	v_mul_f64 v[26:27], v[22:23], v[22:23]
	v_add_f64 v[20:21], v[20:21], v[24:25]
	v_fma_f64 v[24:25], v[22:23], s[24:25], v[9:10]
	v_fma_f64 v[28:29], v[22:23], v[22:23], -v[26:27]
	v_add_f64 v[30:31], v[20:21], v[20:21]
	v_fma_f64 v[24:25], v[22:23], v[24:25], s[26:27]
	v_fma_f64 v[28:29], v[22:23], v[30:31], v[28:29]
	;; [unrolled: 1-line block ×3, first 2 shown]
	v_add_f64 v[30:31], v[26:27], v[28:29]
	v_fma_f64 v[24:25], v[22:23], v[24:25], s[30:31]
	v_add_f64 v[26:27], v[30:31], -v[26:27]
	v_fma_f64 v[24:25], v[22:23], v[24:25], s[34:35]
	v_add_f64 v[26:27], v[28:29], -v[26:27]
	v_fma_f64 v[24:25], v[22:23], v[24:25], s[36:37]
	v_fma_f64 v[24:25], v[22:23], v[24:25], s[38:39]
	;; [unrolled: 1-line block ×4, first 2 shown]
	v_mul_f64 v[28:29], v[30:31], v[24:25]
	v_fma_f64 v[30:31], v[30:31], v[24:25], -v[28:29]
	v_fma_f64 v[24:25], v[26:27], v[24:25], v[30:31]
	v_add_f64 v[26:27], v[28:29], v[24:25]
	v_add_f64 v[28:29], v[26:27], -v[28:29]
	v_add_f64 v[24:25], v[24:25], -v[28:29]
	v_add_f64 v[28:29], v[22:23], v[26:27]
	v_add_f64 v[20:21], v[20:21], v[24:25]
	v_add_f64 v[22:23], v[28:29], -v[22:23]
	v_add_f64 v[22:23], v[26:27], -v[22:23]
	v_add_f64 v[20:21], v[20:21], v[22:23]
	v_add_f64 v[22:23], v[28:29], v[20:21]
	v_add_f64 v[24:25], v[22:23], -v[28:29]
	v_add_f64 v[20:21], v[20:21], -v[24:25]
	v_add_f64 v[24:25], v[22:23], 1.0
	v_add_f64 v[26:27], v[24:25], -1.0
	v_add_f64 v[22:23], v[22:23], -v[26:27]
	v_add_f64 v[20:21], v[20:21], v[22:23]
	v_add_f64 v[22:23], v[24:25], v[20:21]
	v_add_f64 v[24:25], v[22:23], -v[24:25]
	v_add_f64 v[20:21], v[20:21], -v[24:25]
	v_cvt_i32_f64_e32 v24, v[18:19]
	v_ldexp_f64 v[18:19], v[22:23], v24
	v_ldexp_f64 v[20:21], v[20:21], v24
	v_rcp_f64_e32 v[22:23], v[18:19]
	v_fma_f64 v[24:25], -v[18:19], v[22:23], 1.0
	v_fma_f64 v[22:23], v[24:25], v[22:23], v[22:23]
	v_fma_f64 v[24:25], -v[18:19], v[22:23], 1.0
	v_fma_f64 v[22:23], v[24:25], v[22:23], v[22:23]
	v_mul_f64 v[24:25], v[18:19], v[22:23]
	v_fma_f64 v[26:27], v[22:23], v[18:19], -v[24:25]
	v_fma_f64 v[26:27], v[22:23], v[20:21], v[26:27]
	v_add_f64 v[28:29], v[24:25], v[26:27]
	v_add_f64 v[30:31], -v[28:29], 1.0
	v_add_f64 v[24:25], v[28:29], -v[24:25]
	v_add_f64 v[32:33], -v[30:31], 1.0
	v_add_f64 v[24:25], v[24:25], -v[26:27]
	v_add_f64 v[28:29], v[32:33], -v[28:29]
	v_add_f64 v[24:25], v[24:25], v[28:29]
	v_add_f64 v[26:27], v[30:31], v[24:25]
	v_add_f64 v[28:29], v[30:31], -v[26:27]
	v_add_f64 v[24:25], v[24:25], v[28:29]
	v_mul_f64 v[28:29], v[22:23], v[26:27]
	v_mul_f64 v[30:31], v[18:19], v[28:29]
	v_fma_f64 v[32:33], v[28:29], v[18:19], -v[30:31]
	v_fma_f64 v[32:33], v[28:29], v[20:21], v[32:33]
	v_add_f64 v[34:35], v[30:31], v[32:33]
	v_add_f64 v[36:37], v[26:27], -v[34:35]
	v_add_f64 v[30:31], v[34:35], -v[30:31]
	v_add_f64 v[26:27], v[26:27], -v[36:37]
	v_add_f64 v[26:27], v[26:27], -v[34:35]
	v_add_f64 v[24:25], v[24:25], v[26:27]
	v_add_f64 v[26:27], v[30:31], -v[32:33]
	v_add_f64 v[24:25], v[26:27], v[24:25]
	v_add_f64 v[26:27], v[22:23], v[28:29]
	;; [unrolled: 1-line block ×3, first 2 shown]
	v_mul_f64 v[24:25], v[22:23], v[24:25]
	v_add_f64 v[22:23], v[26:27], -v[22:23]
	v_add_f64 v[22:23], v[28:29], -v[22:23]
	v_add_f64 v[22:23], v[22:23], v[24:25]
	v_add_f64 v[24:25], v[26:27], v[22:23]
	v_add_f64 v[26:27], v[24:25], -v[26:27]
	v_add_f64 v[22:23], v[22:23], -v[26:27]
	;; [unrolled: 1-line block ×5, first 2 shown]
	v_add_f64 v[28:29], v[20:21], v[28:29]
	v_add_f64 v[20:21], v[20:21], v[22:23]
	v_add_f64 v[28:29], v[28:29], -v[22:23]
	v_add_f64 v[30:31], v[26:27], v[28:29]
	v_add_f64 v[26:27], v[30:31], -v[26:27]
	v_add_f64 v[26:27], v[28:29], -v[26:27]
	v_add_f64 v[28:29], v[18:19], v[24:25]
	v_add_f64 v[18:19], v[28:29], -v[18:19]
	v_add_f64 v[18:19], v[24:25], -v[18:19]
	v_add_f64 v[18:19], v[20:21], v[18:19]
	v_add_f64 v[20:21], v[28:29], v[18:19]
	v_add_f64 v[22:23], v[20:21], -v[28:29]
	v_add_f64 v[18:19], v[18:19], -v[22:23]
	v_rcp_f64_e32 v[22:23], v[20:21]
	v_fma_f64 v[24:25], -v[20:21], v[22:23], 1.0
	v_fma_f64 v[22:23], v[24:25], v[22:23], v[22:23]
	v_fma_f64 v[24:25], -v[20:21], v[22:23], 1.0
	v_fma_f64 v[22:23], v[24:25], v[22:23], v[22:23]
	v_mul_f64 v[24:25], v[30:31], v[22:23]
	v_mul_f64 v[28:29], v[20:21], v[24:25]
	v_fma_f64 v[20:21], v[24:25], v[20:21], -v[28:29]
	v_fma_f64 v[18:19], v[24:25], v[18:19], v[20:21]
	v_add_f64 v[20:21], v[28:29], v[18:19]
	v_add_f64 v[28:29], v[20:21], -v[28:29]
	v_add_f64 v[18:19], v[18:19], -v[28:29]
	v_add_f64 v[28:29], v[30:31], -v[20:21]
	v_add_f64 v[30:31], v[30:31], -v[28:29]
	v_add_f64 v[20:21], v[30:31], -v[20:21]
	v_add_f64 v[18:19], v[20:21], -v[18:19]
	v_add_f64 v[18:19], v[26:27], v[18:19]
	v_add_f64 v[18:19], v[28:29], v[18:19]
	v_mul_f64 v[18:19], v[22:23], v[18:19]
	v_add_f64 v[18:19], v[24:25], v[18:19]
	v_cndmask_b32_e32 v19, v16, v19, vcc
	v_cndmask_b32_e32 v18, 0, v18, vcc
	v_cmp_lt_f64_e64 vcc, |v[3:4]|, s[46:47]
	v_cndmask_b32_e32 v3, v18, v3, vcc
	v_cndmask_b32_e32 v18, v19, v38, vcc
	v_bfi_b32 v4, s49, v18, v4
	v_add_co_u32_e32 v18, vcc, s0, v13
	v_addc_co_u32_e32 v19, vcc, v17, v14, vcc
	v_add_co_u32_e32 v11, vcc, s33, v11
	v_addc_co_u32_e32 v12, vcc, 0, v12, vcc
	global_store_dwordx4 v[18:19], v[5:8], off
	global_store_dwordx4 v[18:19], v[1:4], off offset:16
	v_add_co_u32_e32 v13, vcc, s48, v13
	v_lshlrev_b64 v[1:2], 2, v[11:12]
	v_addc_co_u32_e32 v14, vcc, 0, v14, vcc
	v_cmp_le_i64_e32 vcc, s[8:9], v[1:2]
	s_or_b64 s[14:15], vcc, s[14:15]
	s_andn2_b64 exec, exec, s[14:15]
	s_cbranch_execnz .LBB153_3
.LBB153_4:
	s_or_b64 exec, exec, s[12:13]
	s_mov_b64 s[8:9], 0
.LBB153_5:
	s_andn2_b64 vcc, exec, s[8:9]
	s_cbranch_vccnz .LBB153_25
; %bb.6:
	v_cmp_lt_i64_e64 s[8:9], s[6:7], 1
	s_and_b64 vcc, exec, s[8:9]
	s_cbranch_vccnz .LBB153_25
; %bb.7:
	v_mov_b32_e32 v1, 0x10000
	s_load_dword s8, s[4:5], 0xc5c
	v_mov_b32_e32 v2, 0
	v_cmp_lt_i64_e32 vcc, s[6:7], v[1:2]
	v_mov_b32_e32 v3, 0
	s_and_b64 s[4:5], vcc, exec
	v_cmp_lt_u64_e32 vcc, s[6:7], v[1:2]
	s_cselect_b32 s13, s7, 0
	s_cselect_b32 s12, s6, 0x10000
	s_waitcnt lgkmcnt(0)
	s_and_b32 s8, s8, 0xffff
	v_lshlrev_b32_e32 v2, 3, v0
	s_and_b64 s[4:5], vcc, exec
	v_mov_b32_e32 v1, s3
	v_add_co_u32_e32 v11, vcc, s2, v2
	v_mad_u64_u32 v[3:4], s[4:5], s8, 24, v[2:3]
	v_addc_co_u32_e32 v12, vcc, 0, v1, vcc
	v_mov_b32_e32 v1, s1
	v_add_co_u32_e32 v13, vcc, s0, v2
	v_addc_co_u32_e32 v14, vcc, 0, v1, vcc
	v_mov_b32_e32 v1, s3
	v_add_co_u32_e32 v15, vcc, s2, v3
	;; [unrolled: 3-line block ×3, first 2 shown]
	s_cselect_b32 s15, s7, 0
	s_cselect_b32 s14, s6, 0x10000
	v_addc_co_u32_e32 v18, vcc, v1, v4, vcc
	s_lshl_b32 s4, s8, 4
	v_add_co_u32_e32 v1, vcc, s4, v2
	v_addc_co_u32_e64 v2, s[4:5], 0, 0, vcc
	v_mov_b32_e32 v3, s3
	v_add_co_u32_e32 v19, vcc, s2, v1
	v_addc_co_u32_e32 v20, vcc, v3, v2, vcc
	v_mov_b32_e32 v3, s1
	v_add_co_u32_e32 v21, vcc, s0, v1
	v_addc_co_u32_e32 v22, vcc, v3, v2, vcc
	v_add_co_u32_e32 v23, vcc, s8, v0
	v_lshlrev_b32_e32 v1, 3, v23
	v_addc_co_u32_e64 v24, s[4:5], 0, 0, vcc
	v_mov_b32_e32 v2, s3
	v_add_co_u32_e32 v25, vcc, s2, v1
	v_addc_co_u32_e32 v26, vcc, 0, v2, vcc
	v_mov_b32_e32 v2, s1
	v_add_co_u32_e32 v27, vcc, s0, v1
	s_mul_i32 s7, s8, 3
	v_addc_co_u32_e32 v28, vcc, 0, v2, vcc
	s_lshl_b32 s6, s8, 1
	v_add_co_u32_e32 v29, vcc, s7, v0
	s_mov_b32 s18, 0
	s_mov_b32 s20, 0x652b82fe
	;; [unrolled: 1-line block ×15, first 2 shown]
	v_addc_co_u32_e64 v30, s[0:1], 0, 0, vcc
	v_add_co_u32_e32 v31, vcc, s6, v0
	s_lshl_b32 s33, s8, 2
	s_lshl_b32 s52, s8, 5
	s_mov_b64 s[16:17], 0
	s_brev_b32 s53, -2
	s_mov_b32 s19, 0x3e400000
	s_mov_b32 s21, 0x3ff71547
	;; [unrolled: 1-line block ×15, first 2 shown]
	v_mov_b32_e32 v1, 0xfca7ab0c
	v_mov_b32_e32 v2, 0x3e928af3
	v_addc_co_u32_e64 v32, s[0:1], 0, 0, vcc
	v_mov_b32_e32 v33, 0x3ff00000
	s_branch .LBB153_9
.LBB153_8:                              ;   in Loop: Header=BB153_9 Depth=1
	s_or_b64 exec, exec, s[0:1]
	v_add_co_u32_e32 v11, vcc, s52, v11
	v_addc_co_u32_e32 v12, vcc, 0, v12, vcc
	v_add_co_u32_e32 v13, vcc, s52, v13
	v_addc_co_u32_e32 v14, vcc, 0, v14, vcc
	;; [unrolled: 2-line block ×6, first 2 shown]
	s_add_u32 s16, s16, s33
	v_add_co_u32_e32 v25, vcc, s52, v25
	s_waitcnt vmcnt(0)
	v_mov_b32_e32 v3, s12
	s_addc_u32 s17, s17, 0
	v_addc_co_u32_e32 v26, vcc, 0, v26, vcc
	v_mov_b32_e32 v4, s13
	v_cmp_ge_i64_e32 vcc, s[16:17], v[3:4]
	v_add_co_u32_e64 v27, s[0:1], s52, v27
	v_addc_co_u32_e64 v28, s[0:1], 0, v28, s[0:1]
	s_cbranch_vccnz .LBB153_25
.LBB153_9:                              ; =>This Inner Loop Header: Depth=1
	v_mov_b32_e32 v4, s17
	v_add_co_u32_e32 v3, vcc, s16, v0
	v_addc_co_u32_e32 v4, vcc, 0, v4, vcc
	v_cmp_gt_u64_e64 s[4:5], s[14:15], v[3:4]
	v_mov_b32_e32 v7, 0
	v_mov_b32_e32 v9, 0
	;; [unrolled: 1-line block ×4, first 2 shown]
	s_and_saveexec_b64 s[0:1], s[4:5]
	s_cbranch_execz .LBB153_11
; %bb.10:                               ;   in Loop: Header=BB153_9 Depth=1
	v_mov_b32_e32 v4, s11
	v_add_co_u32_e32 v3, vcc, s10, v11
	v_addc_co_u32_e32 v4, vcc, v12, v4, vcc
	global_load_dwordx2 v[9:10], v[3:4], off
.LBB153_11:                             ;   in Loop: Header=BB153_9 Depth=1
	s_or_b64 exec, exec, s[0:1]
	v_mov_b32_e32 v4, s17
	v_add_co_u32_e32 v3, vcc, s16, v23
	v_addc_co_u32_e32 v4, vcc, v24, v4, vcc
	v_cmp_gt_u64_e64 s[2:3], s[14:15], v[3:4]
	s_and_saveexec_b64 s[0:1], s[2:3]
	s_cbranch_execz .LBB153_13
; %bb.12:                               ;   in Loop: Header=BB153_9 Depth=1
	v_mov_b32_e32 v4, s11
	v_add_co_u32_e32 v3, vcc, s10, v25
	v_addc_co_u32_e32 v4, vcc, v26, v4, vcc
	global_load_dwordx2 v[7:8], v[3:4], off
.LBB153_13:                             ;   in Loop: Header=BB153_9 Depth=1
	s_or_b64 exec, exec, s[0:1]
	v_mov_b32_e32 v4, s17
	v_add_co_u32_e32 v3, vcc, s16, v31
	v_addc_co_u32_e32 v4, vcc, v32, v4, vcc
	v_cmp_gt_u64_e64 s[0:1], s[14:15], v[3:4]
	v_mov_b32_e32 v3, 0
	v_mov_b32_e32 v5, 0
	v_mov_b32_e32 v4, 0
	v_mov_b32_e32 v6, 0
	s_and_saveexec_b64 s[6:7], s[0:1]
	s_cbranch_execz .LBB153_15
; %bb.14:                               ;   in Loop: Header=BB153_9 Depth=1
	v_mov_b32_e32 v6, s11
	v_add_co_u32_e32 v5, vcc, s10, v19
	v_addc_co_u32_e32 v6, vcc, v20, v6, vcc
	global_load_dwordx2 v[5:6], v[5:6], off
.LBB153_15:                             ;   in Loop: Header=BB153_9 Depth=1
	s_or_b64 exec, exec, s[6:7]
	v_mov_b32_e32 v35, s17
	v_add_co_u32_e32 v34, vcc, s16, v29
	v_addc_co_u32_e32 v35, vcc, v30, v35, vcc
	v_cmp_gt_u64_e32 vcc, s[14:15], v[34:35]
	s_and_saveexec_b64 s[8:9], vcc
	s_cbranch_execnz .LBB153_20
; %bb.16:                               ;   in Loop: Header=BB153_9 Depth=1
	s_or_b64 exec, exec, s[8:9]
	s_and_saveexec_b64 s[50:51], s[4:5]
	s_cbranch_execnz .LBB153_21
.LBB153_17:                             ;   in Loop: Header=BB153_9 Depth=1
	s_or_b64 exec, exec, s[50:51]
	s_and_saveexec_b64 s[4:5], s[2:3]
	s_cbranch_execnz .LBB153_22
.LBB153_18:                             ;   in Loop: Header=BB153_9 Depth=1
	s_or_b64 exec, exec, s[4:5]
	s_and_saveexec_b64 s[2:3], s[0:1]
	s_cbranch_execnz .LBB153_23
.LBB153_19:                             ;   in Loop: Header=BB153_9 Depth=1
	s_or_b64 exec, exec, s[2:3]
	s_and_saveexec_b64 s[0:1], vcc
	s_cbranch_execz .LBB153_8
	s_branch .LBB153_24
.LBB153_20:                             ;   in Loop: Header=BB153_9 Depth=1
	v_mov_b32_e32 v4, s11
	v_add_co_u32_e64 v3, s[6:7], s10, v15
	v_addc_co_u32_e64 v4, s[6:7], v16, v4, s[6:7]
	global_load_dwordx2 v[3:4], v[3:4], off
	s_or_b64 exec, exec, s[8:9]
	s_and_saveexec_b64 s[50:51], s[4:5]
	s_cbranch_execz .LBB153_17
.LBB153_21:                             ;   in Loop: Header=BB153_9 Depth=1
	s_waitcnt vmcnt(0)
	v_mul_f64 v[34:35], |v[9:10]|, s[20:21]
	v_cmp_ngt_f64_e64 s[4:5], |v[9:10]|, s[48:49]
	v_cmp_lt_f64_e64 s[6:7], |v[9:10]|, s[18:19]
	v_rndne_f64_e32 v[34:35], v[34:35]
	v_fma_f64 v[36:37], v[34:35], s[22:23], |v[9:10]|
	v_mul_f64 v[38:39], v[34:35], s[24:25]
	v_add_f64 v[40:41], v[36:37], 0
	v_add_f64 v[42:43], v[40:41], v[38:39]
	v_add_f64 v[36:37], v[36:37], -v[40:41]
	v_add_f64 v[40:41], v[40:41], -v[42:43]
	v_add_f64 v[36:37], v[36:37], 0
	v_add_f64 v[38:39], v[40:41], v[38:39]
	v_add_f64 v[36:37], v[36:37], v[38:39]
	v_mul_f64 v[38:39], v[34:35], s[26:27]
	v_add_f64 v[40:41], v[42:43], v[36:37]
	v_add_f64 v[44:45], v[40:41], v[38:39]
	v_add_f64 v[42:43], v[42:43], -v[40:41]
	v_add_f64 v[40:41], v[40:41], -v[44:45]
	v_add_f64 v[36:37], v[36:37], v[42:43]
	v_add_f64 v[38:39], v[40:41], v[38:39]
	;; [unrolled: 1-line block ×4, first 2 shown]
	v_fma_f64 v[40:41], v[38:39], s[28:29], v[1:2]
	v_add_f64 v[42:43], v[44:45], -v[38:39]
	v_mul_f64 v[44:45], v[38:39], v[38:39]
	v_fma_f64 v[40:41], v[38:39], v[40:41], s[30:31]
	v_add_f64 v[36:37], v[36:37], v[42:43]
	v_fma_f64 v[42:43], v[38:39], v[38:39], -v[44:45]
	v_fma_f64 v[40:41], v[38:39], v[40:41], s[34:35]
	v_add_f64 v[46:47], v[36:37], v[36:37]
	v_fma_f64 v[40:41], v[38:39], v[40:41], s[36:37]
	v_fma_f64 v[42:43], v[38:39], v[46:47], v[42:43]
	;; [unrolled: 1-line block ×3, first 2 shown]
	v_add_f64 v[46:47], v[44:45], v[42:43]
	v_fma_f64 v[40:41], v[38:39], v[40:41], s[40:41]
	v_add_f64 v[44:45], v[46:47], -v[44:45]
	v_fma_f64 v[40:41], v[38:39], v[40:41], s[42:43]
	v_add_f64 v[42:43], v[42:43], -v[44:45]
	v_fma_f64 v[40:41], v[38:39], v[40:41], s[44:45]
	v_fma_f64 v[40:41], v[38:39], v[40:41], s[46:47]
	v_mul_f64 v[48:49], v[46:47], v[40:41]
	v_fma_f64 v[44:45], v[46:47], v[40:41], -v[48:49]
	v_fma_f64 v[40:41], v[42:43], v[40:41], v[44:45]
	v_add_f64 v[42:43], v[48:49], v[40:41]
	v_add_f64 v[44:45], v[42:43], -v[48:49]
	v_add_f64 v[46:47], v[38:39], v[42:43]
	v_add_f64 v[40:41], v[40:41], -v[44:45]
	v_add_f64 v[38:39], v[46:47], -v[38:39]
	v_add_f64 v[36:37], v[36:37], v[40:41]
	v_add_f64 v[38:39], v[42:43], -v[38:39]
	v_add_f64 v[36:37], v[36:37], v[38:39]
	v_add_f64 v[38:39], v[46:47], v[36:37]
	v_add_f64 v[40:41], v[38:39], 1.0
	v_add_f64 v[42:43], v[38:39], -v[46:47]
	v_cvt_i32_f64_e32 v46, v[34:35]
	v_add_f64 v[44:45], v[40:41], -1.0
	v_add_f64 v[36:37], v[36:37], -v[42:43]
	v_add_f64 v[38:39], v[38:39], -v[44:45]
	v_add_f64 v[36:37], v[36:37], v[38:39]
	v_add_f64 v[38:39], v[40:41], v[36:37]
	v_ldexp_f64 v[34:35], v[38:39], v46
	v_add_f64 v[38:39], v[38:39], -v[40:41]
	v_rcp_f64_e32 v[42:43], v[34:35]
	v_add_f64 v[36:37], v[36:37], -v[38:39]
	v_ldexp_f64 v[36:37], v[36:37], v46
	v_fma_f64 v[44:45], -v[34:35], v[42:43], 1.0
	v_fma_f64 v[42:43], v[44:45], v[42:43], v[42:43]
	v_fma_f64 v[44:45], -v[34:35], v[42:43], 1.0
	v_fma_f64 v[40:41], v[44:45], v[42:43], v[42:43]
	v_mul_f64 v[38:39], v[34:35], v[40:41]
	v_fma_f64 v[42:43], v[40:41], v[34:35], -v[38:39]
	v_fma_f64 v[42:43], v[40:41], v[36:37], v[42:43]
	v_add_f64 v[44:45], v[38:39], v[42:43]
	v_add_f64 v[46:47], -v[44:45], 1.0
	v_add_f64 v[38:39], v[44:45], -v[38:39]
	v_add_f64 v[48:49], -v[46:47], 1.0
	v_add_f64 v[38:39], v[38:39], -v[42:43]
	v_add_f64 v[42:43], v[48:49], -v[44:45]
	v_add_f64 v[38:39], v[38:39], v[42:43]
	v_add_f64 v[42:43], v[46:47], v[38:39]
	v_mul_f64 v[44:45], v[40:41], v[42:43]
	v_add_f64 v[46:47], v[46:47], -v[42:43]
	v_mul_f64 v[48:49], v[34:35], v[44:45]
	v_add_f64 v[38:39], v[38:39], v[46:47]
	v_fma_f64 v[50:51], v[44:45], v[34:35], -v[48:49]
	v_fma_f64 v[50:51], v[44:45], v[36:37], v[50:51]
	v_add_f64 v[52:53], v[48:49], v[50:51]
	v_add_f64 v[54:55], v[42:43], -v[52:53]
	v_add_f64 v[46:47], v[52:53], -v[48:49]
	;; [unrolled: 1-line block ×5, first 2 shown]
	v_add_f64 v[38:39], v[38:39], v[42:43]
	v_add_f64 v[42:43], v[40:41], v[44:45]
	;; [unrolled: 1-line block ×3, first 2 shown]
	v_add_f64 v[46:47], v[42:43], -v[40:41]
	v_add_f64 v[38:39], v[54:55], v[38:39]
	v_add_f64 v[44:45], v[44:45], -v[46:47]
	v_mul_f64 v[38:39], v[40:41], v[38:39]
	v_add_f64 v[38:39], v[44:45], v[38:39]
	v_add_f64 v[40:41], v[42:43], v[38:39]
	v_add_f64 v[42:43], v[40:41], -v[42:43]
	v_add_f64 v[44:45], v[34:35], v[40:41]
	v_add_f64 v[48:49], v[34:35], -v[40:41]
	v_add_f64 v[38:39], v[38:39], -v[42:43]
	;; [unrolled: 1-line block ×4, first 2 shown]
	v_add_f64 v[46:47], v[36:37], v[38:39]
	v_add_f64 v[42:43], v[40:41], -v[42:43]
	v_add_f64 v[34:35], v[34:35], -v[40:41]
	v_add_f64 v[42:43], v[46:47], v[42:43]
	v_add_f64 v[34:35], v[36:37], v[34:35]
	;; [unrolled: 1-line block ×3, first 2 shown]
	v_add_f64 v[34:35], v[34:35], -v[38:39]
	v_rcp_f64_e32 v[50:51], v[46:47]
	v_add_f64 v[44:45], v[46:47], -v[44:45]
	v_add_f64 v[42:43], v[42:43], -v[44:45]
	v_fma_f64 v[40:41], -v[46:47], v[50:51], 1.0
	v_fma_f64 v[36:37], v[40:41], v[50:51], v[50:51]
	v_add_f64 v[40:41], v[48:49], v[34:35]
	v_fma_f64 v[38:39], -v[46:47], v[36:37], 1.0
	v_fma_f64 v[36:37], v[38:39], v[36:37], v[36:37]
	v_mul_f64 v[38:39], v[40:41], v[36:37]
	v_mul_f64 v[50:51], v[46:47], v[38:39]
	v_fma_f64 v[44:45], v[38:39], v[46:47], -v[50:51]
	v_fma_f64 v[42:43], v[38:39], v[42:43], v[44:45]
	v_add_f64 v[44:45], v[50:51], v[42:43]
	v_add_f64 v[46:47], v[40:41], -v[44:45]
	v_add_f64 v[50:51], v[44:45], -v[50:51]
	;; [unrolled: 1-line block ×8, first 2 shown]
	v_add_f64 v[34:35], v[34:35], v[40:41]
	v_add_f64 v[34:35], v[46:47], v[34:35]
	v_mul_f64 v[34:35], v[36:37], v[34:35]
	v_and_b32_e32 v37, 0x7fffffff, v10
	v_add_co_u32_e64 v36, s[8:9], s10, v13
	v_add_f64 v[34:35], v[38:39], v[34:35]
	v_mov_b32_e32 v38, s11
	v_cndmask_b32_e64 v35, v33, v35, s[4:5]
	v_cndmask_b32_e64 v34, 0, v34, s[4:5]
	v_cndmask_b32_e64 v9, v34, v9, s[6:7]
	v_cndmask_b32_e64 v34, v35, v37, s[6:7]
	v_bfi_b32 v10, s53, v34, v10
	v_addc_co_u32_e64 v37, s[4:5], v14, v38, s[8:9]
	global_store_dwordx2 v[36:37], v[9:10], off
	s_or_b64 exec, exec, s[50:51]
	s_and_saveexec_b64 s[4:5], s[2:3]
	s_cbranch_execz .LBB153_18
.LBB153_22:                             ;   in Loop: Header=BB153_9 Depth=1
	s_waitcnt vmcnt(0)
	v_mul_f64 v[9:10], |v[7:8]|, s[20:21]
	v_cmp_ngt_f64_e64 s[2:3], |v[7:8]|, s[48:49]
	v_rndne_f64_e32 v[9:10], v[9:10]
	v_fma_f64 v[34:35], v[9:10], s[22:23], |v[7:8]|
	v_mul_f64 v[36:37], v[9:10], s[24:25]
	v_add_f64 v[38:39], v[34:35], 0
	v_add_f64 v[40:41], v[38:39], v[36:37]
	v_add_f64 v[34:35], v[34:35], -v[38:39]
	v_add_f64 v[38:39], v[38:39], -v[40:41]
	v_add_f64 v[34:35], v[34:35], 0
	v_add_f64 v[36:37], v[38:39], v[36:37]
	;; [unrolled: 1-line block ×3, first 2 shown]
	v_mul_f64 v[36:37], v[9:10], s[26:27]
	v_add_f64 v[38:39], v[40:41], v[34:35]
	v_add_f64 v[42:43], v[38:39], v[36:37]
	v_add_f64 v[40:41], v[40:41], -v[38:39]
	v_add_f64 v[38:39], v[38:39], -v[42:43]
	v_add_f64 v[34:35], v[34:35], v[40:41]
	v_add_f64 v[36:37], v[38:39], v[36:37]
	;; [unrolled: 1-line block ×4, first 2 shown]
	v_fma_f64 v[38:39], v[36:37], s[28:29], v[1:2]
	v_add_f64 v[40:41], v[42:43], -v[36:37]
	v_mul_f64 v[42:43], v[36:37], v[36:37]
	v_fma_f64 v[38:39], v[36:37], v[38:39], s[30:31]
	v_add_f64 v[34:35], v[34:35], v[40:41]
	v_fma_f64 v[40:41], v[36:37], v[36:37], -v[42:43]
	v_fma_f64 v[38:39], v[36:37], v[38:39], s[34:35]
	v_add_f64 v[44:45], v[34:35], v[34:35]
	v_fma_f64 v[38:39], v[36:37], v[38:39], s[36:37]
	v_fma_f64 v[40:41], v[36:37], v[44:45], v[40:41]
	;; [unrolled: 1-line block ×3, first 2 shown]
	v_add_f64 v[44:45], v[42:43], v[40:41]
	v_fma_f64 v[38:39], v[36:37], v[38:39], s[40:41]
	v_add_f64 v[42:43], v[44:45], -v[42:43]
	v_fma_f64 v[38:39], v[36:37], v[38:39], s[42:43]
	v_add_f64 v[40:41], v[40:41], -v[42:43]
	v_fma_f64 v[38:39], v[36:37], v[38:39], s[44:45]
	v_fma_f64 v[38:39], v[36:37], v[38:39], s[46:47]
	v_mul_f64 v[46:47], v[44:45], v[38:39]
	v_fma_f64 v[42:43], v[44:45], v[38:39], -v[46:47]
	v_fma_f64 v[38:39], v[40:41], v[38:39], v[42:43]
	v_add_f64 v[40:41], v[46:47], v[38:39]
	v_add_f64 v[42:43], v[36:37], v[40:41]
	v_add_f64 v[44:45], v[40:41], -v[46:47]
	v_add_f64 v[36:37], v[42:43], -v[36:37]
	;; [unrolled: 1-line block ×3, first 2 shown]
	v_cvt_i32_f64_e32 v44, v[9:10]
	v_add_f64 v[36:37], v[40:41], -v[36:37]
	v_add_f64 v[34:35], v[34:35], v[38:39]
	v_add_f64 v[34:35], v[34:35], v[36:37]
	v_add_f64 v[36:37], v[42:43], v[34:35]
	v_add_f64 v[38:39], v[36:37], 1.0
	v_add_f64 v[40:41], v[36:37], -v[42:43]
	v_add_f64 v[42:43], v[38:39], -1.0
	v_add_f64 v[34:35], v[34:35], -v[40:41]
	v_add_f64 v[36:37], v[36:37], -v[42:43]
	v_add_f64 v[34:35], v[34:35], v[36:37]
	v_add_f64 v[36:37], v[38:39], v[34:35]
	v_ldexp_f64 v[9:10], v[36:37], v44
	v_add_f64 v[36:37], v[36:37], -v[38:39]
	v_rcp_f64_e32 v[40:41], v[9:10]
	v_add_f64 v[34:35], v[34:35], -v[36:37]
	v_ldexp_f64 v[34:35], v[34:35], v44
	v_fma_f64 v[42:43], -v[9:10], v[40:41], 1.0
	v_fma_f64 v[40:41], v[42:43], v[40:41], v[40:41]
	v_fma_f64 v[42:43], -v[9:10], v[40:41], 1.0
	v_fma_f64 v[38:39], v[42:43], v[40:41], v[40:41]
	v_mul_f64 v[36:37], v[9:10], v[38:39]
	v_fma_f64 v[40:41], v[38:39], v[9:10], -v[36:37]
	v_fma_f64 v[40:41], v[38:39], v[34:35], v[40:41]
	v_add_f64 v[42:43], v[36:37], v[40:41]
	v_add_f64 v[44:45], -v[42:43], 1.0
	v_add_f64 v[36:37], v[42:43], -v[36:37]
	v_add_f64 v[46:47], -v[44:45], 1.0
	v_add_f64 v[36:37], v[36:37], -v[40:41]
	v_add_f64 v[40:41], v[46:47], -v[42:43]
	v_add_f64 v[36:37], v[36:37], v[40:41]
	v_add_f64 v[40:41], v[44:45], v[36:37]
	v_mul_f64 v[42:43], v[38:39], v[40:41]
	v_add_f64 v[44:45], v[44:45], -v[40:41]
	v_mul_f64 v[46:47], v[9:10], v[42:43]
	v_add_f64 v[36:37], v[36:37], v[44:45]
	v_fma_f64 v[48:49], v[42:43], v[9:10], -v[46:47]
	v_fma_f64 v[48:49], v[42:43], v[34:35], v[48:49]
	v_add_f64 v[50:51], v[46:47], v[48:49]
	v_add_f64 v[52:53], v[40:41], -v[50:51]
	v_add_f64 v[44:45], v[50:51], -v[46:47]
	;; [unrolled: 1-line block ×5, first 2 shown]
	v_add_f64 v[36:37], v[36:37], v[40:41]
	v_add_f64 v[40:41], v[38:39], v[42:43]
	;; [unrolled: 1-line block ×3, first 2 shown]
	v_add_f64 v[44:45], v[40:41], -v[38:39]
	v_add_f64 v[36:37], v[52:53], v[36:37]
	v_add_f64 v[42:43], v[42:43], -v[44:45]
	v_mul_f64 v[36:37], v[38:39], v[36:37]
	v_add_f64 v[36:37], v[42:43], v[36:37]
	v_add_f64 v[38:39], v[40:41], v[36:37]
	v_add_f64 v[42:43], v[9:10], v[38:39]
	v_add_f64 v[40:41], v[38:39], -v[40:41]
	v_add_f64 v[46:47], v[9:10], -v[38:39]
	;; [unrolled: 1-line block ×6, first 2 shown]
	v_add_f64 v[44:45], v[34:35], v[36:37]
	v_add_f64 v[9:10], v[9:10], -v[38:39]
	v_add_f64 v[40:41], v[44:45], v[40:41]
	v_add_f64 v[9:10], v[34:35], v[9:10]
	;; [unrolled: 1-line block ×3, first 2 shown]
	v_add_f64 v[9:10], v[9:10], -v[36:37]
	v_rcp_f64_e32 v[48:49], v[44:45]
	v_add_f64 v[42:43], v[44:45], -v[42:43]
	v_add_f64 v[40:41], v[40:41], -v[42:43]
	v_fma_f64 v[38:39], -v[44:45], v[48:49], 1.0
	v_fma_f64 v[34:35], v[38:39], v[48:49], v[48:49]
	v_add_f64 v[38:39], v[46:47], v[9:10]
	v_fma_f64 v[36:37], -v[44:45], v[34:35], 1.0
	v_fma_f64 v[34:35], v[36:37], v[34:35], v[34:35]
	v_mul_f64 v[36:37], v[38:39], v[34:35]
	v_mul_f64 v[48:49], v[44:45], v[36:37]
	v_fma_f64 v[42:43], v[36:37], v[44:45], -v[48:49]
	v_fma_f64 v[40:41], v[36:37], v[40:41], v[42:43]
	v_add_f64 v[42:43], v[48:49], v[40:41]
	v_add_f64 v[44:45], v[38:39], -v[42:43]
	v_add_f64 v[48:49], v[42:43], -v[48:49]
	;; [unrolled: 1-line block ×8, first 2 shown]
	v_add_f64 v[9:10], v[9:10], v[38:39]
	v_add_f64 v[9:10], v[44:45], v[9:10]
	v_mul_f64 v[9:10], v[34:35], v[9:10]
	v_and_b32_e32 v34, 0x7fffffff, v8
	v_mov_b32_e32 v35, s11
	v_add_f64 v[9:10], v[36:37], v[9:10]
	v_cndmask_b32_e64 v10, v33, v10, s[2:3]
	v_cndmask_b32_e64 v9, 0, v9, s[2:3]
	v_cmp_lt_f64_e64 s[2:3], |v[7:8]|, s[18:19]
	v_cndmask_b32_e64 v7, v9, v7, s[2:3]
	v_cndmask_b32_e64 v9, v10, v34, s[2:3]
	v_bfi_b32 v8, s53, v9, v8
	v_add_co_u32_e64 v9, s[2:3], s10, v27
	v_addc_co_u32_e64 v10, s[2:3], v28, v35, s[2:3]
	global_store_dwordx2 v[9:10], v[7:8], off
	s_or_b64 exec, exec, s[4:5]
	s_and_saveexec_b64 s[2:3], s[0:1]
	s_cbranch_execz .LBB153_19
.LBB153_23:                             ;   in Loop: Header=BB153_9 Depth=1
	s_waitcnt vmcnt(0)
	v_mul_f64 v[7:8], |v[5:6]|, s[20:21]
	v_cmp_ngt_f64_e64 s[0:1], |v[5:6]|, s[48:49]
	v_rndne_f64_e32 v[7:8], v[7:8]
	v_fma_f64 v[9:10], v[7:8], s[22:23], |v[5:6]|
	v_mul_f64 v[34:35], v[7:8], s[24:25]
	v_add_f64 v[36:37], v[9:10], 0
	v_add_f64 v[38:39], v[36:37], v[34:35]
	v_add_f64 v[9:10], v[9:10], -v[36:37]
	v_add_f64 v[36:37], v[36:37], -v[38:39]
	v_add_f64 v[9:10], v[9:10], 0
	v_add_f64 v[34:35], v[36:37], v[34:35]
	v_add_f64 v[9:10], v[9:10], v[34:35]
	v_mul_f64 v[34:35], v[7:8], s[26:27]
	v_add_f64 v[36:37], v[38:39], v[9:10]
	v_add_f64 v[40:41], v[36:37], v[34:35]
	v_add_f64 v[38:39], v[38:39], -v[36:37]
	v_add_f64 v[36:37], v[36:37], -v[40:41]
	v_add_f64 v[9:10], v[9:10], v[38:39]
	v_add_f64 v[34:35], v[36:37], v[34:35]
	;; [unrolled: 1-line block ×4, first 2 shown]
	v_fma_f64 v[36:37], v[34:35], s[28:29], v[1:2]
	v_add_f64 v[38:39], v[40:41], -v[34:35]
	v_mul_f64 v[40:41], v[34:35], v[34:35]
	v_fma_f64 v[36:37], v[34:35], v[36:37], s[30:31]
	v_add_f64 v[9:10], v[9:10], v[38:39]
	v_fma_f64 v[38:39], v[34:35], v[34:35], -v[40:41]
	v_fma_f64 v[36:37], v[34:35], v[36:37], s[34:35]
	v_add_f64 v[42:43], v[9:10], v[9:10]
	v_fma_f64 v[36:37], v[34:35], v[36:37], s[36:37]
	v_fma_f64 v[38:39], v[34:35], v[42:43], v[38:39]
	;; [unrolled: 1-line block ×3, first 2 shown]
	v_add_f64 v[42:43], v[40:41], v[38:39]
	v_fma_f64 v[36:37], v[34:35], v[36:37], s[40:41]
	v_add_f64 v[40:41], v[42:43], -v[40:41]
	v_fma_f64 v[36:37], v[34:35], v[36:37], s[42:43]
	v_add_f64 v[38:39], v[38:39], -v[40:41]
	v_fma_f64 v[36:37], v[34:35], v[36:37], s[44:45]
	v_fma_f64 v[36:37], v[34:35], v[36:37], s[46:47]
	v_mul_f64 v[44:45], v[42:43], v[36:37]
	v_fma_f64 v[40:41], v[42:43], v[36:37], -v[44:45]
	v_fma_f64 v[36:37], v[38:39], v[36:37], v[40:41]
	v_add_f64 v[38:39], v[44:45], v[36:37]
	v_add_f64 v[40:41], v[34:35], v[38:39]
	v_add_f64 v[42:43], v[38:39], -v[44:45]
	v_add_f64 v[34:35], v[40:41], -v[34:35]
	;; [unrolled: 1-line block ×3, first 2 shown]
	v_cvt_i32_f64_e32 v42, v[7:8]
	v_add_f64 v[34:35], v[38:39], -v[34:35]
	v_add_f64 v[9:10], v[9:10], v[36:37]
	v_add_f64 v[9:10], v[9:10], v[34:35]
	;; [unrolled: 1-line block ×3, first 2 shown]
	v_add_f64 v[36:37], v[34:35], 1.0
	v_add_f64 v[38:39], v[34:35], -v[40:41]
	v_add_f64 v[40:41], v[36:37], -1.0
	v_add_f64 v[9:10], v[9:10], -v[38:39]
	v_add_f64 v[34:35], v[34:35], -v[40:41]
	v_add_f64 v[9:10], v[9:10], v[34:35]
	v_add_f64 v[34:35], v[36:37], v[9:10]
	v_ldexp_f64 v[7:8], v[34:35], v42
	v_add_f64 v[34:35], v[34:35], -v[36:37]
	v_rcp_f64_e32 v[38:39], v[7:8]
	v_add_f64 v[9:10], v[9:10], -v[34:35]
	v_ldexp_f64 v[9:10], v[9:10], v42
	v_fma_f64 v[40:41], -v[7:8], v[38:39], 1.0
	v_fma_f64 v[38:39], v[40:41], v[38:39], v[38:39]
	v_fma_f64 v[40:41], -v[7:8], v[38:39], 1.0
	v_fma_f64 v[36:37], v[40:41], v[38:39], v[38:39]
	v_mul_f64 v[34:35], v[7:8], v[36:37]
	v_fma_f64 v[38:39], v[36:37], v[7:8], -v[34:35]
	v_fma_f64 v[38:39], v[36:37], v[9:10], v[38:39]
	v_add_f64 v[40:41], v[34:35], v[38:39]
	v_add_f64 v[42:43], -v[40:41], 1.0
	v_add_f64 v[34:35], v[40:41], -v[34:35]
	v_add_f64 v[44:45], -v[42:43], 1.0
	v_add_f64 v[34:35], v[34:35], -v[38:39]
	v_add_f64 v[38:39], v[44:45], -v[40:41]
	v_add_f64 v[34:35], v[34:35], v[38:39]
	v_add_f64 v[38:39], v[42:43], v[34:35]
	v_mul_f64 v[40:41], v[36:37], v[38:39]
	v_add_f64 v[42:43], v[42:43], -v[38:39]
	v_mul_f64 v[44:45], v[7:8], v[40:41]
	v_add_f64 v[34:35], v[34:35], v[42:43]
	v_fma_f64 v[46:47], v[40:41], v[7:8], -v[44:45]
	v_fma_f64 v[46:47], v[40:41], v[9:10], v[46:47]
	v_add_f64 v[48:49], v[44:45], v[46:47]
	v_add_f64 v[50:51], v[38:39], -v[48:49]
	v_add_f64 v[42:43], v[48:49], -v[44:45]
	;; [unrolled: 1-line block ×5, first 2 shown]
	v_add_f64 v[34:35], v[34:35], v[38:39]
	v_add_f64 v[38:39], v[36:37], v[40:41]
	;; [unrolled: 1-line block ×3, first 2 shown]
	v_add_f64 v[42:43], v[38:39], -v[36:37]
	v_add_f64 v[34:35], v[50:51], v[34:35]
	v_add_f64 v[40:41], v[40:41], -v[42:43]
	v_mul_f64 v[34:35], v[36:37], v[34:35]
	v_add_f64 v[34:35], v[40:41], v[34:35]
	v_add_f64 v[36:37], v[38:39], v[34:35]
	;; [unrolled: 1-line block ×3, first 2 shown]
	v_add_f64 v[38:39], v[36:37], -v[38:39]
	v_add_f64 v[44:45], v[7:8], -v[36:37]
	;; [unrolled: 1-line block ×6, first 2 shown]
	v_add_f64 v[42:43], v[9:10], v[34:35]
	v_add_f64 v[7:8], v[7:8], -v[36:37]
	v_add_f64 v[38:39], v[42:43], v[38:39]
	v_add_f64 v[7:8], v[9:10], v[7:8]
	;; [unrolled: 1-line block ×3, first 2 shown]
	v_add_f64 v[7:8], v[7:8], -v[34:35]
	v_rcp_f64_e32 v[46:47], v[42:43]
	v_add_f64 v[40:41], v[42:43], -v[40:41]
	v_add_f64 v[38:39], v[38:39], -v[40:41]
	v_fma_f64 v[36:37], -v[42:43], v[46:47], 1.0
	v_fma_f64 v[9:10], v[36:37], v[46:47], v[46:47]
	v_add_f64 v[36:37], v[44:45], v[7:8]
	v_fma_f64 v[34:35], -v[42:43], v[9:10], 1.0
	v_fma_f64 v[9:10], v[34:35], v[9:10], v[9:10]
	v_mul_f64 v[34:35], v[36:37], v[9:10]
	v_mul_f64 v[46:47], v[42:43], v[34:35]
	v_fma_f64 v[40:41], v[34:35], v[42:43], -v[46:47]
	v_fma_f64 v[38:39], v[34:35], v[38:39], v[40:41]
	v_add_f64 v[40:41], v[46:47], v[38:39]
	v_add_f64 v[42:43], v[36:37], -v[40:41]
	v_add_f64 v[46:47], v[40:41], -v[46:47]
	;; [unrolled: 1-line block ×8, first 2 shown]
	v_add_f64 v[7:8], v[7:8], v[36:37]
	v_add_f64 v[7:8], v[42:43], v[7:8]
	v_mul_f64 v[7:8], v[9:10], v[7:8]
	v_and_b32_e32 v9, 0x7fffffff, v6
	v_mov_b32_e32 v10, s11
	v_add_f64 v[7:8], v[34:35], v[7:8]
	v_cndmask_b32_e64 v8, v33, v8, s[0:1]
	v_cndmask_b32_e64 v7, 0, v7, s[0:1]
	v_cmp_lt_f64_e64 s[0:1], |v[5:6]|, s[18:19]
	v_cndmask_b32_e64 v5, v7, v5, s[0:1]
	v_cndmask_b32_e64 v7, v8, v9, s[0:1]
	v_bfi_b32 v6, s53, v7, v6
	v_add_co_u32_e64 v7, s[0:1], s10, v21
	v_addc_co_u32_e64 v8, s[0:1], v22, v10, s[0:1]
	global_store_dwordx2 v[7:8], v[5:6], off
	s_or_b64 exec, exec, s[2:3]
	s_and_saveexec_b64 s[0:1], vcc
	s_cbranch_execz .LBB153_8
.LBB153_24:                             ;   in Loop: Header=BB153_9 Depth=1
	s_waitcnt vmcnt(0)
	v_mul_f64 v[5:6], |v[3:4]|, s[20:21]
	v_cmp_ngt_f64_e64 vcc, |v[3:4]|, s[48:49]
	v_rndne_f64_e32 v[5:6], v[5:6]
	v_fma_f64 v[7:8], v[5:6], s[22:23], |v[3:4]|
	v_mul_f64 v[9:10], v[5:6], s[24:25]
	v_add_f64 v[34:35], v[7:8], 0
	v_add_f64 v[36:37], v[34:35], v[9:10]
	v_add_f64 v[7:8], v[7:8], -v[34:35]
	v_add_f64 v[34:35], v[34:35], -v[36:37]
	v_add_f64 v[7:8], v[7:8], 0
	v_add_f64 v[9:10], v[34:35], v[9:10]
	;; [unrolled: 1-line block ×3, first 2 shown]
	v_mul_f64 v[9:10], v[5:6], s[26:27]
	v_add_f64 v[34:35], v[36:37], v[7:8]
	v_add_f64 v[38:39], v[34:35], v[9:10]
	v_add_f64 v[36:37], v[36:37], -v[34:35]
	v_add_f64 v[34:35], v[34:35], -v[38:39]
	v_add_f64 v[7:8], v[7:8], v[36:37]
	v_add_f64 v[9:10], v[34:35], v[9:10]
	;; [unrolled: 1-line block ×4, first 2 shown]
	v_fma_f64 v[34:35], v[9:10], s[28:29], v[1:2]
	v_add_f64 v[36:37], v[38:39], -v[9:10]
	v_mul_f64 v[38:39], v[9:10], v[9:10]
	v_fma_f64 v[34:35], v[9:10], v[34:35], s[30:31]
	v_add_f64 v[7:8], v[7:8], v[36:37]
	v_fma_f64 v[36:37], v[9:10], v[9:10], -v[38:39]
	v_fma_f64 v[34:35], v[9:10], v[34:35], s[34:35]
	v_add_f64 v[40:41], v[7:8], v[7:8]
	v_fma_f64 v[34:35], v[9:10], v[34:35], s[36:37]
	v_fma_f64 v[36:37], v[9:10], v[40:41], v[36:37]
	;; [unrolled: 1-line block ×3, first 2 shown]
	v_add_f64 v[40:41], v[38:39], v[36:37]
	v_fma_f64 v[34:35], v[9:10], v[34:35], s[40:41]
	v_add_f64 v[38:39], v[40:41], -v[38:39]
	v_fma_f64 v[34:35], v[9:10], v[34:35], s[42:43]
	v_add_f64 v[36:37], v[36:37], -v[38:39]
	v_fma_f64 v[34:35], v[9:10], v[34:35], s[44:45]
	v_fma_f64 v[34:35], v[9:10], v[34:35], s[46:47]
	v_mul_f64 v[42:43], v[40:41], v[34:35]
	v_fma_f64 v[38:39], v[40:41], v[34:35], -v[42:43]
	v_fma_f64 v[34:35], v[36:37], v[34:35], v[38:39]
	v_add_f64 v[36:37], v[42:43], v[34:35]
	v_add_f64 v[38:39], v[9:10], v[36:37]
	v_add_f64 v[40:41], v[36:37], -v[42:43]
	v_add_f64 v[9:10], v[38:39], -v[9:10]
	;; [unrolled: 1-line block ×3, first 2 shown]
	v_cvt_i32_f64_e32 v40, v[5:6]
	v_add_f64 v[9:10], v[36:37], -v[9:10]
	v_add_f64 v[7:8], v[7:8], v[34:35]
	v_add_f64 v[7:8], v[7:8], v[9:10]
	;; [unrolled: 1-line block ×3, first 2 shown]
	v_add_f64 v[34:35], v[9:10], 1.0
	v_add_f64 v[36:37], v[9:10], -v[38:39]
	v_add_f64 v[38:39], v[34:35], -1.0
	v_add_f64 v[7:8], v[7:8], -v[36:37]
	v_add_f64 v[9:10], v[9:10], -v[38:39]
	v_add_f64 v[7:8], v[7:8], v[9:10]
	v_add_f64 v[9:10], v[34:35], v[7:8]
	v_ldexp_f64 v[5:6], v[9:10], v40
	v_add_f64 v[9:10], v[9:10], -v[34:35]
	v_rcp_f64_e32 v[36:37], v[5:6]
	v_add_f64 v[7:8], v[7:8], -v[9:10]
	v_ldexp_f64 v[7:8], v[7:8], v40
	v_fma_f64 v[38:39], -v[5:6], v[36:37], 1.0
	v_fma_f64 v[36:37], v[38:39], v[36:37], v[36:37]
	v_fma_f64 v[38:39], -v[5:6], v[36:37], 1.0
	v_fma_f64 v[34:35], v[38:39], v[36:37], v[36:37]
	v_mul_f64 v[9:10], v[5:6], v[34:35]
	v_fma_f64 v[36:37], v[34:35], v[5:6], -v[9:10]
	v_fma_f64 v[36:37], v[34:35], v[7:8], v[36:37]
	v_add_f64 v[38:39], v[9:10], v[36:37]
	v_add_f64 v[40:41], -v[38:39], 1.0
	v_add_f64 v[9:10], v[38:39], -v[9:10]
	v_add_f64 v[42:43], -v[40:41], 1.0
	v_add_f64 v[9:10], v[9:10], -v[36:37]
	v_add_f64 v[36:37], v[42:43], -v[38:39]
	v_add_f64 v[9:10], v[9:10], v[36:37]
	v_add_f64 v[36:37], v[40:41], v[9:10]
	v_mul_f64 v[38:39], v[34:35], v[36:37]
	v_add_f64 v[40:41], v[40:41], -v[36:37]
	v_mul_f64 v[42:43], v[5:6], v[38:39]
	v_add_f64 v[9:10], v[9:10], v[40:41]
	v_fma_f64 v[44:45], v[38:39], v[5:6], -v[42:43]
	v_fma_f64 v[44:45], v[38:39], v[7:8], v[44:45]
	v_add_f64 v[46:47], v[42:43], v[44:45]
	v_add_f64 v[48:49], v[36:37], -v[46:47]
	v_add_f64 v[40:41], v[46:47], -v[42:43]
	;; [unrolled: 1-line block ×5, first 2 shown]
	v_add_f64 v[9:10], v[9:10], v[36:37]
	v_add_f64 v[36:37], v[34:35], v[38:39]
	;; [unrolled: 1-line block ×3, first 2 shown]
	v_add_f64 v[40:41], v[36:37], -v[34:35]
	v_add_f64 v[9:10], v[48:49], v[9:10]
	v_add_f64 v[38:39], v[38:39], -v[40:41]
	v_mul_f64 v[9:10], v[34:35], v[9:10]
	v_add_f64 v[9:10], v[38:39], v[9:10]
	v_add_f64 v[34:35], v[36:37], v[9:10]
	;; [unrolled: 1-line block ×3, first 2 shown]
	v_add_f64 v[36:37], v[34:35], -v[36:37]
	v_add_f64 v[42:43], v[5:6], -v[34:35]
	;; [unrolled: 1-line block ×6, first 2 shown]
	v_add_f64 v[40:41], v[7:8], v[9:10]
	v_add_f64 v[5:6], v[5:6], -v[34:35]
	v_add_f64 v[36:37], v[40:41], v[36:37]
	v_add_f64 v[5:6], v[7:8], v[5:6]
	;; [unrolled: 1-line block ×3, first 2 shown]
	v_add_f64 v[5:6], v[5:6], -v[9:10]
	v_rcp_f64_e32 v[44:45], v[40:41]
	v_add_f64 v[38:39], v[40:41], -v[38:39]
	v_add_f64 v[36:37], v[36:37], -v[38:39]
	v_fma_f64 v[34:35], -v[40:41], v[44:45], 1.0
	v_fma_f64 v[7:8], v[34:35], v[44:45], v[44:45]
	v_add_f64 v[34:35], v[42:43], v[5:6]
	v_fma_f64 v[9:10], -v[40:41], v[7:8], 1.0
	v_fma_f64 v[7:8], v[9:10], v[7:8], v[7:8]
	v_mul_f64 v[9:10], v[34:35], v[7:8]
	v_mul_f64 v[44:45], v[40:41], v[9:10]
	v_fma_f64 v[38:39], v[9:10], v[40:41], -v[44:45]
	v_fma_f64 v[36:37], v[9:10], v[36:37], v[38:39]
	v_add_f64 v[38:39], v[44:45], v[36:37]
	v_add_f64 v[40:41], v[34:35], -v[38:39]
	v_add_f64 v[44:45], v[38:39], -v[44:45]
	;; [unrolled: 1-line block ×8, first 2 shown]
	v_add_f64 v[5:6], v[5:6], v[34:35]
	v_add_f64 v[5:6], v[40:41], v[5:6]
	v_mul_f64 v[5:6], v[7:8], v[5:6]
	v_and_b32_e32 v7, 0x7fffffff, v4
	v_mov_b32_e32 v8, s11
	v_add_f64 v[5:6], v[9:10], v[5:6]
	v_cndmask_b32_e32 v6, v33, v6, vcc
	v_cndmask_b32_e32 v5, 0, v5, vcc
	v_cmp_lt_f64_e64 vcc, |v[3:4]|, s[18:19]
	v_cndmask_b32_e32 v3, v5, v3, vcc
	v_cndmask_b32_e32 v5, v6, v7, vcc
	v_bfi_b32 v4, s53, v5, v4
	v_add_co_u32_e32 v5, vcc, s10, v17
	v_addc_co_u32_e32 v6, vcc, v18, v8, vcc
	global_store_dwordx2 v[5:6], v[3:4], off
	s_branch .LBB153_8
.LBB153_25:
	s_endpgm
	.section	.rodata,"a",@progbits
	.p2align	6, 0x0
	.amdhsa_kernel _ZN2at6native12_GLOBAL__N_125multi_tensor_apply_kernelINS1_18TensorListMetadataILi2EEENS1_14UnaryOpFunctorIdLi2ELi1ELi1EEEJNS0_4TanhIdEEEEEvT_T0_DpT1_
		.amdhsa_group_segment_fixed_size 0
		.amdhsa_private_segment_fixed_size 0
		.amdhsa_kernarg_size 3408
		.amdhsa_user_sgpr_count 6
		.amdhsa_user_sgpr_private_segment_buffer 1
		.amdhsa_user_sgpr_dispatch_ptr 0
		.amdhsa_user_sgpr_queue_ptr 0
		.amdhsa_user_sgpr_kernarg_segment_ptr 1
		.amdhsa_user_sgpr_dispatch_id 0
		.amdhsa_user_sgpr_flat_scratch_init 0
		.amdhsa_user_sgpr_private_segment_size 0
		.amdhsa_uses_dynamic_stack 0
		.amdhsa_system_sgpr_private_segment_wavefront_offset 0
		.amdhsa_system_sgpr_workgroup_id_x 1
		.amdhsa_system_sgpr_workgroup_id_y 0
		.amdhsa_system_sgpr_workgroup_id_z 0
		.amdhsa_system_sgpr_workgroup_info 0
		.amdhsa_system_vgpr_workitem_id 0
		.amdhsa_next_free_vgpr 56
		.amdhsa_next_free_sgpr 54
		.amdhsa_reserve_vcc 1
		.amdhsa_reserve_flat_scratch 0
		.amdhsa_float_round_mode_32 0
		.amdhsa_float_round_mode_16_64 0
		.amdhsa_float_denorm_mode_32 3
		.amdhsa_float_denorm_mode_16_64 3
		.amdhsa_dx10_clamp 1
		.amdhsa_ieee_mode 1
		.amdhsa_fp16_overflow 0
		.amdhsa_exception_fp_ieee_invalid_op 0
		.amdhsa_exception_fp_denorm_src 0
		.amdhsa_exception_fp_ieee_div_zero 0
		.amdhsa_exception_fp_ieee_overflow 0
		.amdhsa_exception_fp_ieee_underflow 0
		.amdhsa_exception_fp_ieee_inexact 0
		.amdhsa_exception_int_div_zero 0
	.end_amdhsa_kernel
	.section	.text._ZN2at6native12_GLOBAL__N_125multi_tensor_apply_kernelINS1_18TensorListMetadataILi2EEENS1_14UnaryOpFunctorIdLi2ELi1ELi1EEEJNS0_4TanhIdEEEEEvT_T0_DpT1_,"axG",@progbits,_ZN2at6native12_GLOBAL__N_125multi_tensor_apply_kernelINS1_18TensorListMetadataILi2EEENS1_14UnaryOpFunctorIdLi2ELi1ELi1EEEJNS0_4TanhIdEEEEEvT_T0_DpT1_,comdat
.Lfunc_end153:
	.size	_ZN2at6native12_GLOBAL__N_125multi_tensor_apply_kernelINS1_18TensorListMetadataILi2EEENS1_14UnaryOpFunctorIdLi2ELi1ELi1EEEJNS0_4TanhIdEEEEEvT_T0_DpT1_, .Lfunc_end153-_ZN2at6native12_GLOBAL__N_125multi_tensor_apply_kernelINS1_18TensorListMetadataILi2EEENS1_14UnaryOpFunctorIdLi2ELi1ELi1EEEJNS0_4TanhIdEEEEEvT_T0_DpT1_
                                        ; -- End function
	.set _ZN2at6native12_GLOBAL__N_125multi_tensor_apply_kernelINS1_18TensorListMetadataILi2EEENS1_14UnaryOpFunctorIdLi2ELi1ELi1EEEJNS0_4TanhIdEEEEEvT_T0_DpT1_.num_vgpr, 56
	.set _ZN2at6native12_GLOBAL__N_125multi_tensor_apply_kernelINS1_18TensorListMetadataILi2EEENS1_14UnaryOpFunctorIdLi2ELi1ELi1EEEJNS0_4TanhIdEEEEEvT_T0_DpT1_.num_agpr, 0
	.set _ZN2at6native12_GLOBAL__N_125multi_tensor_apply_kernelINS1_18TensorListMetadataILi2EEENS1_14UnaryOpFunctorIdLi2ELi1ELi1EEEJNS0_4TanhIdEEEEEvT_T0_DpT1_.numbered_sgpr, 54
	.set _ZN2at6native12_GLOBAL__N_125multi_tensor_apply_kernelINS1_18TensorListMetadataILi2EEENS1_14UnaryOpFunctorIdLi2ELi1ELi1EEEJNS0_4TanhIdEEEEEvT_T0_DpT1_.num_named_barrier, 0
	.set _ZN2at6native12_GLOBAL__N_125multi_tensor_apply_kernelINS1_18TensorListMetadataILi2EEENS1_14UnaryOpFunctorIdLi2ELi1ELi1EEEJNS0_4TanhIdEEEEEvT_T0_DpT1_.private_seg_size, 0
	.set _ZN2at6native12_GLOBAL__N_125multi_tensor_apply_kernelINS1_18TensorListMetadataILi2EEENS1_14UnaryOpFunctorIdLi2ELi1ELi1EEEJNS0_4TanhIdEEEEEvT_T0_DpT1_.uses_vcc, 1
	.set _ZN2at6native12_GLOBAL__N_125multi_tensor_apply_kernelINS1_18TensorListMetadataILi2EEENS1_14UnaryOpFunctorIdLi2ELi1ELi1EEEJNS0_4TanhIdEEEEEvT_T0_DpT1_.uses_flat_scratch, 0
	.set _ZN2at6native12_GLOBAL__N_125multi_tensor_apply_kernelINS1_18TensorListMetadataILi2EEENS1_14UnaryOpFunctorIdLi2ELi1ELi1EEEJNS0_4TanhIdEEEEEvT_T0_DpT1_.has_dyn_sized_stack, 0
	.set _ZN2at6native12_GLOBAL__N_125multi_tensor_apply_kernelINS1_18TensorListMetadataILi2EEENS1_14UnaryOpFunctorIdLi2ELi1ELi1EEEJNS0_4TanhIdEEEEEvT_T0_DpT1_.has_recursion, 0
	.set _ZN2at6native12_GLOBAL__N_125multi_tensor_apply_kernelINS1_18TensorListMetadataILi2EEENS1_14UnaryOpFunctorIdLi2ELi1ELi1EEEJNS0_4TanhIdEEEEEvT_T0_DpT1_.has_indirect_call, 0
	.section	.AMDGPU.csdata,"",@progbits
; Kernel info:
; codeLenInByte = 10824
; TotalNumSgprs: 58
; NumVgprs: 56
; ScratchSize: 0
; MemoryBound: 0
; FloatMode: 240
; IeeeMode: 1
; LDSByteSize: 0 bytes/workgroup (compile time only)
; SGPRBlocks: 7
; VGPRBlocks: 13
; NumSGPRsForWavesPerEU: 58
; NumVGPRsForWavesPerEU: 56
; Occupancy: 4
; WaveLimiterHint : 0
; COMPUTE_PGM_RSRC2:SCRATCH_EN: 0
; COMPUTE_PGM_RSRC2:USER_SGPR: 6
; COMPUTE_PGM_RSRC2:TRAP_HANDLER: 0
; COMPUTE_PGM_RSRC2:TGID_X_EN: 1
; COMPUTE_PGM_RSRC2:TGID_Y_EN: 0
; COMPUTE_PGM_RSRC2:TGID_Z_EN: 0
; COMPUTE_PGM_RSRC2:TIDIG_COMP_CNT: 0
	.section	.text._ZN2at6native12_GLOBAL__N_125multi_tensor_apply_kernelINS1_18TensorListMetadataILi2EEENS1_14UnaryOpFunctorIfLi2ELi1ELi1EEEJNS0_4TanhIfEEEEEvT_T0_DpT1_,"axG",@progbits,_ZN2at6native12_GLOBAL__N_125multi_tensor_apply_kernelINS1_18TensorListMetadataILi2EEENS1_14UnaryOpFunctorIfLi2ELi1ELi1EEEJNS0_4TanhIfEEEEEvT_T0_DpT1_,comdat
	.globl	_ZN2at6native12_GLOBAL__N_125multi_tensor_apply_kernelINS1_18TensorListMetadataILi2EEENS1_14UnaryOpFunctorIfLi2ELi1ELi1EEEJNS0_4TanhIfEEEEEvT_T0_DpT1_ ; -- Begin function _ZN2at6native12_GLOBAL__N_125multi_tensor_apply_kernelINS1_18TensorListMetadataILi2EEENS1_14UnaryOpFunctorIfLi2ELi1ELi1EEEJNS0_4TanhIfEEEEEvT_T0_DpT1_
	.p2align	8
	.type	_ZN2at6native12_GLOBAL__N_125multi_tensor_apply_kernelINS1_18TensorListMetadataILi2EEENS1_14UnaryOpFunctorIfLi2ELi1ELi1EEEJNS0_4TanhIfEEEEEvT_T0_DpT1_,@function
_ZN2at6native12_GLOBAL__N_125multi_tensor_apply_kernelINS1_18TensorListMetadataILi2EEENS1_14UnaryOpFunctorIfLi2ELi1ELi1EEEJNS0_4TanhIfEEEEEvT_T0_DpT1_: ; @_ZN2at6native12_GLOBAL__N_125multi_tensor_apply_kernelINS1_18TensorListMetadataILi2EEENS1_14UnaryOpFunctorIfLi2ELi1ELi1EEEJNS0_4TanhIfEEEEEvT_T0_DpT1_
; %bb.0:
	v_mov_b32_e32 v1, s6
	global_load_ubyte v1, v1, s[4:5] offset:1536
	s_add_u32 s0, s4, s6
	s_mul_hi_u32 s1, s6, 3
	s_mul_i32 s6, s6, 3
	s_addc_u32 s2, s5, 0
	s_add_u32 s0, s0, s6
	s_addc_u32 s1, s2, s1
	s_load_dword s6, s[0:1], 0x740
	s_mov_b32 s11, 0
	s_mov_b32 s13, s11
	s_waitcnt vmcnt(0)
	v_readfirstlane_b32 s0, v1
	s_lshl_b32 s7, s0, 3
	s_load_dwordx2 s[14:15], s[4:5], s7 offset:0x400
	s_load_dwordx2 s[2:3], s[4:5], s7 offset:0x0
	;; [unrolled: 1-line block ×3, first 2 shown]
	s_waitcnt lgkmcnt(0)
	s_ashr_i32 s7, s6, 31
	s_lshl_b64 s[8:9], s[6:7], 18
	s_lshl_b64 s[6:7], s[6:7], 16
	s_add_u32 s10, s2, s8
	s_and_b32 s12, s0, 15
	s_and_b32 s10, s10, 15
	s_sub_u32 s6, s14, s6
	s_subb_u32 s7, s15, s7
	s_and_b32 s14, s14, 3
	s_mov_b32 s15, s11
	s_or_b64 s[12:13], s[12:13], s[14:15]
	s_or_b64 s[10:11], s[12:13], s[10:11]
	s_cmp_eq_u64 s[10:11], 0
	s_mov_b64 s[10:11], -1
	s_cbranch_scc0 .LBB154_21
; %bb.1:
	v_mov_b32_e32 v1, 0x10000
	v_mov_b32_e32 v2, 0
	v_cmp_lt_i64_e32 vcc, s[6:7], v[1:2]
	v_mov_b32_e32 v2, 0
	s_and_b64 s[10:11], vcc, exec
	s_cselect_b32 s11, s7, 0
	s_cselect_b32 s10, s6, 0x10000
	v_lshlrev_b32_e32 v1, 2, v0
	v_cmp_gt_i64_e32 vcc, s[10:11], v[1:2]
	s_and_saveexec_b64 s[12:13], vcc
	s_cbranch_execz .LBB154_20
; %bb.2:
	s_load_dword s14, s[4:5], 0xc5c
	v_mov_b32_e32 v1, v2
	v_lshlrev_b32_e32 v2, 4, v0
	v_mov_b32_e32 v3, s9
	v_add_co_u32_e32 v7, vcc, s8, v2
	s_waitcnt lgkmcnt(0)
	s_and_b32 s18, s14, 0xffff
	v_mov_b32_e32 v6, v1
	v_addc_co_u32_e32 v8, vcc, 0, v3, vcc
	s_lshl_b32 s19, s18, 4
	s_mov_b64 s[14:15], 0
	v_mov_b32_e32 v9, s3
	s_mov_b32 s20, 0x3f200000
	s_mov_b32 s21, 0x3fb8aa3b
	;; [unrolled: 1-line block ×4, first 2 shown]
	v_mov_b32_e32 v10, 0xbd5c1c4e
	v_mov_b32_e32 v11, 0x3e088382
	v_mov_b32_e32 v12, 0xbeaaaa99
	s_brev_b32 s24, -2
	v_mov_b32_e32 v13, 0x7f800000
	v_mov_b32_e32 v5, v0
	s_branch .LBB154_4
.LBB154_3:                              ;   in Loop: Header=BB154_4 Depth=1
	s_or_b64 exec, exec, s[16:17]
	v_add_co_u32_e32 v5, vcc, s18, v5
	v_addc_co_u32_e32 v6, vcc, 0, v6, vcc
	v_bfi_b32 v3, s24, v16, v3
	v_bfi_b32 v2, s24, v15, v2
	;; [unrolled: 1-line block ×4, first 2 shown]
	v_mov_b32_e32 v17, s1
	v_lshlrev_b64 v[14:15], 2, v[5:6]
	v_add_co_u32_e32 v16, vcc, s0, v7
	v_addc_co_u32_e32 v17, vcc, v17, v8, vcc
	v_cmp_le_i64_e32 vcc, s[10:11], v[14:15]
	global_store_dwordx4 v[16:17], v[1:4], off
	s_or_b64 s[14:15], vcc, s[14:15]
	v_add_co_u32_e32 v7, vcc, s19, v7
	v_addc_co_u32_e32 v8, vcc, 0, v8, vcc
	s_andn2_b64 exec, exec, s[14:15]
	s_cbranch_execz .LBB154_20
.LBB154_4:                              ; =>This Inner Loop Header: Depth=1
	v_add_co_u32_e32 v1, vcc, s2, v7
	v_addc_co_u32_e32 v2, vcc, v9, v8, vcc
	global_load_dwordx4 v[1:4], v[1:2], off
                                        ; implicit-def: $vgpr14
	s_waitcnt vmcnt(0)
	v_cmp_nlt_f32_e64 s[16:17], |v1|, s20
	s_and_saveexec_b64 s[26:27], s[16:17]
	s_xor_b64 s[16:17], exec, s[26:27]
	s_cbranch_execz .LBB154_6
; %bb.5:                                ;   in Loop: Header=BB154_4 Depth=1
	v_add_f32_e64 v14, |v1|, |v1|
	v_mul_f32_e32 v15, 0x3fb8aa3b, v14
	v_rndne_f32_e32 v16, v15
	v_sub_f32_e32 v17, v15, v16
	v_fma_f32 v15, v14, s21, -v15
	v_fmac_f32_e32 v15, 0x32a5705f, v14
	v_add_f32_e32 v15, v17, v15
	v_cvt_i32_f32_e32 v16, v16
	v_exp_f32_e32 v15, v15
	v_cmp_ngt_f32_e32 vcc, s22, v14
	v_ldexp_f32 v15, v15, v16
	v_cndmask_b32_e32 v15, 0, v15, vcc
	v_cmp_nlt_f32_e32 vcc, s23, v14
	v_cndmask_b32_e32 v14, v13, v15, vcc
	v_add_f32_e32 v14, 1.0, v14
	v_rcp_f32_e32 v14, v14
	v_fma_f32 v14, v14, -2.0, 1.0
.LBB154_6:                              ;   in Loop: Header=BB154_4 Depth=1
	s_andn2_saveexec_b64 s[16:17], s[16:17]
; %bb.7:                                ;   in Loop: Header=BB154_4 Depth=1
	v_mul_f32_e32 v14, v1, v1
	v_mov_b32_e32 v15, 0x3ca908c9
	v_fmac_f32_e32 v15, 0xbbbac73d, v14
	v_fma_f32 v15, v14, v15, v10
	v_fma_f32 v15, v14, v15, v11
	;; [unrolled: 1-line block ×3, first 2 shown]
	v_mul_f32_e64 v15, |v1|, v15
	v_fma_f32 v14, v14, v15, |v1|
; %bb.8:                                ;   in Loop: Header=BB154_4 Depth=1
	s_or_b64 exec, exec, s[16:17]
	v_cmp_nlt_f32_e64 s[16:17], |v2|, s20
                                        ; implicit-def: $vgpr15
	s_and_saveexec_b64 s[26:27], s[16:17]
	s_xor_b64 s[16:17], exec, s[26:27]
	s_cbranch_execz .LBB154_10
; %bb.9:                                ;   in Loop: Header=BB154_4 Depth=1
	v_add_f32_e64 v15, |v2|, |v2|
	v_mul_f32_e32 v16, 0x3fb8aa3b, v15
	v_rndne_f32_e32 v17, v16
	v_sub_f32_e32 v18, v16, v17
	v_fma_f32 v16, v15, s21, -v16
	v_fmac_f32_e32 v16, 0x32a5705f, v15
	v_add_f32_e32 v16, v18, v16
	v_cvt_i32_f32_e32 v17, v17
	v_exp_f32_e32 v16, v16
	v_cmp_ngt_f32_e32 vcc, s22, v15
	v_ldexp_f32 v16, v16, v17
	v_cndmask_b32_e32 v16, 0, v16, vcc
	v_cmp_nlt_f32_e32 vcc, s23, v15
	v_cndmask_b32_e32 v15, v13, v16, vcc
	v_add_f32_e32 v15, 1.0, v15
	v_rcp_f32_e32 v15, v15
	v_fma_f32 v15, v15, -2.0, 1.0
.LBB154_10:                             ;   in Loop: Header=BB154_4 Depth=1
	s_andn2_saveexec_b64 s[16:17], s[16:17]
; %bb.11:                               ;   in Loop: Header=BB154_4 Depth=1
	v_mul_f32_e32 v15, v2, v2
	v_mov_b32_e32 v16, 0x3ca908c9
	v_fmac_f32_e32 v16, 0xbbbac73d, v15
	v_fma_f32 v16, v15, v16, v10
	v_fma_f32 v16, v15, v16, v11
	;; [unrolled: 1-line block ×3, first 2 shown]
	v_mul_f32_e64 v16, |v2|, v16
	v_fma_f32 v15, v15, v16, |v2|
; %bb.12:                               ;   in Loop: Header=BB154_4 Depth=1
	s_or_b64 exec, exec, s[16:17]
	v_cmp_nlt_f32_e64 s[16:17], |v3|, s20
                                        ; implicit-def: $vgpr16
	s_and_saveexec_b64 s[26:27], s[16:17]
	s_xor_b64 s[16:17], exec, s[26:27]
	s_cbranch_execz .LBB154_14
; %bb.13:                               ;   in Loop: Header=BB154_4 Depth=1
	v_add_f32_e64 v16, |v3|, |v3|
	v_mul_f32_e32 v17, 0x3fb8aa3b, v16
	v_rndne_f32_e32 v18, v17
	v_sub_f32_e32 v19, v17, v18
	v_fma_f32 v17, v16, s21, -v17
	v_fmac_f32_e32 v17, 0x32a5705f, v16
	v_add_f32_e32 v17, v19, v17
	v_cvt_i32_f32_e32 v18, v18
	v_exp_f32_e32 v17, v17
	v_cmp_ngt_f32_e32 vcc, s22, v16
	v_ldexp_f32 v17, v17, v18
	v_cndmask_b32_e32 v17, 0, v17, vcc
	v_cmp_nlt_f32_e32 vcc, s23, v16
	v_cndmask_b32_e32 v16, v13, v17, vcc
	v_add_f32_e32 v16, 1.0, v16
	v_rcp_f32_e32 v16, v16
	v_fma_f32 v16, v16, -2.0, 1.0
.LBB154_14:                             ;   in Loop: Header=BB154_4 Depth=1
	s_andn2_saveexec_b64 s[16:17], s[16:17]
; %bb.15:                               ;   in Loop: Header=BB154_4 Depth=1
	v_mul_f32_e32 v16, v3, v3
	v_mov_b32_e32 v17, 0x3ca908c9
	v_fmac_f32_e32 v17, 0xbbbac73d, v16
	v_fma_f32 v17, v16, v17, v10
	v_fma_f32 v17, v16, v17, v11
	;; [unrolled: 1-line block ×3, first 2 shown]
	v_mul_f32_e64 v17, |v3|, v17
	v_fma_f32 v16, v16, v17, |v3|
; %bb.16:                               ;   in Loop: Header=BB154_4 Depth=1
	s_or_b64 exec, exec, s[16:17]
	v_cmp_nlt_f32_e64 s[16:17], |v4|, s20
                                        ; implicit-def: $vgpr17
	s_and_saveexec_b64 s[26:27], s[16:17]
	s_xor_b64 s[16:17], exec, s[26:27]
	s_cbranch_execz .LBB154_18
; %bb.17:                               ;   in Loop: Header=BB154_4 Depth=1
	v_add_f32_e64 v17, |v4|, |v4|
	v_mul_f32_e32 v18, 0x3fb8aa3b, v17
	v_rndne_f32_e32 v19, v18
	v_sub_f32_e32 v20, v18, v19
	v_fma_f32 v18, v17, s21, -v18
	v_fmac_f32_e32 v18, 0x32a5705f, v17
	v_add_f32_e32 v18, v20, v18
	v_cvt_i32_f32_e32 v19, v19
	v_exp_f32_e32 v18, v18
	v_cmp_ngt_f32_e32 vcc, s22, v17
	v_ldexp_f32 v18, v18, v19
	v_cndmask_b32_e32 v18, 0, v18, vcc
	v_cmp_nlt_f32_e32 vcc, s23, v17
	v_cndmask_b32_e32 v17, v13, v18, vcc
	v_add_f32_e32 v17, 1.0, v17
	v_rcp_f32_e32 v17, v17
	v_fma_f32 v17, v17, -2.0, 1.0
.LBB154_18:                             ;   in Loop: Header=BB154_4 Depth=1
	s_andn2_saveexec_b64 s[16:17], s[16:17]
	s_cbranch_execz .LBB154_3
; %bb.19:                               ;   in Loop: Header=BB154_4 Depth=1
	v_mul_f32_e32 v17, v4, v4
	v_mov_b32_e32 v18, 0x3ca908c9
	v_fmac_f32_e32 v18, 0xbbbac73d, v17
	v_fma_f32 v18, v17, v18, v10
	v_fma_f32 v18, v17, v18, v11
	;; [unrolled: 1-line block ×3, first 2 shown]
	v_mul_f32_e64 v18, |v4|, v18
	v_fma_f32 v17, v17, v18, |v4|
	s_branch .LBB154_3
.LBB154_20:
	s_or_b64 exec, exec, s[12:13]
	s_mov_b64 s[10:11], 0
.LBB154_21:
	s_andn2_b64 vcc, exec, s[10:11]
	s_cbranch_vccnz .LBB154_57
; %bb.22:
	v_cmp_lt_i64_e64 s[10:11], s[6:7], 1
	s_and_b64 vcc, exec, s[10:11]
	s_cbranch_vccnz .LBB154_57
; %bb.23:
	v_mov_b32_e32 v1, 0x10000
	s_load_dword s12, s[4:5], 0xc5c
	v_mov_b32_e32 v2, 0
	v_cmp_lt_i64_e32 vcc, s[6:7], v[1:2]
	v_mov_b32_e32 v10, 0
	s_and_b64 s[4:5], vcc, exec
	v_cmp_lt_u64_e32 vcc, s[6:7], v[1:2]
	s_cselect_b32 s11, s7, 0
	s_cselect_b32 s10, s6, 0x10000
	s_waitcnt lgkmcnt(0)
	s_and_b32 s14, s12, 0xffff
	v_lshlrev_b32_e32 v9, 2, v0
	s_and_b64 s[4:5], vcc, exec
	v_mov_b32_e32 v2, s3
	v_add_co_u32_e32 v1, vcc, s2, v9
	v_mad_u64_u32 v[7:8], s[4:5], s14, 12, v[9:10]
	v_addc_co_u32_e32 v2, vcc, 0, v2, vcc
	v_mov_b32_e32 v4, s1
	v_add_co_u32_e32 v3, vcc, s0, v9
	v_addc_co_u32_e32 v4, vcc, 0, v4, vcc
	v_mov_b32_e32 v6, s3
	v_add_co_u32_e32 v5, vcc, s2, v7
	;; [unrolled: 3-line block ×3, first 2 shown]
	s_cselect_b32 s13, s7, 0
	s_cselect_b32 s12, s6, 0x10000
	v_addc_co_u32_e32 v8, vcc, v10, v8, vcc
	s_lshl_b32 s4, s14, 3
	v_add_co_u32_e32 v11, vcc, s4, v9
	v_addc_co_u32_e64 v12, s[4:5], 0, 0, vcc
	v_mov_b32_e32 v10, s3
	v_add_co_u32_e32 v9, vcc, s2, v11
	v_addc_co_u32_e32 v10, vcc, v10, v12, vcc
	v_mov_b32_e32 v13, s1
	v_add_co_u32_e32 v11, vcc, s0, v11
	v_addc_co_u32_e32 v12, vcc, v13, v12, vcc
	v_add_co_u32_e32 v13, vcc, s14, v0
	v_lshlrev_b32_e32 v17, 2, v13
	v_addc_co_u32_e64 v14, s[4:5], 0, 0, vcc
	v_mov_b32_e32 v16, s3
	v_add_co_u32_e32 v15, vcc, s2, v17
	v_addc_co_u32_e32 v16, vcc, 0, v16, vcc
	v_mov_b32_e32 v18, s1
	v_add_co_u32_e32 v17, vcc, s0, v17
	s_mul_i32 s7, s14, 3
	v_addc_co_u32_e32 v18, vcc, 0, v18, vcc
	s_lshl_b32 s6, s14, 1
	v_add_co_u32_e32 v19, vcc, s7, v0
	v_addc_co_u32_e64 v20, s[0:1], 0, 0, vcc
	v_add_co_u32_e32 v21, vcc, s6, v0
	s_lshl_b32 s18, s14, 2
	s_lshl_b32 s19, s14, 4
	s_mov_b64 s[14:15], 0
	s_mov_b32 s20, 0x3f200000
	s_mov_b32 s21, 0x3fb8aa3b
	;; [unrolled: 1-line block ×4, first 2 shown]
	s_brev_b32 s24, -2
	v_addc_co_u32_e64 v22, s[0:1], 0, 0, vcc
	v_mov_b32_e32 v23, 0xbd5c1c4e
	v_mov_b32_e32 v24, 0x3e088382
	;; [unrolled: 1-line block ×4, first 2 shown]
	s_branch .LBB154_25
.LBB154_24:                             ;   in Loop: Header=BB154_25 Depth=1
	s_or_b64 exec, exec, s[0:1]
	v_add_co_u32_e32 v1, vcc, s19, v1
	v_addc_co_u32_e32 v2, vcc, 0, v2, vcc
	v_add_co_u32_e32 v3, vcc, s19, v3
	v_addc_co_u32_e32 v4, vcc, 0, v4, vcc
	;; [unrolled: 2-line block ×6, first 2 shown]
	s_add_u32 s14, s14, s18
	v_add_co_u32_e32 v15, vcc, s19, v15
	v_mov_b32_e32 v28, s11
	s_addc_u32 s15, s15, 0
	v_addc_co_u32_e32 v16, vcc, 0, v16, vcc
	v_mov_b32_e32 v27, s10
	v_cmp_ge_i64_e32 vcc, s[14:15], v[27:28]
	v_add_co_u32_e64 v17, s[0:1], s19, v17
	v_addc_co_u32_e64 v18, s[0:1], 0, v18, s[0:1]
	s_cbranch_vccnz .LBB154_57
.LBB154_25:                             ; =>This Inner Loop Header: Depth=1
	v_mov_b32_e32 v28, s15
	v_add_co_u32_e32 v27, vcc, s14, v0
	v_addc_co_u32_e32 v28, vcc, 0, v28, vcc
	v_cmp_gt_u64_e32 vcc, s[12:13], v[27:28]
	v_mov_b32_e32 v28, 0
	s_and_saveexec_b64 s[2:3], vcc
	s_cbranch_execz .LBB154_27
; %bb.26:                               ;   in Loop: Header=BB154_25 Depth=1
	v_mov_b32_e32 v28, s9
	v_add_co_u32_e64 v27, s[0:1], s8, v1
	v_addc_co_u32_e64 v28, s[0:1], v2, v28, s[0:1]
	global_load_dword v28, v[27:28], off
.LBB154_27:                             ;   in Loop: Header=BB154_25 Depth=1
	s_or_b64 exec, exec, s[2:3]
	v_mov_b32_e32 v27, s15
	v_add_co_u32_e64 v29, s[0:1], s14, v13
	v_addc_co_u32_e64 v30, s[0:1], v14, v27, s[0:1]
	v_cmp_gt_u64_e64 s[0:1], s[12:13], v[29:30]
	v_mov_b32_e32 v27, 0
	v_mov_b32_e32 v29, 0
	s_and_saveexec_b64 s[4:5], s[0:1]
	s_cbranch_execz .LBB154_29
; %bb.28:                               ;   in Loop: Header=BB154_25 Depth=1
	v_mov_b32_e32 v30, s9
	v_add_co_u32_e64 v29, s[2:3], s8, v15
	v_addc_co_u32_e64 v30, s[2:3], v16, v30, s[2:3]
	global_load_dword v29, v[29:30], off
.LBB154_29:                             ;   in Loop: Header=BB154_25 Depth=1
	s_or_b64 exec, exec, s[4:5]
	v_mov_b32_e32 v31, s15
	v_add_co_u32_e64 v30, s[2:3], s14, v21
	v_addc_co_u32_e64 v31, s[2:3], v22, v31, s[2:3]
	v_cmp_gt_u64_e64 s[2:3], s[12:13], v[30:31]
	s_and_saveexec_b64 s[6:7], s[2:3]
	s_cbranch_execz .LBB154_31
; %bb.30:                               ;   in Loop: Header=BB154_25 Depth=1
	v_mov_b32_e32 v27, s9
	v_add_co_u32_e64 v30, s[4:5], s8, v9
	v_addc_co_u32_e64 v31, s[4:5], v10, v27, s[4:5]
	global_load_dword v27, v[30:31], off
.LBB154_31:                             ;   in Loop: Header=BB154_25 Depth=1
	s_or_b64 exec, exec, s[6:7]
	v_mov_b32_e32 v31, s15
	v_add_co_u32_e64 v30, s[4:5], s14, v19
	v_addc_co_u32_e64 v31, s[4:5], v20, v31, s[4:5]
	v_cmp_gt_u64_e64 s[4:5], s[12:13], v[30:31]
	v_mov_b32_e32 v30, 0
	s_and_saveexec_b64 s[16:17], s[4:5]
	s_cbranch_execz .LBB154_33
; %bb.32:                               ;   in Loop: Header=BB154_25 Depth=1
	v_mov_b32_e32 v31, s9
	v_add_co_u32_e64 v30, s[6:7], s8, v5
	v_addc_co_u32_e64 v31, s[6:7], v6, v31, s[6:7]
	global_load_dword v30, v[30:31], off
.LBB154_33:                             ;   in Loop: Header=BB154_25 Depth=1
	s_or_b64 exec, exec, s[16:17]
	s_waitcnt vmcnt(0)
	v_cmp_nlt_f32_e64 s[6:7], |v28|, s20
                                        ; implicit-def: $vgpr31
	s_and_saveexec_b64 s[16:17], s[6:7]
	s_xor_b64 s[16:17], exec, s[16:17]
	s_cbranch_execz .LBB154_35
; %bb.34:                               ;   in Loop: Header=BB154_25 Depth=1
	v_add_f32_e64 v31, |v28|, |v28|
	v_mul_f32_e32 v32, 0x3fb8aa3b, v31
	v_rndne_f32_e32 v33, v32
	v_sub_f32_e32 v34, v32, v33
	v_fma_f32 v32, v31, s21, -v32
	v_fmac_f32_e32 v32, 0x32a5705f, v31
	v_add_f32_e32 v32, v34, v32
	v_cvt_i32_f32_e32 v33, v33
	v_exp_f32_e32 v32, v32
	v_cmp_ngt_f32_e64 s[6:7], s22, v31
	v_ldexp_f32 v32, v32, v33
	v_cndmask_b32_e64 v32, 0, v32, s[6:7]
	v_cmp_nlt_f32_e64 s[6:7], s23, v31
	v_cndmask_b32_e64 v31, v26, v32, s[6:7]
	v_add_f32_e32 v31, 1.0, v31
	v_rcp_f32_e32 v31, v31
	v_fma_f32 v31, v31, -2.0, 1.0
.LBB154_35:                             ;   in Loop: Header=BB154_25 Depth=1
	s_andn2_saveexec_b64 s[6:7], s[16:17]
; %bb.36:                               ;   in Loop: Header=BB154_25 Depth=1
	v_mul_f32_e32 v31, v28, v28
	v_mov_b32_e32 v32, 0x3ca908c9
	v_fmac_f32_e32 v32, 0xbbbac73d, v31
	v_fma_f32 v32, v31, v32, v23
	v_fma_f32 v32, v31, v32, v24
	v_fma_f32 v32, v31, v32, v25
	v_mul_f32_e64 v32, |v28|, v32
	v_fma_f32 v31, v31, v32, |v28|
; %bb.37:                               ;   in Loop: Header=BB154_25 Depth=1
	s_or_b64 exec, exec, s[6:7]
	v_cmp_nlt_f32_e64 s[6:7], |v29|, s20
                                        ; implicit-def: $vgpr32
	s_and_saveexec_b64 s[16:17], s[6:7]
	s_xor_b64 s[16:17], exec, s[16:17]
	s_cbranch_execz .LBB154_39
; %bb.38:                               ;   in Loop: Header=BB154_25 Depth=1
	v_add_f32_e64 v32, |v29|, |v29|
	v_mul_f32_e32 v33, 0x3fb8aa3b, v32
	v_rndne_f32_e32 v34, v33
	v_sub_f32_e32 v35, v33, v34
	v_fma_f32 v33, v32, s21, -v33
	v_fmac_f32_e32 v33, 0x32a5705f, v32
	v_add_f32_e32 v33, v35, v33
	v_cvt_i32_f32_e32 v34, v34
	v_exp_f32_e32 v33, v33
	v_cmp_ngt_f32_e64 s[6:7], s22, v32
	v_ldexp_f32 v33, v33, v34
	v_cndmask_b32_e64 v33, 0, v33, s[6:7]
	v_cmp_nlt_f32_e64 s[6:7], s23, v32
	v_cndmask_b32_e64 v32, v26, v33, s[6:7]
	v_add_f32_e32 v32, 1.0, v32
	v_rcp_f32_e32 v32, v32
	v_fma_f32 v32, v32, -2.0, 1.0
.LBB154_39:                             ;   in Loop: Header=BB154_25 Depth=1
	s_andn2_saveexec_b64 s[6:7], s[16:17]
; %bb.40:                               ;   in Loop: Header=BB154_25 Depth=1
	v_mul_f32_e32 v32, v29, v29
	v_mov_b32_e32 v33, 0x3ca908c9
	v_fmac_f32_e32 v33, 0xbbbac73d, v32
	v_fma_f32 v33, v32, v33, v23
	v_fma_f32 v33, v32, v33, v24
	;; [unrolled: 1-line block ×3, first 2 shown]
	v_mul_f32_e64 v33, |v29|, v33
	v_fma_f32 v32, v32, v33, |v29|
; %bb.41:                               ;   in Loop: Header=BB154_25 Depth=1
	s_or_b64 exec, exec, s[6:7]
	v_cmp_nlt_f32_e64 s[6:7], |v27|, s20
                                        ; implicit-def: $vgpr33
	s_and_saveexec_b64 s[16:17], s[6:7]
	s_xor_b64 s[16:17], exec, s[16:17]
	s_cbranch_execz .LBB154_43
; %bb.42:                               ;   in Loop: Header=BB154_25 Depth=1
	v_add_f32_e64 v33, |v27|, |v27|
	v_mul_f32_e32 v34, 0x3fb8aa3b, v33
	v_rndne_f32_e32 v35, v34
	v_sub_f32_e32 v36, v34, v35
	v_fma_f32 v34, v33, s21, -v34
	v_fmac_f32_e32 v34, 0x32a5705f, v33
	v_add_f32_e32 v34, v36, v34
	v_cvt_i32_f32_e32 v35, v35
	v_exp_f32_e32 v34, v34
	v_cmp_ngt_f32_e64 s[6:7], s22, v33
	v_ldexp_f32 v34, v34, v35
	v_cndmask_b32_e64 v34, 0, v34, s[6:7]
	v_cmp_nlt_f32_e64 s[6:7], s23, v33
	v_cndmask_b32_e64 v33, v26, v34, s[6:7]
	v_add_f32_e32 v33, 1.0, v33
	v_rcp_f32_e32 v33, v33
	v_fma_f32 v33, v33, -2.0, 1.0
.LBB154_43:                             ;   in Loop: Header=BB154_25 Depth=1
	s_andn2_saveexec_b64 s[6:7], s[16:17]
; %bb.44:                               ;   in Loop: Header=BB154_25 Depth=1
	v_mul_f32_e32 v33, v27, v27
	v_mov_b32_e32 v34, 0x3ca908c9
	v_fmac_f32_e32 v34, 0xbbbac73d, v33
	v_fma_f32 v34, v33, v34, v23
	v_fma_f32 v34, v33, v34, v24
	;; [unrolled: 1-line block ×3, first 2 shown]
	v_mul_f32_e64 v34, |v27|, v34
	v_fma_f32 v33, v33, v34, |v27|
; %bb.45:                               ;   in Loop: Header=BB154_25 Depth=1
	s_or_b64 exec, exec, s[6:7]
	v_cmp_nlt_f32_e64 s[6:7], |v30|, s20
                                        ; implicit-def: $vgpr34
	s_and_saveexec_b64 s[16:17], s[6:7]
	s_xor_b64 s[16:17], exec, s[16:17]
	s_cbranch_execnz .LBB154_51
; %bb.46:                               ;   in Loop: Header=BB154_25 Depth=1
	s_andn2_saveexec_b64 s[6:7], s[16:17]
	s_cbranch_execnz .LBB154_52
.LBB154_47:                             ;   in Loop: Header=BB154_25 Depth=1
	s_or_b64 exec, exec, s[6:7]
	s_and_saveexec_b64 s[6:7], vcc
	s_xor_b64 s[6:7], exec, s[6:7]
	s_cbranch_execnz .LBB154_53
.LBB154_48:                             ;   in Loop: Header=BB154_25 Depth=1
	s_or_b64 exec, exec, s[6:7]
	s_and_saveexec_b64 s[6:7], s[0:1]
	s_cbranch_execnz .LBB154_54
.LBB154_49:                             ;   in Loop: Header=BB154_25 Depth=1
	s_or_b64 exec, exec, s[6:7]
	s_and_saveexec_b64 s[0:1], s[2:3]
	s_cbranch_execnz .LBB154_55
.LBB154_50:                             ;   in Loop: Header=BB154_25 Depth=1
	s_or_b64 exec, exec, s[0:1]
	s_and_saveexec_b64 s[0:1], s[4:5]
	s_cbranch_execz .LBB154_24
	s_branch .LBB154_56
.LBB154_51:                             ;   in Loop: Header=BB154_25 Depth=1
	v_add_f32_e64 v34, |v30|, |v30|
	v_mul_f32_e32 v35, 0x3fb8aa3b, v34
	v_rndne_f32_e32 v36, v35
	v_sub_f32_e32 v37, v35, v36
	v_fma_f32 v35, v34, s21, -v35
	v_fmac_f32_e32 v35, 0x32a5705f, v34
	v_add_f32_e32 v35, v37, v35
	v_cvt_i32_f32_e32 v36, v36
	v_exp_f32_e32 v35, v35
	v_cmp_ngt_f32_e64 s[6:7], s22, v34
	v_ldexp_f32 v35, v35, v36
	v_cndmask_b32_e64 v35, 0, v35, s[6:7]
	v_cmp_nlt_f32_e64 s[6:7], s23, v34
	v_cndmask_b32_e64 v34, v26, v35, s[6:7]
	v_add_f32_e32 v34, 1.0, v34
	v_rcp_f32_e32 v34, v34
	v_fma_f32 v34, v34, -2.0, 1.0
	s_andn2_saveexec_b64 s[6:7], s[16:17]
	s_cbranch_execz .LBB154_47
.LBB154_52:                             ;   in Loop: Header=BB154_25 Depth=1
	v_mul_f32_e32 v34, v30, v30
	v_mov_b32_e32 v35, 0x3ca908c9
	v_fmac_f32_e32 v35, 0xbbbac73d, v34
	v_fma_f32 v35, v34, v35, v23
	v_fma_f32 v35, v34, v35, v24
	;; [unrolled: 1-line block ×3, first 2 shown]
	v_mul_f32_e64 v35, |v30|, v35
	v_fma_f32 v34, v34, v35, |v30|
	s_or_b64 exec, exec, s[6:7]
	s_and_saveexec_b64 s[6:7], vcc
	s_xor_b64 s[6:7], exec, s[6:7]
	s_cbranch_execz .LBB154_48
.LBB154_53:                             ;   in Loop: Header=BB154_25 Depth=1
	v_bfi_b32 v28, s24, v31, v28
	v_mov_b32_e32 v31, s9
	v_add_co_u32_e32 v35, vcc, s8, v3
	v_addc_co_u32_e32 v36, vcc, v4, v31, vcc
	global_store_dword v[35:36], v28, off
	s_or_b64 exec, exec, s[6:7]
	s_and_saveexec_b64 s[6:7], s[0:1]
	s_cbranch_execz .LBB154_49
.LBB154_54:                             ;   in Loop: Header=BB154_25 Depth=1
	v_bfi_b32 v31, s24, v32, v29
	v_mov_b32_e32 v29, s9
	v_add_co_u32_e32 v28, vcc, s8, v17
	v_addc_co_u32_e32 v29, vcc, v18, v29, vcc
	global_store_dword v[28:29], v31, off
	s_or_b64 exec, exec, s[6:7]
	s_and_saveexec_b64 s[0:1], s[2:3]
	s_cbranch_execz .LBB154_50
.LBB154_55:                             ;   in Loop: Header=BB154_25 Depth=1
	v_bfi_b32 v29, s24, v33, v27
	v_mov_b32_e32 v28, s9
	v_add_co_u32_e32 v27, vcc, s8, v11
	v_addc_co_u32_e32 v28, vcc, v12, v28, vcc
	global_store_dword v[27:28], v29, off
	s_or_b64 exec, exec, s[0:1]
	s_and_saveexec_b64 s[0:1], s[4:5]
	s_cbranch_execz .LBB154_24
.LBB154_56:                             ;   in Loop: Header=BB154_25 Depth=1
	v_mov_b32_e32 v28, s9
	v_add_co_u32_e32 v27, vcc, s8, v7
	v_bfi_b32 v29, s24, v34, v30
	v_addc_co_u32_e32 v28, vcc, v8, v28, vcc
	global_store_dword v[27:28], v29, off
	s_branch .LBB154_24
.LBB154_57:
	s_endpgm
	.section	.rodata,"a",@progbits
	.p2align	6, 0x0
	.amdhsa_kernel _ZN2at6native12_GLOBAL__N_125multi_tensor_apply_kernelINS1_18TensorListMetadataILi2EEENS1_14UnaryOpFunctorIfLi2ELi1ELi1EEEJNS0_4TanhIfEEEEEvT_T0_DpT1_
		.amdhsa_group_segment_fixed_size 0
		.amdhsa_private_segment_fixed_size 0
		.amdhsa_kernarg_size 3408
		.amdhsa_user_sgpr_count 6
		.amdhsa_user_sgpr_private_segment_buffer 1
		.amdhsa_user_sgpr_dispatch_ptr 0
		.amdhsa_user_sgpr_queue_ptr 0
		.amdhsa_user_sgpr_kernarg_segment_ptr 1
		.amdhsa_user_sgpr_dispatch_id 0
		.amdhsa_user_sgpr_flat_scratch_init 0
		.amdhsa_user_sgpr_private_segment_size 0
		.amdhsa_uses_dynamic_stack 0
		.amdhsa_system_sgpr_private_segment_wavefront_offset 0
		.amdhsa_system_sgpr_workgroup_id_x 1
		.amdhsa_system_sgpr_workgroup_id_y 0
		.amdhsa_system_sgpr_workgroup_id_z 0
		.amdhsa_system_sgpr_workgroup_info 0
		.amdhsa_system_vgpr_workitem_id 0
		.amdhsa_next_free_vgpr 38
		.amdhsa_next_free_sgpr 28
		.amdhsa_reserve_vcc 1
		.amdhsa_reserve_flat_scratch 0
		.amdhsa_float_round_mode_32 0
		.amdhsa_float_round_mode_16_64 0
		.amdhsa_float_denorm_mode_32 3
		.amdhsa_float_denorm_mode_16_64 3
		.amdhsa_dx10_clamp 1
		.amdhsa_ieee_mode 1
		.amdhsa_fp16_overflow 0
		.amdhsa_exception_fp_ieee_invalid_op 0
		.amdhsa_exception_fp_denorm_src 0
		.amdhsa_exception_fp_ieee_div_zero 0
		.amdhsa_exception_fp_ieee_overflow 0
		.amdhsa_exception_fp_ieee_underflow 0
		.amdhsa_exception_fp_ieee_inexact 0
		.amdhsa_exception_int_div_zero 0
	.end_amdhsa_kernel
	.section	.text._ZN2at6native12_GLOBAL__N_125multi_tensor_apply_kernelINS1_18TensorListMetadataILi2EEENS1_14UnaryOpFunctorIfLi2ELi1ELi1EEEJNS0_4TanhIfEEEEEvT_T0_DpT1_,"axG",@progbits,_ZN2at6native12_GLOBAL__N_125multi_tensor_apply_kernelINS1_18TensorListMetadataILi2EEENS1_14UnaryOpFunctorIfLi2ELi1ELi1EEEJNS0_4TanhIfEEEEEvT_T0_DpT1_,comdat
.Lfunc_end154:
	.size	_ZN2at6native12_GLOBAL__N_125multi_tensor_apply_kernelINS1_18TensorListMetadataILi2EEENS1_14UnaryOpFunctorIfLi2ELi1ELi1EEEJNS0_4TanhIfEEEEEvT_T0_DpT1_, .Lfunc_end154-_ZN2at6native12_GLOBAL__N_125multi_tensor_apply_kernelINS1_18TensorListMetadataILi2EEENS1_14UnaryOpFunctorIfLi2ELi1ELi1EEEJNS0_4TanhIfEEEEEvT_T0_DpT1_
                                        ; -- End function
	.set _ZN2at6native12_GLOBAL__N_125multi_tensor_apply_kernelINS1_18TensorListMetadataILi2EEENS1_14UnaryOpFunctorIfLi2ELi1ELi1EEEJNS0_4TanhIfEEEEEvT_T0_DpT1_.num_vgpr, 38
	.set _ZN2at6native12_GLOBAL__N_125multi_tensor_apply_kernelINS1_18TensorListMetadataILi2EEENS1_14UnaryOpFunctorIfLi2ELi1ELi1EEEJNS0_4TanhIfEEEEEvT_T0_DpT1_.num_agpr, 0
	.set _ZN2at6native12_GLOBAL__N_125multi_tensor_apply_kernelINS1_18TensorListMetadataILi2EEENS1_14UnaryOpFunctorIfLi2ELi1ELi1EEEJNS0_4TanhIfEEEEEvT_T0_DpT1_.numbered_sgpr, 28
	.set _ZN2at6native12_GLOBAL__N_125multi_tensor_apply_kernelINS1_18TensorListMetadataILi2EEENS1_14UnaryOpFunctorIfLi2ELi1ELi1EEEJNS0_4TanhIfEEEEEvT_T0_DpT1_.num_named_barrier, 0
	.set _ZN2at6native12_GLOBAL__N_125multi_tensor_apply_kernelINS1_18TensorListMetadataILi2EEENS1_14UnaryOpFunctorIfLi2ELi1ELi1EEEJNS0_4TanhIfEEEEEvT_T0_DpT1_.private_seg_size, 0
	.set _ZN2at6native12_GLOBAL__N_125multi_tensor_apply_kernelINS1_18TensorListMetadataILi2EEENS1_14UnaryOpFunctorIfLi2ELi1ELi1EEEJNS0_4TanhIfEEEEEvT_T0_DpT1_.uses_vcc, 1
	.set _ZN2at6native12_GLOBAL__N_125multi_tensor_apply_kernelINS1_18TensorListMetadataILi2EEENS1_14UnaryOpFunctorIfLi2ELi1ELi1EEEJNS0_4TanhIfEEEEEvT_T0_DpT1_.uses_flat_scratch, 0
	.set _ZN2at6native12_GLOBAL__N_125multi_tensor_apply_kernelINS1_18TensorListMetadataILi2EEENS1_14UnaryOpFunctorIfLi2ELi1ELi1EEEJNS0_4TanhIfEEEEEvT_T0_DpT1_.has_dyn_sized_stack, 0
	.set _ZN2at6native12_GLOBAL__N_125multi_tensor_apply_kernelINS1_18TensorListMetadataILi2EEENS1_14UnaryOpFunctorIfLi2ELi1ELi1EEEJNS0_4TanhIfEEEEEvT_T0_DpT1_.has_recursion, 0
	.set _ZN2at6native12_GLOBAL__N_125multi_tensor_apply_kernelINS1_18TensorListMetadataILi2EEENS1_14UnaryOpFunctorIfLi2ELi1ELi1EEEJNS0_4TanhIfEEEEEvT_T0_DpT1_.has_indirect_call, 0
	.section	.AMDGPU.csdata,"",@progbits
; Kernel info:
; codeLenInByte = 2940
; TotalNumSgprs: 32
; NumVgprs: 38
; ScratchSize: 0
; MemoryBound: 0
; FloatMode: 240
; IeeeMode: 1
; LDSByteSize: 0 bytes/workgroup (compile time only)
; SGPRBlocks: 3
; VGPRBlocks: 9
; NumSGPRsForWavesPerEU: 32
; NumVGPRsForWavesPerEU: 38
; Occupancy: 6
; WaveLimiterHint : 0
; COMPUTE_PGM_RSRC2:SCRATCH_EN: 0
; COMPUTE_PGM_RSRC2:USER_SGPR: 6
; COMPUTE_PGM_RSRC2:TRAP_HANDLER: 0
; COMPUTE_PGM_RSRC2:TGID_X_EN: 1
; COMPUTE_PGM_RSRC2:TGID_Y_EN: 0
; COMPUTE_PGM_RSRC2:TGID_Z_EN: 0
; COMPUTE_PGM_RSRC2:TIDIG_COMP_CNT: 0
	.section	.text._ZN2at6native12_GLOBAL__N_125multi_tensor_apply_kernelINS1_18TensorListMetadataILi2EEENS1_14UnaryOpFunctorIN3c107complexIdEELi2ELi1ELi1EEEJNS0_4TanhIS8_EEEEEvT_T0_DpT1_,"axG",@progbits,_ZN2at6native12_GLOBAL__N_125multi_tensor_apply_kernelINS1_18TensorListMetadataILi2EEENS1_14UnaryOpFunctorIN3c107complexIdEELi2ELi1ELi1EEEJNS0_4TanhIS8_EEEEEvT_T0_DpT1_,comdat
	.globl	_ZN2at6native12_GLOBAL__N_125multi_tensor_apply_kernelINS1_18TensorListMetadataILi2EEENS1_14UnaryOpFunctorIN3c107complexIdEELi2ELi1ELi1EEEJNS0_4TanhIS8_EEEEEvT_T0_DpT1_ ; -- Begin function _ZN2at6native12_GLOBAL__N_125multi_tensor_apply_kernelINS1_18TensorListMetadataILi2EEENS1_14UnaryOpFunctorIN3c107complexIdEELi2ELi1ELi1EEEJNS0_4TanhIS8_EEEEEvT_T0_DpT1_
	.p2align	8
	.type	_ZN2at6native12_GLOBAL__N_125multi_tensor_apply_kernelINS1_18TensorListMetadataILi2EEENS1_14UnaryOpFunctorIN3c107complexIdEELi2ELi1ELi1EEEJNS0_4TanhIS8_EEEEEvT_T0_DpT1_,@function
_ZN2at6native12_GLOBAL__N_125multi_tensor_apply_kernelINS1_18TensorListMetadataILi2EEENS1_14UnaryOpFunctorIN3c107complexIdEELi2ELi1ELi1EEEJNS0_4TanhIS8_EEEEEvT_T0_DpT1_: ; @_ZN2at6native12_GLOBAL__N_125multi_tensor_apply_kernelINS1_18TensorListMetadataILi2EEENS1_14UnaryOpFunctorIN3c107complexIdEELi2ELi1ELi1EEEJNS0_4TanhIS8_EEEEEvT_T0_DpT1_
; %bb.0:
	v_mov_b32_e32 v1, s6
	global_load_ubyte v1, v1, s[4:5] offset:1536
	s_add_u32 s0, s4, s6
	s_mul_hi_u32 s3, s6, 3
	s_mul_i32 s6, s6, 3
	s_addc_u32 s8, s5, 0
	s_add_u32 s2, s0, s6
	s_addc_u32 s3, s8, s3
	s_load_dword s2, s[2:3], 0x740
	s_mov_b32 s1, 0
	s_mov_b32 s7, s1
	s_waitcnt lgkmcnt(0)
	s_ashr_i32 s3, s2, 31
	s_lshl_b64 s[14:15], s[2:3], 20
	s_waitcnt vmcnt(0)
	v_readfirstlane_b32 s0, v1
	s_lshl_b32 s0, s0, 3
	s_load_dwordx2 s[8:9], s[4:5], s0 offset:0x0
	s_load_dwordx2 s[10:11], s[4:5], s0 offset:0x400
	;; [unrolled: 1-line block ×3, first 2 shown]
	s_waitcnt lgkmcnt(0)
	s_add_u32 s62, s8, s14
	s_addc_u32 s63, s9, s15
	s_and_b32 s0, s62, 63
	s_add_u32 s64, s12, s14
	s_addc_u32 s65, s13, s15
	s_lshl_b64 s[2:3], s[2:3], 16
	s_and_b32 s6, s64, 63
	s_sub_u32 s2, s10, s2
	s_subb_u32 s3, s11, s3
	s_and_b32 s8, s10, 3
	s_mov_b32 s9, s1
	s_or_b64 s[6:7], s[6:7], s[8:9]
	s_or_b64 s[0:1], s[6:7], s[0:1]
	s_cmp_eq_u64 s[0:1], 0
	s_mov_b64 s[0:1], -1
	s_cbranch_scc0 .LBB155_157
; %bb.1:
	v_mov_b32_e32 v1, 0x10000
	v_mov_b32_e32 v2, 0
	v_cmp_lt_i64_e32 vcc, s[2:3], v[1:2]
	v_mov_b32_e32 v17, 0
	s_and_b64 s[0:1], vcc, exec
	s_cselect_b32 s7, s3, 0
	s_cselect_b32 s6, s2, 0x10000
	v_lshlrev_b32_e32 v1, 2, v0
	v_mov_b32_e32 v2, v17
	v_cmp_gt_i64_e32 vcc, s[6:7], v[1:2]
	s_mov_b64 s[0:1], exec
                                        ; implicit-def: $vgpr81 : SGPR spill to VGPR lane
	v_writelane_b32 v81, s0, 0
	v_writelane_b32 v81, s1, 1
	s_and_b64 s[0:1], s[0:1], vcc
	s_mov_b64 exec, s[0:1]
	s_cbranch_execz .LBB155_156
; %bb.2:
	s_load_dword s0, s[4:5], 0xc5c
	v_mov_b32_e32 v1, v17
	s_mov_b32 s30, 0x54442d18
	s_mov_b32 s16, 0x6dc9c883
	;; [unrolled: 1-line block ×3, first 2 shown]
	s_waitcnt lgkmcnt(0)
	s_and_b32 s33, s0, 0xffff
	s_mov_b32 s20, 0x252049c0
	s_mov_b32 s42, 0xfefa39ef
	;; [unrolled: 1-line block ×15, first 2 shown]
	v_mov_b32_e32 v24, v1
	s_mov_b32 s24, 0
	s_mov_b32 s26, 0
	;; [unrolled: 1-line block ×3, first 2 shown]
	v_lshlrev_b32_e32 v41, 6, v0
	s_mov_b32 s31, 0xbff921fb
	s_mov_b32 s17, 0x3fe45f30
	;; [unrolled: 1-line block ×7, first 2 shown]
	v_mov_b32_e32 v42, 0x260
	s_mov_b32 s77, 0x3e21eeb6
	s_mov_b32 s79, 0xbda907db
	;; [unrolled: 1-line block ×11, first 2 shown]
	v_mov_b32_e32 v43, 0x40100000
	v_mov_b32_e32 v44, 0x3ff00000
	;; [unrolled: 1-line block ×11, first 2 shown]
	s_brev_b32 s48, -2
	s_lshl_b32 s49, s33, 6
	s_mov_b32 s54, 0x7ff00000
	s_movk_i32 s55, 0x1f8
	s_mov_b32 s66, 0x40360000
	s_movk_i32 s67, 0xff80
	s_mov_b32 s70, 0xfffff
	s_mov_b64 s[22:23], 0
	s_mov_b32 s25, 0x41d00000
	s_mov_b32 s27, 0x7b000000
	;; [unrolled: 1-line block ×12, first 2 shown]
	s_mov_b64 s[10:11], s[62:63]
	s_mov_b64 s[12:13], s[64:65]
	s_branch .LBB155_7
.LBB155_3:                              ;   in Loop: Header=BB155_7 Depth=1
	s_or_b64 exec, exec, s[0:1]
	v_mul_f64 v[29:30], v[25:26], v[25:26]
	v_mul_f64 v[33:34], v[31:32], v[31:32]
	v_mov_b32_e32 v35, s86
	v_mov_b32_e32 v36, s87
	;; [unrolled: 1-line block ×4, first 2 shown]
	v_mul_f64 v[60:61], v[27:28], 0.5
	v_mul_f64 v[68:69], v[39:40], 0.5
	v_fma_f64 v[37:38], v[29:30], s[88:89], v[35:36]
	v_fma_f64 v[35:36], v[33:34], s[88:89], v[35:36]
	;; [unrolled: 1-line block ×3, first 2 shown]
	v_mul_f64 v[54:55], v[29:30], 0.5
	v_fma_f64 v[50:51], v[33:34], s[78:79], v[50:51]
	v_mul_f64 v[56:57], v[33:34], 0.5
	v_mul_f64 v[62:63], v[25:26], -v[29:30]
	v_mul_f64 v[70:71], v[31:32], -v[33:34]
	v_fma_f64 v[37:38], v[29:30], v[37:38], s[90:91]
	v_fma_f64 v[35:36], v[33:34], v[35:36], s[90:91]
	;; [unrolled: 1-line block ×3, first 2 shown]
	v_add_f64 v[58:59], -v[54:55], 1.0
	v_fma_f64 v[50:51], v[33:34], v[50:51], s[80:81]
	v_add_f64 v[64:65], -v[56:57], 1.0
	s_mov_b32 s46, s56
	v_cmp_class_f64_e64 s[0:1], v[3:4], s55
	v_fma_f64 v[37:38], v[29:30], v[37:38], s[92:93]
	v_fma_f64 v[35:36], v[33:34], v[35:36], s[92:93]
	;; [unrolled: 1-line block ×3, first 2 shown]
	v_add_f64 v[66:67], -v[58:59], 1.0
	v_fma_f64 v[50:51], v[33:34], v[50:51], s[82:83]
	v_add_f64 v[72:73], -v[64:65], 1.0
	v_fma_f64 v[37:38], v[29:30], v[37:38], s[44:45]
	v_fma_f64 v[35:36], v[33:34], v[35:36], s[44:45]
	;; [unrolled: 1-line block ×3, first 2 shown]
	v_add_f64 v[54:55], v[66:67], -v[54:55]
	v_fma_f64 v[50:51], v[33:34], v[50:51], s[84:85]
	v_add_f64 v[56:57], v[72:73], -v[56:57]
	v_fma_f64 v[37:38], v[62:63], v[37:38], v[60:61]
	v_fma_f64 v[35:36], v[70:71], v[35:36], v[68:69]
	v_mul_f64 v[60:61], v[29:30], v[29:30]
	v_fma_f64 v[52:53], v[29:30], v[52:53], s[56:57]
	v_fma_f64 v[54:55], v[25:26], -v[27:28], v[54:55]
	v_fma_f64 v[27:28], v[29:30], v[37:38], -v[27:28]
	v_fma_f64 v[35:36], v[33:34], v[35:36], -v[39:40]
	v_mul_f64 v[29:30], v[33:34], v[33:34]
	v_fma_f64 v[33:34], v[33:34], v[50:51], s[56:57]
	v_fma_f64 v[37:38], v[31:32], -v[39:40], v[56:57]
	v_fma_f64 v[39:40], v[60:61], v[52:53], v[54:55]
	v_and_b32_e32 v50, 1, v49
	v_lshlrev_b32_e32 v49, 30, v49
	v_fma_f64 v[27:28], v[62:63], s[46:47], v[27:28]
	v_fma_f64 v[35:36], v[70:71], s[46:47], v[35:36]
	v_cmp_eq_u32_e32 vcc, 0, v50
	v_fma_f64 v[29:30], v[29:30], v[33:34], v[37:38]
	v_add_f64 v[33:34], v[58:59], v[39:40]
	v_and_b32_e32 v37, 1, v18
	v_lshlrev_b32_e32 v18, 30, v18
	v_add_f64 v[25:26], v[25:26], -v[27:28]
	v_add_f64 v[27:28], v[31:32], -v[35:36]
	v_xor_b32_e32 v38, v49, v4
	v_and_b32_e32 v18, 0x80000000, v18
	v_add_f64 v[29:30], v[64:65], v[29:30]
	v_and_b32_e32 v31, 0x80000000, v38
	v_cndmask_b32_e32 v25, v33, v25, vcc
	v_cndmask_b32_e32 v3, v34, v26, vcc
	v_xor_b32_e32 v4, 0x80000000, v28
	v_cmp_eq_u32_e32 vcc, 0, v37
	v_cndmask_b32_e32 v4, v4, v30, vcc
	v_cndmask_b32_e32 v26, v27, v29, vcc
	v_xor_b32_e32 v27, v3, v31
	v_xor_b32_e32 v18, v4, v18
	v_cndmask_b32_e64 v3, 0, v25, s[0:1]
	v_cndmask_b32_e64 v4, v48, v27, s[0:1]
	;; [unrolled: 1-line block ×4, first 2 shown]
	v_mul_f64 v[3:4], v[3:4], v[25:26]
.LBB155_4:                              ;   in Loop: Header=BB155_7 Depth=1
	s_or_b64 exec, exec, s[74:75]
	v_bfi_b32 v18, s48, 0, v4
	v_mov_b32_e32 v3, v17
	v_add_u32_e32 v2, -2.0, v2
	v_mov_b32_e32 v4, v18
.LBB155_5:                              ;   in Loop: Header=BB155_7 Depth=1
	s_or_b64 exec, exec, s[58:59]
.LBB155_6:                              ;   in Loop: Header=BB155_7 Depth=1
	s_or_b64 exec, exec, s[52:53]
	v_mov_b32_e32 v18, s13
	v_add_co_u32_e32 v25, vcc, s12, v41
	v_addc_co_u32_e32 v26, vcc, 0, v18, vcc
	v_add_co_u32_e32 v23, vcc, s33, v23
	v_addc_co_u32_e32 v24, vcc, 0, v24, vcc
	global_store_dwordx4 v[25:26], v[13:16], off
	global_store_dwordx4 v[25:26], v[9:12], off offset:16
	global_store_dwordx4 v[25:26], v[5:8], off offset:32
	s_add_u32 s12, s12, s49
	v_lshlrev_b64 v[5:6], 2, v[23:24]
	s_addc_u32 s13, s13, 0
	s_add_u32 s10, s10, s49
	v_cmp_le_i64_e32 vcc, s[6:7], v[5:6]
	s_addc_u32 s11, s11, 0
	s_or_b64 s[22:23], vcc, s[22:23]
	global_store_dwordx4 v[25:26], v[1:4], off offset:48
	s_andn2_b64 exec, exec, s[22:23]
	s_cbranch_execz .LBB155_156
.LBB155_7:                              ; =>This Inner Loop Header: Depth=1
	v_mov_b32_e32 v1, s11
	v_add_co_u32_e32 v5, vcc, s10, v41
	v_addc_co_u32_e32 v6, vcc, 0, v1, vcc
	global_load_dwordx4 v[9:12], v[5:6], off offset:16
	global_load_dwordx4 v[13:16], v[5:6], off
	global_load_dwordx4 v[1:4], v[5:6], off offset:48
	s_nop 0
	global_load_dwordx4 v[5:8], v[5:6], off offset:32
	s_waitcnt vmcnt(2)
	v_and_b32_e32 v18, 0x7fffffff, v14
	v_cmp_gt_u32_e32 vcc, s54, v18
	s_and_saveexec_b64 s[0:1], vcc
	s_xor_b64 s[74:75], exec, s[0:1]
	s_cbranch_execz .LBB155_29
; %bb.8:                                ;   in Loop: Header=BB155_7 Depth=1
	v_cmp_class_f64_e64 s[0:1], v[15:16], s55
	s_and_saveexec_b64 s[52:53], s[0:1]
	s_xor_b64 s[52:53], exec, s[52:53]
	s_cbranch_execz .LBB155_26
; %bb.9:                                ;   in Loop: Header=BB155_7 Depth=1
	v_cmp_gt_u32_e32 vcc, s66, v18
	s_and_saveexec_b64 s[0:1], vcc
	s_xor_b64 s[58:59], exec, s[0:1]
	s_cbranch_execz .LBB155_15
; %bb.10:                               ;   in Loop: Header=BB155_7 Depth=1
	v_cmp_nlt_f64_e64 s[0:1], |v[15:16]|, s[24:25]
                                        ; implicit-def: $vgpr18
                                        ; implicit-def: $vgpr25_vgpr26
                                        ; implicit-def: $vgpr27_vgpr28
	s_and_saveexec_b64 s[60:61], s[0:1]
	s_xor_b64 s[0:1], exec, s[60:61]
	s_cbranch_execz .LBB155_12
; %bb.11:                               ;   in Loop: Header=BB155_7 Depth=1
	v_trig_preop_f64 v[25:26], |v[15:16]|, 0
	v_ldexp_f64 v[27:28], |v[15:16]|, s67
	v_cmp_ge_f64_e64 vcc, |v[15:16]|, s[26:27]
	v_trig_preop_f64 v[29:30], |v[15:16]|, 1
	v_and_b32_e32 v18, 0x7fffffff, v16
	v_trig_preop_f64 v[37:38], |v[15:16]|, 2
	s_mov_b32 s14, s30
	s_mov_b32 s37, s19
	v_cndmask_b32_e32 v28, v18, v28, vcc
	v_cndmask_b32_e32 v27, v15, v27, vcc
	v_mul_f64 v[31:32], v[25:26], v[27:28]
	v_mul_f64 v[33:34], v[29:30], v[27:28]
	;; [unrolled: 1-line block ×3, first 2 shown]
	v_fma_f64 v[25:26], v[25:26], v[27:28], -v[31:32]
	v_fma_f64 v[29:30], v[29:30], v[27:28], -v[33:34]
	;; [unrolled: 1-line block ×3, first 2 shown]
	v_add_f64 v[35:36], v[33:34], v[25:26]
	v_add_f64 v[39:40], v[35:36], -v[33:34]
	v_add_f64 v[53:54], v[31:32], v[35:36]
	v_add_f64 v[49:50], v[35:36], -v[39:40]
	v_add_f64 v[25:26], v[25:26], -v[39:40]
	v_add_f64 v[39:40], v[51:52], v[29:30]
	v_add_f64 v[31:32], v[53:54], -v[31:32]
	v_add_f64 v[33:34], v[33:34], -v[49:50]
	v_ldexp_f64 v[49:50], v[53:54], -2
	v_add_f64 v[55:56], v[39:40], -v[51:52]
	v_add_f64 v[31:32], v[35:36], -v[31:32]
	v_add_f64 v[25:26], v[25:26], v[33:34]
	v_fract_f64_e32 v[33:34], v[49:50]
	v_cmp_neq_f64_e64 vcc, |v[49:50]|, s[28:29]
	v_add_f64 v[29:30], v[29:30], -v[55:56]
	v_add_f64 v[35:36], v[39:40], v[25:26]
	v_ldexp_f64 v[33:34], v[33:34], 2
	v_add_f64 v[49:50], v[31:32], v[35:36]
	v_cndmask_b32_e32 v34, 0, v34, vcc
	v_cndmask_b32_e32 v33, 0, v33, vcc
	v_add_f64 v[57:58], v[35:36], -v[39:40]
	v_add_f64 v[53:54], v[49:50], v[33:34]
	v_add_f64 v[31:32], v[49:50], -v[31:32]
	v_add_f64 v[59:60], v[35:36], -v[57:58]
	;; [unrolled: 1-line block ×3, first 2 shown]
	v_cmp_gt_f64_e32 vcc, 0, v[53:54]
	v_add_f64 v[53:54], v[39:40], -v[55:56]
	v_add_f64 v[31:32], v[35:36], -v[31:32]
	;; [unrolled: 1-line block ×3, first 2 shown]
	v_cndmask_b32_e32 v18, 0, v43, vcc
	v_add_f64 v[33:34], v[33:34], v[17:18]
	v_add_f64 v[53:54], v[51:52], -v[53:54]
	v_add_f64 v[25:26], v[25:26], v[39:40]
	v_add_f64 v[61:62], v[49:50], v[33:34]
	;; [unrolled: 1-line block ×3, first 2 shown]
	v_cvt_i32_f64_e32 v57, v[61:62]
	v_add_f64 v[25:26], v[29:30], v[25:26]
	v_cvt_f64_i32_e32 v[55:56], v57
	v_add_f64 v[33:34], v[33:34], -v[55:56]
	v_add_f64 v[25:26], v[27:28], v[25:26]
	v_add_f64 v[29:30], v[49:50], v[33:34]
	;; [unrolled: 1-line block ×3, first 2 shown]
	v_add_f64 v[27:28], v[29:30], -v[33:34]
	v_cmp_le_f64_e32 vcc, 0.5, v[29:30]
	v_add_f64 v[27:28], v[49:50], -v[27:28]
	v_cndmask_b32_e32 v18, 0, v44, vcc
	v_add_f64 v[25:26], v[25:26], v[27:28]
	v_add_f64 v[27:28], v[29:30], -v[17:18]
	v_addc_co_u32_e32 v18, vcc, 0, v57, vcc
	v_add_f64 v[29:30], v[27:28], v[25:26]
	v_mul_f64 v[31:32], v[29:30], s[14:15]
	v_add_f64 v[27:28], v[29:30], -v[27:28]
	v_fma_f64 v[33:34], v[29:30], s[14:15], -v[31:32]
	v_add_f64 v[25:26], v[25:26], -v[27:28]
	v_fma_f64 v[27:28], v[29:30], s[36:37], v[33:34]
	v_fma_f64 v[27:28], v[25:26], s[14:15], v[27:28]
	v_add_f64 v[25:26], v[31:32], v[27:28]
	v_add_f64 v[29:30], v[25:26], -v[31:32]
	v_add_f64 v[27:28], v[27:28], -v[29:30]
.LBB155_12:                             ;   in Loop: Header=BB155_7 Depth=1
	s_andn2_saveexec_b64 s[0:1], s[0:1]
	s_cbranch_execz .LBB155_14
; %bb.13:                               ;   in Loop: Header=BB155_7 Depth=1
	v_mul_f64 v[25:26], |v[15:16]|, s[16:17]
	s_mov_b32 s18, s34
	v_rndne_f64_e32 v[29:30], v[25:26]
	v_fma_f64 v[25:26], v[29:30], s[30:31], |v[15:16]|
	v_mul_f64 v[27:28], v[29:30], s[34:35]
	v_cvt_i32_f64_e32 v18, v[29:30]
	v_fma_f64 v[35:36], v[29:30], s[34:35], v[25:26]
	v_add_f64 v[31:32], v[25:26], v[27:28]
	v_add_f64 v[33:34], v[25:26], -v[31:32]
	v_add_f64 v[31:32], v[31:32], -v[35:36]
	v_add_f64 v[25:26], v[33:34], v[27:28]
	v_fma_f64 v[27:28], v[29:30], s[18:19], v[27:28]
	v_add_f64 v[25:26], v[31:32], v[25:26]
	v_add_f64 v[25:26], v[25:26], -v[27:28]
	v_fma_f64 v[27:28], v[29:30], s[20:21], v[25:26]
	v_add_f64 v[25:26], v[35:36], v[27:28]
	v_add_f64 v[31:32], v[25:26], -v[35:36]
	v_add_f64 v[27:28], v[27:28], -v[31:32]
.LBB155_14:                             ;   in Loop: Header=BB155_7 Depth=1
	s_or_b64 exec, exec, s[0:1]
	v_add_f64 v[29:30], |v[13:14]|, s[42:43]
	s_mov_b32 s50, s42
	s_mov_b32 s0, 0x3b39803f
	;; [unrolled: 1-line block ×7, first 2 shown]
	v_add_f64 v[31:32], v[29:30], -|v[13:14]|
	v_and_b32_e32 v18, 1, v18
	v_add_f64 v[33:34], v[31:32], -v[29:30]
	v_add_f64 v[31:32], v[31:32], s[50:51]
	v_add_f64 v[33:34], |v[13:14]|, v[33:34]
	v_add_f64 v[31:32], v[33:34], -v[31:32]
	v_add_f64 v[31:32], v[31:32], s[0:1]
	s_mov_b32 s0, 0xf278e000
	s_mov_b32 s1, 0xbd53de6a
	v_add_f64 v[33:34], v[29:30], v[31:32]
	v_mul_f64 v[35:36], v[33:34], s[8:9]
	v_add_f64 v[29:30], v[29:30], -v[33:34]
	v_rndne_f64_e32 v[35:36], v[35:36]
	v_add_f64 v[29:30], v[31:32], v[29:30]
	v_fma_f64 v[31:32], v[35:36], s[38:39], v[33:34]
	v_mul_f64 v[33:34], v[35:36], s[0:1]
	s_mov_b32 s0, 0xf97b57a0
	s_mov_b32 s1, 0xbac9cc01
	v_cvt_i32_f64_e32 v15, v[35:36]
	v_add_f64 v[37:38], v[29:30], v[31:32]
	v_add_f64 v[39:40], v[37:38], v[33:34]
	v_add_f64 v[31:32], v[31:32], -v[37:38]
	v_add_f64 v[37:38], v[37:38], -v[39:40]
	v_add_f64 v[29:30], v[29:30], v[31:32]
	v_add_f64 v[31:32], v[37:38], v[33:34]
	;; [unrolled: 1-line block ×3, first 2 shown]
	v_mul_f64 v[31:32], v[35:36], s[0:1]
	s_mov_b32 s0, 0x6a5dcb37
	s_mov_b32 s1, 0x3e5ade15
	v_add_f64 v[33:34], v[39:40], v[29:30]
	v_add_f64 v[37:38], v[33:34], v[31:32]
	v_add_f64 v[39:40], v[39:40], -v[33:34]
	v_add_f64 v[33:34], v[33:34], -v[37:38]
	v_add_f64 v[29:30], v[29:30], v[39:40]
	v_add_f64 v[31:32], v[33:34], v[31:32]
	;; [unrolled: 1-line block ×4, first 2 shown]
	v_fma_f64 v[33:34], v[31:32], s[0:1], v[21:22]
	s_mov_b32 s0, 0x623fde64
	s_mov_b32 s1, 0x3ec71dee
	v_add_f64 v[37:38], v[37:38], -v[31:32]
	v_mul_f64 v[39:40], v[31:32], v[31:32]
	v_fma_f64 v[33:34], v[31:32], v[33:34], s[0:1]
	s_mov_b32 s0, 0x7c89e6b0
	s_mov_b32 s1, 0x3efa0199
	v_add_f64 v[29:30], v[29:30], v[37:38]
	v_fma_f64 v[37:38], v[31:32], v[31:32], -v[39:40]
	v_fma_f64 v[33:34], v[31:32], v[33:34], s[0:1]
	s_mov_b32 s0, 0x14761f6e
	s_mov_b32 s1, 0x3f2a01a0
	v_add_f64 v[49:50], v[29:30], v[29:30]
	v_fma_f64 v[33:34], v[31:32], v[33:34], s[0:1]
	s_mov_b32 s0, 0x1852b7b0
	s_mov_b32 s1, 0x3f56c16c
	v_fma_f64 v[37:38], v[31:32], v[49:50], v[37:38]
	v_fma_f64 v[33:34], v[31:32], v[33:34], s[0:1]
	s_mov_b32 s0, 0x55555511
	s_mov_b32 s1, 0x3fc55555
	v_add_f64 v[49:50], v[39:40], v[37:38]
	v_fma_f64 v[33:34], v[31:32], v[33:34], s[94:95]
	v_add_f64 v[39:40], v[49:50], -v[39:40]
	v_fma_f64 v[33:34], v[31:32], v[33:34], s[68:69]
	v_add_f64 v[37:38], v[37:38], -v[39:40]
	v_fma_f64 v[33:34], v[31:32], v[33:34], s[0:1]
	s_mov_b32 s0, 0xc751c08c
	s_mov_b32 s1, 0x3ef5e089
	v_fma_f64 v[33:34], v[31:32], v[33:34], s[72:73]
	v_mul_f64 v[51:52], v[49:50], v[33:34]
	v_fma_f64 v[39:40], v[49:50], v[33:34], -v[51:52]
	v_fma_f64 v[33:34], v[37:38], v[33:34], v[39:40]
	v_add_f64 v[37:38], v[51:52], v[33:34]
	v_add_f64 v[39:40], v[31:32], v[37:38]
	v_add_f64 v[49:50], v[37:38], -v[51:52]
	v_add_f64 v[31:32], v[39:40], -v[31:32]
	v_add_f64 v[33:34], v[33:34], -v[49:50]
	v_add_f64 v[49:50], v[27:28], v[27:28]
	v_add_f64 v[31:32], v[37:38], -v[31:32]
	v_add_f64 v[29:30], v[29:30], v[33:34]
	v_add_f64 v[29:30], v[29:30], v[31:32]
	;; [unrolled: 1-line block ×3, first 2 shown]
	v_add_f64 v[33:34], v[31:32], 1.0
	v_add_f64 v[37:38], v[31:32], -v[39:40]
	v_add_f64 v[39:40], v[33:34], -1.0
	v_add_f64 v[29:30], v[29:30], -v[37:38]
	v_add_f64 v[31:32], v[31:32], -v[39:40]
	v_add_f64 v[29:30], v[29:30], v[31:32]
	v_add_f64 v[31:32], v[33:34], v[29:30]
	v_ldexp_f64 v[35:36], v[31:32], v15
	v_add_f64 v[31:32], v[31:32], -v[33:34]
	v_rcp_f64_e32 v[37:38], v[35:36]
	v_add_f64 v[29:30], v[29:30], -v[31:32]
	v_ldexp_f64 v[29:30], v[29:30], v15
	v_fma_f64 v[39:40], -v[35:36], v[37:38], 1.0
	v_fma_f64 v[37:38], v[39:40], v[37:38], v[37:38]
	v_fma_f64 v[39:40], -v[35:36], v[37:38], 1.0
	v_fma_f64 v[33:34], v[39:40], v[37:38], v[37:38]
	v_mul_f64 v[37:38], v[25:26], v[25:26]
	v_mul_f64 v[31:32], v[35:36], v[33:34]
	v_fma_f64 v[51:52], v[25:26], v[25:26], -v[37:38]
	v_fma_f64 v[39:40], v[33:34], v[35:36], -v[31:32]
	v_fma_f64 v[49:50], v[25:26], v[49:50], v[51:52]
	v_fma_f64 v[39:40], v[33:34], v[29:30], v[39:40]
	v_add_f64 v[37:38], v[37:38], v[49:50]
	v_add_f64 v[51:52], v[31:32], v[39:40]
	v_fma_f64 v[53:54], v[37:38], s[0:1], v[19:20]
	s_mov_b32 s0, 0x90a8aae0
	s_mov_b32 s1, 0x3f17746f
	v_add_f64 v[49:50], -v[51:52], 1.0
	v_add_f64 v[31:32], v[51:52], -v[31:32]
	v_fma_f64 v[53:54], v[37:38], v[53:54], s[0:1]
	s_mov_b32 s0, 0xa6fbf144
	s_mov_b32 s1, 0xbefbb44d
	v_add_f64 v[55:56], -v[49:50], 1.0
	v_add_f64 v[31:32], v[31:32], -v[39:40]
	v_add_f64 v[39:40], v[55:56], -v[51:52]
	v_fma_f64 v[51:52], v[37:38], v[53:54], s[0:1]
	s_mov_b32 s0, 0xa7943acf
	s_mov_b32 s1, 0x3f21e634
	v_add_f64 v[31:32], v[31:32], v[39:40]
	v_fma_f64 v[39:40], v[37:38], v[51:52], s[0:1]
	s_mov_b32 s0, 0xdeb68feb
	s_mov_b32 s1, 0x3f2d250f
	v_add_f64 v[51:52], v[49:50], v[31:32]
	v_fma_f64 v[39:40], v[37:38], v[39:40], s[0:1]
	s_mov_b32 s0, 0xb58c4d95
	s_mov_b32 s1, 0x3f437fd9
	v_mul_f64 v[53:54], v[33:34], v[51:52]
	v_fma_f64 v[39:40], v[37:38], v[39:40], s[0:1]
	s_mov_b32 s0, 0x15120e2c
	s_mov_b32 s1, 0x3f57d5af
	v_add_f64 v[49:50], v[49:50], -v[51:52]
	v_mul_f64 v[55:56], v[35:36], v[53:54]
	v_fma_f64 v[39:40], v[37:38], v[39:40], s[0:1]
	s_mov_b32 s0, 0xe09491df
	s_mov_b32 s1, 0x3f6d6d93
	v_add_f64 v[31:32], v[31:32], v[49:50]
	v_fma_f64 v[57:58], v[53:54], v[35:36], -v[55:56]
	v_fma_f64 v[39:40], v[37:38], v[39:40], s[0:1]
	s_mov_b32 s0, 0x2033784d
	s_mov_b32 s1, 0x3f8226e1
	v_fma_f64 v[57:58], v[53:54], v[29:30], v[57:58]
	v_fma_f64 v[39:40], v[37:38], v[39:40], s[0:1]
	s_mov_b32 s0, 0x9ac36ae2
	s_mov_b32 s1, 0x3f9664f4
	v_add_f64 v[59:60], v[55:56], v[57:58]
	v_fma_f64 v[39:40], v[37:38], v[39:40], s[0:1]
	s_mov_b32 s0, 0x1b451c21
	s_mov_b32 s1, 0x3faba1ba
	v_add_f64 v[61:62], v[51:52], -v[59:60]
	v_fma_f64 v[39:40], v[37:38], v[39:40], s[0:1]
	s_mov_b32 s0, 0x111185b7
	s_mov_b32 s1, 0x3fc11111
	v_add_f64 v[49:50], v[59:60], -v[55:56]
	v_add_f64 v[51:52], v[51:52], -v[61:62]
	v_fma_f64 v[39:40], v[37:38], v[39:40], s[0:1]
	s_mov_b32 s0, 0x555554ee
	s_mov_b32 s1, 0x3fd55555
	v_add_f64 v[49:50], v[49:50], -v[57:58]
	v_add_f64 v[51:52], v[51:52], -v[59:60]
	v_fma_f64 v[39:40], v[37:38], v[39:40], s[0:1]
	s_mov_b32 s0, 0x8fb9f87e
	s_mov_b32 s1, 0x408633ce
	v_cmp_nge_f64_e64 vcc, |v[13:14]|, s[0:1]
	s_mov_b32 s0, 0
	s_mov_b32 s1, 0x3e400000
	v_add_f64 v[31:32], v[31:32], v[51:52]
	v_mul_f64 v[37:38], v[37:38], v[39:40]
	v_add_f64 v[39:40], v[33:34], v[53:54]
	v_add_f64 v[31:32], v[49:50], v[31:32]
	v_mul_f64 v[49:50], v[25:26], v[37:38]
	v_add_f64 v[51:52], v[39:40], -v[33:34]
	v_add_f64 v[31:32], v[61:62], v[31:32]
	v_add_f64 v[55:56], v[25:26], v[49:50]
	v_add_f64 v[51:52], v[53:54], -v[51:52]
	v_mul_f64 v[31:32], v[33:34], v[31:32]
	v_fma_f64 v[33:34], v[25:26], v[37:38], -v[49:50]
	v_add_f64 v[25:26], v[55:56], -v[25:26]
	v_add_f64 v[31:32], v[51:52], v[31:32]
	v_add_f64 v[27:28], v[27:28], v[33:34]
	v_add_f64 v[25:26], v[49:50], -v[25:26]
	v_add_f64 v[33:34], v[39:40], v[31:32]
	v_add_f64 v[25:26], v[27:28], v[25:26]
	v_ldexp_f64 v[27:28], v[33:34], -2
	v_add_f64 v[33:34], v[33:34], -v[39:40]
	v_add_f64 v[37:38], v[55:56], v[25:26]
	v_add_f64 v[49:50], v[35:36], -v[27:28]
	v_add_f64 v[31:32], v[31:32], -v[33:34]
	v_rcp_f64_e32 v[51:52], v[37:38]
	v_add_f64 v[35:36], v[35:36], -v[49:50]
	v_ldexp_f64 v[31:32], v[31:32], -2
	v_add_f64 v[27:28], v[35:36], -v[27:28]
	v_fma_f64 v[33:34], -v[37:38], v[51:52], 1.0
	v_add_f64 v[27:28], v[29:30], v[27:28]
	v_fma_f64 v[29:30], v[33:34], v[51:52], v[51:52]
	v_and_b32_e32 v34, 0x7fffffff, v14
	v_add_f64 v[27:28], v[27:28], -v[31:32]
	v_fma_f64 v[31:32], -v[37:38], v[29:30], 1.0
	v_add_f64 v[27:28], v[49:50], v[27:28]
	v_fma_f64 v[29:30], v[31:32], v[29:30], v[29:30]
	v_cndmask_b32_e32 v15, v45, v28, vcc
	v_cndmask_b32_e32 v33, 0, v27, vcc
	v_cmp_lt_f64_e64 vcc, |v[13:14]|, s[0:1]
	v_add_f64 v[27:28], v[37:38], -v[55:56]
	v_mul_f64 v[31:32], v[37:38], v[29:30]
	s_mov_b32 s0, 0
	s_brev_b32 s1, 8
	v_cndmask_b32_e32 v15, v15, v34, vcc
	v_cndmask_b32_e32 v13, v33, v13, vcc
	v_bfi_b32 v14, s48, v15, v14
	v_fma_f64 v[33:34], v[13:14], v[13:14], 1.0
	v_add_f64 v[25:26], v[25:26], -v[27:28]
	v_fma_f64 v[27:28], v[29:30], v[37:38], -v[31:32]
	v_cmp_gt_f64_e32 vcc, s[0:1], v[33:34]
	v_cmp_eq_u32_e64 s[0:1], 0, v18
	v_fma_f64 v[25:26], v[29:30], v[25:26], v[27:28]
	v_cndmask_b32_e32 v15, 0, v46, vcc
	v_ldexp_f64 v[33:34], v[33:34], v15
	v_add_f64 v[35:36], v[31:32], v[25:26]
	v_rsq_f64_e32 v[27:28], v[33:34]
	v_add_f64 v[39:40], -v[35:36], 1.0
	v_add_f64 v[31:32], v[35:36], -v[31:32]
	v_add_f64 v[51:52], -v[39:40], 1.0
	v_add_f64 v[25:26], v[31:32], -v[25:26]
	v_mul_f64 v[49:50], v[33:34], v[27:28]
	v_mul_f64 v[27:28], v[27:28], 0.5
	v_add_f64 v[35:36], v[51:52], -v[35:36]
	v_fma_f64 v[31:32], -v[27:28], v[49:50], 0.5
	v_add_f64 v[25:26], v[25:26], v[35:36]
	v_fma_f64 v[49:50], v[49:50], v[31:32], v[49:50]
	v_fma_f64 v[27:28], v[27:28], v[31:32], v[27:28]
	v_add_f64 v[25:26], v[39:40], v[25:26]
	v_fma_f64 v[31:32], -v[49:50], v[49:50], v[33:34]
	v_mul_f64 v[25:26], v[29:30], v[25:26]
	v_fma_f64 v[31:32], v[31:32], v[27:28], v[49:50]
	v_add_f64 v[25:26], v[29:30], v[25:26]
	v_and_b32_e32 v29, 0x80000000, v16
	v_fma_f64 v[35:36], -v[31:32], v[31:32], v[33:34]
	v_xor_b32_e32 v26, 0x80000000, v26
	v_cndmask_b32_e64 v18, v26, v38, s[0:1]
	v_xor_b32_e32 v26, v18, v29
	v_cndmask_b32_e32 v18, 0, v47, vcc
	v_cndmask_b32_e64 v25, v25, v37, s[0:1]
	v_cmp_class_f64_e32 vcc, v[33:34], v42
	v_fma_f64 v[15:16], v[35:36], v[27:28], v[31:32]
	v_fma_f64 v[27:28], v[25:26], v[25:26], 1.0
	v_ldexp_f64 v[15:16], v[15:16], v18
	v_mul_f64 v[29:30], v[13:14], v[27:28]
	v_cndmask_b32_e32 v16, v16, v34, vcc
	v_cndmask_b32_e32 v15, v15, v33, vcc
	v_mul_f64 v[15:16], v[15:16], v[27:28]
	v_fma_f64 v[27:28], v[13:14], v[29:30], 1.0
	v_mul_f64 v[13:14], v[13:14], v[15:16]
	v_div_scale_f64 v[29:30], s[0:1], v[27:28], v[27:28], v[25:26]
	v_div_scale_f64 v[15:16], s[0:1], v[27:28], v[27:28], v[13:14]
	v_div_scale_f64 v[39:40], s[0:1], v[25:26], v[27:28], v[25:26]
	v_rcp_f64_e32 v[33:34], v[29:30]
	v_rcp_f64_e32 v[31:32], v[15:16]
	v_fma_f64 v[37:38], -v[29:30], v[33:34], 1.0
	v_fma_f64 v[35:36], -v[15:16], v[31:32], 1.0
	v_fma_f64 v[33:34], v[33:34], v[37:38], v[33:34]
	v_fma_f64 v[31:32], v[31:32], v[35:36], v[31:32]
	v_div_scale_f64 v[35:36], vcc, v[13:14], v[27:28], v[13:14]
	v_fma_f64 v[49:50], -v[29:30], v[33:34], 1.0
	v_fma_f64 v[37:38], -v[15:16], v[31:32], 1.0
	v_fma_f64 v[33:34], v[33:34], v[49:50], v[33:34]
	v_fma_f64 v[31:32], v[31:32], v[37:38], v[31:32]
	v_mul_f64 v[49:50], v[39:40], v[33:34]
	v_mul_f64 v[37:38], v[35:36], v[31:32]
	v_fma_f64 v[29:30], -v[29:30], v[49:50], v[39:40]
	v_fma_f64 v[15:16], -v[15:16], v[37:38], v[35:36]
	v_div_fmas_f64 v[15:16], v[15:16], v[31:32], v[37:38]
	s_mov_b64 vcc, s[0:1]
	v_div_fmas_f64 v[29:30], v[29:30], v[33:34], v[49:50]
	v_div_fixup_f64 v[13:14], v[15:16], v[27:28], v[13:14]
	v_div_fixup_f64 v[15:16], v[29:30], v[27:28], v[25:26]
.LBB155_15:                             ;   in Loop: Header=BB155_7 Depth=1
	s_andn2_saveexec_b64 s[0:1], s[58:59]
	s_cbranch_execz .LBB155_18
; %bb.16:                               ;   in Loop: Header=BB155_7 Depth=1
	v_cmp_nlt_f64_e64 s[58:59], |v[15:16]|, s[24:25]
                                        ; implicit-def: $vgpr33
                                        ; implicit-def: $vgpr25_vgpr26
                                        ; implicit-def: $vgpr27_vgpr28
	s_and_saveexec_b64 s[60:61], s[58:59]
	s_xor_b64 s[60:61], exec, s[60:61]
	s_cbranch_execz .LBB155_19
; %bb.17:                               ;   in Loop: Header=BB155_7 Depth=1
	v_trig_preop_f64 v[25:26], |v[15:16]|, 0
	v_ldexp_f64 v[27:28], |v[15:16]|, s67
	v_cmp_ge_f64_e64 vcc, |v[15:16]|, s[26:27]
	v_trig_preop_f64 v[29:30], |v[15:16]|, 1
	v_and_b32_e32 v18, 0x7fffffff, v16
	v_trig_preop_f64 v[37:38], |v[15:16]|, 2
	s_mov_b32 s14, s30
	s_mov_b32 s37, s19
	v_cndmask_b32_e32 v28, v18, v28, vcc
	v_cndmask_b32_e32 v27, v15, v27, vcc
	v_mul_f64 v[31:32], v[25:26], v[27:28]
	v_mul_f64 v[33:34], v[29:30], v[27:28]
	;; [unrolled: 1-line block ×3, first 2 shown]
	v_fma_f64 v[25:26], v[25:26], v[27:28], -v[31:32]
	v_fma_f64 v[29:30], v[29:30], v[27:28], -v[33:34]
	;; [unrolled: 1-line block ×3, first 2 shown]
	v_add_f64 v[35:36], v[33:34], v[25:26]
	v_add_f64 v[39:40], v[35:36], -v[33:34]
	v_add_f64 v[53:54], v[31:32], v[35:36]
	v_add_f64 v[49:50], v[35:36], -v[39:40]
	v_add_f64 v[25:26], v[25:26], -v[39:40]
	v_add_f64 v[39:40], v[51:52], v[29:30]
	v_add_f64 v[31:32], v[53:54], -v[31:32]
	v_add_f64 v[33:34], v[33:34], -v[49:50]
	v_ldexp_f64 v[49:50], v[53:54], -2
	v_add_f64 v[55:56], v[39:40], -v[51:52]
	v_add_f64 v[31:32], v[35:36], -v[31:32]
	v_add_f64 v[25:26], v[25:26], v[33:34]
	v_fract_f64_e32 v[33:34], v[49:50]
	v_cmp_neq_f64_e64 vcc, |v[49:50]|, s[28:29]
	v_add_f64 v[29:30], v[29:30], -v[55:56]
	v_add_f64 v[35:36], v[39:40], v[25:26]
	v_ldexp_f64 v[33:34], v[33:34], 2
	v_add_f64 v[49:50], v[31:32], v[35:36]
	v_cndmask_b32_e32 v34, 0, v34, vcc
	v_cndmask_b32_e32 v33, 0, v33, vcc
	v_add_f64 v[57:58], v[35:36], -v[39:40]
	v_add_f64 v[53:54], v[49:50], v[33:34]
	v_add_f64 v[31:32], v[49:50], -v[31:32]
	v_add_f64 v[59:60], v[35:36], -v[57:58]
	;; [unrolled: 1-line block ×3, first 2 shown]
	v_cmp_gt_f64_e32 vcc, 0, v[53:54]
	v_add_f64 v[53:54], v[39:40], -v[55:56]
	v_add_f64 v[31:32], v[35:36], -v[31:32]
	;; [unrolled: 1-line block ×3, first 2 shown]
	v_cndmask_b32_e32 v18, 0, v43, vcc
	v_add_f64 v[33:34], v[33:34], v[17:18]
	v_add_f64 v[53:54], v[51:52], -v[53:54]
	v_add_f64 v[25:26], v[25:26], v[39:40]
	v_add_f64 v[61:62], v[49:50], v[33:34]
	;; [unrolled: 1-line block ×3, first 2 shown]
	v_cvt_i32_f64_e32 v57, v[61:62]
	v_add_f64 v[25:26], v[29:30], v[25:26]
	v_cvt_f64_i32_e32 v[55:56], v57
	v_add_f64 v[33:34], v[33:34], -v[55:56]
	v_add_f64 v[25:26], v[27:28], v[25:26]
	v_add_f64 v[29:30], v[49:50], v[33:34]
	;; [unrolled: 1-line block ×3, first 2 shown]
	v_add_f64 v[27:28], v[29:30], -v[33:34]
	v_cmp_le_f64_e32 vcc, 0.5, v[29:30]
	v_add_f64 v[27:28], v[49:50], -v[27:28]
	v_cndmask_b32_e32 v18, 0, v44, vcc
	v_add_f64 v[25:26], v[25:26], v[27:28]
	v_add_f64 v[27:28], v[29:30], -v[17:18]
	v_add_f64 v[29:30], v[27:28], v[25:26]
	v_mul_f64 v[31:32], v[29:30], s[14:15]
	v_add_f64 v[27:28], v[29:30], -v[27:28]
	v_fma_f64 v[33:34], v[29:30], s[14:15], -v[31:32]
	v_add_f64 v[25:26], v[25:26], -v[27:28]
	v_fma_f64 v[27:28], v[29:30], s[36:37], v[33:34]
	v_addc_co_u32_e32 v33, vcc, 0, v57, vcc
	v_fma_f64 v[27:28], v[25:26], s[14:15], v[27:28]
	v_add_f64 v[25:26], v[31:32], v[27:28]
	v_add_f64 v[29:30], v[25:26], -v[31:32]
	v_add_f64 v[27:28], v[27:28], -v[29:30]
	s_andn2_saveexec_b64 s[60:61], s[60:61]
	s_cbranch_execz .LBB155_21
	s_branch .LBB155_20
.LBB155_18:                             ;   in Loop: Header=BB155_7 Depth=1
	s_or_b64 exec, exec, s[0:1]
	s_andn2_saveexec_b64 s[0:1], s[52:53]
	s_cbranch_execnz .LBB155_27
	s_branch .LBB155_28
.LBB155_19:                             ;   in Loop: Header=BB155_7 Depth=1
	s_andn2_saveexec_b64 s[60:61], s[60:61]
	s_cbranch_execz .LBB155_21
.LBB155_20:                             ;   in Loop: Header=BB155_7 Depth=1
	v_mul_f64 v[25:26], |v[15:16]|, s[16:17]
	s_mov_b32 s18, s34
	v_rndne_f64_e32 v[29:30], v[25:26]
	v_fma_f64 v[25:26], v[29:30], s[30:31], |v[15:16]|
	v_mul_f64 v[27:28], v[29:30], s[34:35]
	v_fma_f64 v[35:36], v[29:30], s[34:35], v[25:26]
	v_add_f64 v[31:32], v[25:26], v[27:28]
	v_add_f64 v[33:34], v[25:26], -v[31:32]
	v_add_f64 v[31:32], v[31:32], -v[35:36]
	v_add_f64 v[25:26], v[33:34], v[27:28]
	v_fma_f64 v[27:28], v[29:30], s[18:19], v[27:28]
	v_cvt_i32_f64_e32 v33, v[29:30]
	v_add_f64 v[25:26], v[31:32], v[25:26]
	v_add_f64 v[25:26], v[25:26], -v[27:28]
	v_fma_f64 v[27:28], v[29:30], s[20:21], v[25:26]
	v_add_f64 v[25:26], v[35:36], v[27:28]
	v_add_f64 v[31:32], v[25:26], -v[35:36]
	v_add_f64 v[27:28], v[27:28], -v[31:32]
.LBB155_21:                             ;   in Loop: Header=BB155_7 Depth=1
	s_or_b64 exec, exec, s[60:61]
                                        ; implicit-def: $vgpr18
                                        ; implicit-def: $vgpr29_vgpr30
                                        ; implicit-def: $vgpr31_vgpr32
	s_and_saveexec_b64 s[60:61], s[58:59]
	s_xor_b64 s[58:59], exec, s[60:61]
	s_cbranch_execz .LBB155_23
; %bb.22:                               ;   in Loop: Header=BB155_7 Depth=1
	v_trig_preop_f64 v[29:30], |v[15:16]|, 0
	v_ldexp_f64 v[31:32], |v[15:16]|, s67
	v_cmp_ge_f64_e64 vcc, |v[15:16]|, s[26:27]
	v_trig_preop_f64 v[34:35], |v[15:16]|, 1
	v_and_b32_e32 v18, 0x7fffffff, v16
	v_trig_preop_f64 v[51:52], |v[15:16]|, 2
	s_mov_b32 s14, s30
	s_mov_b32 s37, s19
	v_cndmask_b32_e32 v32, v18, v32, vcc
	v_cndmask_b32_e32 v31, v15, v31, vcc
	v_mul_f64 v[36:37], v[29:30], v[31:32]
	v_mul_f64 v[38:39], v[34:35], v[31:32]
	;; [unrolled: 1-line block ×3, first 2 shown]
	v_fma_f64 v[29:30], v[29:30], v[31:32], -v[36:37]
	v_fma_f64 v[34:35], v[34:35], v[31:32], -v[38:39]
	v_fma_f64 v[31:32], v[51:52], v[31:32], -v[57:58]
	v_add_f64 v[49:50], v[38:39], v[29:30]
	v_add_f64 v[53:54], v[49:50], -v[38:39]
	v_add_f64 v[59:60], v[36:37], v[49:50]
	v_add_f64 v[55:56], v[49:50], -v[53:54]
	v_add_f64 v[29:30], v[29:30], -v[53:54]
	v_add_f64 v[53:54], v[57:58], v[34:35]
	v_add_f64 v[36:37], v[59:60], -v[36:37]
	v_add_f64 v[38:39], v[38:39], -v[55:56]
	v_ldexp_f64 v[55:56], v[59:60], -2
	v_add_f64 v[61:62], v[53:54], -v[57:58]
	v_add_f64 v[36:37], v[49:50], -v[36:37]
	v_add_f64 v[29:30], v[29:30], v[38:39]
	v_fract_f64_e32 v[38:39], v[55:56]
	v_cmp_neq_f64_e64 vcc, |v[55:56]|, s[28:29]
	v_add_f64 v[34:35], v[34:35], -v[61:62]
	v_add_f64 v[49:50], v[53:54], v[29:30]
	v_ldexp_f64 v[38:39], v[38:39], 2
	v_add_f64 v[55:56], v[36:37], v[49:50]
	v_cndmask_b32_e32 v39, 0, v39, vcc
	v_cndmask_b32_e32 v38, 0, v38, vcc
	v_add_f64 v[63:64], v[49:50], -v[53:54]
	v_add_f64 v[59:60], v[55:56], v[38:39]
	v_add_f64 v[36:37], v[55:56], -v[36:37]
	v_add_f64 v[65:66], v[49:50], -v[63:64]
	v_add_f64 v[29:30], v[29:30], -v[63:64]
	v_cmp_gt_f64_e32 vcc, 0, v[59:60]
	v_add_f64 v[59:60], v[53:54], -v[61:62]
	v_add_f64 v[36:37], v[49:50], -v[36:37]
	;; [unrolled: 1-line block ×3, first 2 shown]
	v_cndmask_b32_e32 v18, 0, v43, vcc
	v_add_f64 v[38:39], v[38:39], v[17:18]
	v_add_f64 v[59:60], v[57:58], -v[59:60]
	v_add_f64 v[29:30], v[29:30], v[53:54]
	v_add_f64 v[67:68], v[55:56], v[38:39]
	;; [unrolled: 1-line block ×3, first 2 shown]
	v_cvt_i32_f64_e32 v40, v[67:68]
	v_add_f64 v[29:30], v[34:35], v[29:30]
	v_cvt_f64_i32_e32 v[61:62], v40
	v_add_f64 v[38:39], v[38:39], -v[61:62]
	v_add_f64 v[29:30], v[31:32], v[29:30]
	v_add_f64 v[34:35], v[55:56], v[38:39]
	;; [unrolled: 1-line block ×3, first 2 shown]
	v_add_f64 v[31:32], v[34:35], -v[38:39]
	v_cmp_le_f64_e32 vcc, 0.5, v[34:35]
	v_add_f64 v[31:32], v[55:56], -v[31:32]
	v_cndmask_b32_e32 v18, 0, v44, vcc
	v_add_f64 v[29:30], v[29:30], v[31:32]
	v_add_f64 v[31:32], v[34:35], -v[17:18]
	v_addc_co_u32_e32 v18, vcc, 0, v40, vcc
	v_add_f64 v[34:35], v[31:32], v[29:30]
	v_mul_f64 v[36:37], v[34:35], s[14:15]
	v_add_f64 v[31:32], v[34:35], -v[31:32]
	v_fma_f64 v[38:39], v[34:35], s[14:15], -v[36:37]
	v_add_f64 v[29:30], v[29:30], -v[31:32]
	v_fma_f64 v[31:32], v[34:35], s[36:37], v[38:39]
	v_fma_f64 v[31:32], v[29:30], s[14:15], v[31:32]
	v_add_f64 v[29:30], v[36:37], v[31:32]
	v_add_f64 v[34:35], v[29:30], -v[36:37]
	v_add_f64 v[31:32], v[31:32], -v[34:35]
	s_andn2_saveexec_b64 s[58:59], s[58:59]
	s_cbranch_execnz .LBB155_24
	s_branch .LBB155_25
.LBB155_23:                             ;   in Loop: Header=BB155_7 Depth=1
	s_andn2_saveexec_b64 s[58:59], s[58:59]
	s_cbranch_execz .LBB155_25
.LBB155_24:                             ;   in Loop: Header=BB155_7 Depth=1
	v_mul_f64 v[29:30], |v[15:16]|, s[16:17]
	s_mov_b32 s18, s34
	v_rndne_f64_e32 v[34:35], v[29:30]
	v_fma_f64 v[29:30], v[34:35], s[30:31], |v[15:16]|
	v_mul_f64 v[31:32], v[34:35], s[34:35]
	v_cvt_i32_f64_e32 v18, v[34:35]
	v_fma_f64 v[49:50], v[34:35], s[34:35], v[29:30]
	v_add_f64 v[36:37], v[29:30], v[31:32]
	v_add_f64 v[38:39], v[29:30], -v[36:37]
	v_add_f64 v[36:37], v[36:37], -v[49:50]
	v_add_f64 v[29:30], v[38:39], v[31:32]
	v_fma_f64 v[31:32], v[34:35], s[18:19], v[31:32]
	v_add_f64 v[29:30], v[36:37], v[29:30]
	v_add_f64 v[29:30], v[29:30], -v[31:32]
	v_fma_f64 v[31:32], v[34:35], s[20:21], v[29:30]
	v_add_f64 v[29:30], v[49:50], v[31:32]
	v_add_f64 v[36:37], v[29:30], -v[49:50]
	v_add_f64 v[31:32], v[31:32], -v[36:37]
.LBB155_25:                             ;   in Loop: Header=BB155_7 Depth=1
	s_or_b64 exec, exec, s[58:59]
	v_mul_f64 v[34:35], |v[13:14]|, s[40:41]
	s_mov_b32 s58, 0x3b39803f
	s_mov_b32 s59, 0xbc7abc9e
	v_mul_f64 v[49:50], v[25:26], v[25:26]
	v_mov_b32_e32 v53, s86
	v_mov_b32_e32 v54, s87
	v_mul_f64 v[55:56], v[29:30], v[29:30]
	v_mov_b32_e32 v51, s76
	v_rndne_f64_e32 v[34:35], v[34:35]
	v_mov_b32_e32 v52, s77
	v_mul_f64 v[57:58], v[27:28], 0.5
	v_fma_f64 v[59:60], v[49:50], s[88:89], v[53:54]
	v_fma_f64 v[61:62], v[49:50], s[78:79], v[51:52]
	v_mul_f64 v[63:64], v[49:50], 0.5
	v_fma_f64 v[53:54], v[55:56], s[88:89], v[53:54]
	v_mul_f64 v[67:68], v[55:56], 0.5
	v_fma_f64 v[36:37], v[34:35], s[42:43], -|v[13:14]|
	v_fma_f64 v[51:52], v[55:56], s[78:79], v[51:52]
	s_mov_b32 s95, s45
	v_fma_f64 v[59:60], v[49:50], v[59:60], s[90:91]
	v_fma_f64 v[61:62], v[49:50], v[61:62], s[80:81]
	v_add_f64 v[69:70], -v[63:64], 1.0
	v_fma_f64 v[53:54], v[55:56], v[53:54], s[90:91]
	v_mul_f64 v[71:72], v[25:26], -v[49:50]
	v_fma_f64 v[36:37], v[34:35], s[58:59], v[36:37]
	s_mov_b32 s58, 0x6a5dcb37
	s_mov_b32 s59, 0x3e5ade15
	v_fma_f64 v[59:60], v[49:50], v[59:60], s[92:93]
	v_add_f64 v[73:74], -v[67:68], 1.0
	v_fma_f64 v[51:52], v[55:56], v[51:52], s[80:81]
	v_fma_f64 v[53:54], v[55:56], v[53:54], s[92:93]
	;; [unrolled: 1-line block ×4, first 2 shown]
	s_mov_b32 s58, 0x623fde64
	s_mov_b32 s59, 0x3ec71dee
	v_add_f64 v[75:76], -v[69:70], 1.0
	v_fma_f64 v[59:60], v[49:50], v[59:60], s[44:45]
	v_mul_f64 v[65:66], v[31:32], 0.5
	v_mul_f64 v[77:78], v[29:30], -v[55:56]
	v_fma_f64 v[53:54], v[55:56], v[53:54], s[44:45]
	v_fma_f64 v[38:39], v[36:37], v[38:39], s[58:59]
	s_mov_b32 s58, 0x7c89e6b0
	s_mov_b32 s59, 0x3efa0199
	;; [unrolled: 1-line block ×3, first 2 shown]
	v_add_f64 v[79:80], -v[73:74], 1.0
	v_fma_f64 v[51:52], v[55:56], v[51:52], s[82:83]
	v_fma_f64 v[61:62], v[49:50], v[61:62], s[84:85]
	v_add_f64 v[63:64], v[75:76], -v[63:64]
	v_fma_f64 v[38:39], v[36:37], v[38:39], s[58:59]
	s_mov_b32 s58, 0x14761f6e
	s_mov_b32 s59, 0x3f2a01a0
	v_fma_f64 v[57:58], v[71:72], v[59:60], v[57:58]
	v_fma_f64 v[53:54], v[77:78], v[53:54], v[65:66]
	v_mul_f64 v[59:60], v[49:50], v[49:50]
	v_add_f64 v[67:68], v[79:80], -v[67:68]
	v_fma_f64 v[51:52], v[55:56], v[51:52], s[84:85]
	v_fma_f64 v[38:39], v[36:37], v[38:39], s[58:59]
	s_mov_b32 s58, 0x1852b7b0
	s_mov_b32 s59, 0x3f56c16c
	v_fma_f64 v[61:62], v[49:50], v[61:62], s[56:57]
	v_fma_f64 v[63:64], v[25:26], -v[27:28], v[63:64]
	v_fma_f64 v[27:28], v[49:50], v[57:58], -v[27:28]
	s_mov_b32 s46, s56
	v_fma_f64 v[53:54], v[55:56], v[53:54], -v[31:32]
	v_fma_f64 v[38:39], v[36:37], v[38:39], s[58:59]
	s_mov_b32 s58, 0x55555511
	s_mov_b32 s59, 0x3fc55555
	v_mul_f64 v[49:50], v[55:56], v[55:56]
	v_fma_f64 v[51:52], v[55:56], v[51:52], s[56:57]
	v_fma_f64 v[31:32], v[29:30], -v[31:32], v[67:68]
	v_fma_f64 v[55:56], v[59:60], v[61:62], v[63:64]
	v_fma_f64 v[27:28], v[71:72], s[46:47], v[27:28]
	;; [unrolled: 1-line block ×3, first 2 shown]
	v_lshlrev_b32_e32 v15, 30, v33
	v_xor_b32_e32 v57, v15, v16
	v_fma_f64 v[15:16], v[77:78], s[46:47], v[53:54]
	v_and_b32_e32 v40, 1, v33
	v_fma_f64 v[31:32], v[49:50], v[51:52], v[31:32]
	v_add_f64 v[49:50], v[69:70], v[55:56]
	v_add_f64 v[25:26], v[25:26], -v[27:28]
	v_fma_f64 v[38:39], v[36:37], v[38:39], s[68:69]
	v_cmp_eq_u32_e32 vcc, 0, v40
	v_cvt_i32_f64_e32 v34, v[34:35]
	v_add_f64 v[15:16], v[29:30], -v[15:16]
	v_and_b32_e32 v33, 1, v18
	v_add_f64 v[29:30], v[73:74], v[31:32]
	v_lshlrev_b32_e32 v18, 30, v18
	v_cndmask_b32_e32 v26, v50, v26, vcc
	v_fma_f64 v[38:39], v[36:37], v[38:39], s[58:59]
	v_cndmask_b32_e32 v25, v49, v25, vcc
	v_cmp_eq_u32_e32 vcc, 0, v33
	v_xor_b32_e32 v16, 0x80000000, v16
	s_mov_b32 s58, 0
	v_and_b32_e32 v18, 0x80000000, v18
	v_cndmask_b32_e32 v16, v16, v30, vcc
	s_mov_b32 s59, 0x4090cc00
	v_fma_f64 v[38:39], v[36:37], v[38:39], s[72:73]
	v_cndmask_b32_e32 v15, v15, v29, vcc
	v_xor_b32_e32 v16, v16, v18
	v_cmp_ngt_f64_e64 vcc, |v[13:14]|, s[58:59]
	v_bfi_b32 v18, s48, v44, v14
	v_mov_b32_e32 v13, v17
	v_mov_b32_e32 v14, v18
	v_fma_f64 v[27:28], v[36:37], v[38:39], 1.0
	v_and_b32_e32 v38, 0x80000000, v57
	v_xor_b32_e32 v26, v26, v38
	v_mul_f64 v[25:26], v[25:26], 4.0
	v_fma_f64 v[27:28], v[36:37], v[27:28], 1.0
	v_mul_f64 v[15:16], v[25:26], v[15:16]
	v_ldexp_f64 v[27:28], v[27:28], v34
	v_cndmask_b32_e32 v26, 0, v28, vcc
	v_cndmask_b32_e32 v25, 0, v27, vcc
	v_mul_f64 v[15:16], v[25:26], v[15:16]
	v_mul_f64 v[15:16], v[25:26], v[15:16]
	s_or_b64 exec, exec, s[0:1]
.LBB155_26:                             ;   in Loop: Header=BB155_7 Depth=1
	s_andn2_saveexec_b64 s[0:1], s[52:53]
	s_cbranch_execz .LBB155_28
.LBB155_27:                             ;   in Loop: Header=BB155_7 Depth=1
	v_add_f64 v[15:16], v[15:16], -v[15:16]
	v_mov_b32_e32 v13, v15
	v_mov_b32_e32 v14, v16
.LBB155_28:                             ;   in Loop: Header=BB155_7 Depth=1
	s_or_b64 exec, exec, s[0:1]
.LBB155_29:                             ;   in Loop: Header=BB155_7 Depth=1
	s_andn2_saveexec_b64 s[52:53], s[74:75]
	s_cbranch_execz .LBB155_45
; %bb.30:                               ;   in Loop: Header=BB155_7 Depth=1
	v_and_or_b32 v18, v14, s70, v13
	v_cmp_ne_u32_e32 vcc, 0, v18
	s_and_saveexec_b64 s[0:1], vcc
	s_xor_b64 s[0:1], exec, s[0:1]
	s_cbranch_execz .LBB155_32
; %bb.31:                               ;   in Loop: Header=BB155_7 Depth=1
	v_mul_f64 v[25:26], v[13:14], v[15:16]
	v_cmp_eq_f64_e32 vcc, 0, v[15:16]
	v_cndmask_b32_e32 v16, v26, v16, vcc
	v_cndmask_b32_e32 v15, v25, v15, vcc
.LBB155_32:                             ;   in Loop: Header=BB155_7 Depth=1
	s_andn2_saveexec_b64 s[58:59], s[0:1]
	s_cbranch_execz .LBB155_44
; %bb.33:                               ;   in Loop: Header=BB155_7 Depth=1
	v_cmp_neq_f64_e64 s[0:1], |v[15:16]|, s[28:29]
	s_and_saveexec_b64 s[74:75], s[0:1]
	s_cbranch_execz .LBB155_43
; %bb.34:                               ;   in Loop: Header=BB155_7 Depth=1
	v_trig_preop_f64 v[35:36], |v[15:16]|, 0
	v_trig_preop_f64 v[33:34], |v[15:16]|, 1
	;; [unrolled: 1-line block ×3, first 2 shown]
	v_cmp_nlt_f64_e64 s[0:1], |v[15:16]|, s[24:25]
	v_ldexp_f64 v[37:38], |v[15:16]|, s67
	v_and_b32_e32 v50, 0x7fffffff, v16
                                        ; implicit-def: $vgpr49
                                        ; implicit-def: $vgpr25_vgpr26
                                        ; implicit-def: $vgpr27_vgpr28
	s_and_saveexec_b64 s[60:61], s[0:1]
	s_xor_b64 s[60:61], exec, s[60:61]
	s_cbranch_execz .LBB155_36
; %bb.35:                               ;   in Loop: Header=BB155_7 Depth=1
	v_cmp_ge_f64_e64 vcc, |v[15:16]|, s[26:27]
	s_mov_b32 s14, s30
	s_mov_b32 s37, s19
	v_cndmask_b32_e32 v26, v50, v38, vcc
	v_cndmask_b32_e32 v25, v15, v37, vcc
	v_mul_f64 v[27:28], v[35:36], v[25:26]
	v_mul_f64 v[31:32], v[33:34], v[25:26]
	v_mul_f64 v[57:58], v[29:30], v[25:26]
	v_fma_f64 v[39:40], v[35:36], v[25:26], -v[27:28]
	v_fma_f64 v[59:60], v[33:34], v[25:26], -v[31:32]
	;; [unrolled: 1-line block ×3, first 2 shown]
	v_add_f64 v[51:52], v[31:32], v[39:40]
	v_add_f64 v[53:54], v[51:52], -v[31:32]
	v_add_f64 v[61:62], v[27:28], v[51:52]
	v_add_f64 v[55:56], v[51:52], -v[53:54]
	v_add_f64 v[39:40], v[39:40], -v[53:54]
	v_add_f64 v[53:54], v[57:58], v[59:60]
	v_add_f64 v[27:28], v[61:62], -v[27:28]
	v_add_f64 v[31:32], v[31:32], -v[55:56]
	v_ldexp_f64 v[55:56], v[61:62], -2
	v_add_f64 v[63:64], v[53:54], -v[57:58]
	v_add_f64 v[27:28], v[51:52], -v[27:28]
	v_add_f64 v[31:32], v[39:40], v[31:32]
	v_fract_f64_e32 v[39:40], v[55:56]
	v_cmp_neq_f64_e64 vcc, |v[55:56]|, s[28:29]
	v_add_f64 v[59:60], v[59:60], -v[63:64]
	v_add_f64 v[51:52], v[53:54], v[31:32]
	v_ldexp_f64 v[39:40], v[39:40], 2
	v_add_f64 v[55:56], v[27:28], v[51:52]
	v_cndmask_b32_e32 v40, 0, v40, vcc
	v_cndmask_b32_e32 v39, 0, v39, vcc
	v_add_f64 v[65:66], v[51:52], -v[53:54]
	v_add_f64 v[61:62], v[55:56], v[39:40]
	v_add_f64 v[27:28], v[55:56], -v[27:28]
	v_add_f64 v[67:68], v[51:52], -v[65:66]
	;; [unrolled: 1-line block ×3, first 2 shown]
	v_cmp_gt_f64_e32 vcc, 0, v[61:62]
	v_add_f64 v[61:62], v[53:54], -v[63:64]
	v_add_f64 v[27:28], v[51:52], -v[27:28]
	;; [unrolled: 1-line block ×3, first 2 shown]
	v_cndmask_b32_e32 v18, 0, v43, vcc
	v_add_f64 v[39:40], v[39:40], v[17:18]
	v_add_f64 v[61:62], v[57:58], -v[61:62]
	v_add_f64 v[31:32], v[31:32], v[53:54]
	v_add_f64 v[69:70], v[55:56], v[39:40]
	;; [unrolled: 1-line block ×3, first 2 shown]
	v_cvt_i32_f64_e32 v49, v[69:70]
	v_add_f64 v[31:32], v[59:60], v[31:32]
	v_cvt_f64_i32_e32 v[63:64], v49
	v_add_f64 v[39:40], v[39:40], -v[63:64]
	v_add_f64 v[25:26], v[25:26], v[31:32]
	v_add_f64 v[53:54], v[55:56], v[39:40]
	;; [unrolled: 1-line block ×3, first 2 shown]
	v_add_f64 v[31:32], v[53:54], -v[39:40]
	v_cmp_le_f64_e32 vcc, 0.5, v[53:54]
	v_add_f64 v[27:28], v[55:56], -v[31:32]
	v_cndmask_b32_e32 v18, 0, v44, vcc
	v_addc_co_u32_e32 v49, vcc, 0, v49, vcc
	v_add_f64 v[25:26], v[25:26], v[27:28]
	v_add_f64 v[27:28], v[53:54], -v[17:18]
	v_add_f64 v[31:32], v[27:28], v[25:26]
	v_mul_f64 v[39:40], v[31:32], s[14:15]
	v_add_f64 v[27:28], v[31:32], -v[27:28]
	v_fma_f64 v[51:52], v[31:32], s[14:15], -v[39:40]
	v_add_f64 v[25:26], v[25:26], -v[27:28]
	v_fma_f64 v[27:28], v[31:32], s[36:37], v[51:52]
	v_fma_f64 v[27:28], v[25:26], s[14:15], v[27:28]
	v_add_f64 v[25:26], v[39:40], v[27:28]
	v_add_f64 v[31:32], v[25:26], -v[39:40]
	v_add_f64 v[27:28], v[27:28], -v[31:32]
	s_andn2_saveexec_b64 s[60:61], s[60:61]
	s_cbranch_execz .LBB155_38
	s_branch .LBB155_37
.LBB155_36:                             ;   in Loop: Header=BB155_7 Depth=1
	s_andn2_saveexec_b64 s[60:61], s[60:61]
	s_cbranch_execz .LBB155_38
.LBB155_37:                             ;   in Loop: Header=BB155_7 Depth=1
	v_mul_f64 v[25:26], |v[15:16]|, s[16:17]
	s_mov_b32 s18, s34
	v_rndne_f64_e32 v[31:32], v[25:26]
	v_fma_f64 v[25:26], v[31:32], s[30:31], |v[15:16]|
	v_mul_f64 v[27:28], v[31:32], s[34:35]
	v_cvt_i32_f64_e32 v49, v[31:32]
	v_fma_f64 v[53:54], v[31:32], s[34:35], v[25:26]
	v_add_f64 v[39:40], v[25:26], v[27:28]
	v_add_f64 v[51:52], v[25:26], -v[39:40]
	v_add_f64 v[39:40], v[39:40], -v[53:54]
	v_add_f64 v[25:26], v[51:52], v[27:28]
	v_fma_f64 v[27:28], v[31:32], s[18:19], v[27:28]
	v_add_f64 v[25:26], v[39:40], v[25:26]
	v_add_f64 v[25:26], v[25:26], -v[27:28]
	v_fma_f64 v[27:28], v[31:32], s[20:21], v[25:26]
	v_add_f64 v[25:26], v[53:54], v[27:28]
	v_add_f64 v[39:40], v[25:26], -v[53:54]
	v_add_f64 v[27:28], v[27:28], -v[39:40]
.LBB155_38:                             ;   in Loop: Header=BB155_7 Depth=1
	s_or_b64 exec, exec, s[60:61]
                                        ; implicit-def: $vgpr18
                                        ; implicit-def: $vgpr31_vgpr32
                                        ; implicit-def: $vgpr39_vgpr40
	s_and_saveexec_b64 s[60:61], s[0:1]
	s_xor_b64 s[0:1], exec, s[60:61]
	s_cbranch_execz .LBB155_40
; %bb.39:                               ;   in Loop: Header=BB155_7 Depth=1
	v_cmp_ge_f64_e64 vcc, |v[15:16]|, s[26:27]
	s_mov_b32 s14, s30
	s_mov_b32 s37, s19
	v_cndmask_b32_e32 v32, v50, v38, vcc
	v_cndmask_b32_e32 v31, v15, v37, vcc
	v_mul_f64 v[37:38], v[35:36], v[31:32]
	v_mul_f64 v[39:40], v[33:34], v[31:32]
	;; [unrolled: 1-line block ×3, first 2 shown]
	v_fma_f64 v[35:36], v[35:36], v[31:32], -v[37:38]
	v_fma_f64 v[33:34], v[33:34], v[31:32], -v[39:40]
	;; [unrolled: 1-line block ×3, first 2 shown]
	v_add_f64 v[50:51], v[39:40], v[35:36]
	v_add_f64 v[52:53], v[50:51], -v[39:40]
	v_add_f64 v[58:59], v[37:38], v[50:51]
	v_add_f64 v[54:55], v[50:51], -v[52:53]
	v_add_f64 v[35:36], v[35:36], -v[52:53]
	v_add_f64 v[52:53], v[56:57], v[33:34]
	v_add_f64 v[37:38], v[58:59], -v[37:38]
	v_add_f64 v[39:40], v[39:40], -v[54:55]
	v_ldexp_f64 v[54:55], v[58:59], -2
	v_add_f64 v[60:61], v[52:53], -v[56:57]
	v_add_f64 v[37:38], v[50:51], -v[37:38]
	v_add_f64 v[35:36], v[35:36], v[39:40]
	v_fract_f64_e32 v[39:40], v[54:55]
	v_cmp_neq_f64_e64 vcc, |v[54:55]|, s[28:29]
	v_add_f64 v[33:34], v[33:34], -v[60:61]
	v_add_f64 v[50:51], v[52:53], v[35:36]
	v_ldexp_f64 v[39:40], v[39:40], 2
	v_add_f64 v[54:55], v[37:38], v[50:51]
	v_cndmask_b32_e32 v40, 0, v40, vcc
	v_cndmask_b32_e32 v39, 0, v39, vcc
	v_add_f64 v[62:63], v[50:51], -v[52:53]
	v_add_f64 v[58:59], v[54:55], v[39:40]
	v_add_f64 v[31:32], v[54:55], -v[37:38]
	v_add_f64 v[64:65], v[50:51], -v[62:63]
	;; [unrolled: 1-line block ×3, first 2 shown]
	v_cmp_gt_f64_e32 vcc, 0, v[58:59]
	v_add_f64 v[58:59], v[52:53], -v[60:61]
	v_add_f64 v[31:32], v[50:51], -v[31:32]
	;; [unrolled: 1-line block ×3, first 2 shown]
	v_cndmask_b32_e32 v18, 0, v43, vcc
	v_add_f64 v[39:40], v[39:40], v[17:18]
	v_add_f64 v[58:59], v[56:57], -v[58:59]
	v_add_f64 v[35:36], v[35:36], v[52:53]
	v_add_f64 v[66:67], v[54:55], v[39:40]
	v_add_f64 v[33:34], v[33:34], v[58:59]
	v_cvt_i32_f64_e32 v62, v[66:67]
	v_add_f64 v[33:34], v[33:34], v[35:36]
	v_cvt_f64_i32_e32 v[60:61], v62
	v_add_f64 v[39:40], v[39:40], -v[60:61]
	v_add_f64 v[29:30], v[29:30], v[33:34]
	v_add_f64 v[35:36], v[54:55], v[39:40]
	;; [unrolled: 1-line block ×3, first 2 shown]
	v_add_f64 v[33:34], v[35:36], -v[39:40]
	v_cmp_le_f64_e32 vcc, 0.5, v[35:36]
	v_add_f64 v[31:32], v[54:55], -v[33:34]
	v_cndmask_b32_e32 v18, 0, v44, vcc
	v_add_f64 v[29:30], v[29:30], v[31:32]
	v_add_f64 v[31:32], v[35:36], -v[17:18]
	v_addc_co_u32_e32 v18, vcc, 0, v62, vcc
	v_add_f64 v[33:34], v[31:32], v[29:30]
	v_mul_f64 v[35:36], v[33:34], s[14:15]
	v_add_f64 v[31:32], v[33:34], -v[31:32]
	v_fma_f64 v[37:38], v[33:34], s[14:15], -v[35:36]
	v_add_f64 v[29:30], v[29:30], -v[31:32]
	v_fma_f64 v[31:32], v[33:34], s[36:37], v[37:38]
	v_fma_f64 v[29:30], v[29:30], s[14:15], v[31:32]
	v_add_f64 v[31:32], v[35:36], v[29:30]
	v_add_f64 v[33:34], v[31:32], -v[35:36]
	v_add_f64 v[39:40], v[29:30], -v[33:34]
	s_andn2_saveexec_b64 s[0:1], s[0:1]
	s_cbranch_execnz .LBB155_41
	s_branch .LBB155_42
.LBB155_40:                             ;   in Loop: Header=BB155_7 Depth=1
	s_andn2_saveexec_b64 s[0:1], s[0:1]
	s_cbranch_execz .LBB155_42
.LBB155_41:                             ;   in Loop: Header=BB155_7 Depth=1
	v_mul_f64 v[29:30], |v[15:16]|, s[16:17]
	s_mov_b32 s18, s34
	v_rndne_f64_e32 v[29:30], v[29:30]
	v_fma_f64 v[31:32], v[29:30], s[30:31], |v[15:16]|
	v_mul_f64 v[33:34], v[29:30], s[34:35]
	v_cvt_i32_f64_e32 v18, v[29:30]
	v_fma_f64 v[39:40], v[29:30], s[34:35], v[31:32]
	v_add_f64 v[35:36], v[31:32], v[33:34]
	v_add_f64 v[37:38], v[31:32], -v[35:36]
	v_add_f64 v[35:36], v[35:36], -v[39:40]
	v_add_f64 v[31:32], v[37:38], v[33:34]
	v_fma_f64 v[33:34], v[29:30], s[18:19], v[33:34]
	v_add_f64 v[31:32], v[35:36], v[31:32]
	v_add_f64 v[31:32], v[31:32], -v[33:34]
	v_fma_f64 v[33:34], v[29:30], s[20:21], v[31:32]
	v_add_f64 v[31:32], v[39:40], v[33:34]
	v_add_f64 v[35:36], v[31:32], -v[39:40]
	v_add_f64 v[39:40], v[33:34], -v[35:36]
.LBB155_42:                             ;   in Loop: Header=BB155_7 Depth=1
	s_or_b64 exec, exec, s[0:1]
	v_mul_f64 v[29:30], v[25:26], v[25:26]
	v_mul_f64 v[33:34], v[31:32], v[31:32]
	v_mov_b32_e32 v35, s86
	v_mov_b32_e32 v36, s87
	;; [unrolled: 1-line block ×4, first 2 shown]
	v_mul_f64 v[60:61], v[27:28], 0.5
	v_mul_f64 v[68:69], v[39:40], 0.5
	v_fma_f64 v[37:38], v[29:30], s[88:89], v[35:36]
	v_fma_f64 v[35:36], v[33:34], s[88:89], v[35:36]
	;; [unrolled: 1-line block ×3, first 2 shown]
	v_mul_f64 v[54:55], v[29:30], 0.5
	v_fma_f64 v[50:51], v[33:34], s[78:79], v[50:51]
	v_mul_f64 v[56:57], v[33:34], 0.5
	v_mul_f64 v[62:63], v[25:26], -v[29:30]
	v_mul_f64 v[70:71], v[31:32], -v[33:34]
	v_fma_f64 v[37:38], v[29:30], v[37:38], s[90:91]
	v_fma_f64 v[35:36], v[33:34], v[35:36], s[90:91]
	v_fma_f64 v[52:53], v[29:30], v[52:53], s[80:81]
	v_add_f64 v[58:59], -v[54:55], 1.0
	v_fma_f64 v[50:51], v[33:34], v[50:51], s[80:81]
	v_add_f64 v[64:65], -v[56:57], 1.0
	s_mov_b32 s46, s56
	v_cmp_class_f64_e64 s[0:1], v[15:16], s55
	v_fma_f64 v[37:38], v[29:30], v[37:38], s[92:93]
	v_fma_f64 v[35:36], v[33:34], v[35:36], s[92:93]
	;; [unrolled: 1-line block ×3, first 2 shown]
	v_add_f64 v[66:67], -v[58:59], 1.0
	v_fma_f64 v[50:51], v[33:34], v[50:51], s[82:83]
	v_add_f64 v[72:73], -v[64:65], 1.0
	v_fma_f64 v[37:38], v[29:30], v[37:38], s[44:45]
	v_fma_f64 v[35:36], v[33:34], v[35:36], s[44:45]
	v_fma_f64 v[52:53], v[29:30], v[52:53], s[84:85]
	v_add_f64 v[54:55], v[66:67], -v[54:55]
	v_fma_f64 v[50:51], v[33:34], v[50:51], s[84:85]
	v_add_f64 v[56:57], v[72:73], -v[56:57]
	v_fma_f64 v[37:38], v[62:63], v[37:38], v[60:61]
	v_fma_f64 v[35:36], v[70:71], v[35:36], v[68:69]
	v_mul_f64 v[60:61], v[29:30], v[29:30]
	v_fma_f64 v[52:53], v[29:30], v[52:53], s[56:57]
	v_fma_f64 v[54:55], v[25:26], -v[27:28], v[54:55]
	v_fma_f64 v[27:28], v[29:30], v[37:38], -v[27:28]
	v_fma_f64 v[35:36], v[33:34], v[35:36], -v[39:40]
	v_mul_f64 v[29:30], v[33:34], v[33:34]
	v_fma_f64 v[33:34], v[33:34], v[50:51], s[56:57]
	v_fma_f64 v[37:38], v[31:32], -v[39:40], v[56:57]
	v_fma_f64 v[39:40], v[60:61], v[52:53], v[54:55]
	v_and_b32_e32 v50, 1, v49
	v_lshlrev_b32_e32 v49, 30, v49
	v_fma_f64 v[27:28], v[62:63], s[46:47], v[27:28]
	v_fma_f64 v[35:36], v[70:71], s[46:47], v[35:36]
	v_cmp_eq_u32_e32 vcc, 0, v50
	v_fma_f64 v[29:30], v[29:30], v[33:34], v[37:38]
	v_add_f64 v[33:34], v[58:59], v[39:40]
	v_and_b32_e32 v37, 1, v18
	v_lshlrev_b32_e32 v18, 30, v18
	v_add_f64 v[25:26], v[25:26], -v[27:28]
	v_add_f64 v[27:28], v[31:32], -v[35:36]
	v_xor_b32_e32 v38, v49, v16
	v_and_b32_e32 v18, 0x80000000, v18
	v_add_f64 v[29:30], v[64:65], v[29:30]
	v_and_b32_e32 v31, 0x80000000, v38
	v_cndmask_b32_e32 v25, v33, v25, vcc
	v_cndmask_b32_e32 v15, v34, v26, vcc
	v_xor_b32_e32 v16, 0x80000000, v28
	v_cmp_eq_u32_e32 vcc, 0, v37
	v_cndmask_b32_e32 v16, v16, v30, vcc
	v_cndmask_b32_e32 v26, v27, v29, vcc
	v_xor_b32_e32 v27, v15, v31
	v_xor_b32_e32 v18, v16, v18
	v_cndmask_b32_e64 v15, 0, v25, s[0:1]
	v_cndmask_b32_e64 v16, v48, v27, s[0:1]
	;; [unrolled: 1-line block ×4, first 2 shown]
	v_mul_f64 v[15:16], v[15:16], v[25:26]
.LBB155_43:                             ;   in Loop: Header=BB155_7 Depth=1
	s_or_b64 exec, exec, s[74:75]
	v_bfi_b32 v18, s48, 0, v16
	v_mov_b32_e32 v15, v17
	v_add_u32_e32 v14, -2.0, v14
	v_mov_b32_e32 v16, v18
.LBB155_44:                             ;   in Loop: Header=BB155_7 Depth=1
	s_or_b64 exec, exec, s[58:59]
.LBB155_45:                             ;   in Loop: Header=BB155_7 Depth=1
	s_or_b64 exec, exec, s[52:53]
	v_and_b32_e32 v18, 0x7fffffff, v10
	v_cmp_gt_u32_e32 vcc, s54, v18
	s_and_saveexec_b64 s[0:1], vcc
	s_xor_b64 s[74:75], exec, s[0:1]
	s_cbranch_execz .LBB155_67
; %bb.46:                               ;   in Loop: Header=BB155_7 Depth=1
	v_cmp_class_f64_e64 s[0:1], v[11:12], s55
	s_and_saveexec_b64 s[52:53], s[0:1]
	s_xor_b64 s[52:53], exec, s[52:53]
	s_cbranch_execz .LBB155_64
; %bb.47:                               ;   in Loop: Header=BB155_7 Depth=1
	v_cmp_gt_u32_e32 vcc, s66, v18
	s_and_saveexec_b64 s[0:1], vcc
	s_xor_b64 s[58:59], exec, s[0:1]
	s_cbranch_execz .LBB155_53
; %bb.48:                               ;   in Loop: Header=BB155_7 Depth=1
	v_cmp_nlt_f64_e64 s[0:1], |v[11:12]|, s[24:25]
                                        ; implicit-def: $vgpr18
                                        ; implicit-def: $vgpr25_vgpr26
                                        ; implicit-def: $vgpr27_vgpr28
	s_and_saveexec_b64 s[60:61], s[0:1]
	s_xor_b64 s[0:1], exec, s[60:61]
	s_cbranch_execz .LBB155_50
; %bb.49:                               ;   in Loop: Header=BB155_7 Depth=1
	v_trig_preop_f64 v[25:26], |v[11:12]|, 0
	v_ldexp_f64 v[27:28], |v[11:12]|, s67
	v_cmp_ge_f64_e64 vcc, |v[11:12]|, s[26:27]
	v_trig_preop_f64 v[29:30], |v[11:12]|, 1
	v_and_b32_e32 v18, 0x7fffffff, v12
	v_trig_preop_f64 v[37:38], |v[11:12]|, 2
	s_mov_b32 s14, s30
	s_mov_b32 s37, s19
	v_cndmask_b32_e32 v28, v18, v28, vcc
	v_cndmask_b32_e32 v27, v11, v27, vcc
	v_mul_f64 v[31:32], v[25:26], v[27:28]
	v_mul_f64 v[33:34], v[29:30], v[27:28]
	;; [unrolled: 1-line block ×3, first 2 shown]
	v_fma_f64 v[25:26], v[25:26], v[27:28], -v[31:32]
	v_fma_f64 v[29:30], v[29:30], v[27:28], -v[33:34]
	;; [unrolled: 1-line block ×3, first 2 shown]
	v_add_f64 v[35:36], v[33:34], v[25:26]
	v_add_f64 v[39:40], v[35:36], -v[33:34]
	v_add_f64 v[53:54], v[31:32], v[35:36]
	v_add_f64 v[49:50], v[35:36], -v[39:40]
	v_add_f64 v[25:26], v[25:26], -v[39:40]
	v_add_f64 v[39:40], v[51:52], v[29:30]
	v_add_f64 v[31:32], v[53:54], -v[31:32]
	v_add_f64 v[33:34], v[33:34], -v[49:50]
	v_ldexp_f64 v[49:50], v[53:54], -2
	v_add_f64 v[55:56], v[39:40], -v[51:52]
	v_add_f64 v[31:32], v[35:36], -v[31:32]
	v_add_f64 v[25:26], v[25:26], v[33:34]
	v_fract_f64_e32 v[33:34], v[49:50]
	v_cmp_neq_f64_e64 vcc, |v[49:50]|, s[28:29]
	v_add_f64 v[29:30], v[29:30], -v[55:56]
	v_add_f64 v[35:36], v[39:40], v[25:26]
	v_ldexp_f64 v[33:34], v[33:34], 2
	v_add_f64 v[49:50], v[31:32], v[35:36]
	v_cndmask_b32_e32 v34, 0, v34, vcc
	v_cndmask_b32_e32 v33, 0, v33, vcc
	v_add_f64 v[57:58], v[35:36], -v[39:40]
	v_add_f64 v[53:54], v[49:50], v[33:34]
	v_add_f64 v[31:32], v[49:50], -v[31:32]
	v_add_f64 v[59:60], v[35:36], -v[57:58]
	;; [unrolled: 1-line block ×3, first 2 shown]
	v_cmp_gt_f64_e32 vcc, 0, v[53:54]
	v_add_f64 v[53:54], v[39:40], -v[55:56]
	v_add_f64 v[31:32], v[35:36], -v[31:32]
	;; [unrolled: 1-line block ×3, first 2 shown]
	v_cndmask_b32_e32 v18, 0, v43, vcc
	v_add_f64 v[33:34], v[33:34], v[17:18]
	v_add_f64 v[53:54], v[51:52], -v[53:54]
	v_add_f64 v[25:26], v[25:26], v[39:40]
	v_add_f64 v[61:62], v[49:50], v[33:34]
	;; [unrolled: 1-line block ×3, first 2 shown]
	v_cvt_i32_f64_e32 v57, v[61:62]
	v_add_f64 v[25:26], v[29:30], v[25:26]
	v_cvt_f64_i32_e32 v[55:56], v57
	v_add_f64 v[33:34], v[33:34], -v[55:56]
	v_add_f64 v[25:26], v[27:28], v[25:26]
	v_add_f64 v[29:30], v[49:50], v[33:34]
	;; [unrolled: 1-line block ×3, first 2 shown]
	v_add_f64 v[27:28], v[29:30], -v[33:34]
	v_cmp_le_f64_e32 vcc, 0.5, v[29:30]
	v_add_f64 v[27:28], v[49:50], -v[27:28]
	v_cndmask_b32_e32 v18, 0, v44, vcc
	v_add_f64 v[25:26], v[25:26], v[27:28]
	v_add_f64 v[27:28], v[29:30], -v[17:18]
	v_addc_co_u32_e32 v18, vcc, 0, v57, vcc
	v_add_f64 v[29:30], v[27:28], v[25:26]
	v_mul_f64 v[31:32], v[29:30], s[14:15]
	v_add_f64 v[27:28], v[29:30], -v[27:28]
	v_fma_f64 v[33:34], v[29:30], s[14:15], -v[31:32]
	v_add_f64 v[25:26], v[25:26], -v[27:28]
	v_fma_f64 v[27:28], v[29:30], s[36:37], v[33:34]
	v_fma_f64 v[27:28], v[25:26], s[14:15], v[27:28]
	v_add_f64 v[25:26], v[31:32], v[27:28]
	v_add_f64 v[29:30], v[25:26], -v[31:32]
	v_add_f64 v[27:28], v[27:28], -v[29:30]
.LBB155_50:                             ;   in Loop: Header=BB155_7 Depth=1
	s_andn2_saveexec_b64 s[0:1], s[0:1]
	s_cbranch_execz .LBB155_52
; %bb.51:                               ;   in Loop: Header=BB155_7 Depth=1
	v_mul_f64 v[25:26], |v[11:12]|, s[16:17]
	s_mov_b32 s18, s34
	v_rndne_f64_e32 v[29:30], v[25:26]
	v_fma_f64 v[25:26], v[29:30], s[30:31], |v[11:12]|
	v_mul_f64 v[27:28], v[29:30], s[34:35]
	v_cvt_i32_f64_e32 v18, v[29:30]
	v_fma_f64 v[35:36], v[29:30], s[34:35], v[25:26]
	v_add_f64 v[31:32], v[25:26], v[27:28]
	v_add_f64 v[33:34], v[25:26], -v[31:32]
	v_add_f64 v[31:32], v[31:32], -v[35:36]
	v_add_f64 v[25:26], v[33:34], v[27:28]
	v_fma_f64 v[27:28], v[29:30], s[18:19], v[27:28]
	v_add_f64 v[25:26], v[31:32], v[25:26]
	v_add_f64 v[25:26], v[25:26], -v[27:28]
	v_fma_f64 v[27:28], v[29:30], s[20:21], v[25:26]
	v_add_f64 v[25:26], v[35:36], v[27:28]
	v_add_f64 v[31:32], v[25:26], -v[35:36]
	v_add_f64 v[27:28], v[27:28], -v[31:32]
.LBB155_52:                             ;   in Loop: Header=BB155_7 Depth=1
	s_or_b64 exec, exec, s[0:1]
	v_add_f64 v[29:30], |v[9:10]|, s[42:43]
	s_mov_b32 s50, s42
	s_mov_b32 s0, 0x3b39803f
	;; [unrolled: 1-line block ×7, first 2 shown]
	v_add_f64 v[31:32], v[29:30], -|v[9:10]|
	v_and_b32_e32 v18, 1, v18
	v_add_f64 v[33:34], v[31:32], -v[29:30]
	v_add_f64 v[31:32], v[31:32], s[50:51]
	v_add_f64 v[33:34], |v[9:10]|, v[33:34]
	v_add_f64 v[31:32], v[33:34], -v[31:32]
	v_add_f64 v[31:32], v[31:32], s[0:1]
	s_mov_b32 s0, 0xf278e000
	s_mov_b32 s1, 0xbd53de6a
	v_add_f64 v[33:34], v[29:30], v[31:32]
	v_mul_f64 v[35:36], v[33:34], s[8:9]
	v_add_f64 v[29:30], v[29:30], -v[33:34]
	v_rndne_f64_e32 v[35:36], v[35:36]
	v_add_f64 v[29:30], v[31:32], v[29:30]
	v_fma_f64 v[31:32], v[35:36], s[38:39], v[33:34]
	v_mul_f64 v[33:34], v[35:36], s[0:1]
	s_mov_b32 s0, 0xf97b57a0
	s_mov_b32 s1, 0xbac9cc01
	v_cvt_i32_f64_e32 v11, v[35:36]
	v_add_f64 v[37:38], v[29:30], v[31:32]
	v_add_f64 v[39:40], v[37:38], v[33:34]
	v_add_f64 v[31:32], v[31:32], -v[37:38]
	v_add_f64 v[37:38], v[37:38], -v[39:40]
	v_add_f64 v[29:30], v[29:30], v[31:32]
	v_add_f64 v[31:32], v[37:38], v[33:34]
	;; [unrolled: 1-line block ×3, first 2 shown]
	v_mul_f64 v[31:32], v[35:36], s[0:1]
	s_mov_b32 s0, 0x6a5dcb37
	s_mov_b32 s1, 0x3e5ade15
	v_add_f64 v[33:34], v[39:40], v[29:30]
	v_add_f64 v[37:38], v[33:34], v[31:32]
	v_add_f64 v[39:40], v[39:40], -v[33:34]
	v_add_f64 v[33:34], v[33:34], -v[37:38]
	v_add_f64 v[29:30], v[29:30], v[39:40]
	v_add_f64 v[31:32], v[33:34], v[31:32]
	;; [unrolled: 1-line block ×4, first 2 shown]
	v_fma_f64 v[33:34], v[31:32], s[0:1], v[21:22]
	s_mov_b32 s0, 0x623fde64
	s_mov_b32 s1, 0x3ec71dee
	v_add_f64 v[37:38], v[37:38], -v[31:32]
	v_mul_f64 v[39:40], v[31:32], v[31:32]
	v_fma_f64 v[33:34], v[31:32], v[33:34], s[0:1]
	s_mov_b32 s0, 0x7c89e6b0
	s_mov_b32 s1, 0x3efa0199
	v_add_f64 v[29:30], v[29:30], v[37:38]
	v_fma_f64 v[37:38], v[31:32], v[31:32], -v[39:40]
	v_fma_f64 v[33:34], v[31:32], v[33:34], s[0:1]
	s_mov_b32 s0, 0x14761f6e
	s_mov_b32 s1, 0x3f2a01a0
	v_add_f64 v[49:50], v[29:30], v[29:30]
	v_fma_f64 v[33:34], v[31:32], v[33:34], s[0:1]
	s_mov_b32 s0, 0x1852b7b0
	s_mov_b32 s1, 0x3f56c16c
	v_fma_f64 v[37:38], v[31:32], v[49:50], v[37:38]
	v_fma_f64 v[33:34], v[31:32], v[33:34], s[0:1]
	s_mov_b32 s0, 0x55555511
	s_mov_b32 s1, 0x3fc55555
	v_add_f64 v[49:50], v[39:40], v[37:38]
	v_fma_f64 v[33:34], v[31:32], v[33:34], s[94:95]
	v_add_f64 v[39:40], v[49:50], -v[39:40]
	v_fma_f64 v[33:34], v[31:32], v[33:34], s[68:69]
	v_add_f64 v[37:38], v[37:38], -v[39:40]
	v_fma_f64 v[33:34], v[31:32], v[33:34], s[0:1]
	s_mov_b32 s0, 0xc751c08c
	s_mov_b32 s1, 0x3ef5e089
	v_fma_f64 v[33:34], v[31:32], v[33:34], s[72:73]
	v_mul_f64 v[51:52], v[49:50], v[33:34]
	v_fma_f64 v[39:40], v[49:50], v[33:34], -v[51:52]
	v_fma_f64 v[33:34], v[37:38], v[33:34], v[39:40]
	v_add_f64 v[37:38], v[51:52], v[33:34]
	v_add_f64 v[39:40], v[31:32], v[37:38]
	v_add_f64 v[49:50], v[37:38], -v[51:52]
	v_add_f64 v[31:32], v[39:40], -v[31:32]
	;; [unrolled: 1-line block ×3, first 2 shown]
	v_add_f64 v[49:50], v[27:28], v[27:28]
	v_add_f64 v[31:32], v[37:38], -v[31:32]
	v_add_f64 v[29:30], v[29:30], v[33:34]
	v_add_f64 v[29:30], v[29:30], v[31:32]
	;; [unrolled: 1-line block ×3, first 2 shown]
	v_add_f64 v[33:34], v[31:32], 1.0
	v_add_f64 v[37:38], v[31:32], -v[39:40]
	v_add_f64 v[39:40], v[33:34], -1.0
	v_add_f64 v[29:30], v[29:30], -v[37:38]
	v_add_f64 v[31:32], v[31:32], -v[39:40]
	v_add_f64 v[29:30], v[29:30], v[31:32]
	v_add_f64 v[31:32], v[33:34], v[29:30]
	v_ldexp_f64 v[35:36], v[31:32], v11
	v_add_f64 v[31:32], v[31:32], -v[33:34]
	v_rcp_f64_e32 v[37:38], v[35:36]
	v_add_f64 v[29:30], v[29:30], -v[31:32]
	v_ldexp_f64 v[29:30], v[29:30], v11
	v_fma_f64 v[39:40], -v[35:36], v[37:38], 1.0
	v_fma_f64 v[37:38], v[39:40], v[37:38], v[37:38]
	v_fma_f64 v[39:40], -v[35:36], v[37:38], 1.0
	v_fma_f64 v[33:34], v[39:40], v[37:38], v[37:38]
	v_mul_f64 v[37:38], v[25:26], v[25:26]
	v_mul_f64 v[31:32], v[35:36], v[33:34]
	v_fma_f64 v[51:52], v[25:26], v[25:26], -v[37:38]
	v_fma_f64 v[39:40], v[33:34], v[35:36], -v[31:32]
	v_fma_f64 v[49:50], v[25:26], v[49:50], v[51:52]
	v_fma_f64 v[39:40], v[33:34], v[29:30], v[39:40]
	v_add_f64 v[37:38], v[37:38], v[49:50]
	v_add_f64 v[51:52], v[31:32], v[39:40]
	v_fma_f64 v[53:54], v[37:38], s[0:1], v[19:20]
	s_mov_b32 s0, 0x90a8aae0
	s_mov_b32 s1, 0x3f17746f
	v_add_f64 v[49:50], -v[51:52], 1.0
	v_add_f64 v[31:32], v[51:52], -v[31:32]
	v_fma_f64 v[53:54], v[37:38], v[53:54], s[0:1]
	s_mov_b32 s0, 0xa6fbf144
	s_mov_b32 s1, 0xbefbb44d
	v_add_f64 v[55:56], -v[49:50], 1.0
	v_add_f64 v[31:32], v[31:32], -v[39:40]
	v_add_f64 v[39:40], v[55:56], -v[51:52]
	v_fma_f64 v[51:52], v[37:38], v[53:54], s[0:1]
	s_mov_b32 s0, 0xa7943acf
	s_mov_b32 s1, 0x3f21e634
	v_add_f64 v[31:32], v[31:32], v[39:40]
	v_fma_f64 v[39:40], v[37:38], v[51:52], s[0:1]
	s_mov_b32 s0, 0xdeb68feb
	s_mov_b32 s1, 0x3f2d250f
	v_add_f64 v[51:52], v[49:50], v[31:32]
	v_fma_f64 v[39:40], v[37:38], v[39:40], s[0:1]
	s_mov_b32 s0, 0xb58c4d95
	s_mov_b32 s1, 0x3f437fd9
	v_mul_f64 v[53:54], v[33:34], v[51:52]
	v_fma_f64 v[39:40], v[37:38], v[39:40], s[0:1]
	s_mov_b32 s0, 0x15120e2c
	s_mov_b32 s1, 0x3f57d5af
	v_add_f64 v[49:50], v[49:50], -v[51:52]
	v_mul_f64 v[55:56], v[35:36], v[53:54]
	v_fma_f64 v[39:40], v[37:38], v[39:40], s[0:1]
	s_mov_b32 s0, 0xe09491df
	s_mov_b32 s1, 0x3f6d6d93
	v_add_f64 v[31:32], v[31:32], v[49:50]
	v_fma_f64 v[57:58], v[53:54], v[35:36], -v[55:56]
	v_fma_f64 v[39:40], v[37:38], v[39:40], s[0:1]
	s_mov_b32 s0, 0x2033784d
	s_mov_b32 s1, 0x3f8226e1
	v_fma_f64 v[57:58], v[53:54], v[29:30], v[57:58]
	v_fma_f64 v[39:40], v[37:38], v[39:40], s[0:1]
	s_mov_b32 s0, 0x9ac36ae2
	s_mov_b32 s1, 0x3f9664f4
	v_add_f64 v[59:60], v[55:56], v[57:58]
	v_fma_f64 v[39:40], v[37:38], v[39:40], s[0:1]
	s_mov_b32 s0, 0x1b451c21
	s_mov_b32 s1, 0x3faba1ba
	v_add_f64 v[61:62], v[51:52], -v[59:60]
	v_fma_f64 v[39:40], v[37:38], v[39:40], s[0:1]
	s_mov_b32 s0, 0x111185b7
	s_mov_b32 s1, 0x3fc11111
	v_add_f64 v[49:50], v[59:60], -v[55:56]
	v_add_f64 v[51:52], v[51:52], -v[61:62]
	v_fma_f64 v[39:40], v[37:38], v[39:40], s[0:1]
	s_mov_b32 s0, 0x555554ee
	s_mov_b32 s1, 0x3fd55555
	v_add_f64 v[49:50], v[49:50], -v[57:58]
	v_add_f64 v[51:52], v[51:52], -v[59:60]
	v_fma_f64 v[39:40], v[37:38], v[39:40], s[0:1]
	s_mov_b32 s0, 0x8fb9f87e
	s_mov_b32 s1, 0x408633ce
	v_cmp_nge_f64_e64 vcc, |v[9:10]|, s[0:1]
	s_mov_b32 s0, 0
	s_mov_b32 s1, 0x3e400000
	v_add_f64 v[31:32], v[31:32], v[51:52]
	v_mul_f64 v[37:38], v[37:38], v[39:40]
	v_add_f64 v[39:40], v[33:34], v[53:54]
	v_add_f64 v[31:32], v[49:50], v[31:32]
	v_mul_f64 v[49:50], v[25:26], v[37:38]
	v_add_f64 v[51:52], v[39:40], -v[33:34]
	v_add_f64 v[31:32], v[61:62], v[31:32]
	v_add_f64 v[55:56], v[25:26], v[49:50]
	v_add_f64 v[51:52], v[53:54], -v[51:52]
	v_mul_f64 v[31:32], v[33:34], v[31:32]
	v_fma_f64 v[33:34], v[25:26], v[37:38], -v[49:50]
	v_add_f64 v[25:26], v[55:56], -v[25:26]
	v_add_f64 v[31:32], v[51:52], v[31:32]
	v_add_f64 v[27:28], v[27:28], v[33:34]
	v_add_f64 v[25:26], v[49:50], -v[25:26]
	v_add_f64 v[33:34], v[39:40], v[31:32]
	v_add_f64 v[25:26], v[27:28], v[25:26]
	v_ldexp_f64 v[27:28], v[33:34], -2
	v_add_f64 v[33:34], v[33:34], -v[39:40]
	v_add_f64 v[37:38], v[55:56], v[25:26]
	v_add_f64 v[49:50], v[35:36], -v[27:28]
	v_add_f64 v[31:32], v[31:32], -v[33:34]
	v_rcp_f64_e32 v[51:52], v[37:38]
	v_add_f64 v[35:36], v[35:36], -v[49:50]
	v_ldexp_f64 v[31:32], v[31:32], -2
	v_add_f64 v[27:28], v[35:36], -v[27:28]
	v_fma_f64 v[33:34], -v[37:38], v[51:52], 1.0
	v_add_f64 v[27:28], v[29:30], v[27:28]
	v_fma_f64 v[29:30], v[33:34], v[51:52], v[51:52]
	v_and_b32_e32 v34, 0x7fffffff, v10
	v_add_f64 v[27:28], v[27:28], -v[31:32]
	v_fma_f64 v[31:32], -v[37:38], v[29:30], 1.0
	v_add_f64 v[27:28], v[49:50], v[27:28]
	v_fma_f64 v[29:30], v[31:32], v[29:30], v[29:30]
	v_cndmask_b32_e32 v11, v45, v28, vcc
	v_cndmask_b32_e32 v33, 0, v27, vcc
	v_cmp_lt_f64_e64 vcc, |v[9:10]|, s[0:1]
	v_add_f64 v[27:28], v[37:38], -v[55:56]
	v_mul_f64 v[31:32], v[37:38], v[29:30]
	s_mov_b32 s0, 0
	s_brev_b32 s1, 8
	v_cndmask_b32_e32 v11, v11, v34, vcc
	v_cndmask_b32_e32 v9, v33, v9, vcc
	v_bfi_b32 v10, s48, v11, v10
	v_fma_f64 v[33:34], v[9:10], v[9:10], 1.0
	v_add_f64 v[25:26], v[25:26], -v[27:28]
	v_fma_f64 v[27:28], v[29:30], v[37:38], -v[31:32]
	v_cmp_gt_f64_e32 vcc, s[0:1], v[33:34]
	v_cmp_eq_u32_e64 s[0:1], 0, v18
	v_fma_f64 v[25:26], v[29:30], v[25:26], v[27:28]
	v_cndmask_b32_e32 v11, 0, v46, vcc
	v_ldexp_f64 v[33:34], v[33:34], v11
	v_add_f64 v[35:36], v[31:32], v[25:26]
	v_rsq_f64_e32 v[27:28], v[33:34]
	v_add_f64 v[39:40], -v[35:36], 1.0
	v_add_f64 v[31:32], v[35:36], -v[31:32]
	v_add_f64 v[51:52], -v[39:40], 1.0
	v_add_f64 v[25:26], v[31:32], -v[25:26]
	v_mul_f64 v[49:50], v[33:34], v[27:28]
	v_mul_f64 v[27:28], v[27:28], 0.5
	v_add_f64 v[35:36], v[51:52], -v[35:36]
	v_fma_f64 v[31:32], -v[27:28], v[49:50], 0.5
	v_add_f64 v[25:26], v[25:26], v[35:36]
	v_fma_f64 v[49:50], v[49:50], v[31:32], v[49:50]
	v_fma_f64 v[27:28], v[27:28], v[31:32], v[27:28]
	v_add_f64 v[25:26], v[39:40], v[25:26]
	v_fma_f64 v[31:32], -v[49:50], v[49:50], v[33:34]
	v_mul_f64 v[25:26], v[29:30], v[25:26]
	v_fma_f64 v[31:32], v[31:32], v[27:28], v[49:50]
	v_add_f64 v[25:26], v[29:30], v[25:26]
	v_and_b32_e32 v29, 0x80000000, v12
	v_fma_f64 v[35:36], -v[31:32], v[31:32], v[33:34]
	v_xor_b32_e32 v26, 0x80000000, v26
	v_cndmask_b32_e64 v18, v26, v38, s[0:1]
	v_xor_b32_e32 v26, v18, v29
	v_cndmask_b32_e32 v18, 0, v47, vcc
	v_cndmask_b32_e64 v25, v25, v37, s[0:1]
	v_cmp_class_f64_e32 vcc, v[33:34], v42
	v_fma_f64 v[11:12], v[35:36], v[27:28], v[31:32]
	v_fma_f64 v[27:28], v[25:26], v[25:26], 1.0
	v_ldexp_f64 v[11:12], v[11:12], v18
	v_mul_f64 v[29:30], v[9:10], v[27:28]
	v_cndmask_b32_e32 v12, v12, v34, vcc
	v_cndmask_b32_e32 v11, v11, v33, vcc
	v_mul_f64 v[11:12], v[11:12], v[27:28]
	v_fma_f64 v[27:28], v[9:10], v[29:30], 1.0
	v_mul_f64 v[9:10], v[9:10], v[11:12]
	v_div_scale_f64 v[29:30], s[0:1], v[27:28], v[27:28], v[25:26]
	v_div_scale_f64 v[11:12], s[0:1], v[27:28], v[27:28], v[9:10]
	;; [unrolled: 1-line block ×3, first 2 shown]
	v_rcp_f64_e32 v[33:34], v[29:30]
	v_rcp_f64_e32 v[31:32], v[11:12]
	v_fma_f64 v[37:38], -v[29:30], v[33:34], 1.0
	v_fma_f64 v[35:36], -v[11:12], v[31:32], 1.0
	v_fma_f64 v[33:34], v[33:34], v[37:38], v[33:34]
	v_fma_f64 v[31:32], v[31:32], v[35:36], v[31:32]
	v_div_scale_f64 v[35:36], vcc, v[9:10], v[27:28], v[9:10]
	v_fma_f64 v[49:50], -v[29:30], v[33:34], 1.0
	v_fma_f64 v[37:38], -v[11:12], v[31:32], 1.0
	v_fma_f64 v[33:34], v[33:34], v[49:50], v[33:34]
	v_fma_f64 v[31:32], v[31:32], v[37:38], v[31:32]
	v_mul_f64 v[49:50], v[39:40], v[33:34]
	v_mul_f64 v[37:38], v[35:36], v[31:32]
	v_fma_f64 v[29:30], -v[29:30], v[49:50], v[39:40]
	v_fma_f64 v[11:12], -v[11:12], v[37:38], v[35:36]
	v_div_fmas_f64 v[11:12], v[11:12], v[31:32], v[37:38]
	s_mov_b64 vcc, s[0:1]
	v_div_fmas_f64 v[29:30], v[29:30], v[33:34], v[49:50]
	v_div_fixup_f64 v[9:10], v[11:12], v[27:28], v[9:10]
	v_div_fixup_f64 v[11:12], v[29:30], v[27:28], v[25:26]
.LBB155_53:                             ;   in Loop: Header=BB155_7 Depth=1
	s_andn2_saveexec_b64 s[0:1], s[58:59]
	s_cbranch_execz .LBB155_63
; %bb.54:                               ;   in Loop: Header=BB155_7 Depth=1
	v_cmp_nlt_f64_e64 s[58:59], |v[11:12]|, s[24:25]
                                        ; implicit-def: $vgpr33
                                        ; implicit-def: $vgpr25_vgpr26
                                        ; implicit-def: $vgpr27_vgpr28
	s_and_saveexec_b64 s[60:61], s[58:59]
	s_xor_b64 s[60:61], exec, s[60:61]
	s_cbranch_execz .LBB155_56
; %bb.55:                               ;   in Loop: Header=BB155_7 Depth=1
	v_trig_preop_f64 v[25:26], |v[11:12]|, 0
	v_ldexp_f64 v[27:28], |v[11:12]|, s67
	v_cmp_ge_f64_e64 vcc, |v[11:12]|, s[26:27]
	v_trig_preop_f64 v[29:30], |v[11:12]|, 1
	v_and_b32_e32 v18, 0x7fffffff, v12
	v_trig_preop_f64 v[37:38], |v[11:12]|, 2
	s_mov_b32 s14, s30
	s_mov_b32 s37, s19
	v_cndmask_b32_e32 v28, v18, v28, vcc
	v_cndmask_b32_e32 v27, v11, v27, vcc
	v_mul_f64 v[31:32], v[25:26], v[27:28]
	v_mul_f64 v[33:34], v[29:30], v[27:28]
	;; [unrolled: 1-line block ×3, first 2 shown]
	v_fma_f64 v[25:26], v[25:26], v[27:28], -v[31:32]
	v_fma_f64 v[29:30], v[29:30], v[27:28], -v[33:34]
	;; [unrolled: 1-line block ×3, first 2 shown]
	v_add_f64 v[35:36], v[33:34], v[25:26]
	v_add_f64 v[39:40], v[35:36], -v[33:34]
	v_add_f64 v[53:54], v[31:32], v[35:36]
	v_add_f64 v[49:50], v[35:36], -v[39:40]
	v_add_f64 v[25:26], v[25:26], -v[39:40]
	v_add_f64 v[39:40], v[51:52], v[29:30]
	v_add_f64 v[31:32], v[53:54], -v[31:32]
	v_add_f64 v[33:34], v[33:34], -v[49:50]
	v_ldexp_f64 v[49:50], v[53:54], -2
	v_add_f64 v[55:56], v[39:40], -v[51:52]
	v_add_f64 v[31:32], v[35:36], -v[31:32]
	v_add_f64 v[25:26], v[25:26], v[33:34]
	v_fract_f64_e32 v[33:34], v[49:50]
	v_cmp_neq_f64_e64 vcc, |v[49:50]|, s[28:29]
	v_add_f64 v[29:30], v[29:30], -v[55:56]
	v_add_f64 v[35:36], v[39:40], v[25:26]
	v_ldexp_f64 v[33:34], v[33:34], 2
	v_add_f64 v[49:50], v[31:32], v[35:36]
	v_cndmask_b32_e32 v34, 0, v34, vcc
	v_cndmask_b32_e32 v33, 0, v33, vcc
	v_add_f64 v[57:58], v[35:36], -v[39:40]
	v_add_f64 v[53:54], v[49:50], v[33:34]
	v_add_f64 v[31:32], v[49:50], -v[31:32]
	v_add_f64 v[59:60], v[35:36], -v[57:58]
	;; [unrolled: 1-line block ×3, first 2 shown]
	v_cmp_gt_f64_e32 vcc, 0, v[53:54]
	v_add_f64 v[53:54], v[39:40], -v[55:56]
	v_add_f64 v[31:32], v[35:36], -v[31:32]
	;; [unrolled: 1-line block ×3, first 2 shown]
	v_cndmask_b32_e32 v18, 0, v43, vcc
	v_add_f64 v[33:34], v[33:34], v[17:18]
	v_add_f64 v[53:54], v[51:52], -v[53:54]
	v_add_f64 v[25:26], v[25:26], v[39:40]
	v_add_f64 v[61:62], v[49:50], v[33:34]
	;; [unrolled: 1-line block ×3, first 2 shown]
	v_cvt_i32_f64_e32 v57, v[61:62]
	v_add_f64 v[25:26], v[29:30], v[25:26]
	v_cvt_f64_i32_e32 v[55:56], v57
	v_add_f64 v[33:34], v[33:34], -v[55:56]
	v_add_f64 v[25:26], v[27:28], v[25:26]
	v_add_f64 v[29:30], v[49:50], v[33:34]
	;; [unrolled: 1-line block ×3, first 2 shown]
	v_add_f64 v[27:28], v[29:30], -v[33:34]
	v_cmp_le_f64_e32 vcc, 0.5, v[29:30]
	v_add_f64 v[27:28], v[49:50], -v[27:28]
	v_cndmask_b32_e32 v18, 0, v44, vcc
	v_add_f64 v[25:26], v[25:26], v[27:28]
	v_add_f64 v[27:28], v[29:30], -v[17:18]
	v_add_f64 v[29:30], v[27:28], v[25:26]
	v_mul_f64 v[31:32], v[29:30], s[14:15]
	v_add_f64 v[27:28], v[29:30], -v[27:28]
	v_fma_f64 v[33:34], v[29:30], s[14:15], -v[31:32]
	v_add_f64 v[25:26], v[25:26], -v[27:28]
	v_fma_f64 v[27:28], v[29:30], s[36:37], v[33:34]
	v_addc_co_u32_e32 v33, vcc, 0, v57, vcc
	v_fma_f64 v[27:28], v[25:26], s[14:15], v[27:28]
	v_add_f64 v[25:26], v[31:32], v[27:28]
	v_add_f64 v[29:30], v[25:26], -v[31:32]
	v_add_f64 v[27:28], v[27:28], -v[29:30]
	s_andn2_saveexec_b64 s[60:61], s[60:61]
	s_cbranch_execz .LBB155_58
	s_branch .LBB155_57
.LBB155_56:                             ;   in Loop: Header=BB155_7 Depth=1
	s_andn2_saveexec_b64 s[60:61], s[60:61]
	s_cbranch_execz .LBB155_58
.LBB155_57:                             ;   in Loop: Header=BB155_7 Depth=1
	v_mul_f64 v[25:26], |v[11:12]|, s[16:17]
	s_mov_b32 s18, s34
	v_rndne_f64_e32 v[29:30], v[25:26]
	v_fma_f64 v[25:26], v[29:30], s[30:31], |v[11:12]|
	v_mul_f64 v[27:28], v[29:30], s[34:35]
	v_fma_f64 v[35:36], v[29:30], s[34:35], v[25:26]
	v_add_f64 v[31:32], v[25:26], v[27:28]
	v_add_f64 v[33:34], v[25:26], -v[31:32]
	v_add_f64 v[31:32], v[31:32], -v[35:36]
	v_add_f64 v[25:26], v[33:34], v[27:28]
	v_fma_f64 v[27:28], v[29:30], s[18:19], v[27:28]
	v_cvt_i32_f64_e32 v33, v[29:30]
	v_add_f64 v[25:26], v[31:32], v[25:26]
	v_add_f64 v[25:26], v[25:26], -v[27:28]
	v_fma_f64 v[27:28], v[29:30], s[20:21], v[25:26]
	v_add_f64 v[25:26], v[35:36], v[27:28]
	v_add_f64 v[31:32], v[25:26], -v[35:36]
	v_add_f64 v[27:28], v[27:28], -v[31:32]
.LBB155_58:                             ;   in Loop: Header=BB155_7 Depth=1
	s_or_b64 exec, exec, s[60:61]
                                        ; implicit-def: $vgpr18
                                        ; implicit-def: $vgpr29_vgpr30
                                        ; implicit-def: $vgpr31_vgpr32
	s_and_saveexec_b64 s[60:61], s[58:59]
	s_xor_b64 s[58:59], exec, s[60:61]
	s_cbranch_execz .LBB155_60
; %bb.59:                               ;   in Loop: Header=BB155_7 Depth=1
	v_trig_preop_f64 v[29:30], |v[11:12]|, 0
	v_ldexp_f64 v[31:32], |v[11:12]|, s67
	v_cmp_ge_f64_e64 vcc, |v[11:12]|, s[26:27]
	v_trig_preop_f64 v[34:35], |v[11:12]|, 1
	v_and_b32_e32 v18, 0x7fffffff, v12
	v_trig_preop_f64 v[51:52], |v[11:12]|, 2
	s_mov_b32 s14, s30
	s_mov_b32 s37, s19
	v_cndmask_b32_e32 v32, v18, v32, vcc
	v_cndmask_b32_e32 v31, v11, v31, vcc
	v_mul_f64 v[36:37], v[29:30], v[31:32]
	v_mul_f64 v[38:39], v[34:35], v[31:32]
	;; [unrolled: 1-line block ×3, first 2 shown]
	v_fma_f64 v[29:30], v[29:30], v[31:32], -v[36:37]
	v_fma_f64 v[34:35], v[34:35], v[31:32], -v[38:39]
	;; [unrolled: 1-line block ×3, first 2 shown]
	v_add_f64 v[49:50], v[38:39], v[29:30]
	v_add_f64 v[53:54], v[49:50], -v[38:39]
	v_add_f64 v[59:60], v[36:37], v[49:50]
	v_add_f64 v[55:56], v[49:50], -v[53:54]
	v_add_f64 v[29:30], v[29:30], -v[53:54]
	v_add_f64 v[53:54], v[57:58], v[34:35]
	v_add_f64 v[36:37], v[59:60], -v[36:37]
	v_add_f64 v[38:39], v[38:39], -v[55:56]
	v_ldexp_f64 v[55:56], v[59:60], -2
	v_add_f64 v[61:62], v[53:54], -v[57:58]
	v_add_f64 v[36:37], v[49:50], -v[36:37]
	v_add_f64 v[29:30], v[29:30], v[38:39]
	v_fract_f64_e32 v[38:39], v[55:56]
	v_cmp_neq_f64_e64 vcc, |v[55:56]|, s[28:29]
	v_add_f64 v[34:35], v[34:35], -v[61:62]
	v_add_f64 v[49:50], v[53:54], v[29:30]
	v_ldexp_f64 v[38:39], v[38:39], 2
	v_add_f64 v[55:56], v[36:37], v[49:50]
	v_cndmask_b32_e32 v39, 0, v39, vcc
	v_cndmask_b32_e32 v38, 0, v38, vcc
	v_add_f64 v[63:64], v[49:50], -v[53:54]
	v_add_f64 v[59:60], v[55:56], v[38:39]
	v_add_f64 v[36:37], v[55:56], -v[36:37]
	v_add_f64 v[65:66], v[49:50], -v[63:64]
	;; [unrolled: 1-line block ×3, first 2 shown]
	v_cmp_gt_f64_e32 vcc, 0, v[59:60]
	v_add_f64 v[59:60], v[53:54], -v[61:62]
	v_add_f64 v[36:37], v[49:50], -v[36:37]
	;; [unrolled: 1-line block ×3, first 2 shown]
	v_cndmask_b32_e32 v18, 0, v43, vcc
	v_add_f64 v[38:39], v[38:39], v[17:18]
	v_add_f64 v[59:60], v[57:58], -v[59:60]
	v_add_f64 v[29:30], v[29:30], v[53:54]
	v_add_f64 v[67:68], v[55:56], v[38:39]
	;; [unrolled: 1-line block ×3, first 2 shown]
	v_cvt_i32_f64_e32 v40, v[67:68]
	v_add_f64 v[29:30], v[34:35], v[29:30]
	v_cvt_f64_i32_e32 v[61:62], v40
	v_add_f64 v[38:39], v[38:39], -v[61:62]
	v_add_f64 v[29:30], v[31:32], v[29:30]
	v_add_f64 v[34:35], v[55:56], v[38:39]
	;; [unrolled: 1-line block ×3, first 2 shown]
	v_add_f64 v[31:32], v[34:35], -v[38:39]
	v_cmp_le_f64_e32 vcc, 0.5, v[34:35]
	v_add_f64 v[31:32], v[55:56], -v[31:32]
	v_cndmask_b32_e32 v18, 0, v44, vcc
	v_add_f64 v[29:30], v[29:30], v[31:32]
	v_add_f64 v[31:32], v[34:35], -v[17:18]
	v_addc_co_u32_e32 v18, vcc, 0, v40, vcc
	v_add_f64 v[34:35], v[31:32], v[29:30]
	v_mul_f64 v[36:37], v[34:35], s[14:15]
	v_add_f64 v[31:32], v[34:35], -v[31:32]
	v_fma_f64 v[38:39], v[34:35], s[14:15], -v[36:37]
	v_add_f64 v[29:30], v[29:30], -v[31:32]
	v_fma_f64 v[31:32], v[34:35], s[36:37], v[38:39]
	v_fma_f64 v[31:32], v[29:30], s[14:15], v[31:32]
	v_add_f64 v[29:30], v[36:37], v[31:32]
	v_add_f64 v[34:35], v[29:30], -v[36:37]
	v_add_f64 v[31:32], v[31:32], -v[34:35]
	s_andn2_saveexec_b64 s[58:59], s[58:59]
	s_cbranch_execnz .LBB155_61
	s_branch .LBB155_62
.LBB155_60:                             ;   in Loop: Header=BB155_7 Depth=1
	s_andn2_saveexec_b64 s[58:59], s[58:59]
	s_cbranch_execz .LBB155_62
.LBB155_61:                             ;   in Loop: Header=BB155_7 Depth=1
	v_mul_f64 v[29:30], |v[11:12]|, s[16:17]
	s_mov_b32 s18, s34
	v_rndne_f64_e32 v[34:35], v[29:30]
	v_fma_f64 v[29:30], v[34:35], s[30:31], |v[11:12]|
	v_mul_f64 v[31:32], v[34:35], s[34:35]
	v_cvt_i32_f64_e32 v18, v[34:35]
	v_fma_f64 v[49:50], v[34:35], s[34:35], v[29:30]
	v_add_f64 v[36:37], v[29:30], v[31:32]
	v_add_f64 v[38:39], v[29:30], -v[36:37]
	v_add_f64 v[36:37], v[36:37], -v[49:50]
	v_add_f64 v[29:30], v[38:39], v[31:32]
	v_fma_f64 v[31:32], v[34:35], s[18:19], v[31:32]
	v_add_f64 v[29:30], v[36:37], v[29:30]
	v_add_f64 v[29:30], v[29:30], -v[31:32]
	v_fma_f64 v[31:32], v[34:35], s[20:21], v[29:30]
	v_add_f64 v[29:30], v[49:50], v[31:32]
	v_add_f64 v[36:37], v[29:30], -v[49:50]
	v_add_f64 v[31:32], v[31:32], -v[36:37]
.LBB155_62:                             ;   in Loop: Header=BB155_7 Depth=1
	s_or_b64 exec, exec, s[58:59]
	v_mul_f64 v[34:35], |v[9:10]|, s[40:41]
	s_mov_b32 s58, 0x3b39803f
	s_mov_b32 s59, 0xbc7abc9e
	v_mul_f64 v[49:50], v[25:26], v[25:26]
	v_mov_b32_e32 v53, s86
	v_mov_b32_e32 v54, s87
	v_mul_f64 v[55:56], v[29:30], v[29:30]
	v_mov_b32_e32 v51, s76
	v_rndne_f64_e32 v[34:35], v[34:35]
	v_mov_b32_e32 v52, s77
	v_mul_f64 v[57:58], v[27:28], 0.5
	v_fma_f64 v[59:60], v[49:50], s[88:89], v[53:54]
	v_fma_f64 v[61:62], v[49:50], s[78:79], v[51:52]
	v_mul_f64 v[63:64], v[49:50], 0.5
	v_fma_f64 v[53:54], v[55:56], s[88:89], v[53:54]
	v_mul_f64 v[67:68], v[55:56], 0.5
	v_fma_f64 v[36:37], v[34:35], s[42:43], -|v[9:10]|
	v_fma_f64 v[51:52], v[55:56], s[78:79], v[51:52]
	s_mov_b32 s95, s45
	v_fma_f64 v[59:60], v[49:50], v[59:60], s[90:91]
	v_fma_f64 v[61:62], v[49:50], v[61:62], s[80:81]
	v_add_f64 v[69:70], -v[63:64], 1.0
	v_fma_f64 v[53:54], v[55:56], v[53:54], s[90:91]
	v_mul_f64 v[71:72], v[25:26], -v[49:50]
	v_fma_f64 v[36:37], v[34:35], s[58:59], v[36:37]
	s_mov_b32 s58, 0x6a5dcb37
	s_mov_b32 s59, 0x3e5ade15
	v_fma_f64 v[59:60], v[49:50], v[59:60], s[92:93]
	v_add_f64 v[73:74], -v[67:68], 1.0
	v_fma_f64 v[51:52], v[55:56], v[51:52], s[80:81]
	v_fma_f64 v[53:54], v[55:56], v[53:54], s[92:93]
	;; [unrolled: 1-line block ×4, first 2 shown]
	s_mov_b32 s58, 0x623fde64
	s_mov_b32 s59, 0x3ec71dee
	v_add_f64 v[75:76], -v[69:70], 1.0
	v_fma_f64 v[59:60], v[49:50], v[59:60], s[44:45]
	v_mul_f64 v[65:66], v[31:32], 0.5
	v_mul_f64 v[77:78], v[29:30], -v[55:56]
	v_fma_f64 v[53:54], v[55:56], v[53:54], s[44:45]
	v_fma_f64 v[38:39], v[36:37], v[38:39], s[58:59]
	s_mov_b32 s58, 0x7c89e6b0
	s_mov_b32 s59, 0x3efa0199
	;; [unrolled: 1-line block ×3, first 2 shown]
	v_add_f64 v[79:80], -v[73:74], 1.0
	v_fma_f64 v[51:52], v[55:56], v[51:52], s[82:83]
	v_fma_f64 v[61:62], v[49:50], v[61:62], s[84:85]
	v_add_f64 v[63:64], v[75:76], -v[63:64]
	v_fma_f64 v[38:39], v[36:37], v[38:39], s[58:59]
	s_mov_b32 s58, 0x14761f6e
	s_mov_b32 s59, 0x3f2a01a0
	v_fma_f64 v[57:58], v[71:72], v[59:60], v[57:58]
	v_fma_f64 v[53:54], v[77:78], v[53:54], v[65:66]
	v_mul_f64 v[59:60], v[49:50], v[49:50]
	v_add_f64 v[67:68], v[79:80], -v[67:68]
	v_fma_f64 v[51:52], v[55:56], v[51:52], s[84:85]
	v_fma_f64 v[38:39], v[36:37], v[38:39], s[58:59]
	s_mov_b32 s58, 0x1852b7b0
	s_mov_b32 s59, 0x3f56c16c
	v_fma_f64 v[61:62], v[49:50], v[61:62], s[56:57]
	v_fma_f64 v[63:64], v[25:26], -v[27:28], v[63:64]
	v_fma_f64 v[27:28], v[49:50], v[57:58], -v[27:28]
	s_mov_b32 s46, s56
	v_fma_f64 v[53:54], v[55:56], v[53:54], -v[31:32]
	v_fma_f64 v[38:39], v[36:37], v[38:39], s[58:59]
	s_mov_b32 s58, 0x55555511
	s_mov_b32 s59, 0x3fc55555
	v_mul_f64 v[49:50], v[55:56], v[55:56]
	v_fma_f64 v[51:52], v[55:56], v[51:52], s[56:57]
	v_fma_f64 v[31:32], v[29:30], -v[31:32], v[67:68]
	v_fma_f64 v[55:56], v[59:60], v[61:62], v[63:64]
	v_fma_f64 v[27:28], v[71:72], s[46:47], v[27:28]
	v_fma_f64 v[38:39], v[36:37], v[38:39], s[94:95]
	v_lshlrev_b32_e32 v11, 30, v33
	v_xor_b32_e32 v57, v11, v12
	v_fma_f64 v[11:12], v[77:78], s[46:47], v[53:54]
	v_and_b32_e32 v40, 1, v33
	v_fma_f64 v[31:32], v[49:50], v[51:52], v[31:32]
	v_add_f64 v[49:50], v[69:70], v[55:56]
	v_add_f64 v[25:26], v[25:26], -v[27:28]
	v_fma_f64 v[38:39], v[36:37], v[38:39], s[68:69]
	v_cmp_eq_u32_e32 vcc, 0, v40
	v_cvt_i32_f64_e32 v34, v[34:35]
	v_add_f64 v[11:12], v[29:30], -v[11:12]
	v_and_b32_e32 v33, 1, v18
	v_add_f64 v[29:30], v[73:74], v[31:32]
	v_lshlrev_b32_e32 v18, 30, v18
	v_cndmask_b32_e32 v26, v50, v26, vcc
	v_fma_f64 v[38:39], v[36:37], v[38:39], s[58:59]
	v_cndmask_b32_e32 v25, v49, v25, vcc
	v_cmp_eq_u32_e32 vcc, 0, v33
	v_xor_b32_e32 v12, 0x80000000, v12
	s_mov_b32 s58, 0
	v_and_b32_e32 v18, 0x80000000, v18
	v_cndmask_b32_e32 v12, v12, v30, vcc
	s_mov_b32 s59, 0x4090cc00
	v_fma_f64 v[38:39], v[36:37], v[38:39], s[72:73]
	v_cndmask_b32_e32 v11, v11, v29, vcc
	v_xor_b32_e32 v12, v12, v18
	v_cmp_ngt_f64_e64 vcc, |v[9:10]|, s[58:59]
	v_bfi_b32 v18, s48, v44, v10
	v_mov_b32_e32 v9, v17
	v_mov_b32_e32 v10, v18
	v_fma_f64 v[27:28], v[36:37], v[38:39], 1.0
	v_and_b32_e32 v38, 0x80000000, v57
	v_xor_b32_e32 v26, v26, v38
	v_mul_f64 v[25:26], v[25:26], 4.0
	v_fma_f64 v[27:28], v[36:37], v[27:28], 1.0
	v_mul_f64 v[11:12], v[25:26], v[11:12]
	v_ldexp_f64 v[27:28], v[27:28], v34
	v_cndmask_b32_e32 v26, 0, v28, vcc
	v_cndmask_b32_e32 v25, 0, v27, vcc
	v_mul_f64 v[11:12], v[25:26], v[11:12]
	v_mul_f64 v[11:12], v[25:26], v[11:12]
.LBB155_63:                             ;   in Loop: Header=BB155_7 Depth=1
	s_or_b64 exec, exec, s[0:1]
.LBB155_64:                             ;   in Loop: Header=BB155_7 Depth=1
	s_andn2_saveexec_b64 s[0:1], s[52:53]
	s_cbranch_execz .LBB155_66
; %bb.65:                               ;   in Loop: Header=BB155_7 Depth=1
	v_add_f64 v[11:12], v[11:12], -v[11:12]
	v_mov_b32_e32 v9, v11
	v_mov_b32_e32 v10, v12
.LBB155_66:                             ;   in Loop: Header=BB155_7 Depth=1
	s_or_b64 exec, exec, s[0:1]
.LBB155_67:                             ;   in Loop: Header=BB155_7 Depth=1
	s_andn2_saveexec_b64 s[52:53], s[74:75]
	s_cbranch_execz .LBB155_83
; %bb.68:                               ;   in Loop: Header=BB155_7 Depth=1
	v_and_or_b32 v18, v10, s70, v9
	v_cmp_ne_u32_e32 vcc, 0, v18
	s_and_saveexec_b64 s[0:1], vcc
	s_xor_b64 s[0:1], exec, s[0:1]
	s_cbranch_execz .LBB155_70
; %bb.69:                               ;   in Loop: Header=BB155_7 Depth=1
	v_mul_f64 v[25:26], v[9:10], v[11:12]
	v_cmp_eq_f64_e32 vcc, 0, v[11:12]
	v_cndmask_b32_e32 v12, v26, v12, vcc
	v_cndmask_b32_e32 v11, v25, v11, vcc
.LBB155_70:                             ;   in Loop: Header=BB155_7 Depth=1
	s_andn2_saveexec_b64 s[58:59], s[0:1]
	s_cbranch_execz .LBB155_82
; %bb.71:                               ;   in Loop: Header=BB155_7 Depth=1
	v_cmp_neq_f64_e64 s[0:1], |v[11:12]|, s[28:29]
	s_and_saveexec_b64 s[74:75], s[0:1]
	s_cbranch_execz .LBB155_81
; %bb.72:                               ;   in Loop: Header=BB155_7 Depth=1
	v_trig_preop_f64 v[35:36], |v[11:12]|, 0
	v_trig_preop_f64 v[33:34], |v[11:12]|, 1
	;; [unrolled: 1-line block ×3, first 2 shown]
	v_cmp_nlt_f64_e64 s[0:1], |v[11:12]|, s[24:25]
	v_ldexp_f64 v[37:38], |v[11:12]|, s67
	v_and_b32_e32 v50, 0x7fffffff, v12
                                        ; implicit-def: $vgpr49
                                        ; implicit-def: $vgpr25_vgpr26
                                        ; implicit-def: $vgpr27_vgpr28
	s_and_saveexec_b64 s[60:61], s[0:1]
	s_xor_b64 s[60:61], exec, s[60:61]
	s_cbranch_execz .LBB155_74
; %bb.73:                               ;   in Loop: Header=BB155_7 Depth=1
	v_cmp_ge_f64_e64 vcc, |v[11:12]|, s[26:27]
	s_mov_b32 s14, s30
	s_mov_b32 s37, s19
	v_cndmask_b32_e32 v26, v50, v38, vcc
	v_cndmask_b32_e32 v25, v11, v37, vcc
	v_mul_f64 v[27:28], v[35:36], v[25:26]
	v_mul_f64 v[31:32], v[33:34], v[25:26]
	;; [unrolled: 1-line block ×3, first 2 shown]
	v_fma_f64 v[39:40], v[35:36], v[25:26], -v[27:28]
	v_fma_f64 v[59:60], v[33:34], v[25:26], -v[31:32]
	;; [unrolled: 1-line block ×3, first 2 shown]
	v_add_f64 v[51:52], v[31:32], v[39:40]
	v_add_f64 v[53:54], v[51:52], -v[31:32]
	v_add_f64 v[61:62], v[27:28], v[51:52]
	v_add_f64 v[55:56], v[51:52], -v[53:54]
	v_add_f64 v[39:40], v[39:40], -v[53:54]
	v_add_f64 v[53:54], v[57:58], v[59:60]
	v_add_f64 v[27:28], v[61:62], -v[27:28]
	v_add_f64 v[31:32], v[31:32], -v[55:56]
	v_ldexp_f64 v[55:56], v[61:62], -2
	v_add_f64 v[63:64], v[53:54], -v[57:58]
	v_add_f64 v[27:28], v[51:52], -v[27:28]
	v_add_f64 v[31:32], v[39:40], v[31:32]
	v_fract_f64_e32 v[39:40], v[55:56]
	v_cmp_neq_f64_e64 vcc, |v[55:56]|, s[28:29]
	v_add_f64 v[59:60], v[59:60], -v[63:64]
	v_add_f64 v[51:52], v[53:54], v[31:32]
	v_ldexp_f64 v[39:40], v[39:40], 2
	v_add_f64 v[55:56], v[27:28], v[51:52]
	v_cndmask_b32_e32 v40, 0, v40, vcc
	v_cndmask_b32_e32 v39, 0, v39, vcc
	v_add_f64 v[65:66], v[51:52], -v[53:54]
	v_add_f64 v[61:62], v[55:56], v[39:40]
	v_add_f64 v[27:28], v[55:56], -v[27:28]
	v_add_f64 v[67:68], v[51:52], -v[65:66]
	;; [unrolled: 1-line block ×3, first 2 shown]
	v_cmp_gt_f64_e32 vcc, 0, v[61:62]
	v_add_f64 v[61:62], v[53:54], -v[63:64]
	v_add_f64 v[27:28], v[51:52], -v[27:28]
	;; [unrolled: 1-line block ×3, first 2 shown]
	v_cndmask_b32_e32 v18, 0, v43, vcc
	v_add_f64 v[39:40], v[39:40], v[17:18]
	v_add_f64 v[61:62], v[57:58], -v[61:62]
	v_add_f64 v[31:32], v[31:32], v[53:54]
	v_add_f64 v[69:70], v[55:56], v[39:40]
	;; [unrolled: 1-line block ×3, first 2 shown]
	v_cvt_i32_f64_e32 v49, v[69:70]
	v_add_f64 v[31:32], v[59:60], v[31:32]
	v_cvt_f64_i32_e32 v[63:64], v49
	v_add_f64 v[39:40], v[39:40], -v[63:64]
	v_add_f64 v[25:26], v[25:26], v[31:32]
	v_add_f64 v[53:54], v[55:56], v[39:40]
	;; [unrolled: 1-line block ×3, first 2 shown]
	v_add_f64 v[31:32], v[53:54], -v[39:40]
	v_cmp_le_f64_e32 vcc, 0.5, v[53:54]
	v_add_f64 v[27:28], v[55:56], -v[31:32]
	v_cndmask_b32_e32 v18, 0, v44, vcc
	v_addc_co_u32_e32 v49, vcc, 0, v49, vcc
	v_add_f64 v[25:26], v[25:26], v[27:28]
	v_add_f64 v[27:28], v[53:54], -v[17:18]
	v_add_f64 v[31:32], v[27:28], v[25:26]
	v_mul_f64 v[39:40], v[31:32], s[14:15]
	v_add_f64 v[27:28], v[31:32], -v[27:28]
	v_fma_f64 v[51:52], v[31:32], s[14:15], -v[39:40]
	v_add_f64 v[25:26], v[25:26], -v[27:28]
	v_fma_f64 v[27:28], v[31:32], s[36:37], v[51:52]
	v_fma_f64 v[27:28], v[25:26], s[14:15], v[27:28]
	v_add_f64 v[25:26], v[39:40], v[27:28]
	v_add_f64 v[31:32], v[25:26], -v[39:40]
	v_add_f64 v[27:28], v[27:28], -v[31:32]
	s_andn2_saveexec_b64 s[60:61], s[60:61]
	s_cbranch_execz .LBB155_76
	s_branch .LBB155_75
.LBB155_74:                             ;   in Loop: Header=BB155_7 Depth=1
	s_andn2_saveexec_b64 s[60:61], s[60:61]
	s_cbranch_execz .LBB155_76
.LBB155_75:                             ;   in Loop: Header=BB155_7 Depth=1
	v_mul_f64 v[25:26], |v[11:12]|, s[16:17]
	s_mov_b32 s18, s34
	v_rndne_f64_e32 v[31:32], v[25:26]
	v_fma_f64 v[25:26], v[31:32], s[30:31], |v[11:12]|
	v_mul_f64 v[27:28], v[31:32], s[34:35]
	v_cvt_i32_f64_e32 v49, v[31:32]
	v_fma_f64 v[53:54], v[31:32], s[34:35], v[25:26]
	v_add_f64 v[39:40], v[25:26], v[27:28]
	v_add_f64 v[51:52], v[25:26], -v[39:40]
	v_add_f64 v[39:40], v[39:40], -v[53:54]
	v_add_f64 v[25:26], v[51:52], v[27:28]
	v_fma_f64 v[27:28], v[31:32], s[18:19], v[27:28]
	v_add_f64 v[25:26], v[39:40], v[25:26]
	v_add_f64 v[25:26], v[25:26], -v[27:28]
	v_fma_f64 v[27:28], v[31:32], s[20:21], v[25:26]
	v_add_f64 v[25:26], v[53:54], v[27:28]
	v_add_f64 v[39:40], v[25:26], -v[53:54]
	v_add_f64 v[27:28], v[27:28], -v[39:40]
.LBB155_76:                             ;   in Loop: Header=BB155_7 Depth=1
	s_or_b64 exec, exec, s[60:61]
                                        ; implicit-def: $vgpr18
                                        ; implicit-def: $vgpr31_vgpr32
                                        ; implicit-def: $vgpr39_vgpr40
	s_and_saveexec_b64 s[60:61], s[0:1]
	s_xor_b64 s[0:1], exec, s[60:61]
	s_cbranch_execz .LBB155_78
; %bb.77:                               ;   in Loop: Header=BB155_7 Depth=1
	v_cmp_ge_f64_e64 vcc, |v[11:12]|, s[26:27]
	s_mov_b32 s14, s30
	s_mov_b32 s37, s19
	v_cndmask_b32_e32 v32, v50, v38, vcc
	v_cndmask_b32_e32 v31, v11, v37, vcc
	v_mul_f64 v[37:38], v[35:36], v[31:32]
	v_mul_f64 v[39:40], v[33:34], v[31:32]
	;; [unrolled: 1-line block ×3, first 2 shown]
	v_fma_f64 v[35:36], v[35:36], v[31:32], -v[37:38]
	v_fma_f64 v[33:34], v[33:34], v[31:32], -v[39:40]
	;; [unrolled: 1-line block ×3, first 2 shown]
	v_add_f64 v[50:51], v[39:40], v[35:36]
	v_add_f64 v[52:53], v[50:51], -v[39:40]
	v_add_f64 v[58:59], v[37:38], v[50:51]
	v_add_f64 v[54:55], v[50:51], -v[52:53]
	v_add_f64 v[35:36], v[35:36], -v[52:53]
	v_add_f64 v[52:53], v[56:57], v[33:34]
	v_add_f64 v[37:38], v[58:59], -v[37:38]
	v_add_f64 v[39:40], v[39:40], -v[54:55]
	v_ldexp_f64 v[54:55], v[58:59], -2
	v_add_f64 v[60:61], v[52:53], -v[56:57]
	v_add_f64 v[37:38], v[50:51], -v[37:38]
	v_add_f64 v[35:36], v[35:36], v[39:40]
	v_fract_f64_e32 v[39:40], v[54:55]
	v_cmp_neq_f64_e64 vcc, |v[54:55]|, s[28:29]
	v_add_f64 v[33:34], v[33:34], -v[60:61]
	v_add_f64 v[50:51], v[52:53], v[35:36]
	v_ldexp_f64 v[39:40], v[39:40], 2
	v_add_f64 v[54:55], v[37:38], v[50:51]
	v_cndmask_b32_e32 v40, 0, v40, vcc
	v_cndmask_b32_e32 v39, 0, v39, vcc
	v_add_f64 v[62:63], v[50:51], -v[52:53]
	v_add_f64 v[58:59], v[54:55], v[39:40]
	v_add_f64 v[31:32], v[54:55], -v[37:38]
	v_add_f64 v[64:65], v[50:51], -v[62:63]
	;; [unrolled: 1-line block ×3, first 2 shown]
	v_cmp_gt_f64_e32 vcc, 0, v[58:59]
	v_add_f64 v[58:59], v[52:53], -v[60:61]
	v_add_f64 v[31:32], v[50:51], -v[31:32]
	;; [unrolled: 1-line block ×3, first 2 shown]
	v_cndmask_b32_e32 v18, 0, v43, vcc
	v_add_f64 v[39:40], v[39:40], v[17:18]
	v_add_f64 v[58:59], v[56:57], -v[58:59]
	v_add_f64 v[35:36], v[35:36], v[52:53]
	v_add_f64 v[66:67], v[54:55], v[39:40]
	;; [unrolled: 1-line block ×3, first 2 shown]
	v_cvt_i32_f64_e32 v62, v[66:67]
	v_add_f64 v[33:34], v[33:34], v[35:36]
	v_cvt_f64_i32_e32 v[60:61], v62
	v_add_f64 v[39:40], v[39:40], -v[60:61]
	v_add_f64 v[29:30], v[29:30], v[33:34]
	v_add_f64 v[35:36], v[54:55], v[39:40]
	;; [unrolled: 1-line block ×3, first 2 shown]
	v_add_f64 v[33:34], v[35:36], -v[39:40]
	v_cmp_le_f64_e32 vcc, 0.5, v[35:36]
	v_add_f64 v[31:32], v[54:55], -v[33:34]
	v_cndmask_b32_e32 v18, 0, v44, vcc
	v_add_f64 v[29:30], v[29:30], v[31:32]
	v_add_f64 v[31:32], v[35:36], -v[17:18]
	v_addc_co_u32_e32 v18, vcc, 0, v62, vcc
	v_add_f64 v[33:34], v[31:32], v[29:30]
	v_mul_f64 v[35:36], v[33:34], s[14:15]
	v_add_f64 v[31:32], v[33:34], -v[31:32]
	v_fma_f64 v[37:38], v[33:34], s[14:15], -v[35:36]
	v_add_f64 v[29:30], v[29:30], -v[31:32]
	v_fma_f64 v[31:32], v[33:34], s[36:37], v[37:38]
	v_fma_f64 v[29:30], v[29:30], s[14:15], v[31:32]
	v_add_f64 v[31:32], v[35:36], v[29:30]
	v_add_f64 v[33:34], v[31:32], -v[35:36]
	v_add_f64 v[39:40], v[29:30], -v[33:34]
	s_andn2_saveexec_b64 s[0:1], s[0:1]
	s_cbranch_execnz .LBB155_79
	s_branch .LBB155_80
.LBB155_78:                             ;   in Loop: Header=BB155_7 Depth=1
	s_andn2_saveexec_b64 s[0:1], s[0:1]
	s_cbranch_execz .LBB155_80
.LBB155_79:                             ;   in Loop: Header=BB155_7 Depth=1
	v_mul_f64 v[29:30], |v[11:12]|, s[16:17]
	s_mov_b32 s18, s34
	v_rndne_f64_e32 v[29:30], v[29:30]
	v_fma_f64 v[31:32], v[29:30], s[30:31], |v[11:12]|
	v_mul_f64 v[33:34], v[29:30], s[34:35]
	v_cvt_i32_f64_e32 v18, v[29:30]
	v_fma_f64 v[39:40], v[29:30], s[34:35], v[31:32]
	v_add_f64 v[35:36], v[31:32], v[33:34]
	v_add_f64 v[37:38], v[31:32], -v[35:36]
	v_add_f64 v[35:36], v[35:36], -v[39:40]
	v_add_f64 v[31:32], v[37:38], v[33:34]
	v_fma_f64 v[33:34], v[29:30], s[18:19], v[33:34]
	v_add_f64 v[31:32], v[35:36], v[31:32]
	v_add_f64 v[31:32], v[31:32], -v[33:34]
	v_fma_f64 v[33:34], v[29:30], s[20:21], v[31:32]
	v_add_f64 v[31:32], v[39:40], v[33:34]
	v_add_f64 v[35:36], v[31:32], -v[39:40]
	v_add_f64 v[39:40], v[33:34], -v[35:36]
.LBB155_80:                             ;   in Loop: Header=BB155_7 Depth=1
	s_or_b64 exec, exec, s[0:1]
	v_mul_f64 v[29:30], v[25:26], v[25:26]
	v_mul_f64 v[33:34], v[31:32], v[31:32]
	v_mov_b32_e32 v35, s86
	v_mov_b32_e32 v36, s87
	;; [unrolled: 1-line block ×4, first 2 shown]
	v_mul_f64 v[60:61], v[27:28], 0.5
	v_mul_f64 v[68:69], v[39:40], 0.5
	v_fma_f64 v[37:38], v[29:30], s[88:89], v[35:36]
	v_fma_f64 v[35:36], v[33:34], s[88:89], v[35:36]
	;; [unrolled: 1-line block ×3, first 2 shown]
	v_mul_f64 v[54:55], v[29:30], 0.5
	v_fma_f64 v[50:51], v[33:34], s[78:79], v[50:51]
	v_mul_f64 v[56:57], v[33:34], 0.5
	v_mul_f64 v[62:63], v[25:26], -v[29:30]
	v_mul_f64 v[70:71], v[31:32], -v[33:34]
	v_fma_f64 v[37:38], v[29:30], v[37:38], s[90:91]
	v_fma_f64 v[35:36], v[33:34], v[35:36], s[90:91]
	v_fma_f64 v[52:53], v[29:30], v[52:53], s[80:81]
	v_add_f64 v[58:59], -v[54:55], 1.0
	v_fma_f64 v[50:51], v[33:34], v[50:51], s[80:81]
	v_add_f64 v[64:65], -v[56:57], 1.0
	s_mov_b32 s46, s56
	v_cmp_class_f64_e64 s[0:1], v[11:12], s55
	v_fma_f64 v[37:38], v[29:30], v[37:38], s[92:93]
	v_fma_f64 v[35:36], v[33:34], v[35:36], s[92:93]
	;; [unrolled: 1-line block ×3, first 2 shown]
	v_add_f64 v[66:67], -v[58:59], 1.0
	v_fma_f64 v[50:51], v[33:34], v[50:51], s[82:83]
	v_add_f64 v[72:73], -v[64:65], 1.0
	v_fma_f64 v[37:38], v[29:30], v[37:38], s[44:45]
	v_fma_f64 v[35:36], v[33:34], v[35:36], s[44:45]
	;; [unrolled: 1-line block ×3, first 2 shown]
	v_add_f64 v[54:55], v[66:67], -v[54:55]
	v_fma_f64 v[50:51], v[33:34], v[50:51], s[84:85]
	v_add_f64 v[56:57], v[72:73], -v[56:57]
	v_fma_f64 v[37:38], v[62:63], v[37:38], v[60:61]
	v_fma_f64 v[35:36], v[70:71], v[35:36], v[68:69]
	v_mul_f64 v[60:61], v[29:30], v[29:30]
	v_fma_f64 v[52:53], v[29:30], v[52:53], s[56:57]
	v_fma_f64 v[54:55], v[25:26], -v[27:28], v[54:55]
	v_fma_f64 v[27:28], v[29:30], v[37:38], -v[27:28]
	v_fma_f64 v[35:36], v[33:34], v[35:36], -v[39:40]
	v_mul_f64 v[29:30], v[33:34], v[33:34]
	v_fma_f64 v[33:34], v[33:34], v[50:51], s[56:57]
	v_fma_f64 v[37:38], v[31:32], -v[39:40], v[56:57]
	v_fma_f64 v[39:40], v[60:61], v[52:53], v[54:55]
	v_and_b32_e32 v50, 1, v49
	v_lshlrev_b32_e32 v49, 30, v49
	v_fma_f64 v[27:28], v[62:63], s[46:47], v[27:28]
	v_fma_f64 v[35:36], v[70:71], s[46:47], v[35:36]
	v_cmp_eq_u32_e32 vcc, 0, v50
	v_fma_f64 v[29:30], v[29:30], v[33:34], v[37:38]
	v_add_f64 v[33:34], v[58:59], v[39:40]
	v_and_b32_e32 v37, 1, v18
	v_lshlrev_b32_e32 v18, 30, v18
	v_add_f64 v[25:26], v[25:26], -v[27:28]
	v_add_f64 v[27:28], v[31:32], -v[35:36]
	v_xor_b32_e32 v38, v49, v12
	v_and_b32_e32 v18, 0x80000000, v18
	v_add_f64 v[29:30], v[64:65], v[29:30]
	v_and_b32_e32 v31, 0x80000000, v38
	v_cndmask_b32_e32 v25, v33, v25, vcc
	v_cndmask_b32_e32 v11, v34, v26, vcc
	v_xor_b32_e32 v12, 0x80000000, v28
	v_cmp_eq_u32_e32 vcc, 0, v37
	v_cndmask_b32_e32 v12, v12, v30, vcc
	v_cndmask_b32_e32 v26, v27, v29, vcc
	v_xor_b32_e32 v27, v11, v31
	v_xor_b32_e32 v18, v12, v18
	v_cndmask_b32_e64 v11, 0, v25, s[0:1]
	v_cndmask_b32_e64 v12, v48, v27, s[0:1]
	;; [unrolled: 1-line block ×4, first 2 shown]
	v_mul_f64 v[11:12], v[11:12], v[25:26]
.LBB155_81:                             ;   in Loop: Header=BB155_7 Depth=1
	s_or_b64 exec, exec, s[74:75]
	v_bfi_b32 v18, s48, 0, v12
	v_mov_b32_e32 v11, v17
	v_add_u32_e32 v10, -2.0, v10
	v_mov_b32_e32 v12, v18
.LBB155_82:                             ;   in Loop: Header=BB155_7 Depth=1
	s_or_b64 exec, exec, s[58:59]
.LBB155_83:                             ;   in Loop: Header=BB155_7 Depth=1
	s_or_b64 exec, exec, s[52:53]
	s_waitcnt vmcnt(0)
	v_and_b32_e32 v18, 0x7fffffff, v6
	v_cmp_gt_u32_e32 vcc, s54, v18
	s_and_saveexec_b64 s[0:1], vcc
	s_xor_b64 s[74:75], exec, s[0:1]
	s_cbranch_execz .LBB155_105
; %bb.84:                               ;   in Loop: Header=BB155_7 Depth=1
	v_cmp_class_f64_e64 s[0:1], v[7:8], s55
	s_and_saveexec_b64 s[52:53], s[0:1]
	s_xor_b64 s[52:53], exec, s[52:53]
	s_cbranch_execz .LBB155_102
; %bb.85:                               ;   in Loop: Header=BB155_7 Depth=1
	v_cmp_gt_u32_e32 vcc, s66, v18
	s_and_saveexec_b64 s[0:1], vcc
	s_xor_b64 s[58:59], exec, s[0:1]
	s_cbranch_execz .LBB155_91
; %bb.86:                               ;   in Loop: Header=BB155_7 Depth=1
	v_cmp_nlt_f64_e64 s[0:1], |v[7:8]|, s[24:25]
                                        ; implicit-def: $vgpr18
                                        ; implicit-def: $vgpr25_vgpr26
                                        ; implicit-def: $vgpr27_vgpr28
	s_and_saveexec_b64 s[60:61], s[0:1]
	s_xor_b64 s[0:1], exec, s[60:61]
	s_cbranch_execz .LBB155_88
; %bb.87:                               ;   in Loop: Header=BB155_7 Depth=1
	v_trig_preop_f64 v[25:26], |v[7:8]|, 0
	v_ldexp_f64 v[27:28], |v[7:8]|, s67
	v_cmp_ge_f64_e64 vcc, |v[7:8]|, s[26:27]
	v_trig_preop_f64 v[29:30], |v[7:8]|, 1
	v_and_b32_e32 v18, 0x7fffffff, v8
	v_trig_preop_f64 v[37:38], |v[7:8]|, 2
	s_mov_b32 s14, s30
	s_mov_b32 s37, s19
	v_cndmask_b32_e32 v28, v18, v28, vcc
	v_cndmask_b32_e32 v27, v7, v27, vcc
	v_mul_f64 v[31:32], v[25:26], v[27:28]
	v_mul_f64 v[33:34], v[29:30], v[27:28]
	;; [unrolled: 1-line block ×3, first 2 shown]
	v_fma_f64 v[25:26], v[25:26], v[27:28], -v[31:32]
	v_fma_f64 v[29:30], v[29:30], v[27:28], -v[33:34]
	;; [unrolled: 1-line block ×3, first 2 shown]
	v_add_f64 v[35:36], v[33:34], v[25:26]
	v_add_f64 v[39:40], v[35:36], -v[33:34]
	v_add_f64 v[53:54], v[31:32], v[35:36]
	v_add_f64 v[49:50], v[35:36], -v[39:40]
	v_add_f64 v[25:26], v[25:26], -v[39:40]
	v_add_f64 v[39:40], v[51:52], v[29:30]
	v_add_f64 v[31:32], v[53:54], -v[31:32]
	v_add_f64 v[33:34], v[33:34], -v[49:50]
	v_ldexp_f64 v[49:50], v[53:54], -2
	v_add_f64 v[55:56], v[39:40], -v[51:52]
	v_add_f64 v[31:32], v[35:36], -v[31:32]
	v_add_f64 v[25:26], v[25:26], v[33:34]
	v_fract_f64_e32 v[33:34], v[49:50]
	v_cmp_neq_f64_e64 vcc, |v[49:50]|, s[28:29]
	v_add_f64 v[29:30], v[29:30], -v[55:56]
	v_add_f64 v[35:36], v[39:40], v[25:26]
	v_ldexp_f64 v[33:34], v[33:34], 2
	v_add_f64 v[49:50], v[31:32], v[35:36]
	v_cndmask_b32_e32 v34, 0, v34, vcc
	v_cndmask_b32_e32 v33, 0, v33, vcc
	v_add_f64 v[57:58], v[35:36], -v[39:40]
	v_add_f64 v[53:54], v[49:50], v[33:34]
	v_add_f64 v[31:32], v[49:50], -v[31:32]
	v_add_f64 v[59:60], v[35:36], -v[57:58]
	v_add_f64 v[25:26], v[25:26], -v[57:58]
	v_cmp_gt_f64_e32 vcc, 0, v[53:54]
	v_add_f64 v[53:54], v[39:40], -v[55:56]
	v_add_f64 v[31:32], v[35:36], -v[31:32]
	;; [unrolled: 1-line block ×3, first 2 shown]
	v_cndmask_b32_e32 v18, 0, v43, vcc
	v_add_f64 v[33:34], v[33:34], v[17:18]
	v_add_f64 v[53:54], v[51:52], -v[53:54]
	v_add_f64 v[25:26], v[25:26], v[39:40]
	v_add_f64 v[61:62], v[49:50], v[33:34]
	;; [unrolled: 1-line block ×3, first 2 shown]
	v_cvt_i32_f64_e32 v57, v[61:62]
	v_add_f64 v[25:26], v[29:30], v[25:26]
	v_cvt_f64_i32_e32 v[55:56], v57
	v_add_f64 v[33:34], v[33:34], -v[55:56]
	v_add_f64 v[25:26], v[27:28], v[25:26]
	v_add_f64 v[29:30], v[49:50], v[33:34]
	;; [unrolled: 1-line block ×3, first 2 shown]
	v_add_f64 v[27:28], v[29:30], -v[33:34]
	v_cmp_le_f64_e32 vcc, 0.5, v[29:30]
	v_add_f64 v[27:28], v[49:50], -v[27:28]
	v_cndmask_b32_e32 v18, 0, v44, vcc
	v_add_f64 v[25:26], v[25:26], v[27:28]
	v_add_f64 v[27:28], v[29:30], -v[17:18]
	v_addc_co_u32_e32 v18, vcc, 0, v57, vcc
	v_add_f64 v[29:30], v[27:28], v[25:26]
	v_mul_f64 v[31:32], v[29:30], s[14:15]
	v_add_f64 v[27:28], v[29:30], -v[27:28]
	v_fma_f64 v[33:34], v[29:30], s[14:15], -v[31:32]
	v_add_f64 v[25:26], v[25:26], -v[27:28]
	v_fma_f64 v[27:28], v[29:30], s[36:37], v[33:34]
	v_fma_f64 v[27:28], v[25:26], s[14:15], v[27:28]
	v_add_f64 v[25:26], v[31:32], v[27:28]
	v_add_f64 v[29:30], v[25:26], -v[31:32]
	v_add_f64 v[27:28], v[27:28], -v[29:30]
.LBB155_88:                             ;   in Loop: Header=BB155_7 Depth=1
	s_andn2_saveexec_b64 s[0:1], s[0:1]
	s_cbranch_execz .LBB155_90
; %bb.89:                               ;   in Loop: Header=BB155_7 Depth=1
	v_mul_f64 v[25:26], |v[7:8]|, s[16:17]
	s_mov_b32 s18, s34
	v_rndne_f64_e32 v[29:30], v[25:26]
	v_fma_f64 v[25:26], v[29:30], s[30:31], |v[7:8]|
	v_mul_f64 v[27:28], v[29:30], s[34:35]
	v_cvt_i32_f64_e32 v18, v[29:30]
	v_fma_f64 v[35:36], v[29:30], s[34:35], v[25:26]
	v_add_f64 v[31:32], v[25:26], v[27:28]
	v_add_f64 v[33:34], v[25:26], -v[31:32]
	v_add_f64 v[31:32], v[31:32], -v[35:36]
	v_add_f64 v[25:26], v[33:34], v[27:28]
	v_fma_f64 v[27:28], v[29:30], s[18:19], v[27:28]
	v_add_f64 v[25:26], v[31:32], v[25:26]
	v_add_f64 v[25:26], v[25:26], -v[27:28]
	v_fma_f64 v[27:28], v[29:30], s[20:21], v[25:26]
	v_add_f64 v[25:26], v[35:36], v[27:28]
	v_add_f64 v[31:32], v[25:26], -v[35:36]
	v_add_f64 v[27:28], v[27:28], -v[31:32]
.LBB155_90:                             ;   in Loop: Header=BB155_7 Depth=1
	s_or_b64 exec, exec, s[0:1]
	v_add_f64 v[29:30], |v[5:6]|, s[42:43]
	s_mov_b32 s50, s42
	s_mov_b32 s0, 0x3b39803f
	;; [unrolled: 1-line block ×7, first 2 shown]
	v_add_f64 v[31:32], v[29:30], -|v[5:6]|
	v_and_b32_e32 v18, 1, v18
	v_add_f64 v[33:34], v[31:32], -v[29:30]
	v_add_f64 v[31:32], v[31:32], s[50:51]
	v_add_f64 v[33:34], |v[5:6]|, v[33:34]
	v_add_f64 v[31:32], v[33:34], -v[31:32]
	v_add_f64 v[31:32], v[31:32], s[0:1]
	s_mov_b32 s0, 0xf278e000
	s_mov_b32 s1, 0xbd53de6a
	v_add_f64 v[33:34], v[29:30], v[31:32]
	v_mul_f64 v[35:36], v[33:34], s[8:9]
	v_add_f64 v[29:30], v[29:30], -v[33:34]
	v_rndne_f64_e32 v[35:36], v[35:36]
	v_add_f64 v[29:30], v[31:32], v[29:30]
	v_fma_f64 v[31:32], v[35:36], s[38:39], v[33:34]
	v_mul_f64 v[33:34], v[35:36], s[0:1]
	s_mov_b32 s0, 0xf97b57a0
	s_mov_b32 s1, 0xbac9cc01
	v_cvt_i32_f64_e32 v7, v[35:36]
	v_add_f64 v[37:38], v[29:30], v[31:32]
	v_add_f64 v[39:40], v[37:38], v[33:34]
	v_add_f64 v[31:32], v[31:32], -v[37:38]
	v_add_f64 v[37:38], v[37:38], -v[39:40]
	v_add_f64 v[29:30], v[29:30], v[31:32]
	v_add_f64 v[31:32], v[37:38], v[33:34]
	;; [unrolled: 1-line block ×3, first 2 shown]
	v_mul_f64 v[31:32], v[35:36], s[0:1]
	s_mov_b32 s0, 0x6a5dcb37
	s_mov_b32 s1, 0x3e5ade15
	v_add_f64 v[33:34], v[39:40], v[29:30]
	v_add_f64 v[37:38], v[33:34], v[31:32]
	v_add_f64 v[39:40], v[39:40], -v[33:34]
	v_add_f64 v[33:34], v[33:34], -v[37:38]
	v_add_f64 v[29:30], v[29:30], v[39:40]
	v_add_f64 v[31:32], v[33:34], v[31:32]
	;; [unrolled: 1-line block ×4, first 2 shown]
	v_fma_f64 v[33:34], v[31:32], s[0:1], v[21:22]
	s_mov_b32 s0, 0x623fde64
	s_mov_b32 s1, 0x3ec71dee
	v_add_f64 v[37:38], v[37:38], -v[31:32]
	v_mul_f64 v[39:40], v[31:32], v[31:32]
	v_fma_f64 v[33:34], v[31:32], v[33:34], s[0:1]
	s_mov_b32 s0, 0x7c89e6b0
	s_mov_b32 s1, 0x3efa0199
	v_add_f64 v[29:30], v[29:30], v[37:38]
	v_fma_f64 v[37:38], v[31:32], v[31:32], -v[39:40]
	v_fma_f64 v[33:34], v[31:32], v[33:34], s[0:1]
	s_mov_b32 s0, 0x14761f6e
	s_mov_b32 s1, 0x3f2a01a0
	v_add_f64 v[49:50], v[29:30], v[29:30]
	v_fma_f64 v[33:34], v[31:32], v[33:34], s[0:1]
	s_mov_b32 s0, 0x1852b7b0
	s_mov_b32 s1, 0x3f56c16c
	v_fma_f64 v[37:38], v[31:32], v[49:50], v[37:38]
	v_fma_f64 v[33:34], v[31:32], v[33:34], s[0:1]
	s_mov_b32 s0, 0x55555511
	s_mov_b32 s1, 0x3fc55555
	v_add_f64 v[49:50], v[39:40], v[37:38]
	v_fma_f64 v[33:34], v[31:32], v[33:34], s[94:95]
	v_add_f64 v[39:40], v[49:50], -v[39:40]
	v_fma_f64 v[33:34], v[31:32], v[33:34], s[68:69]
	v_add_f64 v[37:38], v[37:38], -v[39:40]
	v_fma_f64 v[33:34], v[31:32], v[33:34], s[0:1]
	s_mov_b32 s0, 0xc751c08c
	s_mov_b32 s1, 0x3ef5e089
	v_fma_f64 v[33:34], v[31:32], v[33:34], s[72:73]
	v_mul_f64 v[51:52], v[49:50], v[33:34]
	v_fma_f64 v[39:40], v[49:50], v[33:34], -v[51:52]
	v_fma_f64 v[33:34], v[37:38], v[33:34], v[39:40]
	v_add_f64 v[37:38], v[51:52], v[33:34]
	v_add_f64 v[39:40], v[31:32], v[37:38]
	v_add_f64 v[49:50], v[37:38], -v[51:52]
	v_add_f64 v[31:32], v[39:40], -v[31:32]
	;; [unrolled: 1-line block ×3, first 2 shown]
	v_add_f64 v[49:50], v[27:28], v[27:28]
	v_add_f64 v[31:32], v[37:38], -v[31:32]
	v_add_f64 v[29:30], v[29:30], v[33:34]
	v_add_f64 v[29:30], v[29:30], v[31:32]
	;; [unrolled: 1-line block ×3, first 2 shown]
	v_add_f64 v[33:34], v[31:32], 1.0
	v_add_f64 v[37:38], v[31:32], -v[39:40]
	v_add_f64 v[39:40], v[33:34], -1.0
	v_add_f64 v[29:30], v[29:30], -v[37:38]
	v_add_f64 v[31:32], v[31:32], -v[39:40]
	v_add_f64 v[29:30], v[29:30], v[31:32]
	v_add_f64 v[31:32], v[33:34], v[29:30]
	v_ldexp_f64 v[35:36], v[31:32], v7
	v_add_f64 v[31:32], v[31:32], -v[33:34]
	v_rcp_f64_e32 v[37:38], v[35:36]
	v_add_f64 v[29:30], v[29:30], -v[31:32]
	v_ldexp_f64 v[29:30], v[29:30], v7
	v_fma_f64 v[39:40], -v[35:36], v[37:38], 1.0
	v_fma_f64 v[37:38], v[39:40], v[37:38], v[37:38]
	v_fma_f64 v[39:40], -v[35:36], v[37:38], 1.0
	v_fma_f64 v[33:34], v[39:40], v[37:38], v[37:38]
	v_mul_f64 v[37:38], v[25:26], v[25:26]
	v_mul_f64 v[31:32], v[35:36], v[33:34]
	v_fma_f64 v[51:52], v[25:26], v[25:26], -v[37:38]
	v_fma_f64 v[39:40], v[33:34], v[35:36], -v[31:32]
	v_fma_f64 v[49:50], v[25:26], v[49:50], v[51:52]
	v_fma_f64 v[39:40], v[33:34], v[29:30], v[39:40]
	v_add_f64 v[37:38], v[37:38], v[49:50]
	v_add_f64 v[51:52], v[31:32], v[39:40]
	v_fma_f64 v[53:54], v[37:38], s[0:1], v[19:20]
	s_mov_b32 s0, 0x90a8aae0
	s_mov_b32 s1, 0x3f17746f
	v_add_f64 v[49:50], -v[51:52], 1.0
	v_add_f64 v[31:32], v[51:52], -v[31:32]
	v_fma_f64 v[53:54], v[37:38], v[53:54], s[0:1]
	s_mov_b32 s0, 0xa6fbf144
	s_mov_b32 s1, 0xbefbb44d
	v_add_f64 v[55:56], -v[49:50], 1.0
	v_add_f64 v[31:32], v[31:32], -v[39:40]
	v_add_f64 v[39:40], v[55:56], -v[51:52]
	v_fma_f64 v[51:52], v[37:38], v[53:54], s[0:1]
	s_mov_b32 s0, 0xa7943acf
	s_mov_b32 s1, 0x3f21e634
	v_add_f64 v[31:32], v[31:32], v[39:40]
	v_fma_f64 v[39:40], v[37:38], v[51:52], s[0:1]
	s_mov_b32 s0, 0xdeb68feb
	s_mov_b32 s1, 0x3f2d250f
	v_add_f64 v[51:52], v[49:50], v[31:32]
	v_fma_f64 v[39:40], v[37:38], v[39:40], s[0:1]
	s_mov_b32 s0, 0xb58c4d95
	s_mov_b32 s1, 0x3f437fd9
	v_mul_f64 v[53:54], v[33:34], v[51:52]
	v_fma_f64 v[39:40], v[37:38], v[39:40], s[0:1]
	s_mov_b32 s0, 0x15120e2c
	s_mov_b32 s1, 0x3f57d5af
	v_add_f64 v[49:50], v[49:50], -v[51:52]
	v_mul_f64 v[55:56], v[35:36], v[53:54]
	v_fma_f64 v[39:40], v[37:38], v[39:40], s[0:1]
	s_mov_b32 s0, 0xe09491df
	s_mov_b32 s1, 0x3f6d6d93
	v_add_f64 v[31:32], v[31:32], v[49:50]
	v_fma_f64 v[57:58], v[53:54], v[35:36], -v[55:56]
	v_fma_f64 v[39:40], v[37:38], v[39:40], s[0:1]
	s_mov_b32 s0, 0x2033784d
	s_mov_b32 s1, 0x3f8226e1
	v_fma_f64 v[57:58], v[53:54], v[29:30], v[57:58]
	v_fma_f64 v[39:40], v[37:38], v[39:40], s[0:1]
	s_mov_b32 s0, 0x9ac36ae2
	s_mov_b32 s1, 0x3f9664f4
	v_add_f64 v[59:60], v[55:56], v[57:58]
	v_fma_f64 v[39:40], v[37:38], v[39:40], s[0:1]
	s_mov_b32 s0, 0x1b451c21
	s_mov_b32 s1, 0x3faba1ba
	v_add_f64 v[61:62], v[51:52], -v[59:60]
	v_fma_f64 v[39:40], v[37:38], v[39:40], s[0:1]
	s_mov_b32 s0, 0x111185b7
	s_mov_b32 s1, 0x3fc11111
	v_add_f64 v[49:50], v[59:60], -v[55:56]
	v_add_f64 v[51:52], v[51:52], -v[61:62]
	v_fma_f64 v[39:40], v[37:38], v[39:40], s[0:1]
	s_mov_b32 s0, 0x555554ee
	s_mov_b32 s1, 0x3fd55555
	v_add_f64 v[49:50], v[49:50], -v[57:58]
	v_add_f64 v[51:52], v[51:52], -v[59:60]
	v_fma_f64 v[39:40], v[37:38], v[39:40], s[0:1]
	s_mov_b32 s0, 0x8fb9f87e
	s_mov_b32 s1, 0x408633ce
	v_cmp_nge_f64_e64 vcc, |v[5:6]|, s[0:1]
	s_mov_b32 s0, 0
	s_mov_b32 s1, 0x3e400000
	v_add_f64 v[31:32], v[31:32], v[51:52]
	v_mul_f64 v[37:38], v[37:38], v[39:40]
	v_add_f64 v[39:40], v[33:34], v[53:54]
	v_add_f64 v[31:32], v[49:50], v[31:32]
	v_mul_f64 v[49:50], v[25:26], v[37:38]
	v_add_f64 v[51:52], v[39:40], -v[33:34]
	v_add_f64 v[31:32], v[61:62], v[31:32]
	v_add_f64 v[55:56], v[25:26], v[49:50]
	v_add_f64 v[51:52], v[53:54], -v[51:52]
	v_mul_f64 v[31:32], v[33:34], v[31:32]
	v_fma_f64 v[33:34], v[25:26], v[37:38], -v[49:50]
	v_add_f64 v[25:26], v[55:56], -v[25:26]
	v_add_f64 v[31:32], v[51:52], v[31:32]
	v_add_f64 v[27:28], v[27:28], v[33:34]
	v_add_f64 v[25:26], v[49:50], -v[25:26]
	v_add_f64 v[33:34], v[39:40], v[31:32]
	v_add_f64 v[25:26], v[27:28], v[25:26]
	v_ldexp_f64 v[27:28], v[33:34], -2
	v_add_f64 v[33:34], v[33:34], -v[39:40]
	v_add_f64 v[37:38], v[55:56], v[25:26]
	v_add_f64 v[49:50], v[35:36], -v[27:28]
	v_add_f64 v[31:32], v[31:32], -v[33:34]
	v_rcp_f64_e32 v[51:52], v[37:38]
	v_add_f64 v[35:36], v[35:36], -v[49:50]
	v_ldexp_f64 v[31:32], v[31:32], -2
	v_add_f64 v[27:28], v[35:36], -v[27:28]
	v_fma_f64 v[33:34], -v[37:38], v[51:52], 1.0
	v_add_f64 v[27:28], v[29:30], v[27:28]
	v_fma_f64 v[29:30], v[33:34], v[51:52], v[51:52]
	v_and_b32_e32 v34, 0x7fffffff, v6
	v_add_f64 v[27:28], v[27:28], -v[31:32]
	v_fma_f64 v[31:32], -v[37:38], v[29:30], 1.0
	v_add_f64 v[27:28], v[49:50], v[27:28]
	v_fma_f64 v[29:30], v[31:32], v[29:30], v[29:30]
	v_cndmask_b32_e32 v7, v45, v28, vcc
	v_cndmask_b32_e32 v33, 0, v27, vcc
	v_cmp_lt_f64_e64 vcc, |v[5:6]|, s[0:1]
	v_add_f64 v[27:28], v[37:38], -v[55:56]
	v_mul_f64 v[31:32], v[37:38], v[29:30]
	s_mov_b32 s0, 0
	s_brev_b32 s1, 8
	v_cndmask_b32_e32 v7, v7, v34, vcc
	v_cndmask_b32_e32 v5, v33, v5, vcc
	v_bfi_b32 v6, s48, v7, v6
	v_fma_f64 v[33:34], v[5:6], v[5:6], 1.0
	v_add_f64 v[25:26], v[25:26], -v[27:28]
	v_fma_f64 v[27:28], v[29:30], v[37:38], -v[31:32]
	v_cmp_gt_f64_e32 vcc, s[0:1], v[33:34]
	v_cmp_eq_u32_e64 s[0:1], 0, v18
	v_fma_f64 v[25:26], v[29:30], v[25:26], v[27:28]
	v_cndmask_b32_e32 v7, 0, v46, vcc
	v_ldexp_f64 v[33:34], v[33:34], v7
	v_add_f64 v[35:36], v[31:32], v[25:26]
	v_rsq_f64_e32 v[27:28], v[33:34]
	v_add_f64 v[39:40], -v[35:36], 1.0
	v_add_f64 v[31:32], v[35:36], -v[31:32]
	v_add_f64 v[51:52], -v[39:40], 1.0
	v_add_f64 v[25:26], v[31:32], -v[25:26]
	v_mul_f64 v[49:50], v[33:34], v[27:28]
	v_mul_f64 v[27:28], v[27:28], 0.5
	v_add_f64 v[35:36], v[51:52], -v[35:36]
	v_fma_f64 v[31:32], -v[27:28], v[49:50], 0.5
	v_add_f64 v[25:26], v[25:26], v[35:36]
	v_fma_f64 v[49:50], v[49:50], v[31:32], v[49:50]
	v_fma_f64 v[27:28], v[27:28], v[31:32], v[27:28]
	v_add_f64 v[25:26], v[39:40], v[25:26]
	v_fma_f64 v[31:32], -v[49:50], v[49:50], v[33:34]
	v_mul_f64 v[25:26], v[29:30], v[25:26]
	v_fma_f64 v[31:32], v[31:32], v[27:28], v[49:50]
	v_add_f64 v[25:26], v[29:30], v[25:26]
	v_and_b32_e32 v29, 0x80000000, v8
	v_fma_f64 v[35:36], -v[31:32], v[31:32], v[33:34]
	v_xor_b32_e32 v26, 0x80000000, v26
	v_cndmask_b32_e64 v18, v26, v38, s[0:1]
	v_xor_b32_e32 v26, v18, v29
	v_cndmask_b32_e32 v18, 0, v47, vcc
	v_cndmask_b32_e64 v25, v25, v37, s[0:1]
	v_cmp_class_f64_e32 vcc, v[33:34], v42
	v_fma_f64 v[7:8], v[35:36], v[27:28], v[31:32]
	v_fma_f64 v[27:28], v[25:26], v[25:26], 1.0
	v_ldexp_f64 v[7:8], v[7:8], v18
	v_mul_f64 v[29:30], v[5:6], v[27:28]
	v_cndmask_b32_e32 v8, v8, v34, vcc
	v_cndmask_b32_e32 v7, v7, v33, vcc
	v_mul_f64 v[7:8], v[7:8], v[27:28]
	v_fma_f64 v[27:28], v[5:6], v[29:30], 1.0
	v_mul_f64 v[5:6], v[5:6], v[7:8]
	v_div_scale_f64 v[29:30], s[0:1], v[27:28], v[27:28], v[25:26]
	v_div_scale_f64 v[7:8], s[0:1], v[27:28], v[27:28], v[5:6]
	;; [unrolled: 1-line block ×3, first 2 shown]
	v_rcp_f64_e32 v[33:34], v[29:30]
	v_rcp_f64_e32 v[31:32], v[7:8]
	v_fma_f64 v[37:38], -v[29:30], v[33:34], 1.0
	v_fma_f64 v[35:36], -v[7:8], v[31:32], 1.0
	v_fma_f64 v[33:34], v[33:34], v[37:38], v[33:34]
	v_fma_f64 v[31:32], v[31:32], v[35:36], v[31:32]
	v_div_scale_f64 v[35:36], vcc, v[5:6], v[27:28], v[5:6]
	v_fma_f64 v[49:50], -v[29:30], v[33:34], 1.0
	v_fma_f64 v[37:38], -v[7:8], v[31:32], 1.0
	v_fma_f64 v[33:34], v[33:34], v[49:50], v[33:34]
	v_fma_f64 v[31:32], v[31:32], v[37:38], v[31:32]
	v_mul_f64 v[49:50], v[39:40], v[33:34]
	v_mul_f64 v[37:38], v[35:36], v[31:32]
	v_fma_f64 v[29:30], -v[29:30], v[49:50], v[39:40]
	v_fma_f64 v[7:8], -v[7:8], v[37:38], v[35:36]
	v_div_fmas_f64 v[7:8], v[7:8], v[31:32], v[37:38]
	s_mov_b64 vcc, s[0:1]
	v_div_fmas_f64 v[29:30], v[29:30], v[33:34], v[49:50]
	v_div_fixup_f64 v[5:6], v[7:8], v[27:28], v[5:6]
	v_div_fixup_f64 v[7:8], v[29:30], v[27:28], v[25:26]
.LBB155_91:                             ;   in Loop: Header=BB155_7 Depth=1
	s_andn2_saveexec_b64 s[0:1], s[58:59]
	s_cbranch_execz .LBB155_101
; %bb.92:                               ;   in Loop: Header=BB155_7 Depth=1
	v_cmp_nlt_f64_e64 s[58:59], |v[7:8]|, s[24:25]
                                        ; implicit-def: $vgpr33
                                        ; implicit-def: $vgpr25_vgpr26
                                        ; implicit-def: $vgpr27_vgpr28
	s_and_saveexec_b64 s[60:61], s[58:59]
	s_xor_b64 s[60:61], exec, s[60:61]
	s_cbranch_execz .LBB155_94
; %bb.93:                               ;   in Loop: Header=BB155_7 Depth=1
	v_trig_preop_f64 v[25:26], |v[7:8]|, 0
	v_ldexp_f64 v[27:28], |v[7:8]|, s67
	v_cmp_ge_f64_e64 vcc, |v[7:8]|, s[26:27]
	v_trig_preop_f64 v[29:30], |v[7:8]|, 1
	v_and_b32_e32 v18, 0x7fffffff, v8
	v_trig_preop_f64 v[37:38], |v[7:8]|, 2
	s_mov_b32 s14, s30
	s_mov_b32 s37, s19
	v_cndmask_b32_e32 v28, v18, v28, vcc
	v_cndmask_b32_e32 v27, v7, v27, vcc
	v_mul_f64 v[31:32], v[25:26], v[27:28]
	v_mul_f64 v[33:34], v[29:30], v[27:28]
	;; [unrolled: 1-line block ×3, first 2 shown]
	v_fma_f64 v[25:26], v[25:26], v[27:28], -v[31:32]
	v_fma_f64 v[29:30], v[29:30], v[27:28], -v[33:34]
	;; [unrolled: 1-line block ×3, first 2 shown]
	v_add_f64 v[35:36], v[33:34], v[25:26]
	v_add_f64 v[39:40], v[35:36], -v[33:34]
	v_add_f64 v[53:54], v[31:32], v[35:36]
	v_add_f64 v[49:50], v[35:36], -v[39:40]
	v_add_f64 v[25:26], v[25:26], -v[39:40]
	v_add_f64 v[39:40], v[51:52], v[29:30]
	v_add_f64 v[31:32], v[53:54], -v[31:32]
	v_add_f64 v[33:34], v[33:34], -v[49:50]
	v_ldexp_f64 v[49:50], v[53:54], -2
	v_add_f64 v[55:56], v[39:40], -v[51:52]
	v_add_f64 v[31:32], v[35:36], -v[31:32]
	v_add_f64 v[25:26], v[25:26], v[33:34]
	v_fract_f64_e32 v[33:34], v[49:50]
	v_cmp_neq_f64_e64 vcc, |v[49:50]|, s[28:29]
	v_add_f64 v[29:30], v[29:30], -v[55:56]
	v_add_f64 v[35:36], v[39:40], v[25:26]
	v_ldexp_f64 v[33:34], v[33:34], 2
	v_add_f64 v[49:50], v[31:32], v[35:36]
	v_cndmask_b32_e32 v34, 0, v34, vcc
	v_cndmask_b32_e32 v33, 0, v33, vcc
	v_add_f64 v[57:58], v[35:36], -v[39:40]
	v_add_f64 v[53:54], v[49:50], v[33:34]
	v_add_f64 v[31:32], v[49:50], -v[31:32]
	v_add_f64 v[59:60], v[35:36], -v[57:58]
	;; [unrolled: 1-line block ×3, first 2 shown]
	v_cmp_gt_f64_e32 vcc, 0, v[53:54]
	v_add_f64 v[53:54], v[39:40], -v[55:56]
	v_add_f64 v[31:32], v[35:36], -v[31:32]
	;; [unrolled: 1-line block ×3, first 2 shown]
	v_cndmask_b32_e32 v18, 0, v43, vcc
	v_add_f64 v[33:34], v[33:34], v[17:18]
	v_add_f64 v[53:54], v[51:52], -v[53:54]
	v_add_f64 v[25:26], v[25:26], v[39:40]
	v_add_f64 v[61:62], v[49:50], v[33:34]
	v_add_f64 v[29:30], v[29:30], v[53:54]
	v_cvt_i32_f64_e32 v57, v[61:62]
	v_add_f64 v[25:26], v[29:30], v[25:26]
	v_cvt_f64_i32_e32 v[55:56], v57
	v_add_f64 v[33:34], v[33:34], -v[55:56]
	v_add_f64 v[25:26], v[27:28], v[25:26]
	v_add_f64 v[29:30], v[49:50], v[33:34]
	;; [unrolled: 1-line block ×3, first 2 shown]
	v_add_f64 v[27:28], v[29:30], -v[33:34]
	v_cmp_le_f64_e32 vcc, 0.5, v[29:30]
	v_add_f64 v[27:28], v[49:50], -v[27:28]
	v_cndmask_b32_e32 v18, 0, v44, vcc
	v_add_f64 v[25:26], v[25:26], v[27:28]
	v_add_f64 v[27:28], v[29:30], -v[17:18]
	v_add_f64 v[29:30], v[27:28], v[25:26]
	v_mul_f64 v[31:32], v[29:30], s[14:15]
	v_add_f64 v[27:28], v[29:30], -v[27:28]
	v_fma_f64 v[33:34], v[29:30], s[14:15], -v[31:32]
	v_add_f64 v[25:26], v[25:26], -v[27:28]
	v_fma_f64 v[27:28], v[29:30], s[36:37], v[33:34]
	v_addc_co_u32_e32 v33, vcc, 0, v57, vcc
	v_fma_f64 v[27:28], v[25:26], s[14:15], v[27:28]
	v_add_f64 v[25:26], v[31:32], v[27:28]
	v_add_f64 v[29:30], v[25:26], -v[31:32]
	v_add_f64 v[27:28], v[27:28], -v[29:30]
	s_andn2_saveexec_b64 s[60:61], s[60:61]
	s_cbranch_execz .LBB155_96
	s_branch .LBB155_95
.LBB155_94:                             ;   in Loop: Header=BB155_7 Depth=1
	s_andn2_saveexec_b64 s[60:61], s[60:61]
	s_cbranch_execz .LBB155_96
.LBB155_95:                             ;   in Loop: Header=BB155_7 Depth=1
	v_mul_f64 v[25:26], |v[7:8]|, s[16:17]
	s_mov_b32 s18, s34
	v_rndne_f64_e32 v[29:30], v[25:26]
	v_fma_f64 v[25:26], v[29:30], s[30:31], |v[7:8]|
	v_mul_f64 v[27:28], v[29:30], s[34:35]
	v_fma_f64 v[35:36], v[29:30], s[34:35], v[25:26]
	v_add_f64 v[31:32], v[25:26], v[27:28]
	v_add_f64 v[33:34], v[25:26], -v[31:32]
	v_add_f64 v[31:32], v[31:32], -v[35:36]
	v_add_f64 v[25:26], v[33:34], v[27:28]
	v_fma_f64 v[27:28], v[29:30], s[18:19], v[27:28]
	v_cvt_i32_f64_e32 v33, v[29:30]
	v_add_f64 v[25:26], v[31:32], v[25:26]
	v_add_f64 v[25:26], v[25:26], -v[27:28]
	v_fma_f64 v[27:28], v[29:30], s[20:21], v[25:26]
	v_add_f64 v[25:26], v[35:36], v[27:28]
	v_add_f64 v[31:32], v[25:26], -v[35:36]
	v_add_f64 v[27:28], v[27:28], -v[31:32]
.LBB155_96:                             ;   in Loop: Header=BB155_7 Depth=1
	s_or_b64 exec, exec, s[60:61]
                                        ; implicit-def: $vgpr18
                                        ; implicit-def: $vgpr29_vgpr30
                                        ; implicit-def: $vgpr31_vgpr32
	s_and_saveexec_b64 s[60:61], s[58:59]
	s_xor_b64 s[58:59], exec, s[60:61]
	s_cbranch_execz .LBB155_98
; %bb.97:                               ;   in Loop: Header=BB155_7 Depth=1
	v_trig_preop_f64 v[29:30], |v[7:8]|, 0
	v_ldexp_f64 v[31:32], |v[7:8]|, s67
	v_cmp_ge_f64_e64 vcc, |v[7:8]|, s[26:27]
	v_trig_preop_f64 v[34:35], |v[7:8]|, 1
	v_and_b32_e32 v18, 0x7fffffff, v8
	v_trig_preop_f64 v[51:52], |v[7:8]|, 2
	s_mov_b32 s14, s30
	s_mov_b32 s37, s19
	v_cndmask_b32_e32 v32, v18, v32, vcc
	v_cndmask_b32_e32 v31, v7, v31, vcc
	v_mul_f64 v[36:37], v[29:30], v[31:32]
	v_mul_f64 v[38:39], v[34:35], v[31:32]
	;; [unrolled: 1-line block ×3, first 2 shown]
	v_fma_f64 v[29:30], v[29:30], v[31:32], -v[36:37]
	v_fma_f64 v[34:35], v[34:35], v[31:32], -v[38:39]
	;; [unrolled: 1-line block ×3, first 2 shown]
	v_add_f64 v[49:50], v[38:39], v[29:30]
	v_add_f64 v[53:54], v[49:50], -v[38:39]
	v_add_f64 v[59:60], v[36:37], v[49:50]
	v_add_f64 v[55:56], v[49:50], -v[53:54]
	v_add_f64 v[29:30], v[29:30], -v[53:54]
	v_add_f64 v[53:54], v[57:58], v[34:35]
	v_add_f64 v[36:37], v[59:60], -v[36:37]
	v_add_f64 v[38:39], v[38:39], -v[55:56]
	v_ldexp_f64 v[55:56], v[59:60], -2
	v_add_f64 v[61:62], v[53:54], -v[57:58]
	v_add_f64 v[36:37], v[49:50], -v[36:37]
	v_add_f64 v[29:30], v[29:30], v[38:39]
	v_fract_f64_e32 v[38:39], v[55:56]
	v_cmp_neq_f64_e64 vcc, |v[55:56]|, s[28:29]
	v_add_f64 v[34:35], v[34:35], -v[61:62]
	v_add_f64 v[49:50], v[53:54], v[29:30]
	v_ldexp_f64 v[38:39], v[38:39], 2
	v_add_f64 v[55:56], v[36:37], v[49:50]
	v_cndmask_b32_e32 v39, 0, v39, vcc
	v_cndmask_b32_e32 v38, 0, v38, vcc
	v_add_f64 v[63:64], v[49:50], -v[53:54]
	v_add_f64 v[59:60], v[55:56], v[38:39]
	v_add_f64 v[36:37], v[55:56], -v[36:37]
	v_add_f64 v[65:66], v[49:50], -v[63:64]
	v_add_f64 v[29:30], v[29:30], -v[63:64]
	v_cmp_gt_f64_e32 vcc, 0, v[59:60]
	v_add_f64 v[59:60], v[53:54], -v[61:62]
	v_add_f64 v[36:37], v[49:50], -v[36:37]
	;; [unrolled: 1-line block ×3, first 2 shown]
	v_cndmask_b32_e32 v18, 0, v43, vcc
	v_add_f64 v[38:39], v[38:39], v[17:18]
	v_add_f64 v[59:60], v[57:58], -v[59:60]
	v_add_f64 v[29:30], v[29:30], v[53:54]
	v_add_f64 v[67:68], v[55:56], v[38:39]
	;; [unrolled: 1-line block ×3, first 2 shown]
	v_cvt_i32_f64_e32 v40, v[67:68]
	v_add_f64 v[29:30], v[34:35], v[29:30]
	v_cvt_f64_i32_e32 v[61:62], v40
	v_add_f64 v[38:39], v[38:39], -v[61:62]
	v_add_f64 v[29:30], v[31:32], v[29:30]
	v_add_f64 v[34:35], v[55:56], v[38:39]
	;; [unrolled: 1-line block ×3, first 2 shown]
	v_add_f64 v[31:32], v[34:35], -v[38:39]
	v_cmp_le_f64_e32 vcc, 0.5, v[34:35]
	v_add_f64 v[31:32], v[55:56], -v[31:32]
	v_cndmask_b32_e32 v18, 0, v44, vcc
	v_add_f64 v[29:30], v[29:30], v[31:32]
	v_add_f64 v[31:32], v[34:35], -v[17:18]
	v_addc_co_u32_e32 v18, vcc, 0, v40, vcc
	v_add_f64 v[34:35], v[31:32], v[29:30]
	v_mul_f64 v[36:37], v[34:35], s[14:15]
	v_add_f64 v[31:32], v[34:35], -v[31:32]
	v_fma_f64 v[38:39], v[34:35], s[14:15], -v[36:37]
	v_add_f64 v[29:30], v[29:30], -v[31:32]
	v_fma_f64 v[31:32], v[34:35], s[36:37], v[38:39]
	v_fma_f64 v[31:32], v[29:30], s[14:15], v[31:32]
	v_add_f64 v[29:30], v[36:37], v[31:32]
	v_add_f64 v[34:35], v[29:30], -v[36:37]
	v_add_f64 v[31:32], v[31:32], -v[34:35]
	s_andn2_saveexec_b64 s[58:59], s[58:59]
	s_cbranch_execnz .LBB155_99
	s_branch .LBB155_100
.LBB155_98:                             ;   in Loop: Header=BB155_7 Depth=1
	s_andn2_saveexec_b64 s[58:59], s[58:59]
	s_cbranch_execz .LBB155_100
.LBB155_99:                             ;   in Loop: Header=BB155_7 Depth=1
	v_mul_f64 v[29:30], |v[7:8]|, s[16:17]
	s_mov_b32 s18, s34
	v_rndne_f64_e32 v[34:35], v[29:30]
	v_fma_f64 v[29:30], v[34:35], s[30:31], |v[7:8]|
	v_mul_f64 v[31:32], v[34:35], s[34:35]
	v_cvt_i32_f64_e32 v18, v[34:35]
	v_fma_f64 v[49:50], v[34:35], s[34:35], v[29:30]
	v_add_f64 v[36:37], v[29:30], v[31:32]
	v_add_f64 v[38:39], v[29:30], -v[36:37]
	v_add_f64 v[36:37], v[36:37], -v[49:50]
	v_add_f64 v[29:30], v[38:39], v[31:32]
	v_fma_f64 v[31:32], v[34:35], s[18:19], v[31:32]
	v_add_f64 v[29:30], v[36:37], v[29:30]
	v_add_f64 v[29:30], v[29:30], -v[31:32]
	v_fma_f64 v[31:32], v[34:35], s[20:21], v[29:30]
	v_add_f64 v[29:30], v[49:50], v[31:32]
	v_add_f64 v[36:37], v[29:30], -v[49:50]
	v_add_f64 v[31:32], v[31:32], -v[36:37]
.LBB155_100:                            ;   in Loop: Header=BB155_7 Depth=1
	s_or_b64 exec, exec, s[58:59]
	v_mul_f64 v[34:35], |v[5:6]|, s[40:41]
	s_mov_b32 s58, 0x3b39803f
	s_mov_b32 s59, 0xbc7abc9e
	v_mul_f64 v[49:50], v[25:26], v[25:26]
	v_mov_b32_e32 v53, s86
	v_mov_b32_e32 v54, s87
	v_mul_f64 v[55:56], v[29:30], v[29:30]
	v_mov_b32_e32 v51, s76
	v_rndne_f64_e32 v[34:35], v[34:35]
	v_mov_b32_e32 v52, s77
	v_mul_f64 v[57:58], v[27:28], 0.5
	v_fma_f64 v[59:60], v[49:50], s[88:89], v[53:54]
	v_fma_f64 v[61:62], v[49:50], s[78:79], v[51:52]
	v_mul_f64 v[63:64], v[49:50], 0.5
	v_fma_f64 v[53:54], v[55:56], s[88:89], v[53:54]
	v_mul_f64 v[67:68], v[55:56], 0.5
	v_fma_f64 v[36:37], v[34:35], s[42:43], -|v[5:6]|
	v_fma_f64 v[51:52], v[55:56], s[78:79], v[51:52]
	s_mov_b32 s95, s45
	v_fma_f64 v[59:60], v[49:50], v[59:60], s[90:91]
	v_fma_f64 v[61:62], v[49:50], v[61:62], s[80:81]
	v_add_f64 v[69:70], -v[63:64], 1.0
	v_fma_f64 v[53:54], v[55:56], v[53:54], s[90:91]
	v_mul_f64 v[71:72], v[25:26], -v[49:50]
	v_fma_f64 v[36:37], v[34:35], s[58:59], v[36:37]
	s_mov_b32 s58, 0x6a5dcb37
	s_mov_b32 s59, 0x3e5ade15
	v_fma_f64 v[59:60], v[49:50], v[59:60], s[92:93]
	v_add_f64 v[73:74], -v[67:68], 1.0
	v_fma_f64 v[51:52], v[55:56], v[51:52], s[80:81]
	v_fma_f64 v[53:54], v[55:56], v[53:54], s[92:93]
	;; [unrolled: 1-line block ×4, first 2 shown]
	s_mov_b32 s58, 0x623fde64
	s_mov_b32 s59, 0x3ec71dee
	v_add_f64 v[75:76], -v[69:70], 1.0
	v_fma_f64 v[59:60], v[49:50], v[59:60], s[44:45]
	v_mul_f64 v[65:66], v[31:32], 0.5
	v_mul_f64 v[77:78], v[29:30], -v[55:56]
	v_fma_f64 v[53:54], v[55:56], v[53:54], s[44:45]
	v_fma_f64 v[38:39], v[36:37], v[38:39], s[58:59]
	s_mov_b32 s58, 0x7c89e6b0
	s_mov_b32 s59, 0x3efa0199
	;; [unrolled: 1-line block ×3, first 2 shown]
	v_add_f64 v[79:80], -v[73:74], 1.0
	v_fma_f64 v[51:52], v[55:56], v[51:52], s[82:83]
	v_fma_f64 v[61:62], v[49:50], v[61:62], s[84:85]
	v_add_f64 v[63:64], v[75:76], -v[63:64]
	v_fma_f64 v[38:39], v[36:37], v[38:39], s[58:59]
	s_mov_b32 s58, 0x14761f6e
	s_mov_b32 s59, 0x3f2a01a0
	v_fma_f64 v[57:58], v[71:72], v[59:60], v[57:58]
	v_fma_f64 v[53:54], v[77:78], v[53:54], v[65:66]
	v_mul_f64 v[59:60], v[49:50], v[49:50]
	v_add_f64 v[67:68], v[79:80], -v[67:68]
	v_fma_f64 v[51:52], v[55:56], v[51:52], s[84:85]
	v_fma_f64 v[38:39], v[36:37], v[38:39], s[58:59]
	s_mov_b32 s58, 0x1852b7b0
	s_mov_b32 s59, 0x3f56c16c
	v_fma_f64 v[61:62], v[49:50], v[61:62], s[56:57]
	v_fma_f64 v[63:64], v[25:26], -v[27:28], v[63:64]
	v_fma_f64 v[27:28], v[49:50], v[57:58], -v[27:28]
	s_mov_b32 s46, s56
	v_fma_f64 v[53:54], v[55:56], v[53:54], -v[31:32]
	v_fma_f64 v[38:39], v[36:37], v[38:39], s[58:59]
	s_mov_b32 s58, 0x55555511
	s_mov_b32 s59, 0x3fc55555
	v_mul_f64 v[49:50], v[55:56], v[55:56]
	v_fma_f64 v[51:52], v[55:56], v[51:52], s[56:57]
	v_fma_f64 v[31:32], v[29:30], -v[31:32], v[67:68]
	v_fma_f64 v[55:56], v[59:60], v[61:62], v[63:64]
	v_fma_f64 v[27:28], v[71:72], s[46:47], v[27:28]
	;; [unrolled: 1-line block ×3, first 2 shown]
	v_lshlrev_b32_e32 v7, 30, v33
	v_xor_b32_e32 v57, v7, v8
	v_fma_f64 v[7:8], v[77:78], s[46:47], v[53:54]
	v_and_b32_e32 v40, 1, v33
	v_fma_f64 v[31:32], v[49:50], v[51:52], v[31:32]
	v_add_f64 v[49:50], v[69:70], v[55:56]
	v_add_f64 v[25:26], v[25:26], -v[27:28]
	v_fma_f64 v[38:39], v[36:37], v[38:39], s[68:69]
	v_cmp_eq_u32_e32 vcc, 0, v40
	v_cvt_i32_f64_e32 v34, v[34:35]
	v_add_f64 v[7:8], v[29:30], -v[7:8]
	v_and_b32_e32 v33, 1, v18
	v_add_f64 v[29:30], v[73:74], v[31:32]
	v_lshlrev_b32_e32 v18, 30, v18
	v_cndmask_b32_e32 v26, v50, v26, vcc
	v_fma_f64 v[38:39], v[36:37], v[38:39], s[58:59]
	v_cndmask_b32_e32 v25, v49, v25, vcc
	v_cmp_eq_u32_e32 vcc, 0, v33
	v_xor_b32_e32 v8, 0x80000000, v8
	s_mov_b32 s58, 0
	v_and_b32_e32 v18, 0x80000000, v18
	v_cndmask_b32_e32 v8, v8, v30, vcc
	s_mov_b32 s59, 0x4090cc00
	v_fma_f64 v[38:39], v[36:37], v[38:39], s[72:73]
	v_cndmask_b32_e32 v7, v7, v29, vcc
	v_xor_b32_e32 v8, v8, v18
	v_cmp_ngt_f64_e64 vcc, |v[5:6]|, s[58:59]
	v_bfi_b32 v18, s48, v44, v6
	v_mov_b32_e32 v5, v17
	v_mov_b32_e32 v6, v18
	v_fma_f64 v[27:28], v[36:37], v[38:39], 1.0
	v_and_b32_e32 v38, 0x80000000, v57
	v_xor_b32_e32 v26, v26, v38
	v_mul_f64 v[25:26], v[25:26], 4.0
	v_fma_f64 v[27:28], v[36:37], v[27:28], 1.0
	v_mul_f64 v[7:8], v[25:26], v[7:8]
	v_ldexp_f64 v[27:28], v[27:28], v34
	v_cndmask_b32_e32 v26, 0, v28, vcc
	v_cndmask_b32_e32 v25, 0, v27, vcc
	v_mul_f64 v[7:8], v[25:26], v[7:8]
	v_mul_f64 v[7:8], v[25:26], v[7:8]
.LBB155_101:                            ;   in Loop: Header=BB155_7 Depth=1
	s_or_b64 exec, exec, s[0:1]
.LBB155_102:                            ;   in Loop: Header=BB155_7 Depth=1
	s_andn2_saveexec_b64 s[0:1], s[52:53]
	s_cbranch_execz .LBB155_104
; %bb.103:                              ;   in Loop: Header=BB155_7 Depth=1
	v_add_f64 v[7:8], v[7:8], -v[7:8]
	v_mov_b32_e32 v5, v7
	v_mov_b32_e32 v6, v8
.LBB155_104:                            ;   in Loop: Header=BB155_7 Depth=1
	s_or_b64 exec, exec, s[0:1]
.LBB155_105:                            ;   in Loop: Header=BB155_7 Depth=1
	s_andn2_saveexec_b64 s[52:53], s[74:75]
	s_cbranch_execz .LBB155_121
; %bb.106:                              ;   in Loop: Header=BB155_7 Depth=1
	v_and_or_b32 v18, v6, s70, v5
	v_cmp_ne_u32_e32 vcc, 0, v18
	s_and_saveexec_b64 s[0:1], vcc
	s_xor_b64 s[0:1], exec, s[0:1]
	s_cbranch_execz .LBB155_108
; %bb.107:                              ;   in Loop: Header=BB155_7 Depth=1
	v_mul_f64 v[25:26], v[5:6], v[7:8]
	v_cmp_eq_f64_e32 vcc, 0, v[7:8]
	v_cndmask_b32_e32 v8, v26, v8, vcc
	v_cndmask_b32_e32 v7, v25, v7, vcc
.LBB155_108:                            ;   in Loop: Header=BB155_7 Depth=1
	s_andn2_saveexec_b64 s[58:59], s[0:1]
	s_cbranch_execz .LBB155_120
; %bb.109:                              ;   in Loop: Header=BB155_7 Depth=1
	v_cmp_neq_f64_e64 s[0:1], |v[7:8]|, s[28:29]
	s_and_saveexec_b64 s[74:75], s[0:1]
	s_cbranch_execz .LBB155_119
; %bb.110:                              ;   in Loop: Header=BB155_7 Depth=1
	v_trig_preop_f64 v[35:36], |v[7:8]|, 0
	v_trig_preop_f64 v[33:34], |v[7:8]|, 1
	;; [unrolled: 1-line block ×3, first 2 shown]
	v_cmp_nlt_f64_e64 s[0:1], |v[7:8]|, s[24:25]
	v_ldexp_f64 v[37:38], |v[7:8]|, s67
	v_and_b32_e32 v50, 0x7fffffff, v8
                                        ; implicit-def: $vgpr49
                                        ; implicit-def: $vgpr25_vgpr26
                                        ; implicit-def: $vgpr27_vgpr28
	s_and_saveexec_b64 s[60:61], s[0:1]
	s_xor_b64 s[60:61], exec, s[60:61]
	s_cbranch_execz .LBB155_112
; %bb.111:                              ;   in Loop: Header=BB155_7 Depth=1
	v_cmp_ge_f64_e64 vcc, |v[7:8]|, s[26:27]
	s_mov_b32 s14, s30
	s_mov_b32 s37, s19
	v_cndmask_b32_e32 v26, v50, v38, vcc
	v_cndmask_b32_e32 v25, v7, v37, vcc
	v_mul_f64 v[27:28], v[35:36], v[25:26]
	v_mul_f64 v[31:32], v[33:34], v[25:26]
	;; [unrolled: 1-line block ×3, first 2 shown]
	v_fma_f64 v[39:40], v[35:36], v[25:26], -v[27:28]
	v_fma_f64 v[59:60], v[33:34], v[25:26], -v[31:32]
	;; [unrolled: 1-line block ×3, first 2 shown]
	v_add_f64 v[51:52], v[31:32], v[39:40]
	v_add_f64 v[53:54], v[51:52], -v[31:32]
	v_add_f64 v[61:62], v[27:28], v[51:52]
	v_add_f64 v[55:56], v[51:52], -v[53:54]
	v_add_f64 v[39:40], v[39:40], -v[53:54]
	v_add_f64 v[53:54], v[57:58], v[59:60]
	v_add_f64 v[27:28], v[61:62], -v[27:28]
	v_add_f64 v[31:32], v[31:32], -v[55:56]
	v_ldexp_f64 v[55:56], v[61:62], -2
	v_add_f64 v[63:64], v[53:54], -v[57:58]
	v_add_f64 v[27:28], v[51:52], -v[27:28]
	v_add_f64 v[31:32], v[39:40], v[31:32]
	v_fract_f64_e32 v[39:40], v[55:56]
	v_cmp_neq_f64_e64 vcc, |v[55:56]|, s[28:29]
	v_add_f64 v[59:60], v[59:60], -v[63:64]
	v_add_f64 v[51:52], v[53:54], v[31:32]
	v_ldexp_f64 v[39:40], v[39:40], 2
	v_add_f64 v[55:56], v[27:28], v[51:52]
	v_cndmask_b32_e32 v40, 0, v40, vcc
	v_cndmask_b32_e32 v39, 0, v39, vcc
	v_add_f64 v[65:66], v[51:52], -v[53:54]
	v_add_f64 v[61:62], v[55:56], v[39:40]
	v_add_f64 v[27:28], v[55:56], -v[27:28]
	v_add_f64 v[67:68], v[51:52], -v[65:66]
	;; [unrolled: 1-line block ×3, first 2 shown]
	v_cmp_gt_f64_e32 vcc, 0, v[61:62]
	v_add_f64 v[61:62], v[53:54], -v[63:64]
	v_add_f64 v[27:28], v[51:52], -v[27:28]
	;; [unrolled: 1-line block ×3, first 2 shown]
	v_cndmask_b32_e32 v18, 0, v43, vcc
	v_add_f64 v[39:40], v[39:40], v[17:18]
	v_add_f64 v[61:62], v[57:58], -v[61:62]
	v_add_f64 v[31:32], v[31:32], v[53:54]
	v_add_f64 v[69:70], v[55:56], v[39:40]
	;; [unrolled: 1-line block ×3, first 2 shown]
	v_cvt_i32_f64_e32 v49, v[69:70]
	v_add_f64 v[31:32], v[59:60], v[31:32]
	v_cvt_f64_i32_e32 v[63:64], v49
	v_add_f64 v[39:40], v[39:40], -v[63:64]
	v_add_f64 v[25:26], v[25:26], v[31:32]
	v_add_f64 v[53:54], v[55:56], v[39:40]
	;; [unrolled: 1-line block ×3, first 2 shown]
	v_add_f64 v[31:32], v[53:54], -v[39:40]
	v_cmp_le_f64_e32 vcc, 0.5, v[53:54]
	v_add_f64 v[27:28], v[55:56], -v[31:32]
	v_cndmask_b32_e32 v18, 0, v44, vcc
	v_addc_co_u32_e32 v49, vcc, 0, v49, vcc
	v_add_f64 v[25:26], v[25:26], v[27:28]
	v_add_f64 v[27:28], v[53:54], -v[17:18]
	v_add_f64 v[31:32], v[27:28], v[25:26]
	v_mul_f64 v[39:40], v[31:32], s[14:15]
	v_add_f64 v[27:28], v[31:32], -v[27:28]
	v_fma_f64 v[51:52], v[31:32], s[14:15], -v[39:40]
	v_add_f64 v[25:26], v[25:26], -v[27:28]
	v_fma_f64 v[27:28], v[31:32], s[36:37], v[51:52]
	v_fma_f64 v[27:28], v[25:26], s[14:15], v[27:28]
	v_add_f64 v[25:26], v[39:40], v[27:28]
	v_add_f64 v[31:32], v[25:26], -v[39:40]
	v_add_f64 v[27:28], v[27:28], -v[31:32]
	s_andn2_saveexec_b64 s[60:61], s[60:61]
	s_cbranch_execz .LBB155_114
	s_branch .LBB155_113
.LBB155_112:                            ;   in Loop: Header=BB155_7 Depth=1
	s_andn2_saveexec_b64 s[60:61], s[60:61]
	s_cbranch_execz .LBB155_114
.LBB155_113:                            ;   in Loop: Header=BB155_7 Depth=1
	v_mul_f64 v[25:26], |v[7:8]|, s[16:17]
	s_mov_b32 s18, s34
	v_rndne_f64_e32 v[31:32], v[25:26]
	v_fma_f64 v[25:26], v[31:32], s[30:31], |v[7:8]|
	v_mul_f64 v[27:28], v[31:32], s[34:35]
	v_cvt_i32_f64_e32 v49, v[31:32]
	v_fma_f64 v[53:54], v[31:32], s[34:35], v[25:26]
	v_add_f64 v[39:40], v[25:26], v[27:28]
	v_add_f64 v[51:52], v[25:26], -v[39:40]
	v_add_f64 v[39:40], v[39:40], -v[53:54]
	v_add_f64 v[25:26], v[51:52], v[27:28]
	v_fma_f64 v[27:28], v[31:32], s[18:19], v[27:28]
	v_add_f64 v[25:26], v[39:40], v[25:26]
	v_add_f64 v[25:26], v[25:26], -v[27:28]
	v_fma_f64 v[27:28], v[31:32], s[20:21], v[25:26]
	v_add_f64 v[25:26], v[53:54], v[27:28]
	v_add_f64 v[39:40], v[25:26], -v[53:54]
	v_add_f64 v[27:28], v[27:28], -v[39:40]
.LBB155_114:                            ;   in Loop: Header=BB155_7 Depth=1
	s_or_b64 exec, exec, s[60:61]
                                        ; implicit-def: $vgpr18
                                        ; implicit-def: $vgpr31_vgpr32
                                        ; implicit-def: $vgpr39_vgpr40
	s_and_saveexec_b64 s[60:61], s[0:1]
	s_xor_b64 s[0:1], exec, s[60:61]
	s_cbranch_execz .LBB155_116
; %bb.115:                              ;   in Loop: Header=BB155_7 Depth=1
	v_cmp_ge_f64_e64 vcc, |v[7:8]|, s[26:27]
	s_mov_b32 s14, s30
	s_mov_b32 s37, s19
	v_cndmask_b32_e32 v32, v50, v38, vcc
	v_cndmask_b32_e32 v31, v7, v37, vcc
	v_mul_f64 v[37:38], v[35:36], v[31:32]
	v_mul_f64 v[39:40], v[33:34], v[31:32]
	;; [unrolled: 1-line block ×3, first 2 shown]
	v_fma_f64 v[35:36], v[35:36], v[31:32], -v[37:38]
	v_fma_f64 v[33:34], v[33:34], v[31:32], -v[39:40]
	;; [unrolled: 1-line block ×3, first 2 shown]
	v_add_f64 v[50:51], v[39:40], v[35:36]
	v_add_f64 v[52:53], v[50:51], -v[39:40]
	v_add_f64 v[58:59], v[37:38], v[50:51]
	v_add_f64 v[54:55], v[50:51], -v[52:53]
	v_add_f64 v[35:36], v[35:36], -v[52:53]
	v_add_f64 v[52:53], v[56:57], v[33:34]
	v_add_f64 v[37:38], v[58:59], -v[37:38]
	v_add_f64 v[39:40], v[39:40], -v[54:55]
	v_ldexp_f64 v[54:55], v[58:59], -2
	v_add_f64 v[60:61], v[52:53], -v[56:57]
	v_add_f64 v[37:38], v[50:51], -v[37:38]
	v_add_f64 v[35:36], v[35:36], v[39:40]
	v_fract_f64_e32 v[39:40], v[54:55]
	v_cmp_neq_f64_e64 vcc, |v[54:55]|, s[28:29]
	v_add_f64 v[33:34], v[33:34], -v[60:61]
	v_add_f64 v[50:51], v[52:53], v[35:36]
	v_ldexp_f64 v[39:40], v[39:40], 2
	v_add_f64 v[54:55], v[37:38], v[50:51]
	v_cndmask_b32_e32 v40, 0, v40, vcc
	v_cndmask_b32_e32 v39, 0, v39, vcc
	v_add_f64 v[62:63], v[50:51], -v[52:53]
	v_add_f64 v[58:59], v[54:55], v[39:40]
	v_add_f64 v[31:32], v[54:55], -v[37:38]
	v_add_f64 v[64:65], v[50:51], -v[62:63]
	;; [unrolled: 1-line block ×3, first 2 shown]
	v_cmp_gt_f64_e32 vcc, 0, v[58:59]
	v_add_f64 v[58:59], v[52:53], -v[60:61]
	v_add_f64 v[31:32], v[50:51], -v[31:32]
	;; [unrolled: 1-line block ×3, first 2 shown]
	v_cndmask_b32_e32 v18, 0, v43, vcc
	v_add_f64 v[39:40], v[39:40], v[17:18]
	v_add_f64 v[58:59], v[56:57], -v[58:59]
	v_add_f64 v[35:36], v[35:36], v[52:53]
	v_add_f64 v[66:67], v[54:55], v[39:40]
	;; [unrolled: 1-line block ×3, first 2 shown]
	v_cvt_i32_f64_e32 v62, v[66:67]
	v_add_f64 v[33:34], v[33:34], v[35:36]
	v_cvt_f64_i32_e32 v[60:61], v62
	v_add_f64 v[39:40], v[39:40], -v[60:61]
	v_add_f64 v[29:30], v[29:30], v[33:34]
	v_add_f64 v[35:36], v[54:55], v[39:40]
	;; [unrolled: 1-line block ×3, first 2 shown]
	v_add_f64 v[33:34], v[35:36], -v[39:40]
	v_cmp_le_f64_e32 vcc, 0.5, v[35:36]
	v_add_f64 v[31:32], v[54:55], -v[33:34]
	v_cndmask_b32_e32 v18, 0, v44, vcc
	v_add_f64 v[29:30], v[29:30], v[31:32]
	v_add_f64 v[31:32], v[35:36], -v[17:18]
	v_addc_co_u32_e32 v18, vcc, 0, v62, vcc
	v_add_f64 v[33:34], v[31:32], v[29:30]
	v_mul_f64 v[35:36], v[33:34], s[14:15]
	v_add_f64 v[31:32], v[33:34], -v[31:32]
	v_fma_f64 v[37:38], v[33:34], s[14:15], -v[35:36]
	v_add_f64 v[29:30], v[29:30], -v[31:32]
	v_fma_f64 v[31:32], v[33:34], s[36:37], v[37:38]
	v_fma_f64 v[29:30], v[29:30], s[14:15], v[31:32]
	v_add_f64 v[31:32], v[35:36], v[29:30]
	v_add_f64 v[33:34], v[31:32], -v[35:36]
	v_add_f64 v[39:40], v[29:30], -v[33:34]
	s_andn2_saveexec_b64 s[0:1], s[0:1]
	s_cbranch_execnz .LBB155_117
	s_branch .LBB155_118
.LBB155_116:                            ;   in Loop: Header=BB155_7 Depth=1
	s_andn2_saveexec_b64 s[0:1], s[0:1]
	s_cbranch_execz .LBB155_118
.LBB155_117:                            ;   in Loop: Header=BB155_7 Depth=1
	v_mul_f64 v[29:30], |v[7:8]|, s[16:17]
	s_mov_b32 s18, s34
	v_rndne_f64_e32 v[29:30], v[29:30]
	v_fma_f64 v[31:32], v[29:30], s[30:31], |v[7:8]|
	v_mul_f64 v[33:34], v[29:30], s[34:35]
	v_cvt_i32_f64_e32 v18, v[29:30]
	v_fma_f64 v[39:40], v[29:30], s[34:35], v[31:32]
	v_add_f64 v[35:36], v[31:32], v[33:34]
	v_add_f64 v[37:38], v[31:32], -v[35:36]
	v_add_f64 v[35:36], v[35:36], -v[39:40]
	v_add_f64 v[31:32], v[37:38], v[33:34]
	v_fma_f64 v[33:34], v[29:30], s[18:19], v[33:34]
	v_add_f64 v[31:32], v[35:36], v[31:32]
	v_add_f64 v[31:32], v[31:32], -v[33:34]
	v_fma_f64 v[33:34], v[29:30], s[20:21], v[31:32]
	v_add_f64 v[31:32], v[39:40], v[33:34]
	v_add_f64 v[35:36], v[31:32], -v[39:40]
	v_add_f64 v[39:40], v[33:34], -v[35:36]
.LBB155_118:                            ;   in Loop: Header=BB155_7 Depth=1
	s_or_b64 exec, exec, s[0:1]
	v_mul_f64 v[29:30], v[25:26], v[25:26]
	v_mul_f64 v[33:34], v[31:32], v[31:32]
	v_mov_b32_e32 v35, s86
	v_mov_b32_e32 v36, s87
	;; [unrolled: 1-line block ×4, first 2 shown]
	v_mul_f64 v[60:61], v[27:28], 0.5
	v_mul_f64 v[68:69], v[39:40], 0.5
	v_fma_f64 v[37:38], v[29:30], s[88:89], v[35:36]
	v_fma_f64 v[35:36], v[33:34], s[88:89], v[35:36]
	;; [unrolled: 1-line block ×3, first 2 shown]
	v_mul_f64 v[54:55], v[29:30], 0.5
	v_fma_f64 v[50:51], v[33:34], s[78:79], v[50:51]
	v_mul_f64 v[56:57], v[33:34], 0.5
	v_mul_f64 v[62:63], v[25:26], -v[29:30]
	v_mul_f64 v[70:71], v[31:32], -v[33:34]
	v_fma_f64 v[37:38], v[29:30], v[37:38], s[90:91]
	v_fma_f64 v[35:36], v[33:34], v[35:36], s[90:91]
	;; [unrolled: 1-line block ×3, first 2 shown]
	v_add_f64 v[58:59], -v[54:55], 1.0
	v_fma_f64 v[50:51], v[33:34], v[50:51], s[80:81]
	v_add_f64 v[64:65], -v[56:57], 1.0
	s_mov_b32 s46, s56
	v_cmp_class_f64_e64 s[0:1], v[7:8], s55
	v_fma_f64 v[37:38], v[29:30], v[37:38], s[92:93]
	v_fma_f64 v[35:36], v[33:34], v[35:36], s[92:93]
	;; [unrolled: 1-line block ×3, first 2 shown]
	v_add_f64 v[66:67], -v[58:59], 1.0
	v_fma_f64 v[50:51], v[33:34], v[50:51], s[82:83]
	v_add_f64 v[72:73], -v[64:65], 1.0
	v_fma_f64 v[37:38], v[29:30], v[37:38], s[44:45]
	v_fma_f64 v[35:36], v[33:34], v[35:36], s[44:45]
	;; [unrolled: 1-line block ×3, first 2 shown]
	v_add_f64 v[54:55], v[66:67], -v[54:55]
	v_fma_f64 v[50:51], v[33:34], v[50:51], s[84:85]
	v_add_f64 v[56:57], v[72:73], -v[56:57]
	v_fma_f64 v[37:38], v[62:63], v[37:38], v[60:61]
	v_fma_f64 v[35:36], v[70:71], v[35:36], v[68:69]
	v_mul_f64 v[60:61], v[29:30], v[29:30]
	v_fma_f64 v[52:53], v[29:30], v[52:53], s[56:57]
	v_fma_f64 v[54:55], v[25:26], -v[27:28], v[54:55]
	v_fma_f64 v[27:28], v[29:30], v[37:38], -v[27:28]
	v_fma_f64 v[35:36], v[33:34], v[35:36], -v[39:40]
	v_mul_f64 v[29:30], v[33:34], v[33:34]
	v_fma_f64 v[33:34], v[33:34], v[50:51], s[56:57]
	v_fma_f64 v[37:38], v[31:32], -v[39:40], v[56:57]
	v_fma_f64 v[39:40], v[60:61], v[52:53], v[54:55]
	v_and_b32_e32 v50, 1, v49
	v_lshlrev_b32_e32 v49, 30, v49
	v_fma_f64 v[27:28], v[62:63], s[46:47], v[27:28]
	v_fma_f64 v[35:36], v[70:71], s[46:47], v[35:36]
	v_cmp_eq_u32_e32 vcc, 0, v50
	v_fma_f64 v[29:30], v[29:30], v[33:34], v[37:38]
	v_add_f64 v[33:34], v[58:59], v[39:40]
	v_and_b32_e32 v37, 1, v18
	v_lshlrev_b32_e32 v18, 30, v18
	v_add_f64 v[25:26], v[25:26], -v[27:28]
	v_add_f64 v[27:28], v[31:32], -v[35:36]
	v_xor_b32_e32 v38, v49, v8
	v_and_b32_e32 v18, 0x80000000, v18
	v_add_f64 v[29:30], v[64:65], v[29:30]
	v_and_b32_e32 v31, 0x80000000, v38
	v_cndmask_b32_e32 v25, v33, v25, vcc
	v_cndmask_b32_e32 v7, v34, v26, vcc
	v_xor_b32_e32 v8, 0x80000000, v28
	v_cmp_eq_u32_e32 vcc, 0, v37
	v_cndmask_b32_e32 v8, v8, v30, vcc
	v_cndmask_b32_e32 v26, v27, v29, vcc
	v_xor_b32_e32 v27, v7, v31
	v_xor_b32_e32 v18, v8, v18
	v_cndmask_b32_e64 v7, 0, v25, s[0:1]
	v_cndmask_b32_e64 v8, v48, v27, s[0:1]
	;; [unrolled: 1-line block ×4, first 2 shown]
	v_mul_f64 v[7:8], v[7:8], v[25:26]
.LBB155_119:                            ;   in Loop: Header=BB155_7 Depth=1
	s_or_b64 exec, exec, s[74:75]
	v_bfi_b32 v18, s48, 0, v8
	v_mov_b32_e32 v7, v17
	v_add_u32_e32 v6, -2.0, v6
	v_mov_b32_e32 v8, v18
.LBB155_120:                            ;   in Loop: Header=BB155_7 Depth=1
	s_or_b64 exec, exec, s[58:59]
.LBB155_121:                            ;   in Loop: Header=BB155_7 Depth=1
	s_or_b64 exec, exec, s[52:53]
	v_and_b32_e32 v18, 0x7fffffff, v2
	v_cmp_gt_u32_e32 vcc, s54, v18
	s_and_saveexec_b64 s[0:1], vcc
	s_xor_b64 s[74:75], exec, s[0:1]
	s_cbranch_execz .LBB155_143
; %bb.122:                              ;   in Loop: Header=BB155_7 Depth=1
	v_cmp_class_f64_e64 s[0:1], v[3:4], s55
	s_and_saveexec_b64 s[52:53], s[0:1]
	s_xor_b64 s[52:53], exec, s[52:53]
	s_cbranch_execz .LBB155_140
; %bb.123:                              ;   in Loop: Header=BB155_7 Depth=1
	v_cmp_gt_u32_e32 vcc, s66, v18
	s_and_saveexec_b64 s[0:1], vcc
	s_xor_b64 s[58:59], exec, s[0:1]
	s_cbranch_execz .LBB155_129
; %bb.124:                              ;   in Loop: Header=BB155_7 Depth=1
	v_cmp_nlt_f64_e64 s[0:1], |v[3:4]|, s[24:25]
                                        ; implicit-def: $vgpr18
                                        ; implicit-def: $vgpr25_vgpr26
                                        ; implicit-def: $vgpr27_vgpr28
	s_and_saveexec_b64 s[60:61], s[0:1]
	s_xor_b64 s[0:1], exec, s[60:61]
	s_cbranch_execz .LBB155_126
; %bb.125:                              ;   in Loop: Header=BB155_7 Depth=1
	v_trig_preop_f64 v[25:26], |v[3:4]|, 0
	v_ldexp_f64 v[27:28], |v[3:4]|, s67
	v_cmp_ge_f64_e64 vcc, |v[3:4]|, s[26:27]
	v_trig_preop_f64 v[29:30], |v[3:4]|, 1
	v_and_b32_e32 v18, 0x7fffffff, v4
	v_trig_preop_f64 v[37:38], |v[3:4]|, 2
	s_mov_b32 s14, s30
	s_mov_b32 s37, s19
	v_cndmask_b32_e32 v28, v18, v28, vcc
	v_cndmask_b32_e32 v27, v3, v27, vcc
	v_mul_f64 v[31:32], v[25:26], v[27:28]
	v_mul_f64 v[33:34], v[29:30], v[27:28]
	;; [unrolled: 1-line block ×3, first 2 shown]
	v_fma_f64 v[25:26], v[25:26], v[27:28], -v[31:32]
	v_fma_f64 v[29:30], v[29:30], v[27:28], -v[33:34]
	;; [unrolled: 1-line block ×3, first 2 shown]
	v_add_f64 v[35:36], v[33:34], v[25:26]
	v_add_f64 v[39:40], v[35:36], -v[33:34]
	v_add_f64 v[53:54], v[31:32], v[35:36]
	v_add_f64 v[49:50], v[35:36], -v[39:40]
	v_add_f64 v[25:26], v[25:26], -v[39:40]
	v_add_f64 v[39:40], v[51:52], v[29:30]
	v_add_f64 v[31:32], v[53:54], -v[31:32]
	v_add_f64 v[33:34], v[33:34], -v[49:50]
	v_ldexp_f64 v[49:50], v[53:54], -2
	v_add_f64 v[55:56], v[39:40], -v[51:52]
	v_add_f64 v[31:32], v[35:36], -v[31:32]
	v_add_f64 v[25:26], v[25:26], v[33:34]
	v_fract_f64_e32 v[33:34], v[49:50]
	v_cmp_neq_f64_e64 vcc, |v[49:50]|, s[28:29]
	v_add_f64 v[29:30], v[29:30], -v[55:56]
	v_add_f64 v[35:36], v[39:40], v[25:26]
	v_ldexp_f64 v[33:34], v[33:34], 2
	v_add_f64 v[49:50], v[31:32], v[35:36]
	v_cndmask_b32_e32 v34, 0, v34, vcc
	v_cndmask_b32_e32 v33, 0, v33, vcc
	v_add_f64 v[57:58], v[35:36], -v[39:40]
	v_add_f64 v[53:54], v[49:50], v[33:34]
	v_add_f64 v[31:32], v[49:50], -v[31:32]
	v_add_f64 v[59:60], v[35:36], -v[57:58]
	;; [unrolled: 1-line block ×3, first 2 shown]
	v_cmp_gt_f64_e32 vcc, 0, v[53:54]
	v_add_f64 v[53:54], v[39:40], -v[55:56]
	v_add_f64 v[31:32], v[35:36], -v[31:32]
	;; [unrolled: 1-line block ×3, first 2 shown]
	v_cndmask_b32_e32 v18, 0, v43, vcc
	v_add_f64 v[33:34], v[33:34], v[17:18]
	v_add_f64 v[53:54], v[51:52], -v[53:54]
	v_add_f64 v[25:26], v[25:26], v[39:40]
	v_add_f64 v[61:62], v[49:50], v[33:34]
	;; [unrolled: 1-line block ×3, first 2 shown]
	v_cvt_i32_f64_e32 v57, v[61:62]
	v_add_f64 v[25:26], v[29:30], v[25:26]
	v_cvt_f64_i32_e32 v[55:56], v57
	v_add_f64 v[33:34], v[33:34], -v[55:56]
	v_add_f64 v[25:26], v[27:28], v[25:26]
	v_add_f64 v[29:30], v[49:50], v[33:34]
	;; [unrolled: 1-line block ×3, first 2 shown]
	v_add_f64 v[27:28], v[29:30], -v[33:34]
	v_cmp_le_f64_e32 vcc, 0.5, v[29:30]
	v_add_f64 v[27:28], v[49:50], -v[27:28]
	v_cndmask_b32_e32 v18, 0, v44, vcc
	v_add_f64 v[25:26], v[25:26], v[27:28]
	v_add_f64 v[27:28], v[29:30], -v[17:18]
	v_addc_co_u32_e32 v18, vcc, 0, v57, vcc
	v_add_f64 v[29:30], v[27:28], v[25:26]
	v_mul_f64 v[31:32], v[29:30], s[14:15]
	v_add_f64 v[27:28], v[29:30], -v[27:28]
	v_fma_f64 v[33:34], v[29:30], s[14:15], -v[31:32]
	v_add_f64 v[25:26], v[25:26], -v[27:28]
	v_fma_f64 v[27:28], v[29:30], s[36:37], v[33:34]
	v_fma_f64 v[27:28], v[25:26], s[14:15], v[27:28]
	v_add_f64 v[25:26], v[31:32], v[27:28]
	v_add_f64 v[29:30], v[25:26], -v[31:32]
	v_add_f64 v[27:28], v[27:28], -v[29:30]
.LBB155_126:                            ;   in Loop: Header=BB155_7 Depth=1
	s_andn2_saveexec_b64 s[0:1], s[0:1]
	s_cbranch_execz .LBB155_128
; %bb.127:                              ;   in Loop: Header=BB155_7 Depth=1
	v_mul_f64 v[25:26], |v[3:4]|, s[16:17]
	s_mov_b32 s18, s34
	v_rndne_f64_e32 v[29:30], v[25:26]
	v_fma_f64 v[25:26], v[29:30], s[30:31], |v[3:4]|
	v_mul_f64 v[27:28], v[29:30], s[34:35]
	v_cvt_i32_f64_e32 v18, v[29:30]
	v_fma_f64 v[35:36], v[29:30], s[34:35], v[25:26]
	v_add_f64 v[31:32], v[25:26], v[27:28]
	v_add_f64 v[33:34], v[25:26], -v[31:32]
	v_add_f64 v[31:32], v[31:32], -v[35:36]
	v_add_f64 v[25:26], v[33:34], v[27:28]
	v_fma_f64 v[27:28], v[29:30], s[18:19], v[27:28]
	v_add_f64 v[25:26], v[31:32], v[25:26]
	v_add_f64 v[25:26], v[25:26], -v[27:28]
	v_fma_f64 v[27:28], v[29:30], s[20:21], v[25:26]
	v_add_f64 v[25:26], v[35:36], v[27:28]
	v_add_f64 v[31:32], v[25:26], -v[35:36]
	v_add_f64 v[27:28], v[27:28], -v[31:32]
.LBB155_128:                            ;   in Loop: Header=BB155_7 Depth=1
	s_or_b64 exec, exec, s[0:1]
	v_add_f64 v[29:30], |v[1:2]|, s[42:43]
	s_mov_b32 s50, s42
	s_mov_b32 s0, 0x3b39803f
	;; [unrolled: 1-line block ×7, first 2 shown]
	v_add_f64 v[31:32], v[29:30], -|v[1:2]|
	v_and_b32_e32 v18, 1, v18
	v_add_f64 v[33:34], v[31:32], -v[29:30]
	v_add_f64 v[31:32], v[31:32], s[50:51]
	v_add_f64 v[33:34], |v[1:2]|, v[33:34]
	v_add_f64 v[31:32], v[33:34], -v[31:32]
	v_add_f64 v[31:32], v[31:32], s[0:1]
	s_mov_b32 s0, 0xf278e000
	s_mov_b32 s1, 0xbd53de6a
	v_add_f64 v[33:34], v[29:30], v[31:32]
	v_mul_f64 v[35:36], v[33:34], s[8:9]
	v_add_f64 v[29:30], v[29:30], -v[33:34]
	v_rndne_f64_e32 v[35:36], v[35:36]
	v_add_f64 v[29:30], v[31:32], v[29:30]
	v_fma_f64 v[31:32], v[35:36], s[38:39], v[33:34]
	v_mul_f64 v[33:34], v[35:36], s[0:1]
	s_mov_b32 s0, 0xf97b57a0
	s_mov_b32 s1, 0xbac9cc01
	v_cvt_i32_f64_e32 v3, v[35:36]
	v_add_f64 v[37:38], v[29:30], v[31:32]
	v_add_f64 v[39:40], v[37:38], v[33:34]
	v_add_f64 v[31:32], v[31:32], -v[37:38]
	v_add_f64 v[37:38], v[37:38], -v[39:40]
	v_add_f64 v[29:30], v[29:30], v[31:32]
	v_add_f64 v[31:32], v[37:38], v[33:34]
	;; [unrolled: 1-line block ×3, first 2 shown]
	v_mul_f64 v[31:32], v[35:36], s[0:1]
	s_mov_b32 s0, 0x6a5dcb37
	s_mov_b32 s1, 0x3e5ade15
	v_add_f64 v[33:34], v[39:40], v[29:30]
	v_add_f64 v[37:38], v[33:34], v[31:32]
	v_add_f64 v[39:40], v[39:40], -v[33:34]
	v_add_f64 v[33:34], v[33:34], -v[37:38]
	v_add_f64 v[29:30], v[29:30], v[39:40]
	v_add_f64 v[31:32], v[33:34], v[31:32]
	;; [unrolled: 1-line block ×4, first 2 shown]
	v_fma_f64 v[33:34], v[31:32], s[0:1], v[21:22]
	s_mov_b32 s0, 0x623fde64
	s_mov_b32 s1, 0x3ec71dee
	v_add_f64 v[37:38], v[37:38], -v[31:32]
	v_mul_f64 v[39:40], v[31:32], v[31:32]
	v_fma_f64 v[33:34], v[31:32], v[33:34], s[0:1]
	s_mov_b32 s0, 0x7c89e6b0
	s_mov_b32 s1, 0x3efa0199
	v_add_f64 v[29:30], v[29:30], v[37:38]
	v_fma_f64 v[37:38], v[31:32], v[31:32], -v[39:40]
	v_fma_f64 v[33:34], v[31:32], v[33:34], s[0:1]
	s_mov_b32 s0, 0x14761f6e
	s_mov_b32 s1, 0x3f2a01a0
	v_add_f64 v[49:50], v[29:30], v[29:30]
	v_fma_f64 v[33:34], v[31:32], v[33:34], s[0:1]
	s_mov_b32 s0, 0x1852b7b0
	s_mov_b32 s1, 0x3f56c16c
	v_fma_f64 v[37:38], v[31:32], v[49:50], v[37:38]
	v_fma_f64 v[33:34], v[31:32], v[33:34], s[0:1]
	s_mov_b32 s0, 0x55555511
	s_mov_b32 s1, 0x3fc55555
	v_add_f64 v[49:50], v[39:40], v[37:38]
	v_fma_f64 v[33:34], v[31:32], v[33:34], s[94:95]
	v_add_f64 v[39:40], v[49:50], -v[39:40]
	v_fma_f64 v[33:34], v[31:32], v[33:34], s[68:69]
	v_add_f64 v[37:38], v[37:38], -v[39:40]
	v_fma_f64 v[33:34], v[31:32], v[33:34], s[0:1]
	s_mov_b32 s0, 0xc751c08c
	s_mov_b32 s1, 0x3ef5e089
	v_fma_f64 v[33:34], v[31:32], v[33:34], s[72:73]
	v_mul_f64 v[51:52], v[49:50], v[33:34]
	v_fma_f64 v[39:40], v[49:50], v[33:34], -v[51:52]
	v_fma_f64 v[33:34], v[37:38], v[33:34], v[39:40]
	v_add_f64 v[37:38], v[51:52], v[33:34]
	v_add_f64 v[39:40], v[31:32], v[37:38]
	v_add_f64 v[49:50], v[37:38], -v[51:52]
	v_add_f64 v[31:32], v[39:40], -v[31:32]
	;; [unrolled: 1-line block ×3, first 2 shown]
	v_add_f64 v[49:50], v[27:28], v[27:28]
	v_add_f64 v[31:32], v[37:38], -v[31:32]
	v_add_f64 v[29:30], v[29:30], v[33:34]
	v_add_f64 v[29:30], v[29:30], v[31:32]
	;; [unrolled: 1-line block ×3, first 2 shown]
	v_add_f64 v[33:34], v[31:32], 1.0
	v_add_f64 v[37:38], v[31:32], -v[39:40]
	v_add_f64 v[39:40], v[33:34], -1.0
	v_add_f64 v[29:30], v[29:30], -v[37:38]
	v_add_f64 v[31:32], v[31:32], -v[39:40]
	v_add_f64 v[29:30], v[29:30], v[31:32]
	v_add_f64 v[31:32], v[33:34], v[29:30]
	v_ldexp_f64 v[35:36], v[31:32], v3
	v_add_f64 v[31:32], v[31:32], -v[33:34]
	v_rcp_f64_e32 v[37:38], v[35:36]
	v_add_f64 v[29:30], v[29:30], -v[31:32]
	v_ldexp_f64 v[29:30], v[29:30], v3
	v_fma_f64 v[39:40], -v[35:36], v[37:38], 1.0
	v_fma_f64 v[37:38], v[39:40], v[37:38], v[37:38]
	v_fma_f64 v[39:40], -v[35:36], v[37:38], 1.0
	v_fma_f64 v[33:34], v[39:40], v[37:38], v[37:38]
	v_mul_f64 v[37:38], v[25:26], v[25:26]
	v_mul_f64 v[31:32], v[35:36], v[33:34]
	v_fma_f64 v[51:52], v[25:26], v[25:26], -v[37:38]
	v_fma_f64 v[39:40], v[33:34], v[35:36], -v[31:32]
	v_fma_f64 v[49:50], v[25:26], v[49:50], v[51:52]
	v_fma_f64 v[39:40], v[33:34], v[29:30], v[39:40]
	v_add_f64 v[37:38], v[37:38], v[49:50]
	v_add_f64 v[51:52], v[31:32], v[39:40]
	v_fma_f64 v[53:54], v[37:38], s[0:1], v[19:20]
	s_mov_b32 s0, 0x90a8aae0
	s_mov_b32 s1, 0x3f17746f
	v_add_f64 v[49:50], -v[51:52], 1.0
	v_add_f64 v[31:32], v[51:52], -v[31:32]
	v_fma_f64 v[53:54], v[37:38], v[53:54], s[0:1]
	s_mov_b32 s0, 0xa6fbf144
	s_mov_b32 s1, 0xbefbb44d
	v_add_f64 v[55:56], -v[49:50], 1.0
	v_add_f64 v[31:32], v[31:32], -v[39:40]
	v_add_f64 v[39:40], v[55:56], -v[51:52]
	v_fma_f64 v[51:52], v[37:38], v[53:54], s[0:1]
	s_mov_b32 s0, 0xa7943acf
	s_mov_b32 s1, 0x3f21e634
	v_add_f64 v[31:32], v[31:32], v[39:40]
	v_fma_f64 v[39:40], v[37:38], v[51:52], s[0:1]
	s_mov_b32 s0, 0xdeb68feb
	s_mov_b32 s1, 0x3f2d250f
	v_add_f64 v[51:52], v[49:50], v[31:32]
	v_fma_f64 v[39:40], v[37:38], v[39:40], s[0:1]
	s_mov_b32 s0, 0xb58c4d95
	s_mov_b32 s1, 0x3f437fd9
	v_mul_f64 v[53:54], v[33:34], v[51:52]
	v_fma_f64 v[39:40], v[37:38], v[39:40], s[0:1]
	s_mov_b32 s0, 0x15120e2c
	s_mov_b32 s1, 0x3f57d5af
	v_add_f64 v[49:50], v[49:50], -v[51:52]
	v_mul_f64 v[55:56], v[35:36], v[53:54]
	v_fma_f64 v[39:40], v[37:38], v[39:40], s[0:1]
	s_mov_b32 s0, 0xe09491df
	s_mov_b32 s1, 0x3f6d6d93
	v_add_f64 v[31:32], v[31:32], v[49:50]
	v_fma_f64 v[57:58], v[53:54], v[35:36], -v[55:56]
	v_fma_f64 v[39:40], v[37:38], v[39:40], s[0:1]
	s_mov_b32 s0, 0x2033784d
	s_mov_b32 s1, 0x3f8226e1
	v_fma_f64 v[57:58], v[53:54], v[29:30], v[57:58]
	v_fma_f64 v[39:40], v[37:38], v[39:40], s[0:1]
	s_mov_b32 s0, 0x9ac36ae2
	s_mov_b32 s1, 0x3f9664f4
	v_add_f64 v[59:60], v[55:56], v[57:58]
	v_fma_f64 v[39:40], v[37:38], v[39:40], s[0:1]
	s_mov_b32 s0, 0x1b451c21
	s_mov_b32 s1, 0x3faba1ba
	v_add_f64 v[61:62], v[51:52], -v[59:60]
	v_fma_f64 v[39:40], v[37:38], v[39:40], s[0:1]
	s_mov_b32 s0, 0x111185b7
	s_mov_b32 s1, 0x3fc11111
	v_add_f64 v[49:50], v[59:60], -v[55:56]
	v_add_f64 v[51:52], v[51:52], -v[61:62]
	v_fma_f64 v[39:40], v[37:38], v[39:40], s[0:1]
	s_mov_b32 s0, 0x555554ee
	s_mov_b32 s1, 0x3fd55555
	v_add_f64 v[49:50], v[49:50], -v[57:58]
	v_add_f64 v[51:52], v[51:52], -v[59:60]
	v_fma_f64 v[39:40], v[37:38], v[39:40], s[0:1]
	s_mov_b32 s0, 0x8fb9f87e
	s_mov_b32 s1, 0x408633ce
	v_cmp_nge_f64_e64 vcc, |v[1:2]|, s[0:1]
	s_mov_b32 s0, 0
	s_mov_b32 s1, 0x3e400000
	v_add_f64 v[31:32], v[31:32], v[51:52]
	v_mul_f64 v[37:38], v[37:38], v[39:40]
	v_add_f64 v[39:40], v[33:34], v[53:54]
	v_add_f64 v[31:32], v[49:50], v[31:32]
	v_mul_f64 v[49:50], v[25:26], v[37:38]
	v_add_f64 v[51:52], v[39:40], -v[33:34]
	v_add_f64 v[31:32], v[61:62], v[31:32]
	v_add_f64 v[55:56], v[25:26], v[49:50]
	v_add_f64 v[51:52], v[53:54], -v[51:52]
	v_mul_f64 v[31:32], v[33:34], v[31:32]
	v_fma_f64 v[33:34], v[25:26], v[37:38], -v[49:50]
	v_add_f64 v[25:26], v[55:56], -v[25:26]
	v_add_f64 v[31:32], v[51:52], v[31:32]
	v_add_f64 v[27:28], v[27:28], v[33:34]
	v_add_f64 v[25:26], v[49:50], -v[25:26]
	v_add_f64 v[33:34], v[39:40], v[31:32]
	v_add_f64 v[25:26], v[27:28], v[25:26]
	v_ldexp_f64 v[27:28], v[33:34], -2
	v_add_f64 v[33:34], v[33:34], -v[39:40]
	v_add_f64 v[37:38], v[55:56], v[25:26]
	v_add_f64 v[49:50], v[35:36], -v[27:28]
	v_add_f64 v[31:32], v[31:32], -v[33:34]
	v_rcp_f64_e32 v[51:52], v[37:38]
	v_add_f64 v[35:36], v[35:36], -v[49:50]
	v_ldexp_f64 v[31:32], v[31:32], -2
	v_add_f64 v[27:28], v[35:36], -v[27:28]
	v_fma_f64 v[33:34], -v[37:38], v[51:52], 1.0
	v_add_f64 v[27:28], v[29:30], v[27:28]
	v_fma_f64 v[29:30], v[33:34], v[51:52], v[51:52]
	v_and_b32_e32 v34, 0x7fffffff, v2
	v_add_f64 v[27:28], v[27:28], -v[31:32]
	v_fma_f64 v[31:32], -v[37:38], v[29:30], 1.0
	v_add_f64 v[27:28], v[49:50], v[27:28]
	v_fma_f64 v[29:30], v[31:32], v[29:30], v[29:30]
	v_cndmask_b32_e32 v3, v45, v28, vcc
	v_cndmask_b32_e32 v33, 0, v27, vcc
	v_cmp_lt_f64_e64 vcc, |v[1:2]|, s[0:1]
	v_add_f64 v[27:28], v[37:38], -v[55:56]
	v_mul_f64 v[31:32], v[37:38], v[29:30]
	s_mov_b32 s0, 0
	s_brev_b32 s1, 8
	v_cndmask_b32_e32 v3, v3, v34, vcc
	v_cndmask_b32_e32 v1, v33, v1, vcc
	v_bfi_b32 v2, s48, v3, v2
	v_fma_f64 v[33:34], v[1:2], v[1:2], 1.0
	v_add_f64 v[25:26], v[25:26], -v[27:28]
	v_fma_f64 v[27:28], v[29:30], v[37:38], -v[31:32]
	v_cmp_gt_f64_e32 vcc, s[0:1], v[33:34]
	v_cmp_eq_u32_e64 s[0:1], 0, v18
	v_fma_f64 v[25:26], v[29:30], v[25:26], v[27:28]
	v_cndmask_b32_e32 v3, 0, v46, vcc
	v_ldexp_f64 v[33:34], v[33:34], v3
	v_add_f64 v[35:36], v[31:32], v[25:26]
	v_rsq_f64_e32 v[27:28], v[33:34]
	v_add_f64 v[39:40], -v[35:36], 1.0
	v_add_f64 v[31:32], v[35:36], -v[31:32]
	v_add_f64 v[51:52], -v[39:40], 1.0
	v_add_f64 v[25:26], v[31:32], -v[25:26]
	v_mul_f64 v[49:50], v[33:34], v[27:28]
	v_mul_f64 v[27:28], v[27:28], 0.5
	v_add_f64 v[35:36], v[51:52], -v[35:36]
	v_fma_f64 v[31:32], -v[27:28], v[49:50], 0.5
	v_add_f64 v[25:26], v[25:26], v[35:36]
	v_fma_f64 v[49:50], v[49:50], v[31:32], v[49:50]
	v_fma_f64 v[27:28], v[27:28], v[31:32], v[27:28]
	v_add_f64 v[25:26], v[39:40], v[25:26]
	v_fma_f64 v[31:32], -v[49:50], v[49:50], v[33:34]
	v_mul_f64 v[25:26], v[29:30], v[25:26]
	v_fma_f64 v[31:32], v[31:32], v[27:28], v[49:50]
	v_add_f64 v[25:26], v[29:30], v[25:26]
	v_and_b32_e32 v29, 0x80000000, v4
	v_fma_f64 v[35:36], -v[31:32], v[31:32], v[33:34]
	v_xor_b32_e32 v26, 0x80000000, v26
	v_cndmask_b32_e64 v18, v26, v38, s[0:1]
	v_xor_b32_e32 v26, v18, v29
	v_cndmask_b32_e32 v18, 0, v47, vcc
	v_cndmask_b32_e64 v25, v25, v37, s[0:1]
	v_cmp_class_f64_e32 vcc, v[33:34], v42
	v_fma_f64 v[3:4], v[35:36], v[27:28], v[31:32]
	v_fma_f64 v[27:28], v[25:26], v[25:26], 1.0
	v_ldexp_f64 v[3:4], v[3:4], v18
	v_mul_f64 v[29:30], v[1:2], v[27:28]
	v_cndmask_b32_e32 v4, v4, v34, vcc
	v_cndmask_b32_e32 v3, v3, v33, vcc
	v_mul_f64 v[3:4], v[3:4], v[27:28]
	v_fma_f64 v[27:28], v[1:2], v[29:30], 1.0
	v_mul_f64 v[1:2], v[1:2], v[3:4]
	v_div_scale_f64 v[29:30], s[0:1], v[27:28], v[27:28], v[25:26]
	v_div_scale_f64 v[3:4], s[0:1], v[27:28], v[27:28], v[1:2]
	;; [unrolled: 1-line block ×3, first 2 shown]
	v_rcp_f64_e32 v[33:34], v[29:30]
	v_rcp_f64_e32 v[31:32], v[3:4]
	v_fma_f64 v[37:38], -v[29:30], v[33:34], 1.0
	v_fma_f64 v[35:36], -v[3:4], v[31:32], 1.0
	v_fma_f64 v[33:34], v[33:34], v[37:38], v[33:34]
	v_fma_f64 v[31:32], v[31:32], v[35:36], v[31:32]
	v_div_scale_f64 v[35:36], vcc, v[1:2], v[27:28], v[1:2]
	v_fma_f64 v[49:50], -v[29:30], v[33:34], 1.0
	v_fma_f64 v[37:38], -v[3:4], v[31:32], 1.0
	v_fma_f64 v[33:34], v[33:34], v[49:50], v[33:34]
	v_fma_f64 v[31:32], v[31:32], v[37:38], v[31:32]
	v_mul_f64 v[49:50], v[39:40], v[33:34]
	v_mul_f64 v[37:38], v[35:36], v[31:32]
	v_fma_f64 v[29:30], -v[29:30], v[49:50], v[39:40]
	v_fma_f64 v[3:4], -v[3:4], v[37:38], v[35:36]
	v_div_fmas_f64 v[3:4], v[3:4], v[31:32], v[37:38]
	s_mov_b64 vcc, s[0:1]
	v_div_fmas_f64 v[29:30], v[29:30], v[33:34], v[49:50]
	v_div_fixup_f64 v[1:2], v[3:4], v[27:28], v[1:2]
	v_div_fixup_f64 v[3:4], v[29:30], v[27:28], v[25:26]
.LBB155_129:                            ;   in Loop: Header=BB155_7 Depth=1
	s_andn2_saveexec_b64 s[0:1], s[58:59]
	s_cbranch_execz .LBB155_139
; %bb.130:                              ;   in Loop: Header=BB155_7 Depth=1
	v_cmp_nlt_f64_e64 s[58:59], |v[3:4]|, s[24:25]
                                        ; implicit-def: $vgpr33
                                        ; implicit-def: $vgpr25_vgpr26
                                        ; implicit-def: $vgpr27_vgpr28
	s_and_saveexec_b64 s[60:61], s[58:59]
	s_xor_b64 s[60:61], exec, s[60:61]
	s_cbranch_execz .LBB155_132
; %bb.131:                              ;   in Loop: Header=BB155_7 Depth=1
	v_trig_preop_f64 v[25:26], |v[3:4]|, 0
	v_ldexp_f64 v[27:28], |v[3:4]|, s67
	v_cmp_ge_f64_e64 vcc, |v[3:4]|, s[26:27]
	v_trig_preop_f64 v[29:30], |v[3:4]|, 1
	v_and_b32_e32 v18, 0x7fffffff, v4
	v_trig_preop_f64 v[37:38], |v[3:4]|, 2
	s_mov_b32 s14, s30
	s_mov_b32 s37, s19
	v_cndmask_b32_e32 v28, v18, v28, vcc
	v_cndmask_b32_e32 v27, v3, v27, vcc
	v_mul_f64 v[31:32], v[25:26], v[27:28]
	v_mul_f64 v[33:34], v[29:30], v[27:28]
	;; [unrolled: 1-line block ×3, first 2 shown]
	v_fma_f64 v[25:26], v[25:26], v[27:28], -v[31:32]
	v_fma_f64 v[29:30], v[29:30], v[27:28], -v[33:34]
	;; [unrolled: 1-line block ×3, first 2 shown]
	v_add_f64 v[35:36], v[33:34], v[25:26]
	v_add_f64 v[39:40], v[35:36], -v[33:34]
	v_add_f64 v[53:54], v[31:32], v[35:36]
	v_add_f64 v[49:50], v[35:36], -v[39:40]
	v_add_f64 v[25:26], v[25:26], -v[39:40]
	v_add_f64 v[39:40], v[51:52], v[29:30]
	v_add_f64 v[31:32], v[53:54], -v[31:32]
	v_add_f64 v[33:34], v[33:34], -v[49:50]
	v_ldexp_f64 v[49:50], v[53:54], -2
	v_add_f64 v[55:56], v[39:40], -v[51:52]
	v_add_f64 v[31:32], v[35:36], -v[31:32]
	v_add_f64 v[25:26], v[25:26], v[33:34]
	v_fract_f64_e32 v[33:34], v[49:50]
	v_cmp_neq_f64_e64 vcc, |v[49:50]|, s[28:29]
	v_add_f64 v[29:30], v[29:30], -v[55:56]
	v_add_f64 v[35:36], v[39:40], v[25:26]
	v_ldexp_f64 v[33:34], v[33:34], 2
	v_add_f64 v[49:50], v[31:32], v[35:36]
	v_cndmask_b32_e32 v34, 0, v34, vcc
	v_cndmask_b32_e32 v33, 0, v33, vcc
	v_add_f64 v[57:58], v[35:36], -v[39:40]
	v_add_f64 v[53:54], v[49:50], v[33:34]
	v_add_f64 v[31:32], v[49:50], -v[31:32]
	v_add_f64 v[59:60], v[35:36], -v[57:58]
	;; [unrolled: 1-line block ×3, first 2 shown]
	v_cmp_gt_f64_e32 vcc, 0, v[53:54]
	v_add_f64 v[53:54], v[39:40], -v[55:56]
	v_add_f64 v[31:32], v[35:36], -v[31:32]
	;; [unrolled: 1-line block ×3, first 2 shown]
	v_cndmask_b32_e32 v18, 0, v43, vcc
	v_add_f64 v[33:34], v[33:34], v[17:18]
	v_add_f64 v[53:54], v[51:52], -v[53:54]
	v_add_f64 v[25:26], v[25:26], v[39:40]
	v_add_f64 v[61:62], v[49:50], v[33:34]
	;; [unrolled: 1-line block ×3, first 2 shown]
	v_cvt_i32_f64_e32 v57, v[61:62]
	v_add_f64 v[25:26], v[29:30], v[25:26]
	v_cvt_f64_i32_e32 v[55:56], v57
	v_add_f64 v[33:34], v[33:34], -v[55:56]
	v_add_f64 v[25:26], v[27:28], v[25:26]
	v_add_f64 v[29:30], v[49:50], v[33:34]
	;; [unrolled: 1-line block ×3, first 2 shown]
	v_add_f64 v[27:28], v[29:30], -v[33:34]
	v_cmp_le_f64_e32 vcc, 0.5, v[29:30]
	v_add_f64 v[27:28], v[49:50], -v[27:28]
	v_cndmask_b32_e32 v18, 0, v44, vcc
	v_add_f64 v[25:26], v[25:26], v[27:28]
	v_add_f64 v[27:28], v[29:30], -v[17:18]
	v_add_f64 v[29:30], v[27:28], v[25:26]
	v_mul_f64 v[31:32], v[29:30], s[14:15]
	v_add_f64 v[27:28], v[29:30], -v[27:28]
	v_fma_f64 v[33:34], v[29:30], s[14:15], -v[31:32]
	v_add_f64 v[25:26], v[25:26], -v[27:28]
	v_fma_f64 v[27:28], v[29:30], s[36:37], v[33:34]
	v_addc_co_u32_e32 v33, vcc, 0, v57, vcc
	v_fma_f64 v[27:28], v[25:26], s[14:15], v[27:28]
	v_add_f64 v[25:26], v[31:32], v[27:28]
	v_add_f64 v[29:30], v[25:26], -v[31:32]
	v_add_f64 v[27:28], v[27:28], -v[29:30]
	s_andn2_saveexec_b64 s[60:61], s[60:61]
	s_cbranch_execz .LBB155_134
	s_branch .LBB155_133
.LBB155_132:                            ;   in Loop: Header=BB155_7 Depth=1
	s_andn2_saveexec_b64 s[60:61], s[60:61]
	s_cbranch_execz .LBB155_134
.LBB155_133:                            ;   in Loop: Header=BB155_7 Depth=1
	v_mul_f64 v[25:26], |v[3:4]|, s[16:17]
	s_mov_b32 s18, s34
	v_rndne_f64_e32 v[29:30], v[25:26]
	v_fma_f64 v[25:26], v[29:30], s[30:31], |v[3:4]|
	v_mul_f64 v[27:28], v[29:30], s[34:35]
	v_fma_f64 v[35:36], v[29:30], s[34:35], v[25:26]
	v_add_f64 v[31:32], v[25:26], v[27:28]
	v_add_f64 v[33:34], v[25:26], -v[31:32]
	v_add_f64 v[31:32], v[31:32], -v[35:36]
	v_add_f64 v[25:26], v[33:34], v[27:28]
	v_fma_f64 v[27:28], v[29:30], s[18:19], v[27:28]
	v_cvt_i32_f64_e32 v33, v[29:30]
	v_add_f64 v[25:26], v[31:32], v[25:26]
	v_add_f64 v[25:26], v[25:26], -v[27:28]
	v_fma_f64 v[27:28], v[29:30], s[20:21], v[25:26]
	v_add_f64 v[25:26], v[35:36], v[27:28]
	v_add_f64 v[31:32], v[25:26], -v[35:36]
	v_add_f64 v[27:28], v[27:28], -v[31:32]
.LBB155_134:                            ;   in Loop: Header=BB155_7 Depth=1
	s_or_b64 exec, exec, s[60:61]
                                        ; implicit-def: $vgpr18
                                        ; implicit-def: $vgpr29_vgpr30
                                        ; implicit-def: $vgpr31_vgpr32
	s_and_saveexec_b64 s[60:61], s[58:59]
	s_xor_b64 s[58:59], exec, s[60:61]
	s_cbranch_execz .LBB155_136
; %bb.135:                              ;   in Loop: Header=BB155_7 Depth=1
	v_trig_preop_f64 v[29:30], |v[3:4]|, 0
	v_ldexp_f64 v[31:32], |v[3:4]|, s67
	v_cmp_ge_f64_e64 vcc, |v[3:4]|, s[26:27]
	v_trig_preop_f64 v[34:35], |v[3:4]|, 1
	v_and_b32_e32 v18, 0x7fffffff, v4
	v_trig_preop_f64 v[51:52], |v[3:4]|, 2
	s_mov_b32 s14, s30
	s_mov_b32 s37, s19
	v_cndmask_b32_e32 v32, v18, v32, vcc
	v_cndmask_b32_e32 v31, v3, v31, vcc
	v_mul_f64 v[36:37], v[29:30], v[31:32]
	v_mul_f64 v[38:39], v[34:35], v[31:32]
	;; [unrolled: 1-line block ×3, first 2 shown]
	v_fma_f64 v[29:30], v[29:30], v[31:32], -v[36:37]
	v_fma_f64 v[34:35], v[34:35], v[31:32], -v[38:39]
	;; [unrolled: 1-line block ×3, first 2 shown]
	v_add_f64 v[49:50], v[38:39], v[29:30]
	v_add_f64 v[53:54], v[49:50], -v[38:39]
	v_add_f64 v[59:60], v[36:37], v[49:50]
	v_add_f64 v[55:56], v[49:50], -v[53:54]
	v_add_f64 v[29:30], v[29:30], -v[53:54]
	v_add_f64 v[53:54], v[57:58], v[34:35]
	v_add_f64 v[36:37], v[59:60], -v[36:37]
	v_add_f64 v[38:39], v[38:39], -v[55:56]
	v_ldexp_f64 v[55:56], v[59:60], -2
	v_add_f64 v[61:62], v[53:54], -v[57:58]
	v_add_f64 v[36:37], v[49:50], -v[36:37]
	v_add_f64 v[29:30], v[29:30], v[38:39]
	v_fract_f64_e32 v[38:39], v[55:56]
	v_cmp_neq_f64_e64 vcc, |v[55:56]|, s[28:29]
	v_add_f64 v[34:35], v[34:35], -v[61:62]
	v_add_f64 v[49:50], v[53:54], v[29:30]
	v_ldexp_f64 v[38:39], v[38:39], 2
	v_add_f64 v[55:56], v[36:37], v[49:50]
	v_cndmask_b32_e32 v39, 0, v39, vcc
	v_cndmask_b32_e32 v38, 0, v38, vcc
	v_add_f64 v[63:64], v[49:50], -v[53:54]
	v_add_f64 v[59:60], v[55:56], v[38:39]
	v_add_f64 v[36:37], v[55:56], -v[36:37]
	v_add_f64 v[65:66], v[49:50], -v[63:64]
	;; [unrolled: 1-line block ×3, first 2 shown]
	v_cmp_gt_f64_e32 vcc, 0, v[59:60]
	v_add_f64 v[59:60], v[53:54], -v[61:62]
	v_add_f64 v[36:37], v[49:50], -v[36:37]
	;; [unrolled: 1-line block ×3, first 2 shown]
	v_cndmask_b32_e32 v18, 0, v43, vcc
	v_add_f64 v[38:39], v[38:39], v[17:18]
	v_add_f64 v[59:60], v[57:58], -v[59:60]
	v_add_f64 v[29:30], v[29:30], v[53:54]
	v_add_f64 v[67:68], v[55:56], v[38:39]
	;; [unrolled: 1-line block ×3, first 2 shown]
	v_cvt_i32_f64_e32 v40, v[67:68]
	v_add_f64 v[29:30], v[34:35], v[29:30]
	v_cvt_f64_i32_e32 v[61:62], v40
	v_add_f64 v[38:39], v[38:39], -v[61:62]
	v_add_f64 v[29:30], v[31:32], v[29:30]
	v_add_f64 v[34:35], v[55:56], v[38:39]
	;; [unrolled: 1-line block ×3, first 2 shown]
	v_add_f64 v[31:32], v[34:35], -v[38:39]
	v_cmp_le_f64_e32 vcc, 0.5, v[34:35]
	v_add_f64 v[31:32], v[55:56], -v[31:32]
	v_cndmask_b32_e32 v18, 0, v44, vcc
	v_add_f64 v[29:30], v[29:30], v[31:32]
	v_add_f64 v[31:32], v[34:35], -v[17:18]
	v_addc_co_u32_e32 v18, vcc, 0, v40, vcc
	v_add_f64 v[34:35], v[31:32], v[29:30]
	v_mul_f64 v[36:37], v[34:35], s[14:15]
	v_add_f64 v[31:32], v[34:35], -v[31:32]
	v_fma_f64 v[38:39], v[34:35], s[14:15], -v[36:37]
	v_add_f64 v[29:30], v[29:30], -v[31:32]
	v_fma_f64 v[31:32], v[34:35], s[36:37], v[38:39]
	v_fma_f64 v[31:32], v[29:30], s[14:15], v[31:32]
	v_add_f64 v[29:30], v[36:37], v[31:32]
	v_add_f64 v[34:35], v[29:30], -v[36:37]
	v_add_f64 v[31:32], v[31:32], -v[34:35]
	s_andn2_saveexec_b64 s[58:59], s[58:59]
	s_cbranch_execnz .LBB155_137
	s_branch .LBB155_138
.LBB155_136:                            ;   in Loop: Header=BB155_7 Depth=1
	s_andn2_saveexec_b64 s[58:59], s[58:59]
	s_cbranch_execz .LBB155_138
.LBB155_137:                            ;   in Loop: Header=BB155_7 Depth=1
	v_mul_f64 v[29:30], |v[3:4]|, s[16:17]
	s_mov_b32 s18, s34
	v_rndne_f64_e32 v[34:35], v[29:30]
	v_fma_f64 v[29:30], v[34:35], s[30:31], |v[3:4]|
	v_mul_f64 v[31:32], v[34:35], s[34:35]
	v_cvt_i32_f64_e32 v18, v[34:35]
	v_fma_f64 v[49:50], v[34:35], s[34:35], v[29:30]
	v_add_f64 v[36:37], v[29:30], v[31:32]
	v_add_f64 v[38:39], v[29:30], -v[36:37]
	v_add_f64 v[36:37], v[36:37], -v[49:50]
	v_add_f64 v[29:30], v[38:39], v[31:32]
	v_fma_f64 v[31:32], v[34:35], s[18:19], v[31:32]
	v_add_f64 v[29:30], v[36:37], v[29:30]
	v_add_f64 v[29:30], v[29:30], -v[31:32]
	v_fma_f64 v[31:32], v[34:35], s[20:21], v[29:30]
	v_add_f64 v[29:30], v[49:50], v[31:32]
	v_add_f64 v[36:37], v[29:30], -v[49:50]
	v_add_f64 v[31:32], v[31:32], -v[36:37]
.LBB155_138:                            ;   in Loop: Header=BB155_7 Depth=1
	s_or_b64 exec, exec, s[58:59]
	v_mul_f64 v[34:35], |v[1:2]|, s[40:41]
	s_mov_b32 s58, 0x3b39803f
	s_mov_b32 s59, 0xbc7abc9e
	v_mul_f64 v[49:50], v[25:26], v[25:26]
	v_mov_b32_e32 v53, s86
	v_mov_b32_e32 v54, s87
	v_mul_f64 v[55:56], v[29:30], v[29:30]
	v_mov_b32_e32 v51, s76
	v_rndne_f64_e32 v[34:35], v[34:35]
	v_mov_b32_e32 v52, s77
	v_mul_f64 v[57:58], v[27:28], 0.5
	v_fma_f64 v[59:60], v[49:50], s[88:89], v[53:54]
	v_fma_f64 v[61:62], v[49:50], s[78:79], v[51:52]
	v_mul_f64 v[63:64], v[49:50], 0.5
	v_fma_f64 v[53:54], v[55:56], s[88:89], v[53:54]
	v_mul_f64 v[67:68], v[55:56], 0.5
	v_fma_f64 v[36:37], v[34:35], s[42:43], -|v[1:2]|
	v_fma_f64 v[51:52], v[55:56], s[78:79], v[51:52]
	s_mov_b32 s95, s45
	v_fma_f64 v[59:60], v[49:50], v[59:60], s[90:91]
	v_fma_f64 v[61:62], v[49:50], v[61:62], s[80:81]
	v_add_f64 v[69:70], -v[63:64], 1.0
	v_fma_f64 v[53:54], v[55:56], v[53:54], s[90:91]
	v_mul_f64 v[71:72], v[25:26], -v[49:50]
	v_fma_f64 v[36:37], v[34:35], s[58:59], v[36:37]
	s_mov_b32 s58, 0x6a5dcb37
	s_mov_b32 s59, 0x3e5ade15
	v_fma_f64 v[59:60], v[49:50], v[59:60], s[92:93]
	v_add_f64 v[73:74], -v[67:68], 1.0
	v_fma_f64 v[51:52], v[55:56], v[51:52], s[80:81]
	v_fma_f64 v[53:54], v[55:56], v[53:54], s[92:93]
	;; [unrolled: 1-line block ×4, first 2 shown]
	s_mov_b32 s58, 0x623fde64
	s_mov_b32 s59, 0x3ec71dee
	v_add_f64 v[75:76], -v[69:70], 1.0
	v_fma_f64 v[59:60], v[49:50], v[59:60], s[44:45]
	v_mul_f64 v[65:66], v[31:32], 0.5
	v_mul_f64 v[77:78], v[29:30], -v[55:56]
	v_fma_f64 v[53:54], v[55:56], v[53:54], s[44:45]
	v_fma_f64 v[38:39], v[36:37], v[38:39], s[58:59]
	s_mov_b32 s58, 0x7c89e6b0
	s_mov_b32 s59, 0x3efa0199
	s_mov_b32 s69, s57
	v_add_f64 v[79:80], -v[73:74], 1.0
	v_fma_f64 v[51:52], v[55:56], v[51:52], s[82:83]
	v_fma_f64 v[61:62], v[49:50], v[61:62], s[84:85]
	v_add_f64 v[63:64], v[75:76], -v[63:64]
	v_fma_f64 v[38:39], v[36:37], v[38:39], s[58:59]
	s_mov_b32 s58, 0x14761f6e
	s_mov_b32 s59, 0x3f2a01a0
	v_fma_f64 v[57:58], v[71:72], v[59:60], v[57:58]
	v_fma_f64 v[53:54], v[77:78], v[53:54], v[65:66]
	v_mul_f64 v[59:60], v[49:50], v[49:50]
	v_add_f64 v[67:68], v[79:80], -v[67:68]
	v_fma_f64 v[51:52], v[55:56], v[51:52], s[84:85]
	v_fma_f64 v[38:39], v[36:37], v[38:39], s[58:59]
	s_mov_b32 s58, 0x1852b7b0
	s_mov_b32 s59, 0x3f56c16c
	v_fma_f64 v[61:62], v[49:50], v[61:62], s[56:57]
	v_fma_f64 v[63:64], v[25:26], -v[27:28], v[63:64]
	v_fma_f64 v[27:28], v[49:50], v[57:58], -v[27:28]
	s_mov_b32 s46, s56
	v_fma_f64 v[53:54], v[55:56], v[53:54], -v[31:32]
	v_fma_f64 v[38:39], v[36:37], v[38:39], s[58:59]
	s_mov_b32 s58, 0x55555511
	s_mov_b32 s59, 0x3fc55555
	v_mul_f64 v[49:50], v[55:56], v[55:56]
	v_fma_f64 v[51:52], v[55:56], v[51:52], s[56:57]
	v_fma_f64 v[31:32], v[29:30], -v[31:32], v[67:68]
	v_fma_f64 v[55:56], v[59:60], v[61:62], v[63:64]
	v_fma_f64 v[27:28], v[71:72], s[46:47], v[27:28]
	;; [unrolled: 1-line block ×3, first 2 shown]
	v_lshlrev_b32_e32 v3, 30, v33
	v_xor_b32_e32 v57, v3, v4
	v_fma_f64 v[3:4], v[77:78], s[46:47], v[53:54]
	v_and_b32_e32 v40, 1, v33
	v_fma_f64 v[31:32], v[49:50], v[51:52], v[31:32]
	v_add_f64 v[49:50], v[69:70], v[55:56]
	v_add_f64 v[25:26], v[25:26], -v[27:28]
	v_fma_f64 v[38:39], v[36:37], v[38:39], s[68:69]
	v_cmp_eq_u32_e32 vcc, 0, v40
	v_cvt_i32_f64_e32 v34, v[34:35]
	v_add_f64 v[3:4], v[29:30], -v[3:4]
	v_and_b32_e32 v33, 1, v18
	v_add_f64 v[29:30], v[73:74], v[31:32]
	v_lshlrev_b32_e32 v18, 30, v18
	v_cndmask_b32_e32 v26, v50, v26, vcc
	v_fma_f64 v[38:39], v[36:37], v[38:39], s[58:59]
	v_cndmask_b32_e32 v25, v49, v25, vcc
	v_cmp_eq_u32_e32 vcc, 0, v33
	v_xor_b32_e32 v4, 0x80000000, v4
	s_mov_b32 s58, 0
	v_and_b32_e32 v18, 0x80000000, v18
	v_cndmask_b32_e32 v4, v4, v30, vcc
	s_mov_b32 s59, 0x4090cc00
	v_fma_f64 v[38:39], v[36:37], v[38:39], s[72:73]
	v_cndmask_b32_e32 v3, v3, v29, vcc
	v_xor_b32_e32 v4, v4, v18
	v_cmp_ngt_f64_e64 vcc, |v[1:2]|, s[58:59]
	v_bfi_b32 v18, s48, v44, v2
	v_mov_b32_e32 v1, v17
	v_mov_b32_e32 v2, v18
	v_fma_f64 v[27:28], v[36:37], v[38:39], 1.0
	v_and_b32_e32 v38, 0x80000000, v57
	v_xor_b32_e32 v26, v26, v38
	v_mul_f64 v[25:26], v[25:26], 4.0
	v_fma_f64 v[27:28], v[36:37], v[27:28], 1.0
	v_mul_f64 v[3:4], v[25:26], v[3:4]
	v_ldexp_f64 v[27:28], v[27:28], v34
	v_cndmask_b32_e32 v26, 0, v28, vcc
	v_cndmask_b32_e32 v25, 0, v27, vcc
	v_mul_f64 v[3:4], v[25:26], v[3:4]
	v_mul_f64 v[3:4], v[25:26], v[3:4]
.LBB155_139:                            ;   in Loop: Header=BB155_7 Depth=1
	s_or_b64 exec, exec, s[0:1]
.LBB155_140:                            ;   in Loop: Header=BB155_7 Depth=1
	s_andn2_saveexec_b64 s[0:1], s[52:53]
	s_cbranch_execz .LBB155_142
; %bb.141:                              ;   in Loop: Header=BB155_7 Depth=1
	v_add_f64 v[3:4], v[3:4], -v[3:4]
	v_mov_b32_e32 v1, v3
	v_mov_b32_e32 v2, v4
.LBB155_142:                            ;   in Loop: Header=BB155_7 Depth=1
	s_or_b64 exec, exec, s[0:1]
.LBB155_143:                            ;   in Loop: Header=BB155_7 Depth=1
	s_andn2_saveexec_b64 s[52:53], s[74:75]
	s_cbranch_execz .LBB155_6
; %bb.144:                              ;   in Loop: Header=BB155_7 Depth=1
	v_and_or_b32 v18, v2, s70, v1
	v_cmp_ne_u32_e32 vcc, 0, v18
	s_and_saveexec_b64 s[0:1], vcc
	s_xor_b64 s[0:1], exec, s[0:1]
	s_cbranch_execz .LBB155_146
; %bb.145:                              ;   in Loop: Header=BB155_7 Depth=1
	v_mul_f64 v[25:26], v[1:2], v[3:4]
	v_cmp_eq_f64_e32 vcc, 0, v[3:4]
	v_cndmask_b32_e32 v4, v26, v4, vcc
	v_cndmask_b32_e32 v3, v25, v3, vcc
.LBB155_146:                            ;   in Loop: Header=BB155_7 Depth=1
	s_andn2_saveexec_b64 s[58:59], s[0:1]
	s_cbranch_execz .LBB155_5
; %bb.147:                              ;   in Loop: Header=BB155_7 Depth=1
	v_cmp_neq_f64_e64 s[0:1], |v[3:4]|, s[28:29]
	s_and_saveexec_b64 s[74:75], s[0:1]
	s_cbranch_execz .LBB155_4
; %bb.148:                              ;   in Loop: Header=BB155_7 Depth=1
	v_trig_preop_f64 v[35:36], |v[3:4]|, 0
	v_trig_preop_f64 v[33:34], |v[3:4]|, 1
	;; [unrolled: 1-line block ×3, first 2 shown]
	v_cmp_nlt_f64_e64 s[0:1], |v[3:4]|, s[24:25]
	v_ldexp_f64 v[37:38], |v[3:4]|, s67
	v_and_b32_e32 v50, 0x7fffffff, v4
                                        ; implicit-def: $vgpr49
                                        ; implicit-def: $vgpr25_vgpr26
                                        ; implicit-def: $vgpr27_vgpr28
	s_and_saveexec_b64 s[60:61], s[0:1]
	s_xor_b64 s[60:61], exec, s[60:61]
	s_cbranch_execz .LBB155_150
; %bb.149:                              ;   in Loop: Header=BB155_7 Depth=1
	v_cmp_ge_f64_e64 vcc, |v[3:4]|, s[26:27]
	s_mov_b32 s14, s30
	s_mov_b32 s37, s19
	v_cndmask_b32_e32 v26, v50, v38, vcc
	v_cndmask_b32_e32 v25, v3, v37, vcc
	v_mul_f64 v[27:28], v[35:36], v[25:26]
	v_mul_f64 v[31:32], v[33:34], v[25:26]
	v_mul_f64 v[57:58], v[29:30], v[25:26]
	v_fma_f64 v[39:40], v[35:36], v[25:26], -v[27:28]
	v_fma_f64 v[59:60], v[33:34], v[25:26], -v[31:32]
	;; [unrolled: 1-line block ×3, first 2 shown]
	v_add_f64 v[51:52], v[31:32], v[39:40]
	v_add_f64 v[53:54], v[51:52], -v[31:32]
	v_add_f64 v[61:62], v[27:28], v[51:52]
	v_add_f64 v[55:56], v[51:52], -v[53:54]
	v_add_f64 v[39:40], v[39:40], -v[53:54]
	v_add_f64 v[53:54], v[57:58], v[59:60]
	v_add_f64 v[27:28], v[61:62], -v[27:28]
	v_add_f64 v[31:32], v[31:32], -v[55:56]
	v_ldexp_f64 v[55:56], v[61:62], -2
	v_add_f64 v[63:64], v[53:54], -v[57:58]
	v_add_f64 v[27:28], v[51:52], -v[27:28]
	v_add_f64 v[31:32], v[39:40], v[31:32]
	v_fract_f64_e32 v[39:40], v[55:56]
	v_cmp_neq_f64_e64 vcc, |v[55:56]|, s[28:29]
	v_add_f64 v[59:60], v[59:60], -v[63:64]
	v_add_f64 v[51:52], v[53:54], v[31:32]
	v_ldexp_f64 v[39:40], v[39:40], 2
	v_add_f64 v[55:56], v[27:28], v[51:52]
	v_cndmask_b32_e32 v40, 0, v40, vcc
	v_cndmask_b32_e32 v39, 0, v39, vcc
	v_add_f64 v[65:66], v[51:52], -v[53:54]
	v_add_f64 v[61:62], v[55:56], v[39:40]
	v_add_f64 v[27:28], v[55:56], -v[27:28]
	v_add_f64 v[67:68], v[51:52], -v[65:66]
	;; [unrolled: 1-line block ×3, first 2 shown]
	v_cmp_gt_f64_e32 vcc, 0, v[61:62]
	v_add_f64 v[61:62], v[53:54], -v[63:64]
	v_add_f64 v[27:28], v[51:52], -v[27:28]
	;; [unrolled: 1-line block ×3, first 2 shown]
	v_cndmask_b32_e32 v18, 0, v43, vcc
	v_add_f64 v[39:40], v[39:40], v[17:18]
	v_add_f64 v[61:62], v[57:58], -v[61:62]
	v_add_f64 v[31:32], v[31:32], v[53:54]
	v_add_f64 v[69:70], v[55:56], v[39:40]
	;; [unrolled: 1-line block ×3, first 2 shown]
	v_cvt_i32_f64_e32 v49, v[69:70]
	v_add_f64 v[31:32], v[59:60], v[31:32]
	v_cvt_f64_i32_e32 v[63:64], v49
	v_add_f64 v[39:40], v[39:40], -v[63:64]
	v_add_f64 v[25:26], v[25:26], v[31:32]
	v_add_f64 v[53:54], v[55:56], v[39:40]
	;; [unrolled: 1-line block ×3, first 2 shown]
	v_add_f64 v[31:32], v[53:54], -v[39:40]
	v_cmp_le_f64_e32 vcc, 0.5, v[53:54]
	v_add_f64 v[27:28], v[55:56], -v[31:32]
	v_cndmask_b32_e32 v18, 0, v44, vcc
	v_addc_co_u32_e32 v49, vcc, 0, v49, vcc
	v_add_f64 v[25:26], v[25:26], v[27:28]
	v_add_f64 v[27:28], v[53:54], -v[17:18]
	v_add_f64 v[31:32], v[27:28], v[25:26]
	v_mul_f64 v[39:40], v[31:32], s[14:15]
	v_add_f64 v[27:28], v[31:32], -v[27:28]
	v_fma_f64 v[51:52], v[31:32], s[14:15], -v[39:40]
	v_add_f64 v[25:26], v[25:26], -v[27:28]
	v_fma_f64 v[27:28], v[31:32], s[36:37], v[51:52]
	v_fma_f64 v[27:28], v[25:26], s[14:15], v[27:28]
	v_add_f64 v[25:26], v[39:40], v[27:28]
	v_add_f64 v[31:32], v[25:26], -v[39:40]
	v_add_f64 v[27:28], v[27:28], -v[31:32]
	s_andn2_saveexec_b64 s[60:61], s[60:61]
	s_cbranch_execz .LBB155_152
	s_branch .LBB155_151
.LBB155_150:                            ;   in Loop: Header=BB155_7 Depth=1
	s_andn2_saveexec_b64 s[60:61], s[60:61]
	s_cbranch_execz .LBB155_152
.LBB155_151:                            ;   in Loop: Header=BB155_7 Depth=1
	v_mul_f64 v[25:26], |v[3:4]|, s[16:17]
	s_mov_b32 s18, s34
	v_rndne_f64_e32 v[31:32], v[25:26]
	v_fma_f64 v[25:26], v[31:32], s[30:31], |v[3:4]|
	v_mul_f64 v[27:28], v[31:32], s[34:35]
	v_cvt_i32_f64_e32 v49, v[31:32]
	v_fma_f64 v[53:54], v[31:32], s[34:35], v[25:26]
	v_add_f64 v[39:40], v[25:26], v[27:28]
	v_add_f64 v[51:52], v[25:26], -v[39:40]
	v_add_f64 v[39:40], v[39:40], -v[53:54]
	v_add_f64 v[25:26], v[51:52], v[27:28]
	v_fma_f64 v[27:28], v[31:32], s[18:19], v[27:28]
	v_add_f64 v[25:26], v[39:40], v[25:26]
	v_add_f64 v[25:26], v[25:26], -v[27:28]
	v_fma_f64 v[27:28], v[31:32], s[20:21], v[25:26]
	v_add_f64 v[25:26], v[53:54], v[27:28]
	v_add_f64 v[39:40], v[25:26], -v[53:54]
	v_add_f64 v[27:28], v[27:28], -v[39:40]
.LBB155_152:                            ;   in Loop: Header=BB155_7 Depth=1
	s_or_b64 exec, exec, s[60:61]
                                        ; implicit-def: $vgpr18
                                        ; implicit-def: $vgpr31_vgpr32
                                        ; implicit-def: $vgpr39_vgpr40
	s_and_saveexec_b64 s[60:61], s[0:1]
	s_xor_b64 s[0:1], exec, s[60:61]
	s_cbranch_execz .LBB155_154
; %bb.153:                              ;   in Loop: Header=BB155_7 Depth=1
	v_cmp_ge_f64_e64 vcc, |v[3:4]|, s[26:27]
	s_mov_b32 s14, s30
	s_mov_b32 s37, s19
	v_cndmask_b32_e32 v32, v50, v38, vcc
	v_cndmask_b32_e32 v31, v3, v37, vcc
	v_mul_f64 v[37:38], v[35:36], v[31:32]
	v_mul_f64 v[39:40], v[33:34], v[31:32]
	;; [unrolled: 1-line block ×3, first 2 shown]
	v_fma_f64 v[35:36], v[35:36], v[31:32], -v[37:38]
	v_fma_f64 v[33:34], v[33:34], v[31:32], -v[39:40]
	;; [unrolled: 1-line block ×3, first 2 shown]
	v_add_f64 v[50:51], v[39:40], v[35:36]
	v_add_f64 v[52:53], v[50:51], -v[39:40]
	v_add_f64 v[58:59], v[37:38], v[50:51]
	v_add_f64 v[54:55], v[50:51], -v[52:53]
	v_add_f64 v[35:36], v[35:36], -v[52:53]
	v_add_f64 v[52:53], v[56:57], v[33:34]
	v_add_f64 v[37:38], v[58:59], -v[37:38]
	v_add_f64 v[39:40], v[39:40], -v[54:55]
	v_ldexp_f64 v[54:55], v[58:59], -2
	v_add_f64 v[60:61], v[52:53], -v[56:57]
	v_add_f64 v[37:38], v[50:51], -v[37:38]
	v_add_f64 v[35:36], v[35:36], v[39:40]
	v_fract_f64_e32 v[39:40], v[54:55]
	v_cmp_neq_f64_e64 vcc, |v[54:55]|, s[28:29]
	v_add_f64 v[33:34], v[33:34], -v[60:61]
	v_add_f64 v[50:51], v[52:53], v[35:36]
	v_ldexp_f64 v[39:40], v[39:40], 2
	v_add_f64 v[54:55], v[37:38], v[50:51]
	v_cndmask_b32_e32 v40, 0, v40, vcc
	v_cndmask_b32_e32 v39, 0, v39, vcc
	v_add_f64 v[62:63], v[50:51], -v[52:53]
	v_add_f64 v[58:59], v[54:55], v[39:40]
	v_add_f64 v[31:32], v[54:55], -v[37:38]
	v_add_f64 v[64:65], v[50:51], -v[62:63]
	;; [unrolled: 1-line block ×3, first 2 shown]
	v_cmp_gt_f64_e32 vcc, 0, v[58:59]
	v_add_f64 v[58:59], v[52:53], -v[60:61]
	v_add_f64 v[31:32], v[50:51], -v[31:32]
	;; [unrolled: 1-line block ×3, first 2 shown]
	v_cndmask_b32_e32 v18, 0, v43, vcc
	v_add_f64 v[39:40], v[39:40], v[17:18]
	v_add_f64 v[58:59], v[56:57], -v[58:59]
	v_add_f64 v[35:36], v[35:36], v[52:53]
	v_add_f64 v[66:67], v[54:55], v[39:40]
	;; [unrolled: 1-line block ×3, first 2 shown]
	v_cvt_i32_f64_e32 v62, v[66:67]
	v_add_f64 v[33:34], v[33:34], v[35:36]
	v_cvt_f64_i32_e32 v[60:61], v62
	v_add_f64 v[39:40], v[39:40], -v[60:61]
	v_add_f64 v[29:30], v[29:30], v[33:34]
	v_add_f64 v[35:36], v[54:55], v[39:40]
	;; [unrolled: 1-line block ×3, first 2 shown]
	v_add_f64 v[33:34], v[35:36], -v[39:40]
	v_cmp_le_f64_e32 vcc, 0.5, v[35:36]
	v_add_f64 v[31:32], v[54:55], -v[33:34]
	v_cndmask_b32_e32 v18, 0, v44, vcc
	v_add_f64 v[29:30], v[29:30], v[31:32]
	v_add_f64 v[31:32], v[35:36], -v[17:18]
	v_addc_co_u32_e32 v18, vcc, 0, v62, vcc
	v_add_f64 v[33:34], v[31:32], v[29:30]
	v_mul_f64 v[35:36], v[33:34], s[14:15]
	v_add_f64 v[31:32], v[33:34], -v[31:32]
	v_fma_f64 v[37:38], v[33:34], s[14:15], -v[35:36]
	v_add_f64 v[29:30], v[29:30], -v[31:32]
	v_fma_f64 v[31:32], v[33:34], s[36:37], v[37:38]
	v_fma_f64 v[29:30], v[29:30], s[14:15], v[31:32]
	v_add_f64 v[31:32], v[35:36], v[29:30]
	v_add_f64 v[33:34], v[31:32], -v[35:36]
	v_add_f64 v[39:40], v[29:30], -v[33:34]
	s_andn2_saveexec_b64 s[0:1], s[0:1]
	s_cbranch_execz .LBB155_3
	s_branch .LBB155_155
.LBB155_154:                            ;   in Loop: Header=BB155_7 Depth=1
	s_andn2_saveexec_b64 s[0:1], s[0:1]
	s_cbranch_execz .LBB155_3
.LBB155_155:                            ;   in Loop: Header=BB155_7 Depth=1
	v_mul_f64 v[29:30], |v[3:4]|, s[16:17]
	s_mov_b32 s18, s34
	v_rndne_f64_e32 v[29:30], v[29:30]
	v_fma_f64 v[31:32], v[29:30], s[30:31], |v[3:4]|
	v_mul_f64 v[33:34], v[29:30], s[34:35]
	v_cvt_i32_f64_e32 v18, v[29:30]
	v_fma_f64 v[39:40], v[29:30], s[34:35], v[31:32]
	v_add_f64 v[35:36], v[31:32], v[33:34]
	v_add_f64 v[37:38], v[31:32], -v[35:36]
	v_add_f64 v[35:36], v[35:36], -v[39:40]
	v_add_f64 v[31:32], v[37:38], v[33:34]
	v_fma_f64 v[33:34], v[29:30], s[18:19], v[33:34]
	v_add_f64 v[31:32], v[35:36], v[31:32]
	v_add_f64 v[31:32], v[31:32], -v[33:34]
	v_fma_f64 v[33:34], v[29:30], s[20:21], v[31:32]
	v_add_f64 v[31:32], v[39:40], v[33:34]
	v_add_f64 v[35:36], v[31:32], -v[39:40]
	v_add_f64 v[39:40], v[33:34], -v[35:36]
	s_branch .LBB155_3
.LBB155_156:
	v_readlane_b32 s0, v81, 0
	v_readlane_b32 s1, v81, 1
	s_or_b64 exec, exec, s[0:1]
	s_mov_b64 s[0:1], 0
.LBB155_157:
	s_andn2_b64 vcc, exec, s[0:1]
	s_cbranch_vccnz .LBB155_329
; %bb.158:
	v_cmp_lt_i64_e64 s[0:1], s[2:3], 1
	s_and_b64 vcc, exec, s[0:1]
	s_cbranch_vccnz .LBB155_329
; %bb.159:
	v_mov_b32_e32 v1, 0x10000
	s_load_dword s4, s[4:5], 0xc5c
	v_mov_b32_e32 v2, 0
	v_cmp_lt_i64_e32 vcc, s[2:3], v[1:2]
	s_mov_b32 s42, 0x54442d18
	s_and_b64 s[0:1], vcc, exec
	v_cmp_lt_u64_e32 vcc, s[2:3], v[1:2]
	s_cselect_b32 s15, s3, 0
	s_cselect_b32 s14, s2, 0x10000
	s_waitcnt lgkmcnt(0)
	s_and_b32 s33, s4, 0xffff
	s_and_b64 s[0:1], vcc, exec
	s_mov_b32 s20, 0x6dc9c883
	s_mov_b32 s44, 0x33145c00
	;; [unrolled: 1-line block ×19, first 2 shown]
	v_mov_b32_e32 v17, 0
	s_cselect_b32 s17, s3, 0
	s_cselect_b32 s16, s2, 0x10000
	s_mov_b32 s43, 0xbff921fb
	s_mov_b32 s21, 0x3fe45f30
	;; [unrolled: 1-line block ×5, first 2 shown]
	v_mov_b32_e32 v43, 0x260
	s_mov_b32 s79, 0x3e21eeb6
	s_mov_b32 s81, 0xbda907db
	;; [unrolled: 1-line block ×12, first 2 shown]
	v_mov_b32_e32 v44, 0x40100000
	v_mov_b32_e32 v45, 0x3ff00000
	;; [unrolled: 1-line block ×10, first 2 shown]
	s_lshl_b32 s68, s33, 1
	s_lshl_b32 s69, s33, 2
	s_brev_b32 s70, -2
	s_mov_b32 s71, 0x7ff00000
	s_movk_i32 s72, 0x1f8
	s_mov_b32 s73, 0x40360000
	s_movk_i32 s74, 0xff80
	s_mov_b32 s75, 0xfffff
	s_mov_b64 s[34:35], 0
	s_mov_b32 s37, 0x41d00000
	s_mov_b32 s39, 0x7b000000
	;; [unrolled: 1-line block ×12, first 2 shown]
	s_branch .LBB155_161
.LBB155_160:                            ;   in Loop: Header=BB155_161 Depth=1
	s_or_b64 exec, exec, s[0:1]
	s_add_u32 s34, s34, s69
	v_mov_b32_e32 v1, s14
	s_addc_u32 s35, s35, 0
	v_mov_b32_e32 v2, s15
	v_cmp_ge_i64_e32 vcc, s[34:35], v[1:2]
	s_cbranch_vccnz .LBB155_329
.LBB155_161:                            ; =>This Inner Loop Header: Depth=1
	v_mov_b32_e32 v1, s35
	v_add_co_u32_e32 v23, vcc, s34, v0
	v_addc_co_u32_e32 v24, vcc, 0, v1, vcc
	v_cmp_gt_u64_e64 s[0:1], s[16:17], v[23:24]
	v_mov_b32_e32 v3, 0
	v_mov_b32_e32 v7, 0
	;; [unrolled: 1-line block ×6, first 2 shown]
	s_and_saveexec_b64 s[2:3], s[0:1]
	s_cbranch_execz .LBB155_163
; %bb.162:                              ;   in Loop: Header=BB155_161 Depth=1
	v_lshlrev_b64 v[1:2], 4, v[23:24]
	v_mov_b32_e32 v5, s63
	v_add_co_u32_e32 v1, vcc, s62, v1
	v_addc_co_u32_e32 v2, vcc, v5, v2, vcc
	global_load_dwordx4 v[5:8], v[1:2], off
.LBB155_163:                            ;   in Loop: Header=BB155_161 Depth=1
	s_or_b64 exec, exec, s[2:3]
	v_add_co_u32_e32 v25, vcc, s33, v23
	v_addc_co_u32_e32 v26, vcc, 0, v24, vcc
	v_cmp_gt_u64_e64 s[2:3], s[16:17], v[25:26]
	v_mov_b32_e32 v1, 0
	v_mov_b32_e32 v2, 0
	s_and_saveexec_b64 s[4:5], s[2:3]
	s_cbranch_execz .LBB155_165
; %bb.164:                              ;   in Loop: Header=BB155_161 Depth=1
	v_lshlrev_b64 v[1:2], 4, v[25:26]
	v_mov_b32_e32 v3, s63
	v_add_co_u32_e32 v1, vcc, s62, v1
	v_addc_co_u32_e32 v2, vcc, v3, v2, vcc
	global_load_dwordx4 v[1:4], v[1:2], off
.LBB155_165:                            ;   in Loop: Header=BB155_161 Depth=1
	s_or_b64 exec, exec, s[4:5]
	v_add_co_u32_e32 v27, vcc, s68, v23
	v_addc_co_u32_e32 v28, vcc, 0, v24, vcc
	v_cmp_gt_u64_e64 s[4:5], s[16:17], v[27:28]
	v_mov_b32_e32 v11, 0
	v_mov_b32_e32 v15, 0
	;; [unrolled: 1-line block ×6, first 2 shown]
	s_and_saveexec_b64 s[6:7], s[4:5]
	s_cbranch_execz .LBB155_167
; %bb.166:                              ;   in Loop: Header=BB155_161 Depth=1
	v_lshlrev_b64 v[9:10], 4, v[27:28]
	v_mov_b32_e32 v13, s63
	v_add_co_u32_e32 v9, vcc, s62, v9
	v_addc_co_u32_e32 v10, vcc, v13, v10, vcc
	global_load_dwordx4 v[13:16], v[9:10], off
.LBB155_167:                            ;   in Loop: Header=BB155_161 Depth=1
	s_or_b64 exec, exec, s[6:7]
	s_mul_i32 s6, s33, 3
	v_add_co_u32_e32 v29, vcc, s6, v23
	v_addc_co_u32_e32 v30, vcc, 0, v24, vcc
	v_cmp_gt_u64_e64 s[6:7], s[16:17], v[29:30]
	v_mov_b32_e32 v9, 0
	v_mov_b32_e32 v10, 0
	s_and_saveexec_b64 s[8:9], s[6:7]
	s_cbranch_execz .LBB155_169
; %bb.168:                              ;   in Loop: Header=BB155_161 Depth=1
	v_lshlrev_b64 v[9:10], 4, v[29:30]
	v_mov_b32_e32 v11, s63
	v_add_co_u32_e32 v9, vcc, s62, v9
	v_addc_co_u32_e32 v10, vcc, v11, v10, vcc
	global_load_dwordx4 v[9:12], v[9:10], off
.LBB155_169:                            ;   in Loop: Header=BB155_161 Depth=1
	s_or_b64 exec, exec, s[8:9]
	s_waitcnt vmcnt(0)
	v_and_b32_e32 v35, 0x7fffffff, v6
	v_cmp_gt_u32_e32 vcc, s71, v35
	s_and_saveexec_b64 s[8:9], vcc
	s_xor_b64 s[56:57], exec, s[8:9]
	s_cbranch_execz .LBB155_190
; %bb.170:                              ;   in Loop: Header=BB155_161 Depth=1
	v_cmp_class_f64_e64 s[8:9], v[7:8], s72
	s_and_saveexec_b64 s[10:11], s[8:9]
	s_xor_b64 s[10:11], exec, s[10:11]
	s_cbranch_execz .LBB155_187
; %bb.171:                              ;   in Loop: Header=BB155_161 Depth=1
	v_cmp_gt_u32_e32 vcc, s73, v35
	s_and_saveexec_b64 s[8:9], vcc
	s_xor_b64 s[12:13], exec, s[8:9]
	s_cbranch_execz .LBB155_177
; %bb.172:                              ;   in Loop: Header=BB155_161 Depth=1
	v_cmp_nlt_f64_e64 s[8:9], |v[7:8]|, s[36:37]
                                        ; implicit-def: $vgpr18
                                        ; implicit-def: $vgpr31_vgpr32
                                        ; implicit-def: $vgpr33_vgpr34
	s_and_saveexec_b64 s[66:67], s[8:9]
	s_xor_b64 s[8:9], exec, s[66:67]
	s_cbranch_execz .LBB155_174
; %bb.173:                              ;   in Loop: Header=BB155_161 Depth=1
	v_trig_preop_f64 v[31:32], |v[7:8]|, 0
	v_ldexp_f64 v[33:34], |v[7:8]|, s74
	v_cmp_ge_f64_e64 vcc, |v[7:8]|, s[38:39]
	v_trig_preop_f64 v[36:37], |v[7:8]|, 1
	v_and_b32_e32 v18, 0x7fffffff, v8
	v_trig_preop_f64 v[52:53], |v[7:8]|, 2
	s_mov_b32 s18, s42
	s_mov_b32 s47, s23
	v_cndmask_b32_e32 v34, v18, v34, vcc
	v_cndmask_b32_e32 v33, v7, v33, vcc
	v_mul_f64 v[38:39], v[31:32], v[33:34]
	v_mul_f64 v[40:41], v[36:37], v[33:34]
	;; [unrolled: 1-line block ×3, first 2 shown]
	v_fma_f64 v[31:32], v[31:32], v[33:34], -v[38:39]
	v_fma_f64 v[36:37], v[36:37], v[33:34], -v[40:41]
	;; [unrolled: 1-line block ×3, first 2 shown]
	v_add_f64 v[50:51], v[40:41], v[31:32]
	v_add_f64 v[54:55], v[50:51], -v[40:41]
	v_add_f64 v[60:61], v[38:39], v[50:51]
	v_add_f64 v[56:57], v[50:51], -v[54:55]
	v_add_f64 v[31:32], v[31:32], -v[54:55]
	v_add_f64 v[54:55], v[58:59], v[36:37]
	v_add_f64 v[38:39], v[60:61], -v[38:39]
	v_add_f64 v[40:41], v[40:41], -v[56:57]
	v_ldexp_f64 v[56:57], v[60:61], -2
	v_add_f64 v[62:63], v[54:55], -v[58:59]
	v_add_f64 v[38:39], v[50:51], -v[38:39]
	v_add_f64 v[31:32], v[31:32], v[40:41]
	v_fract_f64_e32 v[40:41], v[56:57]
	v_cmp_neq_f64_e64 vcc, |v[56:57]|, s[40:41]
	v_add_f64 v[36:37], v[36:37], -v[62:63]
	v_add_f64 v[50:51], v[54:55], v[31:32]
	v_ldexp_f64 v[40:41], v[40:41], 2
	v_add_f64 v[56:57], v[38:39], v[50:51]
	v_cndmask_b32_e32 v41, 0, v41, vcc
	v_cndmask_b32_e32 v40, 0, v40, vcc
	v_add_f64 v[64:65], v[50:51], -v[54:55]
	v_add_f64 v[60:61], v[56:57], v[40:41]
	v_add_f64 v[38:39], v[56:57], -v[38:39]
	v_add_f64 v[66:67], v[50:51], -v[64:65]
	;; [unrolled: 1-line block ×3, first 2 shown]
	v_cmp_gt_f64_e32 vcc, 0, v[60:61]
	v_add_f64 v[60:61], v[54:55], -v[62:63]
	v_add_f64 v[38:39], v[50:51], -v[38:39]
	;; [unrolled: 1-line block ×3, first 2 shown]
	v_cndmask_b32_e32 v18, 0, v44, vcc
	v_add_f64 v[40:41], v[40:41], v[17:18]
	v_add_f64 v[60:61], v[58:59], -v[60:61]
	v_add_f64 v[31:32], v[31:32], v[54:55]
	v_add_f64 v[68:69], v[56:57], v[40:41]
	;; [unrolled: 1-line block ×3, first 2 shown]
	v_cvt_i32_f64_e32 v42, v[68:69]
	v_add_f64 v[31:32], v[36:37], v[31:32]
	v_cvt_f64_i32_e32 v[62:63], v42
	v_add_f64 v[40:41], v[40:41], -v[62:63]
	v_add_f64 v[31:32], v[33:34], v[31:32]
	v_add_f64 v[36:37], v[56:57], v[40:41]
	;; [unrolled: 1-line block ×3, first 2 shown]
	v_add_f64 v[33:34], v[36:37], -v[40:41]
	v_cmp_le_f64_e32 vcc, 0.5, v[36:37]
	v_add_f64 v[33:34], v[56:57], -v[33:34]
	v_cndmask_b32_e32 v18, 0, v45, vcc
	v_add_f64 v[31:32], v[31:32], v[33:34]
	v_add_f64 v[33:34], v[36:37], -v[17:18]
	v_addc_co_u32_e32 v18, vcc, 0, v42, vcc
	v_add_f64 v[36:37], v[33:34], v[31:32]
	v_mul_f64 v[38:39], v[36:37], s[18:19]
	v_add_f64 v[33:34], v[36:37], -v[33:34]
	v_fma_f64 v[40:41], v[36:37], s[18:19], -v[38:39]
	v_add_f64 v[31:32], v[31:32], -v[33:34]
	v_fma_f64 v[33:34], v[36:37], s[46:47], v[40:41]
	v_fma_f64 v[33:34], v[31:32], s[18:19], v[33:34]
	v_add_f64 v[31:32], v[38:39], v[33:34]
	v_add_f64 v[36:37], v[31:32], -v[38:39]
	v_add_f64 v[33:34], v[33:34], -v[36:37]
.LBB155_174:                            ;   in Loop: Header=BB155_161 Depth=1
	s_andn2_saveexec_b64 s[8:9], s[8:9]
	s_cbranch_execz .LBB155_176
; %bb.175:                              ;   in Loop: Header=BB155_161 Depth=1
	v_mul_f64 v[31:32], |v[7:8]|, s[20:21]
	s_mov_b32 s22, s44
	v_rndne_f64_e32 v[36:37], v[31:32]
	v_fma_f64 v[31:32], v[36:37], s[42:43], |v[7:8]|
	v_mul_f64 v[33:34], v[36:37], s[44:45]
	v_cvt_i32_f64_e32 v18, v[36:37]
	v_fma_f64 v[50:51], v[36:37], s[44:45], v[31:32]
	v_add_f64 v[38:39], v[31:32], v[33:34]
	v_add_f64 v[40:41], v[31:32], -v[38:39]
	v_add_f64 v[38:39], v[38:39], -v[50:51]
	v_add_f64 v[31:32], v[40:41], v[33:34]
	v_fma_f64 v[33:34], v[36:37], s[22:23], v[33:34]
	v_add_f64 v[31:32], v[38:39], v[31:32]
	v_add_f64 v[31:32], v[31:32], -v[33:34]
	v_fma_f64 v[33:34], v[36:37], s[24:25], v[31:32]
	v_add_f64 v[31:32], v[50:51], v[33:34]
	v_add_f64 v[38:39], v[31:32], -v[50:51]
	v_add_f64 v[33:34], v[33:34], -v[38:39]
.LBB155_176:                            ;   in Loop: Header=BB155_161 Depth=1
	s_or_b64 exec, exec, s[8:9]
	v_add_f64 v[36:37], |v[5:6]|, s[52:53]
	s_mov_b32 s54, s52
	s_mov_b32 s8, 0x3b39803f
	;; [unrolled: 1-line block ×7, first 2 shown]
	v_add_f64 v[38:39], v[36:37], -|v[5:6]|
	v_and_b32_e32 v18, 1, v18
	v_add_f64 v[40:41], v[38:39], -v[36:37]
	v_add_f64 v[38:39], v[38:39], s[54:55]
	v_add_f64 v[40:41], |v[5:6]|, v[40:41]
	v_add_f64 v[38:39], v[40:41], -v[38:39]
	v_add_f64 v[38:39], v[38:39], s[8:9]
	s_mov_b32 s8, 0xf278e000
	s_mov_b32 s9, 0xbd53de6a
	v_add_f64 v[40:41], v[36:37], v[38:39]
	v_mul_f64 v[50:51], v[40:41], s[30:31]
	v_add_f64 v[36:37], v[36:37], -v[40:41]
	v_rndne_f64_e32 v[50:51], v[50:51]
	v_add_f64 v[36:37], v[38:39], v[36:37]
	v_fma_f64 v[38:39], v[50:51], s[48:49], v[40:41]
	v_mul_f64 v[40:41], v[50:51], s[8:9]
	s_mov_b32 s8, 0xf97b57a0
	s_mov_b32 s9, 0xbac9cc01
	v_cvt_i32_f64_e32 v7, v[50:51]
	v_add_f64 v[52:53], v[36:37], v[38:39]
	v_add_f64 v[54:55], v[52:53], v[40:41]
	v_add_f64 v[38:39], v[38:39], -v[52:53]
	v_add_f64 v[52:53], v[52:53], -v[54:55]
	v_add_f64 v[36:37], v[36:37], v[38:39]
	v_add_f64 v[38:39], v[52:53], v[40:41]
	;; [unrolled: 1-line block ×3, first 2 shown]
	v_mul_f64 v[38:39], v[50:51], s[8:9]
	s_mov_b32 s8, 0x6a5dcb37
	s_mov_b32 s9, 0x3e5ade15
	v_add_f64 v[40:41], v[54:55], v[36:37]
	v_add_f64 v[52:53], v[40:41], v[38:39]
	v_add_f64 v[54:55], v[54:55], -v[40:41]
	v_add_f64 v[40:41], v[40:41], -v[52:53]
	v_add_f64 v[36:37], v[36:37], v[54:55]
	v_add_f64 v[38:39], v[40:41], v[38:39]
	;; [unrolled: 1-line block ×4, first 2 shown]
	v_fma_f64 v[40:41], v[38:39], s[8:9], v[21:22]
	s_mov_b32 s8, 0x623fde64
	s_mov_b32 s9, 0x3ec71dee
	v_add_f64 v[52:53], v[52:53], -v[38:39]
	v_mul_f64 v[54:55], v[38:39], v[38:39]
	v_fma_f64 v[40:41], v[38:39], v[40:41], s[8:9]
	s_mov_b32 s8, 0x7c89e6b0
	s_mov_b32 s9, 0x3efa0199
	v_add_f64 v[36:37], v[36:37], v[52:53]
	v_fma_f64 v[52:53], v[38:39], v[38:39], -v[54:55]
	v_fma_f64 v[40:41], v[38:39], v[40:41], s[8:9]
	s_mov_b32 s8, 0x14761f6e
	s_mov_b32 s9, 0x3f2a01a0
	v_add_f64 v[56:57], v[36:37], v[36:37]
	v_fma_f64 v[40:41], v[38:39], v[40:41], s[8:9]
	s_mov_b32 s8, 0x1852b7b0
	s_mov_b32 s9, 0x3f56c16c
	v_fma_f64 v[52:53], v[38:39], v[56:57], v[52:53]
	v_fma_f64 v[40:41], v[38:39], v[40:41], s[8:9]
	s_mov_b32 s8, 0x55555511
	s_mov_b32 s9, 0x3fc55555
	v_add_f64 v[56:57], v[54:55], v[52:53]
	v_fma_f64 v[40:41], v[38:39], v[40:41], s[28:29]
	v_add_f64 v[54:55], v[56:57], -v[54:55]
	v_fma_f64 v[40:41], v[38:39], v[40:41], s[88:89]
	v_add_f64 v[52:53], v[52:53], -v[54:55]
	v_fma_f64 v[40:41], v[38:39], v[40:41], s[8:9]
	s_mov_b32 s8, 11
	s_mov_b32 s9, 0x3fe00000
	v_fma_f64 v[40:41], v[38:39], v[40:41], s[8:9]
	s_mov_b32 s8, 0xc751c08c
	s_mov_b32 s9, 0x3ef5e089
	v_mul_f64 v[58:59], v[56:57], v[40:41]
	v_fma_f64 v[54:55], v[56:57], v[40:41], -v[58:59]
	v_fma_f64 v[40:41], v[52:53], v[40:41], v[54:55]
	v_add_f64 v[52:53], v[58:59], v[40:41]
	v_add_f64 v[54:55], v[38:39], v[52:53]
	v_add_f64 v[56:57], v[52:53], -v[58:59]
	v_add_f64 v[38:39], v[54:55], -v[38:39]
	;; [unrolled: 1-line block ×3, first 2 shown]
	v_add_f64 v[56:57], v[33:34], v[33:34]
	v_add_f64 v[38:39], v[52:53], -v[38:39]
	v_add_f64 v[36:37], v[36:37], v[40:41]
	v_add_f64 v[36:37], v[36:37], v[38:39]
	;; [unrolled: 1-line block ×3, first 2 shown]
	v_add_f64 v[40:41], v[38:39], 1.0
	v_add_f64 v[52:53], v[38:39], -v[54:55]
	v_add_f64 v[54:55], v[40:41], -1.0
	v_add_f64 v[36:37], v[36:37], -v[52:53]
	v_add_f64 v[38:39], v[38:39], -v[54:55]
	v_add_f64 v[36:37], v[36:37], v[38:39]
	v_add_f64 v[38:39], v[40:41], v[36:37]
	v_ldexp_f64 v[50:51], v[38:39], v7
	v_add_f64 v[38:39], v[38:39], -v[40:41]
	v_rcp_f64_e32 v[52:53], v[50:51]
	v_add_f64 v[36:37], v[36:37], -v[38:39]
	v_ldexp_f64 v[36:37], v[36:37], v7
	v_fma_f64 v[54:55], -v[50:51], v[52:53], 1.0
	v_fma_f64 v[52:53], v[54:55], v[52:53], v[52:53]
	v_fma_f64 v[54:55], -v[50:51], v[52:53], 1.0
	v_fma_f64 v[40:41], v[54:55], v[52:53], v[52:53]
	v_mul_f64 v[52:53], v[31:32], v[31:32]
	v_mul_f64 v[38:39], v[50:51], v[40:41]
	v_fma_f64 v[58:59], v[31:32], v[31:32], -v[52:53]
	v_fma_f64 v[54:55], v[40:41], v[50:51], -v[38:39]
	v_fma_f64 v[56:57], v[31:32], v[56:57], v[58:59]
	v_fma_f64 v[54:55], v[40:41], v[36:37], v[54:55]
	v_add_f64 v[52:53], v[52:53], v[56:57]
	v_add_f64 v[58:59], v[38:39], v[54:55]
	v_fma_f64 v[60:61], v[52:53], s[8:9], v[19:20]
	s_mov_b32 s8, 0x90a8aae0
	s_mov_b32 s9, 0x3f17746f
	v_add_f64 v[56:57], -v[58:59], 1.0
	v_add_f64 v[38:39], v[58:59], -v[38:39]
	v_fma_f64 v[60:61], v[52:53], v[60:61], s[8:9]
	s_mov_b32 s8, 0xa6fbf144
	s_mov_b32 s9, 0xbefbb44d
	v_add_f64 v[62:63], -v[56:57], 1.0
	v_add_f64 v[38:39], v[38:39], -v[54:55]
	v_add_f64 v[54:55], v[62:63], -v[58:59]
	v_fma_f64 v[58:59], v[52:53], v[60:61], s[8:9]
	s_mov_b32 s8, 0xa7943acf
	s_mov_b32 s9, 0x3f21e634
	v_add_f64 v[38:39], v[38:39], v[54:55]
	v_fma_f64 v[54:55], v[52:53], v[58:59], s[8:9]
	s_mov_b32 s8, 0xdeb68feb
	s_mov_b32 s9, 0x3f2d250f
	v_add_f64 v[58:59], v[56:57], v[38:39]
	v_fma_f64 v[54:55], v[52:53], v[54:55], s[8:9]
	s_mov_b32 s8, 0xb58c4d95
	s_mov_b32 s9, 0x3f437fd9
	v_mul_f64 v[60:61], v[40:41], v[58:59]
	v_fma_f64 v[54:55], v[52:53], v[54:55], s[8:9]
	s_mov_b32 s8, 0x15120e2c
	s_mov_b32 s9, 0x3f57d5af
	v_add_f64 v[56:57], v[56:57], -v[58:59]
	v_mul_f64 v[62:63], v[50:51], v[60:61]
	v_fma_f64 v[54:55], v[52:53], v[54:55], s[8:9]
	s_mov_b32 s8, 0xe09491df
	s_mov_b32 s9, 0x3f6d6d93
	v_add_f64 v[38:39], v[38:39], v[56:57]
	v_fma_f64 v[64:65], v[60:61], v[50:51], -v[62:63]
	v_fma_f64 v[54:55], v[52:53], v[54:55], s[8:9]
	s_mov_b32 s8, 0x2033784d
	s_mov_b32 s9, 0x3f8226e1
	v_fma_f64 v[64:65], v[60:61], v[36:37], v[64:65]
	v_fma_f64 v[54:55], v[52:53], v[54:55], s[8:9]
	s_mov_b32 s8, 0x9ac36ae2
	s_mov_b32 s9, 0x3f9664f4
	v_add_f64 v[66:67], v[62:63], v[64:65]
	v_fma_f64 v[54:55], v[52:53], v[54:55], s[8:9]
	s_mov_b32 s8, 0x1b451c21
	s_mov_b32 s9, 0x3faba1ba
	v_add_f64 v[68:69], v[58:59], -v[66:67]
	v_fma_f64 v[54:55], v[52:53], v[54:55], s[8:9]
	s_mov_b32 s8, 0x111185b7
	s_mov_b32 s9, 0x3fc11111
	v_add_f64 v[56:57], v[66:67], -v[62:63]
	v_add_f64 v[58:59], v[58:59], -v[68:69]
	v_fma_f64 v[54:55], v[52:53], v[54:55], s[8:9]
	s_mov_b32 s8, 0x555554ee
	s_mov_b32 s9, 0x3fd55555
	v_add_f64 v[56:57], v[56:57], -v[64:65]
	v_add_f64 v[58:59], v[58:59], -v[66:67]
	v_fma_f64 v[54:55], v[52:53], v[54:55], s[8:9]
	s_mov_b32 s8, 0x8fb9f87e
	s_mov_b32 s9, 0x408633ce
	v_cmp_nge_f64_e64 vcc, |v[5:6]|, s[8:9]
	s_mov_b32 s8, 0
	s_mov_b32 s9, 0x3e400000
	v_add_f64 v[38:39], v[38:39], v[58:59]
	v_mul_f64 v[52:53], v[52:53], v[54:55]
	v_add_f64 v[54:55], v[40:41], v[60:61]
	v_add_f64 v[38:39], v[56:57], v[38:39]
	v_mul_f64 v[56:57], v[31:32], v[52:53]
	v_add_f64 v[58:59], v[54:55], -v[40:41]
	v_add_f64 v[38:39], v[68:69], v[38:39]
	v_add_f64 v[62:63], v[31:32], v[56:57]
	v_add_f64 v[58:59], v[60:61], -v[58:59]
	v_mul_f64 v[38:39], v[40:41], v[38:39]
	v_fma_f64 v[40:41], v[31:32], v[52:53], -v[56:57]
	v_add_f64 v[31:32], v[62:63], -v[31:32]
	v_add_f64 v[38:39], v[58:59], v[38:39]
	v_add_f64 v[33:34], v[33:34], v[40:41]
	v_add_f64 v[31:32], v[56:57], -v[31:32]
	v_add_f64 v[40:41], v[54:55], v[38:39]
	v_add_f64 v[31:32], v[33:34], v[31:32]
	v_ldexp_f64 v[33:34], v[40:41], -2
	v_add_f64 v[40:41], v[40:41], -v[54:55]
	v_add_f64 v[52:53], v[62:63], v[31:32]
	v_add_f64 v[56:57], v[50:51], -v[33:34]
	v_add_f64 v[38:39], v[38:39], -v[40:41]
	v_rcp_f64_e32 v[58:59], v[52:53]
	v_add_f64 v[50:51], v[50:51], -v[56:57]
	v_ldexp_f64 v[38:39], v[38:39], -2
	v_add_f64 v[33:34], v[50:51], -v[33:34]
	v_fma_f64 v[40:41], -v[52:53], v[58:59], 1.0
	v_add_f64 v[33:34], v[36:37], v[33:34]
	v_fma_f64 v[36:37], v[40:41], v[58:59], v[58:59]
	v_add_f64 v[33:34], v[33:34], -v[38:39]
	v_fma_f64 v[38:39], -v[52:53], v[36:37], 1.0
	v_add_f64 v[33:34], v[56:57], v[33:34]
	v_fma_f64 v[36:37], v[38:39], v[36:37], v[36:37]
	v_cndmask_b32_e32 v7, v46, v34, vcc
	v_cndmask_b32_e32 v40, 0, v33, vcc
	v_cmp_lt_f64_e64 vcc, |v[5:6]|, s[8:9]
	v_add_f64 v[33:34], v[52:53], -v[62:63]
	v_mul_f64 v[38:39], v[52:53], v[36:37]
	s_mov_b32 s8, 0
	s_brev_b32 s9, 8
	v_cndmask_b32_e32 v7, v7, v35, vcc
	v_cndmask_b32_e32 v5, v40, v5, vcc
	v_bfi_b32 v6, s70, v7, v6
	v_fma_f64 v[40:41], v[5:6], v[5:6], 1.0
	v_add_f64 v[31:32], v[31:32], -v[33:34]
	v_fma_f64 v[33:34], v[36:37], v[52:53], -v[38:39]
	v_and_b32_e32 v35, 0x80000000, v8
	v_cmp_gt_f64_e32 vcc, s[8:9], v[40:41]
	v_cmp_eq_u32_e64 s[8:9], 0, v18
	v_fma_f64 v[31:32], v[36:37], v[31:32], v[33:34]
	v_cndmask_b32_e32 v7, 0, v47, vcc
	v_ldexp_f64 v[40:41], v[40:41], v7
	v_add_f64 v[50:51], v[38:39], v[31:32]
	v_rsq_f64_e32 v[33:34], v[40:41]
	v_add_f64 v[54:55], -v[50:51], 1.0
	v_add_f64 v[38:39], v[50:51], -v[38:39]
	v_add_f64 v[58:59], -v[54:55], 1.0
	v_add_f64 v[31:32], v[38:39], -v[31:32]
	v_mul_f64 v[56:57], v[40:41], v[33:34]
	v_mul_f64 v[33:34], v[33:34], 0.5
	v_add_f64 v[50:51], v[58:59], -v[50:51]
	v_fma_f64 v[38:39], -v[33:34], v[56:57], 0.5
	v_add_f64 v[31:32], v[31:32], v[50:51]
	v_fma_f64 v[56:57], v[56:57], v[38:39], v[56:57]
	v_fma_f64 v[33:34], v[33:34], v[38:39], v[33:34]
	v_add_f64 v[31:32], v[54:55], v[31:32]
	v_fma_f64 v[38:39], -v[56:57], v[56:57], v[40:41]
	v_mul_f64 v[31:32], v[36:37], v[31:32]
	v_fma_f64 v[38:39], v[38:39], v[33:34], v[56:57]
	v_add_f64 v[31:32], v[36:37], v[31:32]
	v_fma_f64 v[50:51], -v[38:39], v[38:39], v[40:41]
	v_xor_b32_e32 v32, 0x80000000, v32
	v_cndmask_b32_e64 v18, v32, v53, s[8:9]
	v_xor_b32_e32 v32, v18, v35
	v_cndmask_b32_e32 v18, 0, v48, vcc
	v_cndmask_b32_e64 v31, v31, v52, s[8:9]
	v_cmp_class_f64_e32 vcc, v[40:41], v43
	v_fma_f64 v[7:8], v[50:51], v[33:34], v[38:39]
	v_fma_f64 v[33:34], v[31:32], v[31:32], 1.0
	v_ldexp_f64 v[7:8], v[7:8], v18
	v_mul_f64 v[35:36], v[5:6], v[33:34]
	v_cndmask_b32_e32 v8, v8, v41, vcc
	v_cndmask_b32_e32 v7, v7, v40, vcc
	v_mul_f64 v[7:8], v[7:8], v[33:34]
	v_fma_f64 v[33:34], v[5:6], v[35:36], 1.0
	v_mul_f64 v[5:6], v[5:6], v[7:8]
	v_div_scale_f64 v[35:36], s[8:9], v[33:34], v[33:34], v[31:32]
	v_div_scale_f64 v[7:8], s[8:9], v[33:34], v[33:34], v[5:6]
	;; [unrolled: 1-line block ×3, first 2 shown]
	v_rcp_f64_e32 v[39:40], v[35:36]
	v_rcp_f64_e32 v[37:38], v[7:8]
	v_fma_f64 v[50:51], -v[35:36], v[39:40], 1.0
	v_fma_f64 v[41:42], -v[7:8], v[37:38], 1.0
	v_fma_f64 v[39:40], v[39:40], v[50:51], v[39:40]
	v_fma_f64 v[37:38], v[37:38], v[41:42], v[37:38]
	v_div_scale_f64 v[41:42], vcc, v[5:6], v[33:34], v[5:6]
	v_fma_f64 v[54:55], -v[35:36], v[39:40], 1.0
	v_fma_f64 v[50:51], -v[7:8], v[37:38], 1.0
	v_fma_f64 v[39:40], v[39:40], v[54:55], v[39:40]
	v_fma_f64 v[37:38], v[37:38], v[50:51], v[37:38]
	v_mul_f64 v[54:55], v[52:53], v[39:40]
	v_mul_f64 v[50:51], v[41:42], v[37:38]
	v_fma_f64 v[35:36], -v[35:36], v[54:55], v[52:53]
	v_fma_f64 v[7:8], -v[7:8], v[50:51], v[41:42]
	v_div_fmas_f64 v[7:8], v[7:8], v[37:38], v[50:51]
	s_mov_b64 vcc, s[8:9]
	v_div_fmas_f64 v[35:36], v[35:36], v[39:40], v[54:55]
	v_div_fixup_f64 v[5:6], v[7:8], v[33:34], v[5:6]
	v_div_fixup_f64 v[7:8], v[35:36], v[33:34], v[31:32]
.LBB155_177:                            ;   in Loop: Header=BB155_161 Depth=1
	s_andn2_saveexec_b64 s[8:9], s[12:13]
	s_cbranch_execz .LBB155_197
; %bb.178:                              ;   in Loop: Header=BB155_161 Depth=1
	v_cmp_nlt_f64_e64 s[12:13], |v[7:8]|, s[36:37]
                                        ; implicit-def: $vgpr51
                                        ; implicit-def: $vgpr35_vgpr36
                                        ; implicit-def: $vgpr41_vgpr42
	s_and_saveexec_b64 s[66:67], s[12:13]
	s_xor_b64 s[66:67], exec, s[66:67]
	s_cbranch_execz .LBB155_180
; %bb.179:                              ;   in Loop: Header=BB155_161 Depth=1
	v_trig_preop_f64 v[31:32], |v[7:8]|, 0
	v_ldexp_f64 v[33:34], |v[7:8]|, s74
	v_cmp_ge_f64_e64 vcc, |v[7:8]|, s[38:39]
	v_trig_preop_f64 v[35:36], |v[7:8]|, 1
	v_and_b32_e32 v18, 0x7fffffff, v8
	v_trig_preop_f64 v[50:51], |v[7:8]|, 2
	s_mov_b32 s18, s42
	s_mov_b32 s47, s23
	v_cndmask_b32_e32 v34, v18, v34, vcc
	v_cndmask_b32_e32 v33, v7, v33, vcc
	v_mul_f64 v[37:38], v[31:32], v[33:34]
	v_mul_f64 v[39:40], v[35:36], v[33:34]
	;; [unrolled: 1-line block ×3, first 2 shown]
	v_fma_f64 v[31:32], v[31:32], v[33:34], -v[37:38]
	v_fma_f64 v[35:36], v[35:36], v[33:34], -v[39:40]
	;; [unrolled: 1-line block ×3, first 2 shown]
	v_add_f64 v[41:42], v[39:40], v[31:32]
	v_add_f64 v[52:53], v[41:42], -v[39:40]
	v_add_f64 v[58:59], v[37:38], v[41:42]
	v_add_f64 v[54:55], v[41:42], -v[52:53]
	v_add_f64 v[31:32], v[31:32], -v[52:53]
	v_add_f64 v[52:53], v[56:57], v[35:36]
	v_add_f64 v[37:38], v[58:59], -v[37:38]
	v_add_f64 v[39:40], v[39:40], -v[54:55]
	v_ldexp_f64 v[54:55], v[58:59], -2
	v_add_f64 v[60:61], v[52:53], -v[56:57]
	v_add_f64 v[37:38], v[41:42], -v[37:38]
	v_add_f64 v[31:32], v[31:32], v[39:40]
	v_fract_f64_e32 v[39:40], v[54:55]
	v_cmp_neq_f64_e64 vcc, |v[54:55]|, s[40:41]
	v_add_f64 v[35:36], v[35:36], -v[60:61]
	v_add_f64 v[41:42], v[52:53], v[31:32]
	v_ldexp_f64 v[39:40], v[39:40], 2
	v_add_f64 v[54:55], v[37:38], v[41:42]
	v_cndmask_b32_e32 v40, 0, v40, vcc
	v_cndmask_b32_e32 v39, 0, v39, vcc
	v_add_f64 v[62:63], v[41:42], -v[52:53]
	v_add_f64 v[58:59], v[54:55], v[39:40]
	v_add_f64 v[37:38], v[54:55], -v[37:38]
	v_add_f64 v[64:65], v[41:42], -v[62:63]
	v_add_f64 v[31:32], v[31:32], -v[62:63]
	v_cmp_gt_f64_e32 vcc, 0, v[58:59]
	v_add_f64 v[58:59], v[52:53], -v[60:61]
	v_add_f64 v[37:38], v[41:42], -v[37:38]
	;; [unrolled: 1-line block ×3, first 2 shown]
	v_cndmask_b32_e32 v18, 0, v44, vcc
	v_add_f64 v[39:40], v[39:40], v[17:18]
	v_add_f64 v[58:59], v[56:57], -v[58:59]
	v_add_f64 v[31:32], v[31:32], v[52:53]
	v_add_f64 v[66:67], v[54:55], v[39:40]
	;; [unrolled: 1-line block ×3, first 2 shown]
	v_cvt_i32_f64_e32 v62, v[66:67]
	v_add_f64 v[31:32], v[35:36], v[31:32]
	v_cvt_f64_i32_e32 v[60:61], v62
	v_add_f64 v[39:40], v[39:40], -v[60:61]
	v_add_f64 v[31:32], v[33:34], v[31:32]
	v_add_f64 v[35:36], v[54:55], v[39:40]
	;; [unrolled: 1-line block ×3, first 2 shown]
	v_add_f64 v[33:34], v[35:36], -v[39:40]
	v_cmp_le_f64_e32 vcc, 0.5, v[35:36]
	v_add_f64 v[33:34], v[54:55], -v[33:34]
	v_cndmask_b32_e32 v18, 0, v45, vcc
	v_addc_co_u32_e32 v51, vcc, 0, v62, vcc
	v_add_f64 v[31:32], v[31:32], v[33:34]
	v_add_f64 v[33:34], v[35:36], -v[17:18]
	v_add_f64 v[35:36], v[33:34], v[31:32]
	v_mul_f64 v[37:38], v[35:36], s[18:19]
	v_add_f64 v[33:34], v[35:36], -v[33:34]
	v_fma_f64 v[39:40], v[35:36], s[18:19], -v[37:38]
	v_add_f64 v[31:32], v[31:32], -v[33:34]
	v_fma_f64 v[33:34], v[35:36], s[46:47], v[39:40]
	v_fma_f64 v[31:32], v[31:32], s[18:19], v[33:34]
	v_add_f64 v[35:36], v[37:38], v[31:32]
	v_add_f64 v[33:34], v[35:36], -v[37:38]
	v_add_f64 v[41:42], v[31:32], -v[33:34]
	s_andn2_saveexec_b64 s[66:67], s[66:67]
	s_cbranch_execz .LBB155_182
	s_branch .LBB155_181
.LBB155_180:                            ;   in Loop: Header=BB155_161 Depth=1
	s_andn2_saveexec_b64 s[66:67], s[66:67]
	s_cbranch_execz .LBB155_182
.LBB155_181:                            ;   in Loop: Header=BB155_161 Depth=1
	v_mul_f64 v[31:32], |v[7:8]|, s[20:21]
	s_mov_b32 s22, s44
	v_rndne_f64_e32 v[31:32], v[31:32]
	v_fma_f64 v[33:34], v[31:32], s[42:43], |v[7:8]|
	v_mul_f64 v[35:36], v[31:32], s[44:45]
	v_cvt_i32_f64_e32 v51, v[31:32]
	v_add_f64 v[37:38], v[33:34], v[35:36]
	v_add_f64 v[39:40], v[33:34], -v[37:38]
	v_fma_f64 v[33:34], v[31:32], s[44:45], v[33:34]
	v_add_f64 v[39:40], v[39:40], v[35:36]
	v_add_f64 v[37:38], v[37:38], -v[33:34]
	v_fma_f64 v[35:36], v[31:32], s[22:23], v[35:36]
	;; [unrolled: 3-line block ×3, first 2 shown]
	v_add_f64 v[35:36], v[33:34], v[37:38]
	v_add_f64 v[33:34], v[35:36], -v[33:34]
	v_add_f64 v[41:42], v[37:38], -v[33:34]
.LBB155_182:                            ;   in Loop: Header=BB155_161 Depth=1
	s_or_b64 exec, exec, s[66:67]
                                        ; implicit-def: $vgpr50
                                        ; implicit-def: $vgpr31_vgpr32
                                        ; implicit-def: $vgpr33_vgpr34
	s_and_saveexec_b64 s[66:67], s[12:13]
	s_xor_b64 s[12:13], exec, s[66:67]
	s_cbranch_execz .LBB155_184
; %bb.183:                              ;   in Loop: Header=BB155_161 Depth=1
	v_trig_preop_f64 v[31:32], |v[7:8]|, 0
	v_ldexp_f64 v[33:34], |v[7:8]|, s74
	v_cmp_ge_f64_e64 vcc, |v[7:8]|, s[38:39]
	v_trig_preop_f64 v[37:38], |v[7:8]|, 1
	v_and_b32_e32 v18, 0x7fffffff, v8
	v_trig_preop_f64 v[56:57], |v[7:8]|, 2
	s_mov_b32 s18, s42
	s_mov_b32 s47, s23
	v_cndmask_b32_e32 v34, v18, v34, vcc
	v_cndmask_b32_e32 v33, v7, v33, vcc
	v_mul_f64 v[39:40], v[31:32], v[33:34]
	v_mul_f64 v[52:53], v[37:38], v[33:34]
	;; [unrolled: 1-line block ×3, first 2 shown]
	v_fma_f64 v[31:32], v[31:32], v[33:34], -v[39:40]
	v_fma_f64 v[37:38], v[37:38], v[33:34], -v[52:53]
	;; [unrolled: 1-line block ×3, first 2 shown]
	v_add_f64 v[54:55], v[52:53], v[31:32]
	v_add_f64 v[58:59], v[54:55], -v[52:53]
	v_add_f64 v[64:65], v[39:40], v[54:55]
	v_add_f64 v[60:61], v[54:55], -v[58:59]
	v_add_f64 v[31:32], v[31:32], -v[58:59]
	v_add_f64 v[58:59], v[62:63], v[37:38]
	v_add_f64 v[39:40], v[64:65], -v[39:40]
	v_add_f64 v[52:53], v[52:53], -v[60:61]
	v_ldexp_f64 v[60:61], v[64:65], -2
	v_add_f64 v[66:67], v[58:59], -v[62:63]
	v_add_f64 v[39:40], v[54:55], -v[39:40]
	v_add_f64 v[31:32], v[31:32], v[52:53]
	v_fract_f64_e32 v[52:53], v[60:61]
	v_cmp_neq_f64_e64 vcc, |v[60:61]|, s[40:41]
	v_add_f64 v[37:38], v[37:38], -v[66:67]
	v_add_f64 v[54:55], v[58:59], v[31:32]
	v_ldexp_f64 v[52:53], v[52:53], 2
	v_add_f64 v[60:61], v[39:40], v[54:55]
	v_cndmask_b32_e32 v53, 0, v53, vcc
	v_cndmask_b32_e32 v52, 0, v52, vcc
	v_add_f64 v[68:69], v[54:55], -v[58:59]
	v_add_f64 v[64:65], v[60:61], v[52:53]
	v_add_f64 v[39:40], v[60:61], -v[39:40]
	v_add_f64 v[70:71], v[54:55], -v[68:69]
	v_add_f64 v[31:32], v[31:32], -v[68:69]
	v_cmp_gt_f64_e32 vcc, 0, v[64:65]
	v_add_f64 v[64:65], v[58:59], -v[66:67]
	v_add_f64 v[39:40], v[54:55], -v[39:40]
	;; [unrolled: 1-line block ×3, first 2 shown]
	v_cndmask_b32_e32 v18, 0, v44, vcc
	v_add_f64 v[52:53], v[52:53], v[17:18]
	v_add_f64 v[64:65], v[62:63], -v[64:65]
	v_add_f64 v[31:32], v[31:32], v[58:59]
	v_add_f64 v[72:73], v[60:61], v[52:53]
	;; [unrolled: 1-line block ×3, first 2 shown]
	v_cvt_i32_f64_e32 v50, v[72:73]
	v_add_f64 v[31:32], v[37:38], v[31:32]
	v_cvt_f64_i32_e32 v[66:67], v50
	v_add_f64 v[52:53], v[52:53], -v[66:67]
	v_add_f64 v[31:32], v[33:34], v[31:32]
	v_add_f64 v[37:38], v[60:61], v[52:53]
	;; [unrolled: 1-line block ×3, first 2 shown]
	v_add_f64 v[33:34], v[37:38], -v[52:53]
	v_cmp_le_f64_e32 vcc, 0.5, v[37:38]
	v_add_f64 v[33:34], v[60:61], -v[33:34]
	v_cndmask_b32_e32 v18, 0, v45, vcc
	v_addc_co_u32_e32 v50, vcc, 0, v50, vcc
	v_add_f64 v[31:32], v[31:32], v[33:34]
	v_add_f64 v[33:34], v[37:38], -v[17:18]
	v_add_f64 v[37:38], v[33:34], v[31:32]
	v_mul_f64 v[39:40], v[37:38], s[18:19]
	v_add_f64 v[33:34], v[37:38], -v[33:34]
	v_fma_f64 v[52:53], v[37:38], s[18:19], -v[39:40]
	v_add_f64 v[31:32], v[31:32], -v[33:34]
	v_fma_f64 v[33:34], v[37:38], s[46:47], v[52:53]
	v_fma_f64 v[33:34], v[31:32], s[18:19], v[33:34]
	v_add_f64 v[31:32], v[39:40], v[33:34]
	v_add_f64 v[37:38], v[31:32], -v[39:40]
	v_add_f64 v[33:34], v[33:34], -v[37:38]
	s_andn2_saveexec_b64 s[12:13], s[12:13]
	s_cbranch_execnz .LBB155_185
	s_branch .LBB155_186
.LBB155_184:                            ;   in Loop: Header=BB155_161 Depth=1
	s_andn2_saveexec_b64 s[12:13], s[12:13]
	s_cbranch_execz .LBB155_186
.LBB155_185:                            ;   in Loop: Header=BB155_161 Depth=1
	v_mul_f64 v[31:32], |v[7:8]|, s[20:21]
	s_mov_b32 s22, s44
	v_rndne_f64_e32 v[37:38], v[31:32]
	v_fma_f64 v[31:32], v[37:38], s[42:43], |v[7:8]|
	v_mul_f64 v[33:34], v[37:38], s[44:45]
	v_cvt_i32_f64_e32 v50, v[37:38]
	v_fma_f64 v[54:55], v[37:38], s[44:45], v[31:32]
	v_add_f64 v[39:40], v[31:32], v[33:34]
	v_add_f64 v[52:53], v[31:32], -v[39:40]
	v_add_f64 v[39:40], v[39:40], -v[54:55]
	v_add_f64 v[31:32], v[52:53], v[33:34]
	v_fma_f64 v[33:34], v[37:38], s[22:23], v[33:34]
	v_add_f64 v[31:32], v[39:40], v[31:32]
	v_add_f64 v[31:32], v[31:32], -v[33:34]
	v_fma_f64 v[33:34], v[37:38], s[24:25], v[31:32]
	v_add_f64 v[31:32], v[54:55], v[33:34]
	v_add_f64 v[39:40], v[31:32], -v[54:55]
	v_add_f64 v[33:34], v[33:34], -v[39:40]
.LBB155_186:                            ;   in Loop: Header=BB155_161 Depth=1
	s_or_b64 exec, exec, s[12:13]
	v_mul_f64 v[52:53], v[35:36], v[35:36]
	v_mul_f64 v[60:61], v[41:42], 0.5
	s_mov_b32 s60, s76
	v_and_b32_e32 v7, 1, v51
	v_cmp_eq_u32_e32 vcc, 0, v7
	s_mov_b32 s12, 0x3b39803f
	s_mov_b32 s13, 0xbc7abc9e
	;; [unrolled: 1-line block ×3, first 2 shown]
	v_mul_f64 v[37:38], v[52:53], 0.5
	v_mul_f64 v[56:57], v[52:53], v[52:53]
	s_mov_b32 s89, s77
	v_add_f64 v[54:55], -v[37:38], 1.0
	v_add_f64 v[39:40], -v[54:55], 1.0
	v_add_f64 v[37:38], v[39:40], -v[37:38]
	v_mov_b32_e32 v39, s78
	v_mov_b32_e32 v40, s79
	v_fma_f64 v[58:59], v[52:53], s[80:81], v[39:40]
	v_fma_f64 v[37:38], v[35:36], -v[41:42], v[37:38]
	v_fma_f64 v[58:59], v[52:53], v[58:59], s[82:83]
	v_fma_f64 v[58:59], v[52:53], v[58:59], s[84:85]
	;; [unrolled: 1-line block ×5, first 2 shown]
	v_mul_f64 v[58:59], v[35:36], -v[52:53]
	v_add_f64 v[54:55], v[54:55], v[37:38]
	v_mov_b32_e32 v37, s90
	v_mov_b32_e32 v38, s91
	v_fma_f64 v[56:57], v[52:53], s[92:93], v[37:38]
	v_fma_f64 v[56:57], v[52:53], v[56:57], s[94:95]
	;; [unrolled: 1-line block ×5, first 2 shown]
	v_fma_f64 v[41:42], v[52:53], v[56:57], -v[41:42]
	v_fma_f64 v[41:42], v[58:59], s[60:61], v[41:42]
	v_add_f64 v[35:36], v[35:36], -v[41:42]
	v_cndmask_b32_e32 v7, v54, v35, vcc
	v_lshlrev_b32_e32 v35, 30, v51
	v_cndmask_b32_e32 v18, v55, v36, vcc
	v_xor_b32_e32 v8, v35, v8
	v_mul_f64 v[35:36], |v[5:6]|, s[50:51]
	v_and_b32_e32 v8, 0x80000000, v8
	v_xor_b32_e32 v8, v18, v8
	v_mul_f64 v[7:8], v[7:8], 4.0
	v_rndne_f64_e32 v[35:36], v[35:36]
	v_fma_f64 v[41:42], v[35:36], s[52:53], -|v[5:6]|
	v_cvt_i32_f64_e32 v18, v[35:36]
	v_fma_f64 v[41:42], v[35:36], s[12:13], v[41:42]
	s_mov_b32 s12, 0x6a5dcb37
	s_mov_b32 s13, 0x3e5ade15
	v_fma_f64 v[51:52], v[41:42], s[12:13], v[21:22]
	s_mov_b32 s12, 0x623fde64
	s_mov_b32 s13, 0x3ec71dee
	;; [unrolled: 3-line block ×6, first 2 shown]
	v_fma_f64 v[51:52], v[41:42], v[51:52], s[28:29]
	v_fma_f64 v[51:52], v[41:42], v[51:52], s[88:89]
	;; [unrolled: 1-line block ×3, first 2 shown]
	s_mov_b32 s12, 11
	s_mov_b32 s13, 0x3fe00000
	v_fma_f64 v[51:52], v[41:42], v[51:52], s[12:13]
	s_mov_b32 s12, 0
	s_mov_b32 s13, 0x4090cc00
	v_cmp_ngt_f64_e64 vcc, |v[5:6]|, s[12:13]
	v_fma_f64 v[51:52], v[41:42], v[51:52], 1.0
	v_fma_f64 v[41:42], v[41:42], v[51:52], 1.0
	v_ldexp_f64 v[35:36], v[41:42], v18
	v_mul_f64 v[41:42], v[31:32], v[31:32]
	v_bfi_b32 v18, s70, v45, v6
	v_cndmask_b32_e32 v36, 0, v36, vcc
	v_mul_f64 v[5:6], v[41:42], 0.5
	v_fma_f64 v[39:40], v[41:42], s[80:81], v[39:40]
	v_fma_f64 v[37:38], v[41:42], s[92:93], v[37:38]
	v_cndmask_b32_e32 v35, 0, v35, vcc
	v_add_f64 v[51:52], -v[5:6], 1.0
	v_fma_f64 v[39:40], v[41:42], v[39:40], s[82:83]
	v_fma_f64 v[37:38], v[41:42], v[37:38], s[94:95]
	v_add_f64 v[53:54], -v[51:52], 1.0
	v_fma_f64 v[39:40], v[41:42], v[39:40], s[84:85]
	v_fma_f64 v[37:38], v[41:42], v[37:38], s[26:27]
	v_add_f64 v[5:6], v[53:54], -v[5:6]
	v_fma_f64 v[39:40], v[41:42], v[39:40], s[86:87]
	v_mul_f64 v[53:54], v[41:42], v[41:42]
	v_fma_f64 v[37:38], v[41:42], v[37:38], s[58:59]
	v_fma_f64 v[5:6], v[31:32], -v[33:34], v[5:6]
	v_fma_f64 v[39:40], v[41:42], v[39:40], s[76:77]
	v_fma_f64 v[5:6], v[53:54], v[39:40], v[5:6]
	v_mul_f64 v[39:40], v[31:32], -v[41:42]
	v_add_f64 v[5:6], v[51:52], v[5:6]
	v_mul_f64 v[51:52], v[33:34], 0.5
	v_fma_f64 v[37:38], v[39:40], v[37:38], v[51:52]
	v_fma_f64 v[33:34], v[41:42], v[37:38], -v[33:34]
	v_fma_f64 v[33:34], v[39:40], s[60:61], v[33:34]
	v_add_f64 v[31:32], v[31:32], -v[33:34]
	v_and_b32_e32 v33, 1, v50
	v_cmp_eq_u32_e32 vcc, 0, v33
	v_xor_b32_e32 v32, 0x80000000, v32
	v_cndmask_b32_e32 v5, v31, v5, vcc
	v_lshlrev_b32_e32 v31, 30, v50
	v_cndmask_b32_e32 v6, v32, v6, vcc
	v_and_b32_e32 v31, 0x80000000, v31
	v_xor_b32_e32 v6, v6, v31
	v_mul_f64 v[5:6], v[7:8], v[5:6]
	v_mul_f64 v[5:6], v[35:36], v[5:6]
	;; [unrolled: 1-line block ×3, first 2 shown]
	v_mov_b32_e32 v5, v17
	v_mov_b32_e32 v6, v18
	s_or_b64 exec, exec, s[8:9]
.LBB155_187:                            ;   in Loop: Header=BB155_161 Depth=1
	s_andn2_saveexec_b64 s[8:9], s[10:11]
	s_cbranch_execz .LBB155_189
.LBB155_188:                            ;   in Loop: Header=BB155_161 Depth=1
	v_add_f64 v[7:8], v[7:8], -v[7:8]
	v_mov_b32_e32 v5, v7
	v_mov_b32_e32 v6, v8
.LBB155_189:                            ;   in Loop: Header=BB155_161 Depth=1
	s_or_b64 exec, exec, s[8:9]
.LBB155_190:                            ;   in Loop: Header=BB155_161 Depth=1
	s_andn2_saveexec_b64 s[10:11], s[56:57]
	s_cbranch_execz .LBB155_207
; %bb.191:                              ;   in Loop: Header=BB155_161 Depth=1
	v_and_or_b32 v18, v6, s75, v5
	v_cmp_ne_u32_e32 vcc, 0, v18
	s_and_saveexec_b64 s[8:9], vcc
	s_xor_b64 s[8:9], exec, s[8:9]
	s_cbranch_execz .LBB155_193
; %bb.192:                              ;   in Loop: Header=BB155_161 Depth=1
	v_mul_f64 v[31:32], v[7:8], v[5:6]
	v_cmp_eq_f64_e32 vcc, 0, v[7:8]
	v_cndmask_b32_e32 v8, v32, v8, vcc
	v_cndmask_b32_e32 v7, v31, v7, vcc
.LBB155_193:                            ;   in Loop: Header=BB155_161 Depth=1
	s_andn2_saveexec_b64 s[56:57], s[8:9]
	s_cbranch_execz .LBB155_206
; %bb.194:                              ;   in Loop: Header=BB155_161 Depth=1
	v_cmp_neq_f64_e64 s[8:9], |v[7:8]|, s[40:41]
	s_and_saveexec_b64 s[12:13], s[8:9]
	s_cbranch_execz .LBB155_205
; %bb.195:                              ;   in Loop: Header=BB155_161 Depth=1
	v_cmp_nlt_f64_e64 s[8:9], |v[7:8]|, s[36:37]
                                        ; implicit-def: $vgpr39
                                        ; implicit-def: $vgpr31_vgpr32
                                        ; implicit-def: $vgpr33_vgpr34
	s_and_saveexec_b64 s[66:67], s[8:9]
	s_xor_b64 s[66:67], exec, s[66:67]
	s_cbranch_execz .LBB155_198
; %bb.196:                              ;   in Loop: Header=BB155_161 Depth=1
	v_trig_preop_f64 v[31:32], |v[7:8]|, 0
	v_ldexp_f64 v[33:34], |v[7:8]|, s74
	v_cmp_ge_f64_e64 vcc, |v[7:8]|, s[38:39]
	v_trig_preop_f64 v[35:36], |v[7:8]|, 1
	v_and_b32_e32 v18, 0x7fffffff, v8
	v_trig_preop_f64 v[50:51], |v[7:8]|, 2
	s_mov_b32 s18, s42
	s_mov_b32 s47, s23
	v_cndmask_b32_e32 v34, v18, v34, vcc
	v_cndmask_b32_e32 v33, v7, v33, vcc
	v_mul_f64 v[37:38], v[31:32], v[33:34]
	v_mul_f64 v[39:40], v[35:36], v[33:34]
	;; [unrolled: 1-line block ×3, first 2 shown]
	v_fma_f64 v[31:32], v[31:32], v[33:34], -v[37:38]
	v_fma_f64 v[35:36], v[35:36], v[33:34], -v[39:40]
	;; [unrolled: 1-line block ×3, first 2 shown]
	v_add_f64 v[41:42], v[39:40], v[31:32]
	v_add_f64 v[52:53], v[41:42], -v[39:40]
	v_add_f64 v[58:59], v[37:38], v[41:42]
	v_add_f64 v[54:55], v[41:42], -v[52:53]
	v_add_f64 v[31:32], v[31:32], -v[52:53]
	v_add_f64 v[52:53], v[56:57], v[35:36]
	v_add_f64 v[37:38], v[58:59], -v[37:38]
	v_add_f64 v[39:40], v[39:40], -v[54:55]
	v_ldexp_f64 v[54:55], v[58:59], -2
	v_add_f64 v[60:61], v[52:53], -v[56:57]
	v_add_f64 v[37:38], v[41:42], -v[37:38]
	v_add_f64 v[31:32], v[31:32], v[39:40]
	v_fract_f64_e32 v[39:40], v[54:55]
	v_cmp_neq_f64_e64 vcc, |v[54:55]|, s[40:41]
	v_add_f64 v[35:36], v[35:36], -v[60:61]
	v_add_f64 v[41:42], v[52:53], v[31:32]
	v_ldexp_f64 v[39:40], v[39:40], 2
	v_add_f64 v[54:55], v[37:38], v[41:42]
	v_cndmask_b32_e32 v40, 0, v40, vcc
	v_cndmask_b32_e32 v39, 0, v39, vcc
	v_add_f64 v[62:63], v[41:42], -v[52:53]
	v_add_f64 v[58:59], v[54:55], v[39:40]
	v_add_f64 v[37:38], v[54:55], -v[37:38]
	v_add_f64 v[64:65], v[41:42], -v[62:63]
	;; [unrolled: 1-line block ×3, first 2 shown]
	v_cmp_gt_f64_e32 vcc, 0, v[58:59]
	v_add_f64 v[58:59], v[52:53], -v[60:61]
	v_add_f64 v[37:38], v[41:42], -v[37:38]
	;; [unrolled: 1-line block ×3, first 2 shown]
	v_cndmask_b32_e32 v18, 0, v44, vcc
	v_add_f64 v[39:40], v[39:40], v[17:18]
	v_add_f64 v[58:59], v[56:57], -v[58:59]
	v_add_f64 v[31:32], v[31:32], v[52:53]
	v_add_f64 v[66:67], v[54:55], v[39:40]
	;; [unrolled: 1-line block ×3, first 2 shown]
	v_cvt_i32_f64_e32 v62, v[66:67]
	v_add_f64 v[31:32], v[35:36], v[31:32]
	v_cvt_f64_i32_e32 v[60:61], v62
	v_add_f64 v[39:40], v[39:40], -v[60:61]
	v_add_f64 v[31:32], v[33:34], v[31:32]
	v_add_f64 v[35:36], v[54:55], v[39:40]
	;; [unrolled: 1-line block ×3, first 2 shown]
	v_add_f64 v[33:34], v[35:36], -v[39:40]
	v_cmp_le_f64_e32 vcc, 0.5, v[35:36]
	v_add_f64 v[33:34], v[54:55], -v[33:34]
	v_cndmask_b32_e32 v18, 0, v45, vcc
	v_add_f64 v[31:32], v[31:32], v[33:34]
	v_add_f64 v[33:34], v[35:36], -v[17:18]
	v_add_f64 v[35:36], v[33:34], v[31:32]
	v_mul_f64 v[37:38], v[35:36], s[18:19]
	v_add_f64 v[33:34], v[35:36], -v[33:34]
	v_fma_f64 v[39:40], v[35:36], s[18:19], -v[37:38]
	v_add_f64 v[31:32], v[31:32], -v[33:34]
	v_fma_f64 v[33:34], v[35:36], s[46:47], v[39:40]
	v_addc_co_u32_e32 v39, vcc, 0, v62, vcc
	v_fma_f64 v[33:34], v[31:32], s[18:19], v[33:34]
	v_add_f64 v[31:32], v[37:38], v[33:34]
	v_add_f64 v[35:36], v[31:32], -v[37:38]
	v_add_f64 v[33:34], v[33:34], -v[35:36]
	s_andn2_saveexec_b64 s[66:67], s[66:67]
	s_cbranch_execz .LBB155_200
	s_branch .LBB155_199
.LBB155_197:                            ;   in Loop: Header=BB155_161 Depth=1
	s_or_b64 exec, exec, s[8:9]
	s_andn2_saveexec_b64 s[8:9], s[10:11]
	s_cbranch_execnz .LBB155_188
	s_branch .LBB155_189
.LBB155_198:                            ;   in Loop: Header=BB155_161 Depth=1
	s_andn2_saveexec_b64 s[66:67], s[66:67]
	s_cbranch_execz .LBB155_200
.LBB155_199:                            ;   in Loop: Header=BB155_161 Depth=1
	v_mul_f64 v[31:32], |v[7:8]|, s[20:21]
	s_mov_b32 s22, s44
	v_rndne_f64_e32 v[35:36], v[31:32]
	v_fma_f64 v[31:32], v[35:36], s[42:43], |v[7:8]|
	v_mul_f64 v[33:34], v[35:36], s[44:45]
	v_fma_f64 v[41:42], v[35:36], s[44:45], v[31:32]
	v_add_f64 v[37:38], v[31:32], v[33:34]
	v_add_f64 v[39:40], v[31:32], -v[37:38]
	v_add_f64 v[37:38], v[37:38], -v[41:42]
	v_add_f64 v[31:32], v[39:40], v[33:34]
	v_fma_f64 v[33:34], v[35:36], s[22:23], v[33:34]
	v_cvt_i32_f64_e32 v39, v[35:36]
	v_add_f64 v[31:32], v[37:38], v[31:32]
	v_add_f64 v[31:32], v[31:32], -v[33:34]
	v_fma_f64 v[33:34], v[35:36], s[24:25], v[31:32]
	v_add_f64 v[31:32], v[41:42], v[33:34]
	v_add_f64 v[37:38], v[31:32], -v[41:42]
	v_add_f64 v[33:34], v[33:34], -v[37:38]
.LBB155_200:                            ;   in Loop: Header=BB155_161 Depth=1
	s_or_b64 exec, exec, s[66:67]
                                        ; implicit-def: $vgpr18
                                        ; implicit-def: $vgpr35_vgpr36
                                        ; implicit-def: $vgpr37_vgpr38
	s_and_saveexec_b64 s[66:67], s[8:9]
	s_xor_b64 s[8:9], exec, s[66:67]
	s_cbranch_execz .LBB155_202
; %bb.201:                              ;   in Loop: Header=BB155_161 Depth=1
	v_trig_preop_f64 v[35:36], |v[7:8]|, 0
	v_ldexp_f64 v[37:38], |v[7:8]|, s74
	v_cmp_ge_f64_e64 vcc, |v[7:8]|, s[38:39]
	v_trig_preop_f64 v[40:41], |v[7:8]|, 1
	v_and_b32_e32 v18, 0x7fffffff, v8
	v_trig_preop_f64 v[56:57], |v[7:8]|, 2
	s_mov_b32 s18, s42
	s_mov_b32 s47, s23
	v_cndmask_b32_e32 v38, v18, v38, vcc
	v_cndmask_b32_e32 v37, v7, v37, vcc
	v_mul_f64 v[50:51], v[35:36], v[37:38]
	v_mul_f64 v[52:53], v[40:41], v[37:38]
	;; [unrolled: 1-line block ×3, first 2 shown]
	v_fma_f64 v[35:36], v[35:36], v[37:38], -v[50:51]
	v_fma_f64 v[40:41], v[40:41], v[37:38], -v[52:53]
	v_fma_f64 v[37:38], v[56:57], v[37:38], -v[62:63]
	v_add_f64 v[54:55], v[52:53], v[35:36]
	v_add_f64 v[58:59], v[54:55], -v[52:53]
	v_add_f64 v[64:65], v[50:51], v[54:55]
	v_add_f64 v[60:61], v[54:55], -v[58:59]
	v_add_f64 v[35:36], v[35:36], -v[58:59]
	v_add_f64 v[58:59], v[62:63], v[40:41]
	v_add_f64 v[50:51], v[64:65], -v[50:51]
	v_add_f64 v[52:53], v[52:53], -v[60:61]
	v_ldexp_f64 v[60:61], v[64:65], -2
	v_add_f64 v[66:67], v[58:59], -v[62:63]
	v_add_f64 v[50:51], v[54:55], -v[50:51]
	v_add_f64 v[35:36], v[35:36], v[52:53]
	v_fract_f64_e32 v[52:53], v[60:61]
	v_cmp_neq_f64_e64 vcc, |v[60:61]|, s[40:41]
	v_add_f64 v[40:41], v[40:41], -v[66:67]
	v_add_f64 v[54:55], v[58:59], v[35:36]
	v_ldexp_f64 v[52:53], v[52:53], 2
	v_add_f64 v[60:61], v[50:51], v[54:55]
	v_cndmask_b32_e32 v53, 0, v53, vcc
	v_cndmask_b32_e32 v52, 0, v52, vcc
	v_add_f64 v[68:69], v[54:55], -v[58:59]
	v_add_f64 v[64:65], v[60:61], v[52:53]
	v_add_f64 v[50:51], v[60:61], -v[50:51]
	v_add_f64 v[70:71], v[54:55], -v[68:69]
	;; [unrolled: 1-line block ×3, first 2 shown]
	v_cmp_gt_f64_e32 vcc, 0, v[64:65]
	v_add_f64 v[64:65], v[58:59], -v[66:67]
	v_add_f64 v[50:51], v[54:55], -v[50:51]
	;; [unrolled: 1-line block ×3, first 2 shown]
	v_cndmask_b32_e32 v18, 0, v44, vcc
	v_add_f64 v[52:53], v[52:53], v[17:18]
	v_add_f64 v[64:65], v[62:63], -v[64:65]
	v_add_f64 v[35:36], v[35:36], v[58:59]
	v_add_f64 v[72:73], v[60:61], v[52:53]
	;; [unrolled: 1-line block ×3, first 2 shown]
	v_cvt_i32_f64_e32 v42, v[72:73]
	v_add_f64 v[35:36], v[40:41], v[35:36]
	v_cvt_f64_i32_e32 v[66:67], v42
	v_add_f64 v[52:53], v[52:53], -v[66:67]
	v_add_f64 v[35:36], v[37:38], v[35:36]
	v_add_f64 v[40:41], v[60:61], v[52:53]
	;; [unrolled: 1-line block ×3, first 2 shown]
	v_add_f64 v[37:38], v[40:41], -v[52:53]
	v_cmp_le_f64_e32 vcc, 0.5, v[40:41]
	v_add_f64 v[37:38], v[60:61], -v[37:38]
	v_cndmask_b32_e32 v18, 0, v45, vcc
	v_add_f64 v[35:36], v[35:36], v[37:38]
	v_add_f64 v[37:38], v[40:41], -v[17:18]
	v_addc_co_u32_e32 v18, vcc, 0, v42, vcc
	v_add_f64 v[40:41], v[37:38], v[35:36]
	v_mul_f64 v[50:51], v[40:41], s[18:19]
	v_add_f64 v[37:38], v[40:41], -v[37:38]
	v_fma_f64 v[52:53], v[40:41], s[18:19], -v[50:51]
	v_add_f64 v[35:36], v[35:36], -v[37:38]
	v_fma_f64 v[37:38], v[40:41], s[46:47], v[52:53]
	v_fma_f64 v[37:38], v[35:36], s[18:19], v[37:38]
	v_add_f64 v[35:36], v[50:51], v[37:38]
	v_add_f64 v[40:41], v[35:36], -v[50:51]
	v_add_f64 v[37:38], v[37:38], -v[40:41]
	s_andn2_saveexec_b64 s[8:9], s[8:9]
	s_cbranch_execnz .LBB155_203
	s_branch .LBB155_204
.LBB155_202:                            ;   in Loop: Header=BB155_161 Depth=1
	s_andn2_saveexec_b64 s[8:9], s[8:9]
	s_cbranch_execz .LBB155_204
.LBB155_203:                            ;   in Loop: Header=BB155_161 Depth=1
	v_mul_f64 v[35:36], |v[7:8]|, s[20:21]
	s_mov_b32 s22, s44
	v_rndne_f64_e32 v[40:41], v[35:36]
	v_fma_f64 v[35:36], v[40:41], s[42:43], |v[7:8]|
	v_mul_f64 v[37:38], v[40:41], s[44:45]
	v_cvt_i32_f64_e32 v18, v[40:41]
	v_fma_f64 v[54:55], v[40:41], s[44:45], v[35:36]
	v_add_f64 v[50:51], v[35:36], v[37:38]
	v_add_f64 v[52:53], v[35:36], -v[50:51]
	v_add_f64 v[50:51], v[50:51], -v[54:55]
	v_add_f64 v[35:36], v[52:53], v[37:38]
	v_fma_f64 v[37:38], v[40:41], s[22:23], v[37:38]
	v_add_f64 v[35:36], v[50:51], v[35:36]
	v_add_f64 v[35:36], v[35:36], -v[37:38]
	v_fma_f64 v[37:38], v[40:41], s[24:25], v[35:36]
	v_add_f64 v[35:36], v[54:55], v[37:38]
	v_add_f64 v[50:51], v[35:36], -v[54:55]
	v_add_f64 v[37:38], v[37:38], -v[50:51]
.LBB155_204:                            ;   in Loop: Header=BB155_161 Depth=1
	s_or_b64 exec, exec, s[8:9]
	v_mul_f64 v[40:41], v[31:32], v[31:32]
	v_mul_f64 v[50:51], v[35:36], v[35:36]
	v_mov_b32_e32 v52, s90
	v_mov_b32_e32 v53, s91
	;; [unrolled: 1-line block ×4, first 2 shown]
	v_mul_f64 v[66:67], v[33:34], 0.5
	v_mul_f64 v[74:75], v[37:38], 0.5
	v_fma_f64 v[54:55], v[40:41], s[92:93], v[52:53]
	v_fma_f64 v[52:53], v[50:51], s[92:93], v[52:53]
	;; [unrolled: 1-line block ×3, first 2 shown]
	v_mul_f64 v[60:61], v[40:41], 0.5
	v_fma_f64 v[56:57], v[50:51], s[80:81], v[56:57]
	v_mul_f64 v[62:63], v[50:51], 0.5
	v_mul_f64 v[68:69], v[31:32], -v[40:41]
	v_mul_f64 v[76:77], v[35:36], -v[50:51]
	v_fma_f64 v[54:55], v[40:41], v[54:55], s[94:95]
	v_fma_f64 v[52:53], v[50:51], v[52:53], s[94:95]
	;; [unrolled: 1-line block ×3, first 2 shown]
	v_add_f64 v[64:65], -v[60:61], 1.0
	v_fma_f64 v[56:57], v[50:51], v[56:57], s[82:83]
	v_add_f64 v[70:71], -v[62:63], 1.0
	s_mov_b32 s60, s76
	v_and_b32_e32 v42, 1, v39
	v_fma_f64 v[54:55], v[40:41], v[54:55], s[26:27]
	v_fma_f64 v[52:53], v[50:51], v[52:53], s[26:27]
	;; [unrolled: 1-line block ×3, first 2 shown]
	v_add_f64 v[72:73], -v[64:65], 1.0
	v_fma_f64 v[56:57], v[50:51], v[56:57], s[84:85]
	v_add_f64 v[78:79], -v[70:71], 1.0
	v_cmp_class_f64_e64 s[8:9], v[7:8], s72
	v_cmp_eq_u32_e32 vcc, 0, v42
	v_fma_f64 v[54:55], v[40:41], v[54:55], s[58:59]
	v_fma_f64 v[52:53], v[50:51], v[52:53], s[58:59]
	;; [unrolled: 1-line block ×3, first 2 shown]
	v_add_f64 v[60:61], v[72:73], -v[60:61]
	v_fma_f64 v[56:57], v[50:51], v[56:57], s[86:87]
	v_add_f64 v[62:63], v[78:79], -v[62:63]
	v_fma_f64 v[54:55], v[68:69], v[54:55], v[66:67]
	v_fma_f64 v[52:53], v[76:77], v[52:53], v[74:75]
	v_mul_f64 v[66:67], v[40:41], v[40:41]
	v_fma_f64 v[58:59], v[40:41], v[58:59], s[76:77]
	v_fma_f64 v[60:61], v[31:32], -v[33:34], v[60:61]
	v_fma_f64 v[33:34], v[40:41], v[54:55], -v[33:34]
	v_fma_f64 v[52:53], v[50:51], v[52:53], -v[37:38]
	v_mul_f64 v[40:41], v[50:51], v[50:51]
	v_fma_f64 v[50:51], v[50:51], v[56:57], s[76:77]
	v_fma_f64 v[37:38], v[35:36], -v[37:38], v[62:63]
	v_fma_f64 v[54:55], v[66:67], v[58:59], v[60:61]
	v_lshlrev_b32_e32 v56, 30, v39
	v_fma_f64 v[33:34], v[68:69], s[60:61], v[33:34]
	v_fma_f64 v[52:53], v[76:77], s[60:61], v[52:53]
	;; [unrolled: 1-line block ×3, first 2 shown]
	v_add_f64 v[39:40], v[64:65], v[54:55]
	v_and_b32_e32 v41, 1, v18
	v_lshlrev_b32_e32 v18, 30, v18
	v_add_f64 v[31:32], v[31:32], -v[33:34]
	v_add_f64 v[33:34], v[35:36], -v[52:53]
	v_xor_b32_e32 v50, v56, v8
	v_and_b32_e32 v18, 0x80000000, v18
	v_add_f64 v[35:36], v[70:71], v[37:38]
	v_and_b32_e32 v37, 0x80000000, v50
	v_cndmask_b32_e32 v31, v39, v31, vcc
	v_cndmask_b32_e32 v7, v40, v32, vcc
	v_xor_b32_e32 v8, 0x80000000, v34
	v_cmp_eq_u32_e32 vcc, 0, v41
	v_cndmask_b32_e32 v8, v8, v36, vcc
	v_cndmask_b32_e32 v32, v33, v35, vcc
	v_xor_b32_e32 v33, v7, v37
	v_xor_b32_e32 v18, v8, v18
	v_cndmask_b32_e64 v7, 0, v31, s[8:9]
	v_cndmask_b32_e64 v8, v49, v33, s[8:9]
	;; [unrolled: 1-line block ×4, first 2 shown]
	v_mul_f64 v[7:8], v[7:8], v[31:32]
.LBB155_205:                            ;   in Loop: Header=BB155_161 Depth=1
	s_or_b64 exec, exec, s[12:13]
	v_bfi_b32 v18, s70, 0, v8
	v_mov_b32_e32 v7, v17
	v_add_u32_e32 v6, -2.0, v6
	v_mov_b32_e32 v8, v18
.LBB155_206:                            ;   in Loop: Header=BB155_161 Depth=1
	s_or_b64 exec, exec, s[56:57]
.LBB155_207:                            ;   in Loop: Header=BB155_161 Depth=1
	s_or_b64 exec, exec, s[10:11]
	v_and_b32_e32 v35, 0x7fffffff, v2
	v_cmp_gt_u32_e32 vcc, s71, v35
	s_and_saveexec_b64 s[8:9], vcc
	s_xor_b64 s[56:57], exec, s[8:9]
	s_cbranch_execz .LBB155_229
; %bb.208:                              ;   in Loop: Header=BB155_161 Depth=1
	v_cmp_class_f64_e64 s[8:9], v[3:4], s72
	s_and_saveexec_b64 s[10:11], s[8:9]
	s_xor_b64 s[10:11], exec, s[10:11]
	s_cbranch_execz .LBB155_226
; %bb.209:                              ;   in Loop: Header=BB155_161 Depth=1
	v_cmp_gt_u32_e32 vcc, s73, v35
	s_and_saveexec_b64 s[8:9], vcc
	s_xor_b64 s[12:13], exec, s[8:9]
	s_cbranch_execz .LBB155_215
; %bb.210:                              ;   in Loop: Header=BB155_161 Depth=1
	v_cmp_nlt_f64_e64 s[8:9], |v[3:4]|, s[36:37]
                                        ; implicit-def: $vgpr18
                                        ; implicit-def: $vgpr31_vgpr32
                                        ; implicit-def: $vgpr33_vgpr34
	s_and_saveexec_b64 s[66:67], s[8:9]
	s_xor_b64 s[8:9], exec, s[66:67]
	s_cbranch_execz .LBB155_212
; %bb.211:                              ;   in Loop: Header=BB155_161 Depth=1
	v_trig_preop_f64 v[31:32], |v[3:4]|, 0
	v_ldexp_f64 v[33:34], |v[3:4]|, s74
	v_cmp_ge_f64_e64 vcc, |v[3:4]|, s[38:39]
	v_trig_preop_f64 v[36:37], |v[3:4]|, 1
	v_and_b32_e32 v18, 0x7fffffff, v4
	v_trig_preop_f64 v[52:53], |v[3:4]|, 2
	s_mov_b32 s18, s42
	s_mov_b32 s47, s23
	v_cndmask_b32_e32 v34, v18, v34, vcc
	v_cndmask_b32_e32 v33, v3, v33, vcc
	v_mul_f64 v[38:39], v[31:32], v[33:34]
	v_mul_f64 v[40:41], v[36:37], v[33:34]
	;; [unrolled: 1-line block ×3, first 2 shown]
	v_fma_f64 v[31:32], v[31:32], v[33:34], -v[38:39]
	v_fma_f64 v[36:37], v[36:37], v[33:34], -v[40:41]
	;; [unrolled: 1-line block ×3, first 2 shown]
	v_add_f64 v[50:51], v[40:41], v[31:32]
	v_add_f64 v[54:55], v[50:51], -v[40:41]
	v_add_f64 v[60:61], v[38:39], v[50:51]
	v_add_f64 v[56:57], v[50:51], -v[54:55]
	v_add_f64 v[31:32], v[31:32], -v[54:55]
	v_add_f64 v[54:55], v[58:59], v[36:37]
	v_add_f64 v[38:39], v[60:61], -v[38:39]
	v_add_f64 v[40:41], v[40:41], -v[56:57]
	v_ldexp_f64 v[56:57], v[60:61], -2
	v_add_f64 v[62:63], v[54:55], -v[58:59]
	v_add_f64 v[38:39], v[50:51], -v[38:39]
	v_add_f64 v[31:32], v[31:32], v[40:41]
	v_fract_f64_e32 v[40:41], v[56:57]
	v_cmp_neq_f64_e64 vcc, |v[56:57]|, s[40:41]
	v_add_f64 v[36:37], v[36:37], -v[62:63]
	v_add_f64 v[50:51], v[54:55], v[31:32]
	v_ldexp_f64 v[40:41], v[40:41], 2
	v_add_f64 v[56:57], v[38:39], v[50:51]
	v_cndmask_b32_e32 v41, 0, v41, vcc
	v_cndmask_b32_e32 v40, 0, v40, vcc
	v_add_f64 v[64:65], v[50:51], -v[54:55]
	v_add_f64 v[60:61], v[56:57], v[40:41]
	v_add_f64 v[38:39], v[56:57], -v[38:39]
	v_add_f64 v[66:67], v[50:51], -v[64:65]
	;; [unrolled: 1-line block ×3, first 2 shown]
	v_cmp_gt_f64_e32 vcc, 0, v[60:61]
	v_add_f64 v[60:61], v[54:55], -v[62:63]
	v_add_f64 v[38:39], v[50:51], -v[38:39]
	;; [unrolled: 1-line block ×3, first 2 shown]
	v_cndmask_b32_e32 v18, 0, v44, vcc
	v_add_f64 v[40:41], v[40:41], v[17:18]
	v_add_f64 v[60:61], v[58:59], -v[60:61]
	v_add_f64 v[31:32], v[31:32], v[54:55]
	v_add_f64 v[68:69], v[56:57], v[40:41]
	;; [unrolled: 1-line block ×3, first 2 shown]
	v_cvt_i32_f64_e32 v42, v[68:69]
	v_add_f64 v[31:32], v[36:37], v[31:32]
	v_cvt_f64_i32_e32 v[62:63], v42
	v_add_f64 v[40:41], v[40:41], -v[62:63]
	v_add_f64 v[31:32], v[33:34], v[31:32]
	v_add_f64 v[36:37], v[56:57], v[40:41]
	;; [unrolled: 1-line block ×3, first 2 shown]
	v_add_f64 v[33:34], v[36:37], -v[40:41]
	v_cmp_le_f64_e32 vcc, 0.5, v[36:37]
	v_add_f64 v[33:34], v[56:57], -v[33:34]
	v_cndmask_b32_e32 v18, 0, v45, vcc
	v_add_f64 v[31:32], v[31:32], v[33:34]
	v_add_f64 v[33:34], v[36:37], -v[17:18]
	v_addc_co_u32_e32 v18, vcc, 0, v42, vcc
	v_add_f64 v[36:37], v[33:34], v[31:32]
	v_mul_f64 v[38:39], v[36:37], s[18:19]
	v_add_f64 v[33:34], v[36:37], -v[33:34]
	v_fma_f64 v[40:41], v[36:37], s[18:19], -v[38:39]
	v_add_f64 v[31:32], v[31:32], -v[33:34]
	v_fma_f64 v[33:34], v[36:37], s[46:47], v[40:41]
	v_fma_f64 v[33:34], v[31:32], s[18:19], v[33:34]
	v_add_f64 v[31:32], v[38:39], v[33:34]
	v_add_f64 v[36:37], v[31:32], -v[38:39]
	v_add_f64 v[33:34], v[33:34], -v[36:37]
.LBB155_212:                            ;   in Loop: Header=BB155_161 Depth=1
	s_andn2_saveexec_b64 s[8:9], s[8:9]
	s_cbranch_execz .LBB155_214
; %bb.213:                              ;   in Loop: Header=BB155_161 Depth=1
	v_mul_f64 v[31:32], |v[3:4]|, s[20:21]
	s_mov_b32 s22, s44
	v_rndne_f64_e32 v[36:37], v[31:32]
	v_fma_f64 v[31:32], v[36:37], s[42:43], |v[3:4]|
	v_mul_f64 v[33:34], v[36:37], s[44:45]
	v_cvt_i32_f64_e32 v18, v[36:37]
	v_fma_f64 v[50:51], v[36:37], s[44:45], v[31:32]
	v_add_f64 v[38:39], v[31:32], v[33:34]
	v_add_f64 v[40:41], v[31:32], -v[38:39]
	v_add_f64 v[38:39], v[38:39], -v[50:51]
	v_add_f64 v[31:32], v[40:41], v[33:34]
	v_fma_f64 v[33:34], v[36:37], s[22:23], v[33:34]
	v_add_f64 v[31:32], v[38:39], v[31:32]
	v_add_f64 v[31:32], v[31:32], -v[33:34]
	v_fma_f64 v[33:34], v[36:37], s[24:25], v[31:32]
	v_add_f64 v[31:32], v[50:51], v[33:34]
	v_add_f64 v[38:39], v[31:32], -v[50:51]
	v_add_f64 v[33:34], v[33:34], -v[38:39]
.LBB155_214:                            ;   in Loop: Header=BB155_161 Depth=1
	s_or_b64 exec, exec, s[8:9]
	v_add_f64 v[36:37], |v[1:2]|, s[52:53]
	s_mov_b32 s54, s52
	s_mov_b32 s8, 0x3b39803f
	;; [unrolled: 1-line block ×7, first 2 shown]
	v_add_f64 v[38:39], v[36:37], -|v[1:2]|
	v_and_b32_e32 v18, 1, v18
	v_add_f64 v[40:41], v[38:39], -v[36:37]
	v_add_f64 v[38:39], v[38:39], s[54:55]
	v_add_f64 v[40:41], |v[1:2]|, v[40:41]
	v_add_f64 v[38:39], v[40:41], -v[38:39]
	v_add_f64 v[38:39], v[38:39], s[8:9]
	s_mov_b32 s8, 0xf278e000
	s_mov_b32 s9, 0xbd53de6a
	v_add_f64 v[40:41], v[36:37], v[38:39]
	v_mul_f64 v[50:51], v[40:41], s[30:31]
	v_add_f64 v[36:37], v[36:37], -v[40:41]
	v_rndne_f64_e32 v[50:51], v[50:51]
	v_add_f64 v[36:37], v[38:39], v[36:37]
	v_fma_f64 v[38:39], v[50:51], s[48:49], v[40:41]
	v_mul_f64 v[40:41], v[50:51], s[8:9]
	s_mov_b32 s8, 0xf97b57a0
	s_mov_b32 s9, 0xbac9cc01
	v_cvt_i32_f64_e32 v3, v[50:51]
	v_add_f64 v[52:53], v[36:37], v[38:39]
	v_add_f64 v[54:55], v[52:53], v[40:41]
	v_add_f64 v[38:39], v[38:39], -v[52:53]
	v_add_f64 v[52:53], v[52:53], -v[54:55]
	v_add_f64 v[36:37], v[36:37], v[38:39]
	v_add_f64 v[38:39], v[52:53], v[40:41]
	;; [unrolled: 1-line block ×3, first 2 shown]
	v_mul_f64 v[38:39], v[50:51], s[8:9]
	s_mov_b32 s8, 0x6a5dcb37
	s_mov_b32 s9, 0x3e5ade15
	v_add_f64 v[40:41], v[54:55], v[36:37]
	v_add_f64 v[52:53], v[40:41], v[38:39]
	v_add_f64 v[54:55], v[54:55], -v[40:41]
	v_add_f64 v[40:41], v[40:41], -v[52:53]
	v_add_f64 v[36:37], v[36:37], v[54:55]
	v_add_f64 v[38:39], v[40:41], v[38:39]
	;; [unrolled: 1-line block ×4, first 2 shown]
	v_fma_f64 v[40:41], v[38:39], s[8:9], v[21:22]
	s_mov_b32 s8, 0x623fde64
	s_mov_b32 s9, 0x3ec71dee
	v_add_f64 v[52:53], v[52:53], -v[38:39]
	v_mul_f64 v[54:55], v[38:39], v[38:39]
	v_fma_f64 v[40:41], v[38:39], v[40:41], s[8:9]
	s_mov_b32 s8, 0x7c89e6b0
	s_mov_b32 s9, 0x3efa0199
	v_add_f64 v[36:37], v[36:37], v[52:53]
	v_fma_f64 v[52:53], v[38:39], v[38:39], -v[54:55]
	v_fma_f64 v[40:41], v[38:39], v[40:41], s[8:9]
	s_mov_b32 s8, 0x14761f6e
	s_mov_b32 s9, 0x3f2a01a0
	v_add_f64 v[56:57], v[36:37], v[36:37]
	v_fma_f64 v[40:41], v[38:39], v[40:41], s[8:9]
	s_mov_b32 s8, 0x1852b7b0
	s_mov_b32 s9, 0x3f56c16c
	v_fma_f64 v[52:53], v[38:39], v[56:57], v[52:53]
	v_fma_f64 v[40:41], v[38:39], v[40:41], s[8:9]
	s_mov_b32 s8, 0x55555511
	s_mov_b32 s9, 0x3fc55555
	v_add_f64 v[56:57], v[54:55], v[52:53]
	v_fma_f64 v[40:41], v[38:39], v[40:41], s[28:29]
	v_add_f64 v[54:55], v[56:57], -v[54:55]
	v_fma_f64 v[40:41], v[38:39], v[40:41], s[88:89]
	v_add_f64 v[52:53], v[52:53], -v[54:55]
	v_fma_f64 v[40:41], v[38:39], v[40:41], s[8:9]
	s_mov_b32 s8, 11
	s_mov_b32 s9, 0x3fe00000
	v_fma_f64 v[40:41], v[38:39], v[40:41], s[8:9]
	s_mov_b32 s8, 0xc751c08c
	s_mov_b32 s9, 0x3ef5e089
	v_mul_f64 v[58:59], v[56:57], v[40:41]
	v_fma_f64 v[54:55], v[56:57], v[40:41], -v[58:59]
	v_fma_f64 v[40:41], v[52:53], v[40:41], v[54:55]
	v_add_f64 v[52:53], v[58:59], v[40:41]
	v_add_f64 v[54:55], v[38:39], v[52:53]
	v_add_f64 v[56:57], v[52:53], -v[58:59]
	v_add_f64 v[38:39], v[54:55], -v[38:39]
	;; [unrolled: 1-line block ×3, first 2 shown]
	v_add_f64 v[56:57], v[33:34], v[33:34]
	v_add_f64 v[38:39], v[52:53], -v[38:39]
	v_add_f64 v[36:37], v[36:37], v[40:41]
	v_add_f64 v[36:37], v[36:37], v[38:39]
	v_add_f64 v[38:39], v[54:55], v[36:37]
	v_add_f64 v[40:41], v[38:39], 1.0
	v_add_f64 v[52:53], v[38:39], -v[54:55]
	v_add_f64 v[54:55], v[40:41], -1.0
	v_add_f64 v[36:37], v[36:37], -v[52:53]
	v_add_f64 v[38:39], v[38:39], -v[54:55]
	v_add_f64 v[36:37], v[36:37], v[38:39]
	v_add_f64 v[38:39], v[40:41], v[36:37]
	v_ldexp_f64 v[50:51], v[38:39], v3
	v_add_f64 v[38:39], v[38:39], -v[40:41]
	v_rcp_f64_e32 v[52:53], v[50:51]
	v_add_f64 v[36:37], v[36:37], -v[38:39]
	v_ldexp_f64 v[36:37], v[36:37], v3
	v_fma_f64 v[54:55], -v[50:51], v[52:53], 1.0
	v_fma_f64 v[52:53], v[54:55], v[52:53], v[52:53]
	v_fma_f64 v[54:55], -v[50:51], v[52:53], 1.0
	v_fma_f64 v[40:41], v[54:55], v[52:53], v[52:53]
	v_mul_f64 v[52:53], v[31:32], v[31:32]
	v_mul_f64 v[38:39], v[50:51], v[40:41]
	v_fma_f64 v[58:59], v[31:32], v[31:32], -v[52:53]
	v_fma_f64 v[54:55], v[40:41], v[50:51], -v[38:39]
	v_fma_f64 v[56:57], v[31:32], v[56:57], v[58:59]
	v_fma_f64 v[54:55], v[40:41], v[36:37], v[54:55]
	v_add_f64 v[52:53], v[52:53], v[56:57]
	v_add_f64 v[58:59], v[38:39], v[54:55]
	v_fma_f64 v[60:61], v[52:53], s[8:9], v[19:20]
	s_mov_b32 s8, 0x90a8aae0
	s_mov_b32 s9, 0x3f17746f
	v_add_f64 v[56:57], -v[58:59], 1.0
	v_add_f64 v[38:39], v[58:59], -v[38:39]
	v_fma_f64 v[60:61], v[52:53], v[60:61], s[8:9]
	s_mov_b32 s8, 0xa6fbf144
	s_mov_b32 s9, 0xbefbb44d
	v_add_f64 v[62:63], -v[56:57], 1.0
	v_add_f64 v[38:39], v[38:39], -v[54:55]
	v_add_f64 v[54:55], v[62:63], -v[58:59]
	v_fma_f64 v[58:59], v[52:53], v[60:61], s[8:9]
	s_mov_b32 s8, 0xa7943acf
	s_mov_b32 s9, 0x3f21e634
	v_add_f64 v[38:39], v[38:39], v[54:55]
	v_fma_f64 v[54:55], v[52:53], v[58:59], s[8:9]
	s_mov_b32 s8, 0xdeb68feb
	s_mov_b32 s9, 0x3f2d250f
	v_add_f64 v[58:59], v[56:57], v[38:39]
	v_fma_f64 v[54:55], v[52:53], v[54:55], s[8:9]
	s_mov_b32 s8, 0xb58c4d95
	s_mov_b32 s9, 0x3f437fd9
	v_mul_f64 v[60:61], v[40:41], v[58:59]
	v_fma_f64 v[54:55], v[52:53], v[54:55], s[8:9]
	s_mov_b32 s8, 0x15120e2c
	s_mov_b32 s9, 0x3f57d5af
	v_add_f64 v[56:57], v[56:57], -v[58:59]
	v_mul_f64 v[62:63], v[50:51], v[60:61]
	v_fma_f64 v[54:55], v[52:53], v[54:55], s[8:9]
	s_mov_b32 s8, 0xe09491df
	s_mov_b32 s9, 0x3f6d6d93
	v_add_f64 v[38:39], v[38:39], v[56:57]
	v_fma_f64 v[64:65], v[60:61], v[50:51], -v[62:63]
	v_fma_f64 v[54:55], v[52:53], v[54:55], s[8:9]
	s_mov_b32 s8, 0x2033784d
	s_mov_b32 s9, 0x3f8226e1
	v_fma_f64 v[64:65], v[60:61], v[36:37], v[64:65]
	v_fma_f64 v[54:55], v[52:53], v[54:55], s[8:9]
	s_mov_b32 s8, 0x9ac36ae2
	s_mov_b32 s9, 0x3f9664f4
	v_add_f64 v[66:67], v[62:63], v[64:65]
	v_fma_f64 v[54:55], v[52:53], v[54:55], s[8:9]
	s_mov_b32 s8, 0x1b451c21
	s_mov_b32 s9, 0x3faba1ba
	v_add_f64 v[68:69], v[58:59], -v[66:67]
	v_fma_f64 v[54:55], v[52:53], v[54:55], s[8:9]
	s_mov_b32 s8, 0x111185b7
	s_mov_b32 s9, 0x3fc11111
	v_add_f64 v[56:57], v[66:67], -v[62:63]
	v_add_f64 v[58:59], v[58:59], -v[68:69]
	v_fma_f64 v[54:55], v[52:53], v[54:55], s[8:9]
	s_mov_b32 s8, 0x555554ee
	s_mov_b32 s9, 0x3fd55555
	v_add_f64 v[56:57], v[56:57], -v[64:65]
	v_add_f64 v[58:59], v[58:59], -v[66:67]
	v_fma_f64 v[54:55], v[52:53], v[54:55], s[8:9]
	s_mov_b32 s8, 0x8fb9f87e
	s_mov_b32 s9, 0x408633ce
	v_cmp_nge_f64_e64 vcc, |v[1:2]|, s[8:9]
	s_mov_b32 s8, 0
	s_mov_b32 s9, 0x3e400000
	v_add_f64 v[38:39], v[38:39], v[58:59]
	v_mul_f64 v[52:53], v[52:53], v[54:55]
	v_add_f64 v[54:55], v[40:41], v[60:61]
	v_add_f64 v[38:39], v[56:57], v[38:39]
	v_mul_f64 v[56:57], v[31:32], v[52:53]
	v_add_f64 v[58:59], v[54:55], -v[40:41]
	v_add_f64 v[38:39], v[68:69], v[38:39]
	v_add_f64 v[62:63], v[31:32], v[56:57]
	v_add_f64 v[58:59], v[60:61], -v[58:59]
	v_mul_f64 v[38:39], v[40:41], v[38:39]
	v_fma_f64 v[40:41], v[31:32], v[52:53], -v[56:57]
	v_add_f64 v[31:32], v[62:63], -v[31:32]
	v_add_f64 v[38:39], v[58:59], v[38:39]
	v_add_f64 v[33:34], v[33:34], v[40:41]
	v_add_f64 v[31:32], v[56:57], -v[31:32]
	v_add_f64 v[40:41], v[54:55], v[38:39]
	v_add_f64 v[31:32], v[33:34], v[31:32]
	v_ldexp_f64 v[33:34], v[40:41], -2
	v_add_f64 v[40:41], v[40:41], -v[54:55]
	v_add_f64 v[52:53], v[62:63], v[31:32]
	v_add_f64 v[56:57], v[50:51], -v[33:34]
	v_add_f64 v[38:39], v[38:39], -v[40:41]
	v_rcp_f64_e32 v[58:59], v[52:53]
	v_add_f64 v[50:51], v[50:51], -v[56:57]
	v_ldexp_f64 v[38:39], v[38:39], -2
	v_add_f64 v[33:34], v[50:51], -v[33:34]
	v_fma_f64 v[40:41], -v[52:53], v[58:59], 1.0
	v_add_f64 v[33:34], v[36:37], v[33:34]
	v_fma_f64 v[36:37], v[40:41], v[58:59], v[58:59]
	v_add_f64 v[33:34], v[33:34], -v[38:39]
	v_fma_f64 v[38:39], -v[52:53], v[36:37], 1.0
	v_add_f64 v[33:34], v[56:57], v[33:34]
	v_fma_f64 v[36:37], v[38:39], v[36:37], v[36:37]
	v_cndmask_b32_e32 v3, v46, v34, vcc
	v_cndmask_b32_e32 v40, 0, v33, vcc
	v_cmp_lt_f64_e64 vcc, |v[1:2]|, s[8:9]
	v_add_f64 v[33:34], v[52:53], -v[62:63]
	v_mul_f64 v[38:39], v[52:53], v[36:37]
	s_mov_b32 s8, 0
	s_brev_b32 s9, 8
	v_cndmask_b32_e32 v3, v3, v35, vcc
	v_cndmask_b32_e32 v1, v40, v1, vcc
	v_bfi_b32 v2, s70, v3, v2
	v_fma_f64 v[40:41], v[1:2], v[1:2], 1.0
	v_add_f64 v[31:32], v[31:32], -v[33:34]
	v_fma_f64 v[33:34], v[36:37], v[52:53], -v[38:39]
	v_and_b32_e32 v35, 0x80000000, v4
	v_cmp_gt_f64_e32 vcc, s[8:9], v[40:41]
	v_cmp_eq_u32_e64 s[8:9], 0, v18
	v_fma_f64 v[31:32], v[36:37], v[31:32], v[33:34]
	v_cndmask_b32_e32 v3, 0, v47, vcc
	v_ldexp_f64 v[40:41], v[40:41], v3
	v_add_f64 v[50:51], v[38:39], v[31:32]
	v_rsq_f64_e32 v[33:34], v[40:41]
	v_add_f64 v[54:55], -v[50:51], 1.0
	v_add_f64 v[38:39], v[50:51], -v[38:39]
	v_add_f64 v[58:59], -v[54:55], 1.0
	v_add_f64 v[31:32], v[38:39], -v[31:32]
	v_mul_f64 v[56:57], v[40:41], v[33:34]
	v_mul_f64 v[33:34], v[33:34], 0.5
	v_add_f64 v[50:51], v[58:59], -v[50:51]
	v_fma_f64 v[38:39], -v[33:34], v[56:57], 0.5
	v_add_f64 v[31:32], v[31:32], v[50:51]
	v_fma_f64 v[56:57], v[56:57], v[38:39], v[56:57]
	v_fma_f64 v[33:34], v[33:34], v[38:39], v[33:34]
	v_add_f64 v[31:32], v[54:55], v[31:32]
	v_fma_f64 v[38:39], -v[56:57], v[56:57], v[40:41]
	v_mul_f64 v[31:32], v[36:37], v[31:32]
	v_fma_f64 v[38:39], v[38:39], v[33:34], v[56:57]
	v_add_f64 v[31:32], v[36:37], v[31:32]
	v_fma_f64 v[50:51], -v[38:39], v[38:39], v[40:41]
	v_xor_b32_e32 v32, 0x80000000, v32
	v_cndmask_b32_e64 v18, v32, v53, s[8:9]
	v_xor_b32_e32 v32, v18, v35
	v_cndmask_b32_e32 v18, 0, v48, vcc
	v_cndmask_b32_e64 v31, v31, v52, s[8:9]
	v_cmp_class_f64_e32 vcc, v[40:41], v43
	v_fma_f64 v[3:4], v[50:51], v[33:34], v[38:39]
	v_fma_f64 v[33:34], v[31:32], v[31:32], 1.0
	v_ldexp_f64 v[3:4], v[3:4], v18
	v_mul_f64 v[35:36], v[1:2], v[33:34]
	v_cndmask_b32_e32 v4, v4, v41, vcc
	v_cndmask_b32_e32 v3, v3, v40, vcc
	v_mul_f64 v[3:4], v[3:4], v[33:34]
	v_fma_f64 v[33:34], v[1:2], v[35:36], 1.0
	v_mul_f64 v[1:2], v[1:2], v[3:4]
	v_div_scale_f64 v[35:36], s[8:9], v[33:34], v[33:34], v[31:32]
	v_div_scale_f64 v[3:4], s[8:9], v[33:34], v[33:34], v[1:2]
	;; [unrolled: 1-line block ×3, first 2 shown]
	v_rcp_f64_e32 v[39:40], v[35:36]
	v_rcp_f64_e32 v[37:38], v[3:4]
	v_fma_f64 v[50:51], -v[35:36], v[39:40], 1.0
	v_fma_f64 v[41:42], -v[3:4], v[37:38], 1.0
	v_fma_f64 v[39:40], v[39:40], v[50:51], v[39:40]
	v_fma_f64 v[37:38], v[37:38], v[41:42], v[37:38]
	v_div_scale_f64 v[41:42], vcc, v[1:2], v[33:34], v[1:2]
	v_fma_f64 v[54:55], -v[35:36], v[39:40], 1.0
	v_fma_f64 v[50:51], -v[3:4], v[37:38], 1.0
	v_fma_f64 v[39:40], v[39:40], v[54:55], v[39:40]
	v_fma_f64 v[37:38], v[37:38], v[50:51], v[37:38]
	v_mul_f64 v[54:55], v[52:53], v[39:40]
	v_mul_f64 v[50:51], v[41:42], v[37:38]
	v_fma_f64 v[35:36], -v[35:36], v[54:55], v[52:53]
	v_fma_f64 v[3:4], -v[3:4], v[50:51], v[41:42]
	v_div_fmas_f64 v[3:4], v[3:4], v[37:38], v[50:51]
	s_mov_b64 vcc, s[8:9]
	v_div_fmas_f64 v[35:36], v[35:36], v[39:40], v[54:55]
	v_div_fixup_f64 v[1:2], v[3:4], v[33:34], v[1:2]
	v_div_fixup_f64 v[3:4], v[35:36], v[33:34], v[31:32]
.LBB155_215:                            ;   in Loop: Header=BB155_161 Depth=1
	s_andn2_saveexec_b64 s[8:9], s[12:13]
	s_cbranch_execz .LBB155_225
; %bb.216:                              ;   in Loop: Header=BB155_161 Depth=1
	v_cmp_nlt_f64_e64 s[12:13], |v[3:4]|, s[36:37]
                                        ; implicit-def: $vgpr51
                                        ; implicit-def: $vgpr35_vgpr36
                                        ; implicit-def: $vgpr41_vgpr42
	s_and_saveexec_b64 s[66:67], s[12:13]
	s_xor_b64 s[66:67], exec, s[66:67]
	s_cbranch_execz .LBB155_218
; %bb.217:                              ;   in Loop: Header=BB155_161 Depth=1
	v_trig_preop_f64 v[31:32], |v[3:4]|, 0
	v_ldexp_f64 v[33:34], |v[3:4]|, s74
	v_cmp_ge_f64_e64 vcc, |v[3:4]|, s[38:39]
	v_trig_preop_f64 v[35:36], |v[3:4]|, 1
	v_and_b32_e32 v18, 0x7fffffff, v4
	v_trig_preop_f64 v[50:51], |v[3:4]|, 2
	s_mov_b32 s18, s42
	s_mov_b32 s47, s23
	v_cndmask_b32_e32 v34, v18, v34, vcc
	v_cndmask_b32_e32 v33, v3, v33, vcc
	v_mul_f64 v[37:38], v[31:32], v[33:34]
	v_mul_f64 v[39:40], v[35:36], v[33:34]
	;; [unrolled: 1-line block ×3, first 2 shown]
	v_fma_f64 v[31:32], v[31:32], v[33:34], -v[37:38]
	v_fma_f64 v[35:36], v[35:36], v[33:34], -v[39:40]
	;; [unrolled: 1-line block ×3, first 2 shown]
	v_add_f64 v[41:42], v[39:40], v[31:32]
	v_add_f64 v[52:53], v[41:42], -v[39:40]
	v_add_f64 v[58:59], v[37:38], v[41:42]
	v_add_f64 v[54:55], v[41:42], -v[52:53]
	v_add_f64 v[31:32], v[31:32], -v[52:53]
	v_add_f64 v[52:53], v[56:57], v[35:36]
	v_add_f64 v[37:38], v[58:59], -v[37:38]
	v_add_f64 v[39:40], v[39:40], -v[54:55]
	v_ldexp_f64 v[54:55], v[58:59], -2
	v_add_f64 v[60:61], v[52:53], -v[56:57]
	v_add_f64 v[37:38], v[41:42], -v[37:38]
	v_add_f64 v[31:32], v[31:32], v[39:40]
	v_fract_f64_e32 v[39:40], v[54:55]
	v_cmp_neq_f64_e64 vcc, |v[54:55]|, s[40:41]
	v_add_f64 v[35:36], v[35:36], -v[60:61]
	v_add_f64 v[41:42], v[52:53], v[31:32]
	v_ldexp_f64 v[39:40], v[39:40], 2
	v_add_f64 v[54:55], v[37:38], v[41:42]
	v_cndmask_b32_e32 v40, 0, v40, vcc
	v_cndmask_b32_e32 v39, 0, v39, vcc
	v_add_f64 v[62:63], v[41:42], -v[52:53]
	v_add_f64 v[58:59], v[54:55], v[39:40]
	v_add_f64 v[37:38], v[54:55], -v[37:38]
	v_add_f64 v[64:65], v[41:42], -v[62:63]
	;; [unrolled: 1-line block ×3, first 2 shown]
	v_cmp_gt_f64_e32 vcc, 0, v[58:59]
	v_add_f64 v[58:59], v[52:53], -v[60:61]
	v_add_f64 v[37:38], v[41:42], -v[37:38]
	v_add_f64 v[52:53], v[52:53], -v[64:65]
	v_cndmask_b32_e32 v18, 0, v44, vcc
	v_add_f64 v[39:40], v[39:40], v[17:18]
	v_add_f64 v[58:59], v[56:57], -v[58:59]
	v_add_f64 v[31:32], v[31:32], v[52:53]
	v_add_f64 v[66:67], v[54:55], v[39:40]
	;; [unrolled: 1-line block ×3, first 2 shown]
	v_cvt_i32_f64_e32 v62, v[66:67]
	v_add_f64 v[31:32], v[35:36], v[31:32]
	v_cvt_f64_i32_e32 v[60:61], v62
	v_add_f64 v[39:40], v[39:40], -v[60:61]
	v_add_f64 v[31:32], v[33:34], v[31:32]
	v_add_f64 v[35:36], v[54:55], v[39:40]
	;; [unrolled: 1-line block ×3, first 2 shown]
	v_add_f64 v[33:34], v[35:36], -v[39:40]
	v_cmp_le_f64_e32 vcc, 0.5, v[35:36]
	v_add_f64 v[33:34], v[54:55], -v[33:34]
	v_cndmask_b32_e32 v18, 0, v45, vcc
	v_addc_co_u32_e32 v51, vcc, 0, v62, vcc
	v_add_f64 v[31:32], v[31:32], v[33:34]
	v_add_f64 v[33:34], v[35:36], -v[17:18]
	v_add_f64 v[35:36], v[33:34], v[31:32]
	v_mul_f64 v[37:38], v[35:36], s[18:19]
	v_add_f64 v[33:34], v[35:36], -v[33:34]
	v_fma_f64 v[39:40], v[35:36], s[18:19], -v[37:38]
	v_add_f64 v[31:32], v[31:32], -v[33:34]
	v_fma_f64 v[33:34], v[35:36], s[46:47], v[39:40]
	v_fma_f64 v[31:32], v[31:32], s[18:19], v[33:34]
	v_add_f64 v[35:36], v[37:38], v[31:32]
	v_add_f64 v[33:34], v[35:36], -v[37:38]
	v_add_f64 v[41:42], v[31:32], -v[33:34]
	s_andn2_saveexec_b64 s[66:67], s[66:67]
	s_cbranch_execz .LBB155_220
	s_branch .LBB155_219
.LBB155_218:                            ;   in Loop: Header=BB155_161 Depth=1
	s_andn2_saveexec_b64 s[66:67], s[66:67]
	s_cbranch_execz .LBB155_220
.LBB155_219:                            ;   in Loop: Header=BB155_161 Depth=1
	v_mul_f64 v[31:32], |v[3:4]|, s[20:21]
	s_mov_b32 s22, s44
	v_rndne_f64_e32 v[31:32], v[31:32]
	v_fma_f64 v[33:34], v[31:32], s[42:43], |v[3:4]|
	v_mul_f64 v[35:36], v[31:32], s[44:45]
	v_cvt_i32_f64_e32 v51, v[31:32]
	v_add_f64 v[37:38], v[33:34], v[35:36]
	v_add_f64 v[39:40], v[33:34], -v[37:38]
	v_fma_f64 v[33:34], v[31:32], s[44:45], v[33:34]
	v_add_f64 v[39:40], v[39:40], v[35:36]
	v_add_f64 v[37:38], v[37:38], -v[33:34]
	v_fma_f64 v[35:36], v[31:32], s[22:23], v[35:36]
	v_add_f64 v[37:38], v[37:38], v[39:40]
	v_add_f64 v[35:36], v[37:38], -v[35:36]
	v_fma_f64 v[37:38], v[31:32], s[24:25], v[35:36]
	v_add_f64 v[35:36], v[33:34], v[37:38]
	v_add_f64 v[33:34], v[35:36], -v[33:34]
	v_add_f64 v[41:42], v[37:38], -v[33:34]
.LBB155_220:                            ;   in Loop: Header=BB155_161 Depth=1
	s_or_b64 exec, exec, s[66:67]
                                        ; implicit-def: $vgpr50
                                        ; implicit-def: $vgpr31_vgpr32
                                        ; implicit-def: $vgpr33_vgpr34
	s_and_saveexec_b64 s[66:67], s[12:13]
	s_xor_b64 s[12:13], exec, s[66:67]
	s_cbranch_execz .LBB155_222
; %bb.221:                              ;   in Loop: Header=BB155_161 Depth=1
	v_trig_preop_f64 v[31:32], |v[3:4]|, 0
	v_ldexp_f64 v[33:34], |v[3:4]|, s74
	v_cmp_ge_f64_e64 vcc, |v[3:4]|, s[38:39]
	v_trig_preop_f64 v[37:38], |v[3:4]|, 1
	v_and_b32_e32 v18, 0x7fffffff, v4
	v_trig_preop_f64 v[56:57], |v[3:4]|, 2
	s_mov_b32 s18, s42
	s_mov_b32 s47, s23
	v_cndmask_b32_e32 v34, v18, v34, vcc
	v_cndmask_b32_e32 v33, v3, v33, vcc
	v_mul_f64 v[39:40], v[31:32], v[33:34]
	v_mul_f64 v[52:53], v[37:38], v[33:34]
	;; [unrolled: 1-line block ×3, first 2 shown]
	v_fma_f64 v[31:32], v[31:32], v[33:34], -v[39:40]
	v_fma_f64 v[37:38], v[37:38], v[33:34], -v[52:53]
	;; [unrolled: 1-line block ×3, first 2 shown]
	v_add_f64 v[54:55], v[52:53], v[31:32]
	v_add_f64 v[58:59], v[54:55], -v[52:53]
	v_add_f64 v[64:65], v[39:40], v[54:55]
	v_add_f64 v[60:61], v[54:55], -v[58:59]
	v_add_f64 v[31:32], v[31:32], -v[58:59]
	v_add_f64 v[58:59], v[62:63], v[37:38]
	v_add_f64 v[39:40], v[64:65], -v[39:40]
	v_add_f64 v[52:53], v[52:53], -v[60:61]
	v_ldexp_f64 v[60:61], v[64:65], -2
	v_add_f64 v[66:67], v[58:59], -v[62:63]
	v_add_f64 v[39:40], v[54:55], -v[39:40]
	v_add_f64 v[31:32], v[31:32], v[52:53]
	v_fract_f64_e32 v[52:53], v[60:61]
	v_cmp_neq_f64_e64 vcc, |v[60:61]|, s[40:41]
	v_add_f64 v[37:38], v[37:38], -v[66:67]
	v_add_f64 v[54:55], v[58:59], v[31:32]
	v_ldexp_f64 v[52:53], v[52:53], 2
	v_add_f64 v[60:61], v[39:40], v[54:55]
	v_cndmask_b32_e32 v53, 0, v53, vcc
	v_cndmask_b32_e32 v52, 0, v52, vcc
	v_add_f64 v[68:69], v[54:55], -v[58:59]
	v_add_f64 v[64:65], v[60:61], v[52:53]
	v_add_f64 v[39:40], v[60:61], -v[39:40]
	v_add_f64 v[70:71], v[54:55], -v[68:69]
	;; [unrolled: 1-line block ×3, first 2 shown]
	v_cmp_gt_f64_e32 vcc, 0, v[64:65]
	v_add_f64 v[64:65], v[58:59], -v[66:67]
	v_add_f64 v[39:40], v[54:55], -v[39:40]
	;; [unrolled: 1-line block ×3, first 2 shown]
	v_cndmask_b32_e32 v18, 0, v44, vcc
	v_add_f64 v[52:53], v[52:53], v[17:18]
	v_add_f64 v[64:65], v[62:63], -v[64:65]
	v_add_f64 v[31:32], v[31:32], v[58:59]
	v_add_f64 v[72:73], v[60:61], v[52:53]
	;; [unrolled: 1-line block ×3, first 2 shown]
	v_cvt_i32_f64_e32 v50, v[72:73]
	v_add_f64 v[31:32], v[37:38], v[31:32]
	v_cvt_f64_i32_e32 v[66:67], v50
	v_add_f64 v[52:53], v[52:53], -v[66:67]
	v_add_f64 v[31:32], v[33:34], v[31:32]
	v_add_f64 v[37:38], v[60:61], v[52:53]
	;; [unrolled: 1-line block ×3, first 2 shown]
	v_add_f64 v[33:34], v[37:38], -v[52:53]
	v_cmp_le_f64_e32 vcc, 0.5, v[37:38]
	v_add_f64 v[33:34], v[60:61], -v[33:34]
	v_cndmask_b32_e32 v18, 0, v45, vcc
	v_addc_co_u32_e32 v50, vcc, 0, v50, vcc
	v_add_f64 v[31:32], v[31:32], v[33:34]
	v_add_f64 v[33:34], v[37:38], -v[17:18]
	v_add_f64 v[37:38], v[33:34], v[31:32]
	v_mul_f64 v[39:40], v[37:38], s[18:19]
	v_add_f64 v[33:34], v[37:38], -v[33:34]
	v_fma_f64 v[52:53], v[37:38], s[18:19], -v[39:40]
	v_add_f64 v[31:32], v[31:32], -v[33:34]
	v_fma_f64 v[33:34], v[37:38], s[46:47], v[52:53]
	v_fma_f64 v[33:34], v[31:32], s[18:19], v[33:34]
	v_add_f64 v[31:32], v[39:40], v[33:34]
	v_add_f64 v[37:38], v[31:32], -v[39:40]
	v_add_f64 v[33:34], v[33:34], -v[37:38]
	s_andn2_saveexec_b64 s[12:13], s[12:13]
	s_cbranch_execnz .LBB155_223
	s_branch .LBB155_224
.LBB155_222:                            ;   in Loop: Header=BB155_161 Depth=1
	s_andn2_saveexec_b64 s[12:13], s[12:13]
	s_cbranch_execz .LBB155_224
.LBB155_223:                            ;   in Loop: Header=BB155_161 Depth=1
	v_mul_f64 v[31:32], |v[3:4]|, s[20:21]
	s_mov_b32 s22, s44
	v_rndne_f64_e32 v[37:38], v[31:32]
	v_fma_f64 v[31:32], v[37:38], s[42:43], |v[3:4]|
	v_mul_f64 v[33:34], v[37:38], s[44:45]
	v_cvt_i32_f64_e32 v50, v[37:38]
	v_fma_f64 v[54:55], v[37:38], s[44:45], v[31:32]
	v_add_f64 v[39:40], v[31:32], v[33:34]
	v_add_f64 v[52:53], v[31:32], -v[39:40]
	v_add_f64 v[39:40], v[39:40], -v[54:55]
	v_add_f64 v[31:32], v[52:53], v[33:34]
	v_fma_f64 v[33:34], v[37:38], s[22:23], v[33:34]
	v_add_f64 v[31:32], v[39:40], v[31:32]
	v_add_f64 v[31:32], v[31:32], -v[33:34]
	v_fma_f64 v[33:34], v[37:38], s[24:25], v[31:32]
	v_add_f64 v[31:32], v[54:55], v[33:34]
	v_add_f64 v[39:40], v[31:32], -v[54:55]
	v_add_f64 v[33:34], v[33:34], -v[39:40]
.LBB155_224:                            ;   in Loop: Header=BB155_161 Depth=1
	s_or_b64 exec, exec, s[12:13]
	v_mul_f64 v[52:53], v[35:36], v[35:36]
	v_mul_f64 v[60:61], v[41:42], 0.5
	s_mov_b32 s60, s76
	v_and_b32_e32 v3, 1, v51
	v_cmp_eq_u32_e32 vcc, 0, v3
	s_mov_b32 s12, 0x3b39803f
	s_mov_b32 s13, 0xbc7abc9e
	;; [unrolled: 1-line block ×3, first 2 shown]
	v_mul_f64 v[37:38], v[52:53], 0.5
	v_mul_f64 v[56:57], v[52:53], v[52:53]
	s_mov_b32 s89, s77
	v_add_f64 v[54:55], -v[37:38], 1.0
	v_add_f64 v[39:40], -v[54:55], 1.0
	v_add_f64 v[37:38], v[39:40], -v[37:38]
	v_mov_b32_e32 v39, s78
	v_mov_b32_e32 v40, s79
	v_fma_f64 v[58:59], v[52:53], s[80:81], v[39:40]
	v_fma_f64 v[37:38], v[35:36], -v[41:42], v[37:38]
	v_fma_f64 v[58:59], v[52:53], v[58:59], s[82:83]
	v_fma_f64 v[58:59], v[52:53], v[58:59], s[84:85]
	;; [unrolled: 1-line block ×5, first 2 shown]
	v_mul_f64 v[58:59], v[35:36], -v[52:53]
	v_add_f64 v[54:55], v[54:55], v[37:38]
	v_mov_b32_e32 v37, s90
	v_mov_b32_e32 v38, s91
	v_fma_f64 v[56:57], v[52:53], s[92:93], v[37:38]
	v_fma_f64 v[56:57], v[52:53], v[56:57], s[94:95]
	v_fma_f64 v[56:57], v[52:53], v[56:57], s[26:27]
	v_fma_f64 v[56:57], v[52:53], v[56:57], s[58:59]
	v_fma_f64 v[56:57], v[58:59], v[56:57], v[60:61]
	v_fma_f64 v[41:42], v[52:53], v[56:57], -v[41:42]
	v_fma_f64 v[41:42], v[58:59], s[60:61], v[41:42]
	v_add_f64 v[35:36], v[35:36], -v[41:42]
	v_cndmask_b32_e32 v3, v54, v35, vcc
	v_lshlrev_b32_e32 v35, 30, v51
	v_cndmask_b32_e32 v18, v55, v36, vcc
	v_xor_b32_e32 v4, v35, v4
	v_mul_f64 v[35:36], |v[1:2]|, s[50:51]
	v_and_b32_e32 v4, 0x80000000, v4
	v_xor_b32_e32 v4, v18, v4
	v_mul_f64 v[3:4], v[3:4], 4.0
	v_rndne_f64_e32 v[35:36], v[35:36]
	v_fma_f64 v[41:42], v[35:36], s[52:53], -|v[1:2]|
	v_cvt_i32_f64_e32 v18, v[35:36]
	v_fma_f64 v[41:42], v[35:36], s[12:13], v[41:42]
	s_mov_b32 s12, 0x6a5dcb37
	s_mov_b32 s13, 0x3e5ade15
	v_fma_f64 v[51:52], v[41:42], s[12:13], v[21:22]
	s_mov_b32 s12, 0x623fde64
	s_mov_b32 s13, 0x3ec71dee
	v_fma_f64 v[51:52], v[41:42], v[51:52], s[12:13]
	s_mov_b32 s12, 0x7c89e6b0
	s_mov_b32 s13, 0x3efa0199
	v_fma_f64 v[51:52], v[41:42], v[51:52], s[12:13]
	s_mov_b32 s12, 0x14761f6e
	s_mov_b32 s13, 0x3f2a01a0
	v_fma_f64 v[51:52], v[41:42], v[51:52], s[12:13]
	s_mov_b32 s12, 0x1852b7b0
	s_mov_b32 s13, 0x3f56c16c
	v_fma_f64 v[51:52], v[41:42], v[51:52], s[12:13]
	s_mov_b32 s12, 0x55555511
	s_mov_b32 s13, 0x3fc55555
	v_fma_f64 v[51:52], v[41:42], v[51:52], s[28:29]
	v_fma_f64 v[51:52], v[41:42], v[51:52], s[88:89]
	;; [unrolled: 1-line block ×3, first 2 shown]
	s_mov_b32 s12, 11
	s_mov_b32 s13, 0x3fe00000
	v_fma_f64 v[51:52], v[41:42], v[51:52], s[12:13]
	s_mov_b32 s12, 0
	s_mov_b32 s13, 0x4090cc00
	v_cmp_ngt_f64_e64 vcc, |v[1:2]|, s[12:13]
	v_fma_f64 v[51:52], v[41:42], v[51:52], 1.0
	v_fma_f64 v[41:42], v[41:42], v[51:52], 1.0
	v_ldexp_f64 v[35:36], v[41:42], v18
	v_mul_f64 v[41:42], v[31:32], v[31:32]
	v_bfi_b32 v18, s70, v45, v2
	v_cndmask_b32_e32 v36, 0, v36, vcc
	v_mul_f64 v[1:2], v[41:42], 0.5
	v_fma_f64 v[39:40], v[41:42], s[80:81], v[39:40]
	v_fma_f64 v[37:38], v[41:42], s[92:93], v[37:38]
	v_cndmask_b32_e32 v35, 0, v35, vcc
	v_add_f64 v[51:52], -v[1:2], 1.0
	v_fma_f64 v[39:40], v[41:42], v[39:40], s[82:83]
	v_fma_f64 v[37:38], v[41:42], v[37:38], s[94:95]
	v_add_f64 v[53:54], -v[51:52], 1.0
	v_fma_f64 v[39:40], v[41:42], v[39:40], s[84:85]
	v_fma_f64 v[37:38], v[41:42], v[37:38], s[26:27]
	v_add_f64 v[1:2], v[53:54], -v[1:2]
	v_fma_f64 v[39:40], v[41:42], v[39:40], s[86:87]
	v_mul_f64 v[53:54], v[41:42], v[41:42]
	v_fma_f64 v[37:38], v[41:42], v[37:38], s[58:59]
	v_fma_f64 v[1:2], v[31:32], -v[33:34], v[1:2]
	v_fma_f64 v[39:40], v[41:42], v[39:40], s[76:77]
	v_fma_f64 v[1:2], v[53:54], v[39:40], v[1:2]
	v_mul_f64 v[39:40], v[31:32], -v[41:42]
	v_add_f64 v[1:2], v[51:52], v[1:2]
	v_mul_f64 v[51:52], v[33:34], 0.5
	v_fma_f64 v[37:38], v[39:40], v[37:38], v[51:52]
	v_fma_f64 v[33:34], v[41:42], v[37:38], -v[33:34]
	v_fma_f64 v[33:34], v[39:40], s[60:61], v[33:34]
	v_add_f64 v[31:32], v[31:32], -v[33:34]
	v_and_b32_e32 v33, 1, v50
	v_cmp_eq_u32_e32 vcc, 0, v33
	v_xor_b32_e32 v32, 0x80000000, v32
	v_cndmask_b32_e32 v1, v31, v1, vcc
	v_lshlrev_b32_e32 v31, 30, v50
	v_cndmask_b32_e32 v2, v32, v2, vcc
	v_and_b32_e32 v31, 0x80000000, v31
	v_xor_b32_e32 v2, v2, v31
	v_mul_f64 v[1:2], v[3:4], v[1:2]
	v_mul_f64 v[1:2], v[35:36], v[1:2]
	;; [unrolled: 1-line block ×3, first 2 shown]
	v_mov_b32_e32 v1, v17
	v_mov_b32_e32 v2, v18
.LBB155_225:                            ;   in Loop: Header=BB155_161 Depth=1
	s_or_b64 exec, exec, s[8:9]
.LBB155_226:                            ;   in Loop: Header=BB155_161 Depth=1
	s_andn2_saveexec_b64 s[8:9], s[10:11]
	s_cbranch_execz .LBB155_228
; %bb.227:                              ;   in Loop: Header=BB155_161 Depth=1
	v_add_f64 v[3:4], v[3:4], -v[3:4]
	v_mov_b32_e32 v1, v3
	v_mov_b32_e32 v2, v4
.LBB155_228:                            ;   in Loop: Header=BB155_161 Depth=1
	s_or_b64 exec, exec, s[8:9]
.LBB155_229:                            ;   in Loop: Header=BB155_161 Depth=1
	s_andn2_saveexec_b64 s[10:11], s[56:57]
	s_cbranch_execz .LBB155_245
; %bb.230:                              ;   in Loop: Header=BB155_161 Depth=1
	v_and_or_b32 v18, v2, s75, v1
	v_cmp_ne_u32_e32 vcc, 0, v18
	s_and_saveexec_b64 s[8:9], vcc
	s_xor_b64 s[8:9], exec, s[8:9]
	s_cbranch_execz .LBB155_232
; %bb.231:                              ;   in Loop: Header=BB155_161 Depth=1
	v_mul_f64 v[31:32], v[3:4], v[1:2]
	v_cmp_eq_f64_e32 vcc, 0, v[3:4]
	v_cndmask_b32_e32 v4, v32, v4, vcc
	v_cndmask_b32_e32 v3, v31, v3, vcc
.LBB155_232:                            ;   in Loop: Header=BB155_161 Depth=1
	s_andn2_saveexec_b64 s[12:13], s[8:9]
	s_cbranch_execz .LBB155_244
; %bb.233:                              ;   in Loop: Header=BB155_161 Depth=1
	v_cmp_neq_f64_e64 s[8:9], |v[3:4]|, s[40:41]
	s_and_saveexec_b64 s[56:57], s[8:9]
	s_cbranch_execz .LBB155_243
; %bb.234:                              ;   in Loop: Header=BB155_161 Depth=1
	v_cmp_nlt_f64_e64 s[8:9], |v[3:4]|, s[36:37]
                                        ; implicit-def: $vgpr39
                                        ; implicit-def: $vgpr31_vgpr32
                                        ; implicit-def: $vgpr33_vgpr34
	s_and_saveexec_b64 s[66:67], s[8:9]
	s_xor_b64 s[66:67], exec, s[66:67]
	s_cbranch_execz .LBB155_236
; %bb.235:                              ;   in Loop: Header=BB155_161 Depth=1
	v_trig_preop_f64 v[31:32], |v[3:4]|, 0
	v_ldexp_f64 v[33:34], |v[3:4]|, s74
	v_cmp_ge_f64_e64 vcc, |v[3:4]|, s[38:39]
	v_trig_preop_f64 v[35:36], |v[3:4]|, 1
	v_and_b32_e32 v18, 0x7fffffff, v4
	v_trig_preop_f64 v[50:51], |v[3:4]|, 2
	s_mov_b32 s18, s42
	s_mov_b32 s47, s23
	v_cndmask_b32_e32 v34, v18, v34, vcc
	v_cndmask_b32_e32 v33, v3, v33, vcc
	v_mul_f64 v[37:38], v[31:32], v[33:34]
	v_mul_f64 v[39:40], v[35:36], v[33:34]
	;; [unrolled: 1-line block ×3, first 2 shown]
	v_fma_f64 v[31:32], v[31:32], v[33:34], -v[37:38]
	v_fma_f64 v[35:36], v[35:36], v[33:34], -v[39:40]
	;; [unrolled: 1-line block ×3, first 2 shown]
	v_add_f64 v[41:42], v[39:40], v[31:32]
	v_add_f64 v[52:53], v[41:42], -v[39:40]
	v_add_f64 v[58:59], v[37:38], v[41:42]
	v_add_f64 v[54:55], v[41:42], -v[52:53]
	v_add_f64 v[31:32], v[31:32], -v[52:53]
	v_add_f64 v[52:53], v[56:57], v[35:36]
	v_add_f64 v[37:38], v[58:59], -v[37:38]
	v_add_f64 v[39:40], v[39:40], -v[54:55]
	v_ldexp_f64 v[54:55], v[58:59], -2
	v_add_f64 v[60:61], v[52:53], -v[56:57]
	v_add_f64 v[37:38], v[41:42], -v[37:38]
	v_add_f64 v[31:32], v[31:32], v[39:40]
	v_fract_f64_e32 v[39:40], v[54:55]
	v_cmp_neq_f64_e64 vcc, |v[54:55]|, s[40:41]
	v_add_f64 v[35:36], v[35:36], -v[60:61]
	v_add_f64 v[41:42], v[52:53], v[31:32]
	v_ldexp_f64 v[39:40], v[39:40], 2
	v_add_f64 v[54:55], v[37:38], v[41:42]
	v_cndmask_b32_e32 v40, 0, v40, vcc
	v_cndmask_b32_e32 v39, 0, v39, vcc
	v_add_f64 v[62:63], v[41:42], -v[52:53]
	v_add_f64 v[58:59], v[54:55], v[39:40]
	v_add_f64 v[37:38], v[54:55], -v[37:38]
	v_add_f64 v[64:65], v[41:42], -v[62:63]
	;; [unrolled: 1-line block ×3, first 2 shown]
	v_cmp_gt_f64_e32 vcc, 0, v[58:59]
	v_add_f64 v[58:59], v[52:53], -v[60:61]
	v_add_f64 v[37:38], v[41:42], -v[37:38]
	v_add_f64 v[52:53], v[52:53], -v[64:65]
	v_cndmask_b32_e32 v18, 0, v44, vcc
	v_add_f64 v[39:40], v[39:40], v[17:18]
	v_add_f64 v[58:59], v[56:57], -v[58:59]
	v_add_f64 v[31:32], v[31:32], v[52:53]
	v_add_f64 v[66:67], v[54:55], v[39:40]
	v_add_f64 v[35:36], v[35:36], v[58:59]
	v_cvt_i32_f64_e32 v62, v[66:67]
	v_add_f64 v[31:32], v[35:36], v[31:32]
	v_cvt_f64_i32_e32 v[60:61], v62
	v_add_f64 v[39:40], v[39:40], -v[60:61]
	v_add_f64 v[31:32], v[33:34], v[31:32]
	v_add_f64 v[35:36], v[54:55], v[39:40]
	;; [unrolled: 1-line block ×3, first 2 shown]
	v_add_f64 v[33:34], v[35:36], -v[39:40]
	v_cmp_le_f64_e32 vcc, 0.5, v[35:36]
	v_add_f64 v[33:34], v[54:55], -v[33:34]
	v_cndmask_b32_e32 v18, 0, v45, vcc
	v_add_f64 v[31:32], v[31:32], v[33:34]
	v_add_f64 v[33:34], v[35:36], -v[17:18]
	v_add_f64 v[35:36], v[33:34], v[31:32]
	v_mul_f64 v[37:38], v[35:36], s[18:19]
	v_add_f64 v[33:34], v[35:36], -v[33:34]
	v_fma_f64 v[39:40], v[35:36], s[18:19], -v[37:38]
	v_add_f64 v[31:32], v[31:32], -v[33:34]
	v_fma_f64 v[33:34], v[35:36], s[46:47], v[39:40]
	v_addc_co_u32_e32 v39, vcc, 0, v62, vcc
	v_fma_f64 v[33:34], v[31:32], s[18:19], v[33:34]
	v_add_f64 v[31:32], v[37:38], v[33:34]
	v_add_f64 v[35:36], v[31:32], -v[37:38]
	v_add_f64 v[33:34], v[33:34], -v[35:36]
	s_andn2_saveexec_b64 s[66:67], s[66:67]
	s_cbranch_execz .LBB155_238
	s_branch .LBB155_237
.LBB155_236:                            ;   in Loop: Header=BB155_161 Depth=1
	s_andn2_saveexec_b64 s[66:67], s[66:67]
	s_cbranch_execz .LBB155_238
.LBB155_237:                            ;   in Loop: Header=BB155_161 Depth=1
	v_mul_f64 v[31:32], |v[3:4]|, s[20:21]
	s_mov_b32 s22, s44
	v_rndne_f64_e32 v[35:36], v[31:32]
	v_fma_f64 v[31:32], v[35:36], s[42:43], |v[3:4]|
	v_mul_f64 v[33:34], v[35:36], s[44:45]
	v_fma_f64 v[41:42], v[35:36], s[44:45], v[31:32]
	v_add_f64 v[37:38], v[31:32], v[33:34]
	v_add_f64 v[39:40], v[31:32], -v[37:38]
	v_add_f64 v[37:38], v[37:38], -v[41:42]
	v_add_f64 v[31:32], v[39:40], v[33:34]
	v_fma_f64 v[33:34], v[35:36], s[22:23], v[33:34]
	v_cvt_i32_f64_e32 v39, v[35:36]
	v_add_f64 v[31:32], v[37:38], v[31:32]
	v_add_f64 v[31:32], v[31:32], -v[33:34]
	v_fma_f64 v[33:34], v[35:36], s[24:25], v[31:32]
	v_add_f64 v[31:32], v[41:42], v[33:34]
	v_add_f64 v[37:38], v[31:32], -v[41:42]
	v_add_f64 v[33:34], v[33:34], -v[37:38]
.LBB155_238:                            ;   in Loop: Header=BB155_161 Depth=1
	s_or_b64 exec, exec, s[66:67]
                                        ; implicit-def: $vgpr18
                                        ; implicit-def: $vgpr35_vgpr36
                                        ; implicit-def: $vgpr37_vgpr38
	s_and_saveexec_b64 s[66:67], s[8:9]
	s_xor_b64 s[8:9], exec, s[66:67]
	s_cbranch_execz .LBB155_240
; %bb.239:                              ;   in Loop: Header=BB155_161 Depth=1
	v_trig_preop_f64 v[35:36], |v[3:4]|, 0
	v_ldexp_f64 v[37:38], |v[3:4]|, s74
	v_cmp_ge_f64_e64 vcc, |v[3:4]|, s[38:39]
	v_trig_preop_f64 v[40:41], |v[3:4]|, 1
	v_and_b32_e32 v18, 0x7fffffff, v4
	v_trig_preop_f64 v[56:57], |v[3:4]|, 2
	s_mov_b32 s18, s42
	s_mov_b32 s47, s23
	v_cndmask_b32_e32 v38, v18, v38, vcc
	v_cndmask_b32_e32 v37, v3, v37, vcc
	v_mul_f64 v[50:51], v[35:36], v[37:38]
	v_mul_f64 v[52:53], v[40:41], v[37:38]
	;; [unrolled: 1-line block ×3, first 2 shown]
	v_fma_f64 v[35:36], v[35:36], v[37:38], -v[50:51]
	v_fma_f64 v[40:41], v[40:41], v[37:38], -v[52:53]
	v_fma_f64 v[37:38], v[56:57], v[37:38], -v[62:63]
	v_add_f64 v[54:55], v[52:53], v[35:36]
	v_add_f64 v[58:59], v[54:55], -v[52:53]
	v_add_f64 v[64:65], v[50:51], v[54:55]
	v_add_f64 v[60:61], v[54:55], -v[58:59]
	v_add_f64 v[35:36], v[35:36], -v[58:59]
	v_add_f64 v[58:59], v[62:63], v[40:41]
	v_add_f64 v[50:51], v[64:65], -v[50:51]
	v_add_f64 v[52:53], v[52:53], -v[60:61]
	v_ldexp_f64 v[60:61], v[64:65], -2
	v_add_f64 v[66:67], v[58:59], -v[62:63]
	v_add_f64 v[50:51], v[54:55], -v[50:51]
	v_add_f64 v[35:36], v[35:36], v[52:53]
	v_fract_f64_e32 v[52:53], v[60:61]
	v_cmp_neq_f64_e64 vcc, |v[60:61]|, s[40:41]
	v_add_f64 v[40:41], v[40:41], -v[66:67]
	v_add_f64 v[54:55], v[58:59], v[35:36]
	v_ldexp_f64 v[52:53], v[52:53], 2
	v_add_f64 v[60:61], v[50:51], v[54:55]
	v_cndmask_b32_e32 v53, 0, v53, vcc
	v_cndmask_b32_e32 v52, 0, v52, vcc
	v_add_f64 v[68:69], v[54:55], -v[58:59]
	v_add_f64 v[64:65], v[60:61], v[52:53]
	v_add_f64 v[50:51], v[60:61], -v[50:51]
	v_add_f64 v[70:71], v[54:55], -v[68:69]
	;; [unrolled: 1-line block ×3, first 2 shown]
	v_cmp_gt_f64_e32 vcc, 0, v[64:65]
	v_add_f64 v[64:65], v[58:59], -v[66:67]
	v_add_f64 v[50:51], v[54:55], -v[50:51]
	;; [unrolled: 1-line block ×3, first 2 shown]
	v_cndmask_b32_e32 v18, 0, v44, vcc
	v_add_f64 v[52:53], v[52:53], v[17:18]
	v_add_f64 v[64:65], v[62:63], -v[64:65]
	v_add_f64 v[35:36], v[35:36], v[58:59]
	v_add_f64 v[72:73], v[60:61], v[52:53]
	;; [unrolled: 1-line block ×3, first 2 shown]
	v_cvt_i32_f64_e32 v42, v[72:73]
	v_add_f64 v[35:36], v[40:41], v[35:36]
	v_cvt_f64_i32_e32 v[66:67], v42
	v_add_f64 v[52:53], v[52:53], -v[66:67]
	v_add_f64 v[35:36], v[37:38], v[35:36]
	v_add_f64 v[40:41], v[60:61], v[52:53]
	;; [unrolled: 1-line block ×3, first 2 shown]
	v_add_f64 v[37:38], v[40:41], -v[52:53]
	v_cmp_le_f64_e32 vcc, 0.5, v[40:41]
	v_add_f64 v[37:38], v[60:61], -v[37:38]
	v_cndmask_b32_e32 v18, 0, v45, vcc
	v_add_f64 v[35:36], v[35:36], v[37:38]
	v_add_f64 v[37:38], v[40:41], -v[17:18]
	v_addc_co_u32_e32 v18, vcc, 0, v42, vcc
	v_add_f64 v[40:41], v[37:38], v[35:36]
	v_mul_f64 v[50:51], v[40:41], s[18:19]
	v_add_f64 v[37:38], v[40:41], -v[37:38]
	v_fma_f64 v[52:53], v[40:41], s[18:19], -v[50:51]
	v_add_f64 v[35:36], v[35:36], -v[37:38]
	v_fma_f64 v[37:38], v[40:41], s[46:47], v[52:53]
	v_fma_f64 v[37:38], v[35:36], s[18:19], v[37:38]
	v_add_f64 v[35:36], v[50:51], v[37:38]
	v_add_f64 v[40:41], v[35:36], -v[50:51]
	v_add_f64 v[37:38], v[37:38], -v[40:41]
	s_andn2_saveexec_b64 s[8:9], s[8:9]
	s_cbranch_execnz .LBB155_241
	s_branch .LBB155_242
.LBB155_240:                            ;   in Loop: Header=BB155_161 Depth=1
	s_andn2_saveexec_b64 s[8:9], s[8:9]
	s_cbranch_execz .LBB155_242
.LBB155_241:                            ;   in Loop: Header=BB155_161 Depth=1
	v_mul_f64 v[35:36], |v[3:4]|, s[20:21]
	s_mov_b32 s22, s44
	v_rndne_f64_e32 v[40:41], v[35:36]
	v_fma_f64 v[35:36], v[40:41], s[42:43], |v[3:4]|
	v_mul_f64 v[37:38], v[40:41], s[44:45]
	v_cvt_i32_f64_e32 v18, v[40:41]
	v_fma_f64 v[54:55], v[40:41], s[44:45], v[35:36]
	v_add_f64 v[50:51], v[35:36], v[37:38]
	v_add_f64 v[52:53], v[35:36], -v[50:51]
	v_add_f64 v[50:51], v[50:51], -v[54:55]
	v_add_f64 v[35:36], v[52:53], v[37:38]
	v_fma_f64 v[37:38], v[40:41], s[22:23], v[37:38]
	v_add_f64 v[35:36], v[50:51], v[35:36]
	v_add_f64 v[35:36], v[35:36], -v[37:38]
	v_fma_f64 v[37:38], v[40:41], s[24:25], v[35:36]
	v_add_f64 v[35:36], v[54:55], v[37:38]
	v_add_f64 v[50:51], v[35:36], -v[54:55]
	v_add_f64 v[37:38], v[37:38], -v[50:51]
.LBB155_242:                            ;   in Loop: Header=BB155_161 Depth=1
	s_or_b64 exec, exec, s[8:9]
	v_mul_f64 v[40:41], v[31:32], v[31:32]
	v_mul_f64 v[50:51], v[35:36], v[35:36]
	v_mov_b32_e32 v52, s90
	v_mov_b32_e32 v53, s91
	;; [unrolled: 1-line block ×4, first 2 shown]
	v_mul_f64 v[66:67], v[33:34], 0.5
	v_mul_f64 v[74:75], v[37:38], 0.5
	v_fma_f64 v[54:55], v[40:41], s[92:93], v[52:53]
	v_fma_f64 v[52:53], v[50:51], s[92:93], v[52:53]
	;; [unrolled: 1-line block ×3, first 2 shown]
	v_mul_f64 v[60:61], v[40:41], 0.5
	v_fma_f64 v[56:57], v[50:51], s[80:81], v[56:57]
	v_mul_f64 v[62:63], v[50:51], 0.5
	v_mul_f64 v[68:69], v[31:32], -v[40:41]
	v_mul_f64 v[76:77], v[35:36], -v[50:51]
	v_fma_f64 v[54:55], v[40:41], v[54:55], s[94:95]
	v_fma_f64 v[52:53], v[50:51], v[52:53], s[94:95]
	;; [unrolled: 1-line block ×3, first 2 shown]
	v_add_f64 v[64:65], -v[60:61], 1.0
	v_fma_f64 v[56:57], v[50:51], v[56:57], s[82:83]
	v_add_f64 v[70:71], -v[62:63], 1.0
	s_mov_b32 s60, s76
	v_and_b32_e32 v42, 1, v39
	v_fma_f64 v[54:55], v[40:41], v[54:55], s[26:27]
	v_fma_f64 v[52:53], v[50:51], v[52:53], s[26:27]
	;; [unrolled: 1-line block ×3, first 2 shown]
	v_add_f64 v[72:73], -v[64:65], 1.0
	v_fma_f64 v[56:57], v[50:51], v[56:57], s[84:85]
	v_add_f64 v[78:79], -v[70:71], 1.0
	v_cmp_class_f64_e64 s[8:9], v[3:4], s72
	v_cmp_eq_u32_e32 vcc, 0, v42
	v_fma_f64 v[54:55], v[40:41], v[54:55], s[58:59]
	v_fma_f64 v[52:53], v[50:51], v[52:53], s[58:59]
	;; [unrolled: 1-line block ×3, first 2 shown]
	v_add_f64 v[60:61], v[72:73], -v[60:61]
	v_fma_f64 v[56:57], v[50:51], v[56:57], s[86:87]
	v_add_f64 v[62:63], v[78:79], -v[62:63]
	v_fma_f64 v[54:55], v[68:69], v[54:55], v[66:67]
	v_fma_f64 v[52:53], v[76:77], v[52:53], v[74:75]
	v_mul_f64 v[66:67], v[40:41], v[40:41]
	v_fma_f64 v[58:59], v[40:41], v[58:59], s[76:77]
	v_fma_f64 v[60:61], v[31:32], -v[33:34], v[60:61]
	v_fma_f64 v[33:34], v[40:41], v[54:55], -v[33:34]
	v_fma_f64 v[52:53], v[50:51], v[52:53], -v[37:38]
	v_mul_f64 v[40:41], v[50:51], v[50:51]
	v_fma_f64 v[50:51], v[50:51], v[56:57], s[76:77]
	v_fma_f64 v[37:38], v[35:36], -v[37:38], v[62:63]
	v_fma_f64 v[54:55], v[66:67], v[58:59], v[60:61]
	v_lshlrev_b32_e32 v56, 30, v39
	v_fma_f64 v[33:34], v[68:69], s[60:61], v[33:34]
	v_fma_f64 v[52:53], v[76:77], s[60:61], v[52:53]
	;; [unrolled: 1-line block ×3, first 2 shown]
	v_add_f64 v[39:40], v[64:65], v[54:55]
	v_and_b32_e32 v41, 1, v18
	v_lshlrev_b32_e32 v18, 30, v18
	v_add_f64 v[31:32], v[31:32], -v[33:34]
	v_add_f64 v[33:34], v[35:36], -v[52:53]
	v_xor_b32_e32 v50, v56, v4
	v_and_b32_e32 v18, 0x80000000, v18
	v_add_f64 v[35:36], v[70:71], v[37:38]
	v_and_b32_e32 v37, 0x80000000, v50
	v_cndmask_b32_e32 v31, v39, v31, vcc
	v_cndmask_b32_e32 v3, v40, v32, vcc
	v_xor_b32_e32 v4, 0x80000000, v34
	v_cmp_eq_u32_e32 vcc, 0, v41
	v_cndmask_b32_e32 v4, v4, v36, vcc
	v_cndmask_b32_e32 v32, v33, v35, vcc
	v_xor_b32_e32 v33, v3, v37
	v_xor_b32_e32 v18, v4, v18
	v_cndmask_b32_e64 v3, 0, v31, s[8:9]
	v_cndmask_b32_e64 v4, v49, v33, s[8:9]
	;; [unrolled: 1-line block ×4, first 2 shown]
	v_mul_f64 v[3:4], v[3:4], v[31:32]
.LBB155_243:                            ;   in Loop: Header=BB155_161 Depth=1
	s_or_b64 exec, exec, s[56:57]
	v_bfi_b32 v18, s70, 0, v4
	v_mov_b32_e32 v3, v17
	v_add_u32_e32 v2, -2.0, v2
	v_mov_b32_e32 v4, v18
.LBB155_244:                            ;   in Loop: Header=BB155_161 Depth=1
	s_or_b64 exec, exec, s[12:13]
.LBB155_245:                            ;   in Loop: Header=BB155_161 Depth=1
	s_or_b64 exec, exec, s[10:11]
	v_and_b32_e32 v35, 0x7fffffff, v14
	v_cmp_gt_u32_e32 vcc, s71, v35
	s_and_saveexec_b64 s[8:9], vcc
	s_xor_b64 s[56:57], exec, s[8:9]
	s_cbranch_execz .LBB155_267
; %bb.246:                              ;   in Loop: Header=BB155_161 Depth=1
	v_cmp_class_f64_e64 s[8:9], v[15:16], s72
	s_and_saveexec_b64 s[10:11], s[8:9]
	s_xor_b64 s[10:11], exec, s[10:11]
	s_cbranch_execz .LBB155_264
; %bb.247:                              ;   in Loop: Header=BB155_161 Depth=1
	v_cmp_gt_u32_e32 vcc, s73, v35
	s_and_saveexec_b64 s[8:9], vcc
	s_xor_b64 s[12:13], exec, s[8:9]
	s_cbranch_execz .LBB155_253
; %bb.248:                              ;   in Loop: Header=BB155_161 Depth=1
	v_cmp_nlt_f64_e64 s[8:9], |v[15:16]|, s[36:37]
                                        ; implicit-def: $vgpr18
                                        ; implicit-def: $vgpr31_vgpr32
                                        ; implicit-def: $vgpr33_vgpr34
	s_and_saveexec_b64 s[66:67], s[8:9]
	s_xor_b64 s[8:9], exec, s[66:67]
	s_cbranch_execz .LBB155_250
; %bb.249:                              ;   in Loop: Header=BB155_161 Depth=1
	v_trig_preop_f64 v[31:32], |v[15:16]|, 0
	v_ldexp_f64 v[33:34], |v[15:16]|, s74
	v_cmp_ge_f64_e64 vcc, |v[15:16]|, s[38:39]
	v_trig_preop_f64 v[36:37], |v[15:16]|, 1
	v_and_b32_e32 v18, 0x7fffffff, v16
	v_trig_preop_f64 v[52:53], |v[15:16]|, 2
	s_mov_b32 s18, s42
	s_mov_b32 s47, s23
	v_cndmask_b32_e32 v34, v18, v34, vcc
	v_cndmask_b32_e32 v33, v15, v33, vcc
	v_mul_f64 v[38:39], v[31:32], v[33:34]
	v_mul_f64 v[40:41], v[36:37], v[33:34]
	;; [unrolled: 1-line block ×3, first 2 shown]
	v_fma_f64 v[31:32], v[31:32], v[33:34], -v[38:39]
	v_fma_f64 v[36:37], v[36:37], v[33:34], -v[40:41]
	;; [unrolled: 1-line block ×3, first 2 shown]
	v_add_f64 v[50:51], v[40:41], v[31:32]
	v_add_f64 v[54:55], v[50:51], -v[40:41]
	v_add_f64 v[60:61], v[38:39], v[50:51]
	v_add_f64 v[56:57], v[50:51], -v[54:55]
	v_add_f64 v[31:32], v[31:32], -v[54:55]
	v_add_f64 v[54:55], v[58:59], v[36:37]
	v_add_f64 v[38:39], v[60:61], -v[38:39]
	v_add_f64 v[40:41], v[40:41], -v[56:57]
	v_ldexp_f64 v[56:57], v[60:61], -2
	v_add_f64 v[62:63], v[54:55], -v[58:59]
	v_add_f64 v[38:39], v[50:51], -v[38:39]
	v_add_f64 v[31:32], v[31:32], v[40:41]
	v_fract_f64_e32 v[40:41], v[56:57]
	v_cmp_neq_f64_e64 vcc, |v[56:57]|, s[40:41]
	v_add_f64 v[36:37], v[36:37], -v[62:63]
	v_add_f64 v[50:51], v[54:55], v[31:32]
	v_ldexp_f64 v[40:41], v[40:41], 2
	v_add_f64 v[56:57], v[38:39], v[50:51]
	v_cndmask_b32_e32 v41, 0, v41, vcc
	v_cndmask_b32_e32 v40, 0, v40, vcc
	v_add_f64 v[64:65], v[50:51], -v[54:55]
	v_add_f64 v[60:61], v[56:57], v[40:41]
	v_add_f64 v[38:39], v[56:57], -v[38:39]
	v_add_f64 v[66:67], v[50:51], -v[64:65]
	;; [unrolled: 1-line block ×3, first 2 shown]
	v_cmp_gt_f64_e32 vcc, 0, v[60:61]
	v_add_f64 v[60:61], v[54:55], -v[62:63]
	v_add_f64 v[38:39], v[50:51], -v[38:39]
	;; [unrolled: 1-line block ×3, first 2 shown]
	v_cndmask_b32_e32 v18, 0, v44, vcc
	v_add_f64 v[40:41], v[40:41], v[17:18]
	v_add_f64 v[60:61], v[58:59], -v[60:61]
	v_add_f64 v[31:32], v[31:32], v[54:55]
	v_add_f64 v[68:69], v[56:57], v[40:41]
	;; [unrolled: 1-line block ×3, first 2 shown]
	v_cvt_i32_f64_e32 v42, v[68:69]
	v_add_f64 v[31:32], v[36:37], v[31:32]
	v_cvt_f64_i32_e32 v[62:63], v42
	v_add_f64 v[40:41], v[40:41], -v[62:63]
	v_add_f64 v[31:32], v[33:34], v[31:32]
	v_add_f64 v[36:37], v[56:57], v[40:41]
	;; [unrolled: 1-line block ×3, first 2 shown]
	v_add_f64 v[33:34], v[36:37], -v[40:41]
	v_cmp_le_f64_e32 vcc, 0.5, v[36:37]
	v_add_f64 v[33:34], v[56:57], -v[33:34]
	v_cndmask_b32_e32 v18, 0, v45, vcc
	v_add_f64 v[31:32], v[31:32], v[33:34]
	v_add_f64 v[33:34], v[36:37], -v[17:18]
	v_addc_co_u32_e32 v18, vcc, 0, v42, vcc
	v_add_f64 v[36:37], v[33:34], v[31:32]
	v_mul_f64 v[38:39], v[36:37], s[18:19]
	v_add_f64 v[33:34], v[36:37], -v[33:34]
	v_fma_f64 v[40:41], v[36:37], s[18:19], -v[38:39]
	v_add_f64 v[31:32], v[31:32], -v[33:34]
	v_fma_f64 v[33:34], v[36:37], s[46:47], v[40:41]
	v_fma_f64 v[33:34], v[31:32], s[18:19], v[33:34]
	v_add_f64 v[31:32], v[38:39], v[33:34]
	v_add_f64 v[36:37], v[31:32], -v[38:39]
	v_add_f64 v[33:34], v[33:34], -v[36:37]
.LBB155_250:                            ;   in Loop: Header=BB155_161 Depth=1
	s_andn2_saveexec_b64 s[8:9], s[8:9]
	s_cbranch_execz .LBB155_252
; %bb.251:                              ;   in Loop: Header=BB155_161 Depth=1
	v_mul_f64 v[31:32], |v[15:16]|, s[20:21]
	s_mov_b32 s22, s44
	v_rndne_f64_e32 v[36:37], v[31:32]
	v_fma_f64 v[31:32], v[36:37], s[42:43], |v[15:16]|
	v_mul_f64 v[33:34], v[36:37], s[44:45]
	v_cvt_i32_f64_e32 v18, v[36:37]
	v_fma_f64 v[50:51], v[36:37], s[44:45], v[31:32]
	v_add_f64 v[38:39], v[31:32], v[33:34]
	v_add_f64 v[40:41], v[31:32], -v[38:39]
	v_add_f64 v[38:39], v[38:39], -v[50:51]
	v_add_f64 v[31:32], v[40:41], v[33:34]
	v_fma_f64 v[33:34], v[36:37], s[22:23], v[33:34]
	v_add_f64 v[31:32], v[38:39], v[31:32]
	v_add_f64 v[31:32], v[31:32], -v[33:34]
	v_fma_f64 v[33:34], v[36:37], s[24:25], v[31:32]
	v_add_f64 v[31:32], v[50:51], v[33:34]
	v_add_f64 v[38:39], v[31:32], -v[50:51]
	v_add_f64 v[33:34], v[33:34], -v[38:39]
.LBB155_252:                            ;   in Loop: Header=BB155_161 Depth=1
	s_or_b64 exec, exec, s[8:9]
	v_add_f64 v[36:37], |v[13:14]|, s[52:53]
	s_mov_b32 s54, s52
	s_mov_b32 s8, 0x3b39803f
	;; [unrolled: 1-line block ×7, first 2 shown]
	v_add_f64 v[38:39], v[36:37], -|v[13:14]|
	v_and_b32_e32 v18, 1, v18
	v_add_f64 v[40:41], v[38:39], -v[36:37]
	v_add_f64 v[38:39], v[38:39], s[54:55]
	v_add_f64 v[40:41], |v[13:14]|, v[40:41]
	v_add_f64 v[38:39], v[40:41], -v[38:39]
	v_add_f64 v[38:39], v[38:39], s[8:9]
	s_mov_b32 s8, 0xf278e000
	s_mov_b32 s9, 0xbd53de6a
	v_add_f64 v[40:41], v[36:37], v[38:39]
	v_mul_f64 v[50:51], v[40:41], s[30:31]
	v_add_f64 v[36:37], v[36:37], -v[40:41]
	v_rndne_f64_e32 v[50:51], v[50:51]
	v_add_f64 v[36:37], v[38:39], v[36:37]
	v_fma_f64 v[38:39], v[50:51], s[48:49], v[40:41]
	v_mul_f64 v[40:41], v[50:51], s[8:9]
	s_mov_b32 s8, 0xf97b57a0
	s_mov_b32 s9, 0xbac9cc01
	v_cvt_i32_f64_e32 v15, v[50:51]
	v_add_f64 v[52:53], v[36:37], v[38:39]
	v_add_f64 v[54:55], v[52:53], v[40:41]
	v_add_f64 v[38:39], v[38:39], -v[52:53]
	v_add_f64 v[52:53], v[52:53], -v[54:55]
	v_add_f64 v[36:37], v[36:37], v[38:39]
	v_add_f64 v[38:39], v[52:53], v[40:41]
	;; [unrolled: 1-line block ×3, first 2 shown]
	v_mul_f64 v[38:39], v[50:51], s[8:9]
	s_mov_b32 s8, 0x6a5dcb37
	s_mov_b32 s9, 0x3e5ade15
	v_add_f64 v[40:41], v[54:55], v[36:37]
	v_add_f64 v[52:53], v[40:41], v[38:39]
	v_add_f64 v[54:55], v[54:55], -v[40:41]
	v_add_f64 v[40:41], v[40:41], -v[52:53]
	v_add_f64 v[36:37], v[36:37], v[54:55]
	v_add_f64 v[38:39], v[40:41], v[38:39]
	;; [unrolled: 1-line block ×4, first 2 shown]
	v_fma_f64 v[40:41], v[38:39], s[8:9], v[21:22]
	s_mov_b32 s8, 0x623fde64
	s_mov_b32 s9, 0x3ec71dee
	v_add_f64 v[52:53], v[52:53], -v[38:39]
	v_mul_f64 v[54:55], v[38:39], v[38:39]
	v_fma_f64 v[40:41], v[38:39], v[40:41], s[8:9]
	s_mov_b32 s8, 0x7c89e6b0
	s_mov_b32 s9, 0x3efa0199
	v_add_f64 v[36:37], v[36:37], v[52:53]
	v_fma_f64 v[52:53], v[38:39], v[38:39], -v[54:55]
	v_fma_f64 v[40:41], v[38:39], v[40:41], s[8:9]
	s_mov_b32 s8, 0x14761f6e
	s_mov_b32 s9, 0x3f2a01a0
	v_add_f64 v[56:57], v[36:37], v[36:37]
	v_fma_f64 v[40:41], v[38:39], v[40:41], s[8:9]
	s_mov_b32 s8, 0x1852b7b0
	s_mov_b32 s9, 0x3f56c16c
	v_fma_f64 v[52:53], v[38:39], v[56:57], v[52:53]
	v_fma_f64 v[40:41], v[38:39], v[40:41], s[8:9]
	s_mov_b32 s8, 0x55555511
	s_mov_b32 s9, 0x3fc55555
	v_add_f64 v[56:57], v[54:55], v[52:53]
	v_fma_f64 v[40:41], v[38:39], v[40:41], s[28:29]
	v_add_f64 v[54:55], v[56:57], -v[54:55]
	v_fma_f64 v[40:41], v[38:39], v[40:41], s[88:89]
	v_add_f64 v[52:53], v[52:53], -v[54:55]
	v_fma_f64 v[40:41], v[38:39], v[40:41], s[8:9]
	s_mov_b32 s8, 11
	s_mov_b32 s9, 0x3fe00000
	v_fma_f64 v[40:41], v[38:39], v[40:41], s[8:9]
	s_mov_b32 s8, 0xc751c08c
	s_mov_b32 s9, 0x3ef5e089
	v_mul_f64 v[58:59], v[56:57], v[40:41]
	v_fma_f64 v[54:55], v[56:57], v[40:41], -v[58:59]
	v_fma_f64 v[40:41], v[52:53], v[40:41], v[54:55]
	v_add_f64 v[52:53], v[58:59], v[40:41]
	v_add_f64 v[54:55], v[38:39], v[52:53]
	v_add_f64 v[56:57], v[52:53], -v[58:59]
	v_add_f64 v[38:39], v[54:55], -v[38:39]
	;; [unrolled: 1-line block ×3, first 2 shown]
	v_add_f64 v[56:57], v[33:34], v[33:34]
	v_add_f64 v[38:39], v[52:53], -v[38:39]
	v_add_f64 v[36:37], v[36:37], v[40:41]
	v_add_f64 v[36:37], v[36:37], v[38:39]
	;; [unrolled: 1-line block ×3, first 2 shown]
	v_add_f64 v[40:41], v[38:39], 1.0
	v_add_f64 v[52:53], v[38:39], -v[54:55]
	v_add_f64 v[54:55], v[40:41], -1.0
	v_add_f64 v[36:37], v[36:37], -v[52:53]
	v_add_f64 v[38:39], v[38:39], -v[54:55]
	v_add_f64 v[36:37], v[36:37], v[38:39]
	v_add_f64 v[38:39], v[40:41], v[36:37]
	v_ldexp_f64 v[50:51], v[38:39], v15
	v_add_f64 v[38:39], v[38:39], -v[40:41]
	v_rcp_f64_e32 v[52:53], v[50:51]
	v_add_f64 v[36:37], v[36:37], -v[38:39]
	v_ldexp_f64 v[36:37], v[36:37], v15
	v_fma_f64 v[54:55], -v[50:51], v[52:53], 1.0
	v_fma_f64 v[52:53], v[54:55], v[52:53], v[52:53]
	v_fma_f64 v[54:55], -v[50:51], v[52:53], 1.0
	v_fma_f64 v[40:41], v[54:55], v[52:53], v[52:53]
	v_mul_f64 v[52:53], v[31:32], v[31:32]
	v_mul_f64 v[38:39], v[50:51], v[40:41]
	v_fma_f64 v[58:59], v[31:32], v[31:32], -v[52:53]
	v_fma_f64 v[54:55], v[40:41], v[50:51], -v[38:39]
	v_fma_f64 v[56:57], v[31:32], v[56:57], v[58:59]
	v_fma_f64 v[54:55], v[40:41], v[36:37], v[54:55]
	v_add_f64 v[52:53], v[52:53], v[56:57]
	v_add_f64 v[58:59], v[38:39], v[54:55]
	v_fma_f64 v[60:61], v[52:53], s[8:9], v[19:20]
	s_mov_b32 s8, 0x90a8aae0
	s_mov_b32 s9, 0x3f17746f
	v_add_f64 v[56:57], -v[58:59], 1.0
	v_add_f64 v[38:39], v[58:59], -v[38:39]
	v_fma_f64 v[60:61], v[52:53], v[60:61], s[8:9]
	s_mov_b32 s8, 0xa6fbf144
	s_mov_b32 s9, 0xbefbb44d
	v_add_f64 v[62:63], -v[56:57], 1.0
	v_add_f64 v[38:39], v[38:39], -v[54:55]
	v_add_f64 v[54:55], v[62:63], -v[58:59]
	v_fma_f64 v[58:59], v[52:53], v[60:61], s[8:9]
	s_mov_b32 s8, 0xa7943acf
	s_mov_b32 s9, 0x3f21e634
	v_add_f64 v[38:39], v[38:39], v[54:55]
	v_fma_f64 v[54:55], v[52:53], v[58:59], s[8:9]
	s_mov_b32 s8, 0xdeb68feb
	s_mov_b32 s9, 0x3f2d250f
	v_add_f64 v[58:59], v[56:57], v[38:39]
	v_fma_f64 v[54:55], v[52:53], v[54:55], s[8:9]
	s_mov_b32 s8, 0xb58c4d95
	s_mov_b32 s9, 0x3f437fd9
	v_mul_f64 v[60:61], v[40:41], v[58:59]
	v_fma_f64 v[54:55], v[52:53], v[54:55], s[8:9]
	s_mov_b32 s8, 0x15120e2c
	s_mov_b32 s9, 0x3f57d5af
	v_add_f64 v[56:57], v[56:57], -v[58:59]
	v_mul_f64 v[62:63], v[50:51], v[60:61]
	v_fma_f64 v[54:55], v[52:53], v[54:55], s[8:9]
	s_mov_b32 s8, 0xe09491df
	s_mov_b32 s9, 0x3f6d6d93
	v_add_f64 v[38:39], v[38:39], v[56:57]
	v_fma_f64 v[64:65], v[60:61], v[50:51], -v[62:63]
	v_fma_f64 v[54:55], v[52:53], v[54:55], s[8:9]
	s_mov_b32 s8, 0x2033784d
	s_mov_b32 s9, 0x3f8226e1
	v_fma_f64 v[64:65], v[60:61], v[36:37], v[64:65]
	v_fma_f64 v[54:55], v[52:53], v[54:55], s[8:9]
	s_mov_b32 s8, 0x9ac36ae2
	s_mov_b32 s9, 0x3f9664f4
	v_add_f64 v[66:67], v[62:63], v[64:65]
	v_fma_f64 v[54:55], v[52:53], v[54:55], s[8:9]
	s_mov_b32 s8, 0x1b451c21
	s_mov_b32 s9, 0x3faba1ba
	v_add_f64 v[68:69], v[58:59], -v[66:67]
	v_fma_f64 v[54:55], v[52:53], v[54:55], s[8:9]
	s_mov_b32 s8, 0x111185b7
	s_mov_b32 s9, 0x3fc11111
	v_add_f64 v[56:57], v[66:67], -v[62:63]
	v_add_f64 v[58:59], v[58:59], -v[68:69]
	v_fma_f64 v[54:55], v[52:53], v[54:55], s[8:9]
	s_mov_b32 s8, 0x555554ee
	s_mov_b32 s9, 0x3fd55555
	v_add_f64 v[56:57], v[56:57], -v[64:65]
	v_add_f64 v[58:59], v[58:59], -v[66:67]
	v_fma_f64 v[54:55], v[52:53], v[54:55], s[8:9]
	s_mov_b32 s8, 0x8fb9f87e
	s_mov_b32 s9, 0x408633ce
	v_cmp_nge_f64_e64 vcc, |v[13:14]|, s[8:9]
	s_mov_b32 s8, 0
	s_mov_b32 s9, 0x3e400000
	v_add_f64 v[38:39], v[38:39], v[58:59]
	v_mul_f64 v[52:53], v[52:53], v[54:55]
	v_add_f64 v[54:55], v[40:41], v[60:61]
	v_add_f64 v[38:39], v[56:57], v[38:39]
	v_mul_f64 v[56:57], v[31:32], v[52:53]
	v_add_f64 v[58:59], v[54:55], -v[40:41]
	v_add_f64 v[38:39], v[68:69], v[38:39]
	v_add_f64 v[62:63], v[31:32], v[56:57]
	v_add_f64 v[58:59], v[60:61], -v[58:59]
	v_mul_f64 v[38:39], v[40:41], v[38:39]
	v_fma_f64 v[40:41], v[31:32], v[52:53], -v[56:57]
	v_add_f64 v[31:32], v[62:63], -v[31:32]
	v_add_f64 v[38:39], v[58:59], v[38:39]
	v_add_f64 v[33:34], v[33:34], v[40:41]
	v_add_f64 v[31:32], v[56:57], -v[31:32]
	v_add_f64 v[40:41], v[54:55], v[38:39]
	v_add_f64 v[31:32], v[33:34], v[31:32]
	v_ldexp_f64 v[33:34], v[40:41], -2
	v_add_f64 v[40:41], v[40:41], -v[54:55]
	v_add_f64 v[52:53], v[62:63], v[31:32]
	v_add_f64 v[56:57], v[50:51], -v[33:34]
	v_add_f64 v[38:39], v[38:39], -v[40:41]
	v_rcp_f64_e32 v[58:59], v[52:53]
	v_add_f64 v[50:51], v[50:51], -v[56:57]
	v_ldexp_f64 v[38:39], v[38:39], -2
	v_add_f64 v[33:34], v[50:51], -v[33:34]
	v_fma_f64 v[40:41], -v[52:53], v[58:59], 1.0
	v_add_f64 v[33:34], v[36:37], v[33:34]
	v_fma_f64 v[36:37], v[40:41], v[58:59], v[58:59]
	v_add_f64 v[33:34], v[33:34], -v[38:39]
	v_fma_f64 v[38:39], -v[52:53], v[36:37], 1.0
	v_add_f64 v[33:34], v[56:57], v[33:34]
	v_fma_f64 v[36:37], v[38:39], v[36:37], v[36:37]
	v_cndmask_b32_e32 v15, v46, v34, vcc
	v_cndmask_b32_e32 v40, 0, v33, vcc
	v_cmp_lt_f64_e64 vcc, |v[13:14]|, s[8:9]
	v_add_f64 v[33:34], v[52:53], -v[62:63]
	v_mul_f64 v[38:39], v[52:53], v[36:37]
	s_mov_b32 s8, 0
	s_brev_b32 s9, 8
	v_cndmask_b32_e32 v15, v15, v35, vcc
	v_cndmask_b32_e32 v13, v40, v13, vcc
	v_bfi_b32 v14, s70, v15, v14
	v_fma_f64 v[40:41], v[13:14], v[13:14], 1.0
	v_add_f64 v[31:32], v[31:32], -v[33:34]
	v_fma_f64 v[33:34], v[36:37], v[52:53], -v[38:39]
	v_and_b32_e32 v35, 0x80000000, v16
	v_cmp_gt_f64_e32 vcc, s[8:9], v[40:41]
	v_cmp_eq_u32_e64 s[8:9], 0, v18
	v_fma_f64 v[31:32], v[36:37], v[31:32], v[33:34]
	v_cndmask_b32_e32 v15, 0, v47, vcc
	v_ldexp_f64 v[40:41], v[40:41], v15
	v_add_f64 v[50:51], v[38:39], v[31:32]
	v_rsq_f64_e32 v[33:34], v[40:41]
	v_add_f64 v[54:55], -v[50:51], 1.0
	v_add_f64 v[38:39], v[50:51], -v[38:39]
	v_add_f64 v[58:59], -v[54:55], 1.0
	v_add_f64 v[31:32], v[38:39], -v[31:32]
	v_mul_f64 v[56:57], v[40:41], v[33:34]
	v_mul_f64 v[33:34], v[33:34], 0.5
	v_add_f64 v[50:51], v[58:59], -v[50:51]
	v_fma_f64 v[38:39], -v[33:34], v[56:57], 0.5
	v_add_f64 v[31:32], v[31:32], v[50:51]
	v_fma_f64 v[56:57], v[56:57], v[38:39], v[56:57]
	v_fma_f64 v[33:34], v[33:34], v[38:39], v[33:34]
	v_add_f64 v[31:32], v[54:55], v[31:32]
	v_fma_f64 v[38:39], -v[56:57], v[56:57], v[40:41]
	v_mul_f64 v[31:32], v[36:37], v[31:32]
	v_fma_f64 v[38:39], v[38:39], v[33:34], v[56:57]
	v_add_f64 v[31:32], v[36:37], v[31:32]
	v_fma_f64 v[50:51], -v[38:39], v[38:39], v[40:41]
	v_xor_b32_e32 v32, 0x80000000, v32
	v_cndmask_b32_e64 v18, v32, v53, s[8:9]
	v_xor_b32_e32 v32, v18, v35
	v_cndmask_b32_e32 v18, 0, v48, vcc
	v_cndmask_b32_e64 v31, v31, v52, s[8:9]
	v_cmp_class_f64_e32 vcc, v[40:41], v43
	v_fma_f64 v[15:16], v[50:51], v[33:34], v[38:39]
	v_fma_f64 v[33:34], v[31:32], v[31:32], 1.0
	v_ldexp_f64 v[15:16], v[15:16], v18
	v_mul_f64 v[35:36], v[13:14], v[33:34]
	v_cndmask_b32_e32 v16, v16, v41, vcc
	v_cndmask_b32_e32 v15, v15, v40, vcc
	v_mul_f64 v[15:16], v[15:16], v[33:34]
	v_fma_f64 v[33:34], v[13:14], v[35:36], 1.0
	v_mul_f64 v[13:14], v[13:14], v[15:16]
	v_div_scale_f64 v[35:36], s[8:9], v[33:34], v[33:34], v[31:32]
	v_div_scale_f64 v[15:16], s[8:9], v[33:34], v[33:34], v[13:14]
	;; [unrolled: 1-line block ×3, first 2 shown]
	v_rcp_f64_e32 v[39:40], v[35:36]
	v_rcp_f64_e32 v[37:38], v[15:16]
	v_fma_f64 v[50:51], -v[35:36], v[39:40], 1.0
	v_fma_f64 v[41:42], -v[15:16], v[37:38], 1.0
	v_fma_f64 v[39:40], v[39:40], v[50:51], v[39:40]
	v_fma_f64 v[37:38], v[37:38], v[41:42], v[37:38]
	v_div_scale_f64 v[41:42], vcc, v[13:14], v[33:34], v[13:14]
	v_fma_f64 v[54:55], -v[35:36], v[39:40], 1.0
	v_fma_f64 v[50:51], -v[15:16], v[37:38], 1.0
	v_fma_f64 v[39:40], v[39:40], v[54:55], v[39:40]
	v_fma_f64 v[37:38], v[37:38], v[50:51], v[37:38]
	v_mul_f64 v[54:55], v[52:53], v[39:40]
	v_mul_f64 v[50:51], v[41:42], v[37:38]
	v_fma_f64 v[35:36], -v[35:36], v[54:55], v[52:53]
	v_fma_f64 v[15:16], -v[15:16], v[50:51], v[41:42]
	v_div_fmas_f64 v[15:16], v[15:16], v[37:38], v[50:51]
	s_mov_b64 vcc, s[8:9]
	v_div_fmas_f64 v[35:36], v[35:36], v[39:40], v[54:55]
	v_div_fixup_f64 v[13:14], v[15:16], v[33:34], v[13:14]
	v_div_fixup_f64 v[15:16], v[35:36], v[33:34], v[31:32]
.LBB155_253:                            ;   in Loop: Header=BB155_161 Depth=1
	s_andn2_saveexec_b64 s[8:9], s[12:13]
	s_cbranch_execz .LBB155_263
; %bb.254:                              ;   in Loop: Header=BB155_161 Depth=1
	v_cmp_nlt_f64_e64 s[12:13], |v[15:16]|, s[36:37]
                                        ; implicit-def: $vgpr51
                                        ; implicit-def: $vgpr35_vgpr36
                                        ; implicit-def: $vgpr41_vgpr42
	s_and_saveexec_b64 s[66:67], s[12:13]
	s_xor_b64 s[66:67], exec, s[66:67]
	s_cbranch_execz .LBB155_256
; %bb.255:                              ;   in Loop: Header=BB155_161 Depth=1
	v_trig_preop_f64 v[31:32], |v[15:16]|, 0
	v_ldexp_f64 v[33:34], |v[15:16]|, s74
	v_cmp_ge_f64_e64 vcc, |v[15:16]|, s[38:39]
	v_trig_preop_f64 v[35:36], |v[15:16]|, 1
	v_and_b32_e32 v18, 0x7fffffff, v16
	v_trig_preop_f64 v[50:51], |v[15:16]|, 2
	s_mov_b32 s18, s42
	s_mov_b32 s47, s23
	v_cndmask_b32_e32 v34, v18, v34, vcc
	v_cndmask_b32_e32 v33, v15, v33, vcc
	v_mul_f64 v[37:38], v[31:32], v[33:34]
	v_mul_f64 v[39:40], v[35:36], v[33:34]
	;; [unrolled: 1-line block ×3, first 2 shown]
	v_fma_f64 v[31:32], v[31:32], v[33:34], -v[37:38]
	v_fma_f64 v[35:36], v[35:36], v[33:34], -v[39:40]
	v_fma_f64 v[33:34], v[50:51], v[33:34], -v[56:57]
	v_add_f64 v[41:42], v[39:40], v[31:32]
	v_add_f64 v[52:53], v[41:42], -v[39:40]
	v_add_f64 v[58:59], v[37:38], v[41:42]
	v_add_f64 v[54:55], v[41:42], -v[52:53]
	v_add_f64 v[31:32], v[31:32], -v[52:53]
	v_add_f64 v[52:53], v[56:57], v[35:36]
	v_add_f64 v[37:38], v[58:59], -v[37:38]
	v_add_f64 v[39:40], v[39:40], -v[54:55]
	v_ldexp_f64 v[54:55], v[58:59], -2
	v_add_f64 v[60:61], v[52:53], -v[56:57]
	v_add_f64 v[37:38], v[41:42], -v[37:38]
	v_add_f64 v[31:32], v[31:32], v[39:40]
	v_fract_f64_e32 v[39:40], v[54:55]
	v_cmp_neq_f64_e64 vcc, |v[54:55]|, s[40:41]
	v_add_f64 v[35:36], v[35:36], -v[60:61]
	v_add_f64 v[41:42], v[52:53], v[31:32]
	v_ldexp_f64 v[39:40], v[39:40], 2
	v_add_f64 v[54:55], v[37:38], v[41:42]
	v_cndmask_b32_e32 v40, 0, v40, vcc
	v_cndmask_b32_e32 v39, 0, v39, vcc
	v_add_f64 v[62:63], v[41:42], -v[52:53]
	v_add_f64 v[58:59], v[54:55], v[39:40]
	v_add_f64 v[37:38], v[54:55], -v[37:38]
	v_add_f64 v[64:65], v[41:42], -v[62:63]
	;; [unrolled: 1-line block ×3, first 2 shown]
	v_cmp_gt_f64_e32 vcc, 0, v[58:59]
	v_add_f64 v[58:59], v[52:53], -v[60:61]
	v_add_f64 v[37:38], v[41:42], -v[37:38]
	;; [unrolled: 1-line block ×3, first 2 shown]
	v_cndmask_b32_e32 v18, 0, v44, vcc
	v_add_f64 v[39:40], v[39:40], v[17:18]
	v_add_f64 v[58:59], v[56:57], -v[58:59]
	v_add_f64 v[31:32], v[31:32], v[52:53]
	v_add_f64 v[66:67], v[54:55], v[39:40]
	;; [unrolled: 1-line block ×3, first 2 shown]
	v_cvt_i32_f64_e32 v62, v[66:67]
	v_add_f64 v[31:32], v[35:36], v[31:32]
	v_cvt_f64_i32_e32 v[60:61], v62
	v_add_f64 v[39:40], v[39:40], -v[60:61]
	v_add_f64 v[31:32], v[33:34], v[31:32]
	v_add_f64 v[35:36], v[54:55], v[39:40]
	;; [unrolled: 1-line block ×3, first 2 shown]
	v_add_f64 v[33:34], v[35:36], -v[39:40]
	v_cmp_le_f64_e32 vcc, 0.5, v[35:36]
	v_add_f64 v[33:34], v[54:55], -v[33:34]
	v_cndmask_b32_e32 v18, 0, v45, vcc
	v_addc_co_u32_e32 v51, vcc, 0, v62, vcc
	v_add_f64 v[31:32], v[31:32], v[33:34]
	v_add_f64 v[33:34], v[35:36], -v[17:18]
	v_add_f64 v[35:36], v[33:34], v[31:32]
	v_mul_f64 v[37:38], v[35:36], s[18:19]
	v_add_f64 v[33:34], v[35:36], -v[33:34]
	v_fma_f64 v[39:40], v[35:36], s[18:19], -v[37:38]
	v_add_f64 v[31:32], v[31:32], -v[33:34]
	v_fma_f64 v[33:34], v[35:36], s[46:47], v[39:40]
	v_fma_f64 v[31:32], v[31:32], s[18:19], v[33:34]
	v_add_f64 v[35:36], v[37:38], v[31:32]
	v_add_f64 v[33:34], v[35:36], -v[37:38]
	v_add_f64 v[41:42], v[31:32], -v[33:34]
	s_andn2_saveexec_b64 s[66:67], s[66:67]
	s_cbranch_execz .LBB155_258
	s_branch .LBB155_257
.LBB155_256:                            ;   in Loop: Header=BB155_161 Depth=1
	s_andn2_saveexec_b64 s[66:67], s[66:67]
	s_cbranch_execz .LBB155_258
.LBB155_257:                            ;   in Loop: Header=BB155_161 Depth=1
	v_mul_f64 v[31:32], |v[15:16]|, s[20:21]
	s_mov_b32 s22, s44
	v_rndne_f64_e32 v[31:32], v[31:32]
	v_fma_f64 v[33:34], v[31:32], s[42:43], |v[15:16]|
	v_mul_f64 v[35:36], v[31:32], s[44:45]
	v_cvt_i32_f64_e32 v51, v[31:32]
	v_add_f64 v[37:38], v[33:34], v[35:36]
	v_add_f64 v[39:40], v[33:34], -v[37:38]
	v_fma_f64 v[33:34], v[31:32], s[44:45], v[33:34]
	v_add_f64 v[39:40], v[39:40], v[35:36]
	v_add_f64 v[37:38], v[37:38], -v[33:34]
	v_fma_f64 v[35:36], v[31:32], s[22:23], v[35:36]
	v_add_f64 v[37:38], v[37:38], v[39:40]
	v_add_f64 v[35:36], v[37:38], -v[35:36]
	v_fma_f64 v[37:38], v[31:32], s[24:25], v[35:36]
	v_add_f64 v[35:36], v[33:34], v[37:38]
	v_add_f64 v[33:34], v[35:36], -v[33:34]
	v_add_f64 v[41:42], v[37:38], -v[33:34]
.LBB155_258:                            ;   in Loop: Header=BB155_161 Depth=1
	s_or_b64 exec, exec, s[66:67]
                                        ; implicit-def: $vgpr50
                                        ; implicit-def: $vgpr31_vgpr32
                                        ; implicit-def: $vgpr33_vgpr34
	s_and_saveexec_b64 s[66:67], s[12:13]
	s_xor_b64 s[12:13], exec, s[66:67]
	s_cbranch_execz .LBB155_260
; %bb.259:                              ;   in Loop: Header=BB155_161 Depth=1
	v_trig_preop_f64 v[31:32], |v[15:16]|, 0
	v_ldexp_f64 v[33:34], |v[15:16]|, s74
	v_cmp_ge_f64_e64 vcc, |v[15:16]|, s[38:39]
	v_trig_preop_f64 v[37:38], |v[15:16]|, 1
	v_and_b32_e32 v18, 0x7fffffff, v16
	v_trig_preop_f64 v[56:57], |v[15:16]|, 2
	s_mov_b32 s18, s42
	s_mov_b32 s47, s23
	v_cndmask_b32_e32 v34, v18, v34, vcc
	v_cndmask_b32_e32 v33, v15, v33, vcc
	v_mul_f64 v[39:40], v[31:32], v[33:34]
	v_mul_f64 v[52:53], v[37:38], v[33:34]
	;; [unrolled: 1-line block ×3, first 2 shown]
	v_fma_f64 v[31:32], v[31:32], v[33:34], -v[39:40]
	v_fma_f64 v[37:38], v[37:38], v[33:34], -v[52:53]
	;; [unrolled: 1-line block ×3, first 2 shown]
	v_add_f64 v[54:55], v[52:53], v[31:32]
	v_add_f64 v[58:59], v[54:55], -v[52:53]
	v_add_f64 v[64:65], v[39:40], v[54:55]
	v_add_f64 v[60:61], v[54:55], -v[58:59]
	v_add_f64 v[31:32], v[31:32], -v[58:59]
	v_add_f64 v[58:59], v[62:63], v[37:38]
	v_add_f64 v[39:40], v[64:65], -v[39:40]
	v_add_f64 v[52:53], v[52:53], -v[60:61]
	v_ldexp_f64 v[60:61], v[64:65], -2
	v_add_f64 v[66:67], v[58:59], -v[62:63]
	v_add_f64 v[39:40], v[54:55], -v[39:40]
	v_add_f64 v[31:32], v[31:32], v[52:53]
	v_fract_f64_e32 v[52:53], v[60:61]
	v_cmp_neq_f64_e64 vcc, |v[60:61]|, s[40:41]
	v_add_f64 v[37:38], v[37:38], -v[66:67]
	v_add_f64 v[54:55], v[58:59], v[31:32]
	v_ldexp_f64 v[52:53], v[52:53], 2
	v_add_f64 v[60:61], v[39:40], v[54:55]
	v_cndmask_b32_e32 v53, 0, v53, vcc
	v_cndmask_b32_e32 v52, 0, v52, vcc
	v_add_f64 v[68:69], v[54:55], -v[58:59]
	v_add_f64 v[64:65], v[60:61], v[52:53]
	v_add_f64 v[39:40], v[60:61], -v[39:40]
	v_add_f64 v[70:71], v[54:55], -v[68:69]
	;; [unrolled: 1-line block ×3, first 2 shown]
	v_cmp_gt_f64_e32 vcc, 0, v[64:65]
	v_add_f64 v[64:65], v[58:59], -v[66:67]
	v_add_f64 v[39:40], v[54:55], -v[39:40]
	;; [unrolled: 1-line block ×3, first 2 shown]
	v_cndmask_b32_e32 v18, 0, v44, vcc
	v_add_f64 v[52:53], v[52:53], v[17:18]
	v_add_f64 v[64:65], v[62:63], -v[64:65]
	v_add_f64 v[31:32], v[31:32], v[58:59]
	v_add_f64 v[72:73], v[60:61], v[52:53]
	;; [unrolled: 1-line block ×3, first 2 shown]
	v_cvt_i32_f64_e32 v50, v[72:73]
	v_add_f64 v[31:32], v[37:38], v[31:32]
	v_cvt_f64_i32_e32 v[66:67], v50
	v_add_f64 v[52:53], v[52:53], -v[66:67]
	v_add_f64 v[31:32], v[33:34], v[31:32]
	v_add_f64 v[37:38], v[60:61], v[52:53]
	;; [unrolled: 1-line block ×3, first 2 shown]
	v_add_f64 v[33:34], v[37:38], -v[52:53]
	v_cmp_le_f64_e32 vcc, 0.5, v[37:38]
	v_add_f64 v[33:34], v[60:61], -v[33:34]
	v_cndmask_b32_e32 v18, 0, v45, vcc
	v_addc_co_u32_e32 v50, vcc, 0, v50, vcc
	v_add_f64 v[31:32], v[31:32], v[33:34]
	v_add_f64 v[33:34], v[37:38], -v[17:18]
	v_add_f64 v[37:38], v[33:34], v[31:32]
	v_mul_f64 v[39:40], v[37:38], s[18:19]
	v_add_f64 v[33:34], v[37:38], -v[33:34]
	v_fma_f64 v[52:53], v[37:38], s[18:19], -v[39:40]
	v_add_f64 v[31:32], v[31:32], -v[33:34]
	v_fma_f64 v[33:34], v[37:38], s[46:47], v[52:53]
	v_fma_f64 v[33:34], v[31:32], s[18:19], v[33:34]
	v_add_f64 v[31:32], v[39:40], v[33:34]
	v_add_f64 v[37:38], v[31:32], -v[39:40]
	v_add_f64 v[33:34], v[33:34], -v[37:38]
	s_andn2_saveexec_b64 s[12:13], s[12:13]
	s_cbranch_execnz .LBB155_261
	s_branch .LBB155_262
.LBB155_260:                            ;   in Loop: Header=BB155_161 Depth=1
	s_andn2_saveexec_b64 s[12:13], s[12:13]
	s_cbranch_execz .LBB155_262
.LBB155_261:                            ;   in Loop: Header=BB155_161 Depth=1
	v_mul_f64 v[31:32], |v[15:16]|, s[20:21]
	s_mov_b32 s22, s44
	v_rndne_f64_e32 v[37:38], v[31:32]
	v_fma_f64 v[31:32], v[37:38], s[42:43], |v[15:16]|
	v_mul_f64 v[33:34], v[37:38], s[44:45]
	v_cvt_i32_f64_e32 v50, v[37:38]
	v_fma_f64 v[54:55], v[37:38], s[44:45], v[31:32]
	v_add_f64 v[39:40], v[31:32], v[33:34]
	v_add_f64 v[52:53], v[31:32], -v[39:40]
	v_add_f64 v[39:40], v[39:40], -v[54:55]
	v_add_f64 v[31:32], v[52:53], v[33:34]
	v_fma_f64 v[33:34], v[37:38], s[22:23], v[33:34]
	v_add_f64 v[31:32], v[39:40], v[31:32]
	v_add_f64 v[31:32], v[31:32], -v[33:34]
	v_fma_f64 v[33:34], v[37:38], s[24:25], v[31:32]
	v_add_f64 v[31:32], v[54:55], v[33:34]
	v_add_f64 v[39:40], v[31:32], -v[54:55]
	v_add_f64 v[33:34], v[33:34], -v[39:40]
.LBB155_262:                            ;   in Loop: Header=BB155_161 Depth=1
	s_or_b64 exec, exec, s[12:13]
	v_mul_f64 v[52:53], v[35:36], v[35:36]
	v_mul_f64 v[60:61], v[41:42], 0.5
	s_mov_b32 s60, s76
	v_and_b32_e32 v15, 1, v51
	v_cmp_eq_u32_e32 vcc, 0, v15
	s_mov_b32 s12, 0x3b39803f
	s_mov_b32 s13, 0xbc7abc9e
	;; [unrolled: 1-line block ×3, first 2 shown]
	v_mul_f64 v[37:38], v[52:53], 0.5
	v_mul_f64 v[56:57], v[52:53], v[52:53]
	s_mov_b32 s89, s77
	v_add_f64 v[54:55], -v[37:38], 1.0
	v_add_f64 v[39:40], -v[54:55], 1.0
	v_add_f64 v[37:38], v[39:40], -v[37:38]
	v_mov_b32_e32 v39, s78
	v_mov_b32_e32 v40, s79
	v_fma_f64 v[58:59], v[52:53], s[80:81], v[39:40]
	v_fma_f64 v[37:38], v[35:36], -v[41:42], v[37:38]
	v_fma_f64 v[58:59], v[52:53], v[58:59], s[82:83]
	v_fma_f64 v[58:59], v[52:53], v[58:59], s[84:85]
	;; [unrolled: 1-line block ×5, first 2 shown]
	v_mul_f64 v[58:59], v[35:36], -v[52:53]
	v_add_f64 v[54:55], v[54:55], v[37:38]
	v_mov_b32_e32 v37, s90
	v_mov_b32_e32 v38, s91
	v_fma_f64 v[56:57], v[52:53], s[92:93], v[37:38]
	v_fma_f64 v[56:57], v[52:53], v[56:57], s[94:95]
	;; [unrolled: 1-line block ×5, first 2 shown]
	v_fma_f64 v[41:42], v[52:53], v[56:57], -v[41:42]
	v_fma_f64 v[41:42], v[58:59], s[60:61], v[41:42]
	v_add_f64 v[35:36], v[35:36], -v[41:42]
	v_cndmask_b32_e32 v15, v54, v35, vcc
	v_lshlrev_b32_e32 v35, 30, v51
	v_cndmask_b32_e32 v18, v55, v36, vcc
	v_xor_b32_e32 v16, v35, v16
	v_mul_f64 v[35:36], |v[13:14]|, s[50:51]
	v_and_b32_e32 v16, 0x80000000, v16
	v_xor_b32_e32 v16, v18, v16
	v_mul_f64 v[15:16], v[15:16], 4.0
	v_rndne_f64_e32 v[35:36], v[35:36]
	v_fma_f64 v[41:42], v[35:36], s[52:53], -|v[13:14]|
	v_cvt_i32_f64_e32 v18, v[35:36]
	v_fma_f64 v[41:42], v[35:36], s[12:13], v[41:42]
	s_mov_b32 s12, 0x6a5dcb37
	s_mov_b32 s13, 0x3e5ade15
	v_fma_f64 v[51:52], v[41:42], s[12:13], v[21:22]
	s_mov_b32 s12, 0x623fde64
	s_mov_b32 s13, 0x3ec71dee
	;; [unrolled: 3-line block ×6, first 2 shown]
	v_fma_f64 v[51:52], v[41:42], v[51:52], s[28:29]
	v_fma_f64 v[51:52], v[41:42], v[51:52], s[88:89]
	;; [unrolled: 1-line block ×3, first 2 shown]
	s_mov_b32 s12, 11
	s_mov_b32 s13, 0x3fe00000
	v_fma_f64 v[51:52], v[41:42], v[51:52], s[12:13]
	s_mov_b32 s12, 0
	s_mov_b32 s13, 0x4090cc00
	v_cmp_ngt_f64_e64 vcc, |v[13:14]|, s[12:13]
	v_fma_f64 v[51:52], v[41:42], v[51:52], 1.0
	v_fma_f64 v[41:42], v[41:42], v[51:52], 1.0
	v_ldexp_f64 v[35:36], v[41:42], v18
	v_mul_f64 v[41:42], v[31:32], v[31:32]
	v_bfi_b32 v18, s70, v45, v14
	v_cndmask_b32_e32 v36, 0, v36, vcc
	v_mul_f64 v[13:14], v[41:42], 0.5
	v_fma_f64 v[39:40], v[41:42], s[80:81], v[39:40]
	v_fma_f64 v[37:38], v[41:42], s[92:93], v[37:38]
	v_cndmask_b32_e32 v35, 0, v35, vcc
	v_add_f64 v[51:52], -v[13:14], 1.0
	v_fma_f64 v[39:40], v[41:42], v[39:40], s[82:83]
	v_fma_f64 v[37:38], v[41:42], v[37:38], s[94:95]
	v_add_f64 v[53:54], -v[51:52], 1.0
	v_fma_f64 v[39:40], v[41:42], v[39:40], s[84:85]
	v_fma_f64 v[37:38], v[41:42], v[37:38], s[26:27]
	v_add_f64 v[13:14], v[53:54], -v[13:14]
	v_fma_f64 v[39:40], v[41:42], v[39:40], s[86:87]
	v_mul_f64 v[53:54], v[41:42], v[41:42]
	v_fma_f64 v[37:38], v[41:42], v[37:38], s[58:59]
	v_fma_f64 v[13:14], v[31:32], -v[33:34], v[13:14]
	v_fma_f64 v[39:40], v[41:42], v[39:40], s[76:77]
	v_fma_f64 v[13:14], v[53:54], v[39:40], v[13:14]
	v_mul_f64 v[39:40], v[31:32], -v[41:42]
	v_add_f64 v[13:14], v[51:52], v[13:14]
	v_mul_f64 v[51:52], v[33:34], 0.5
	v_fma_f64 v[37:38], v[39:40], v[37:38], v[51:52]
	v_fma_f64 v[33:34], v[41:42], v[37:38], -v[33:34]
	v_fma_f64 v[33:34], v[39:40], s[60:61], v[33:34]
	v_add_f64 v[31:32], v[31:32], -v[33:34]
	v_and_b32_e32 v33, 1, v50
	v_cmp_eq_u32_e32 vcc, 0, v33
	v_xor_b32_e32 v32, 0x80000000, v32
	v_cndmask_b32_e32 v13, v31, v13, vcc
	v_lshlrev_b32_e32 v31, 30, v50
	v_cndmask_b32_e32 v14, v32, v14, vcc
	v_and_b32_e32 v31, 0x80000000, v31
	v_xor_b32_e32 v14, v14, v31
	v_mul_f64 v[13:14], v[15:16], v[13:14]
	v_mul_f64 v[13:14], v[35:36], v[13:14]
	;; [unrolled: 1-line block ×3, first 2 shown]
	v_mov_b32_e32 v13, v17
	v_mov_b32_e32 v14, v18
.LBB155_263:                            ;   in Loop: Header=BB155_161 Depth=1
	s_or_b64 exec, exec, s[8:9]
.LBB155_264:                            ;   in Loop: Header=BB155_161 Depth=1
	s_andn2_saveexec_b64 s[8:9], s[10:11]
	s_cbranch_execz .LBB155_266
; %bb.265:                              ;   in Loop: Header=BB155_161 Depth=1
	v_add_f64 v[15:16], v[15:16], -v[15:16]
	v_mov_b32_e32 v13, v15
	v_mov_b32_e32 v14, v16
.LBB155_266:                            ;   in Loop: Header=BB155_161 Depth=1
	s_or_b64 exec, exec, s[8:9]
.LBB155_267:                            ;   in Loop: Header=BB155_161 Depth=1
	s_andn2_saveexec_b64 s[10:11], s[56:57]
	s_cbranch_execz .LBB155_283
; %bb.268:                              ;   in Loop: Header=BB155_161 Depth=1
	v_and_or_b32 v18, v14, s75, v13
	v_cmp_ne_u32_e32 vcc, 0, v18
	s_and_saveexec_b64 s[8:9], vcc
	s_xor_b64 s[8:9], exec, s[8:9]
	s_cbranch_execz .LBB155_270
; %bb.269:                              ;   in Loop: Header=BB155_161 Depth=1
	v_mul_f64 v[31:32], v[15:16], v[13:14]
	v_cmp_eq_f64_e32 vcc, 0, v[15:16]
	v_cndmask_b32_e32 v16, v32, v16, vcc
	v_cndmask_b32_e32 v15, v31, v15, vcc
.LBB155_270:                            ;   in Loop: Header=BB155_161 Depth=1
	s_andn2_saveexec_b64 s[12:13], s[8:9]
	s_cbranch_execz .LBB155_282
; %bb.271:                              ;   in Loop: Header=BB155_161 Depth=1
	v_cmp_neq_f64_e64 s[8:9], |v[15:16]|, s[40:41]
	s_and_saveexec_b64 s[56:57], s[8:9]
	s_cbranch_execz .LBB155_281
; %bb.272:                              ;   in Loop: Header=BB155_161 Depth=1
	v_cmp_nlt_f64_e64 s[8:9], |v[15:16]|, s[36:37]
                                        ; implicit-def: $vgpr39
                                        ; implicit-def: $vgpr31_vgpr32
                                        ; implicit-def: $vgpr33_vgpr34
	s_and_saveexec_b64 s[66:67], s[8:9]
	s_xor_b64 s[66:67], exec, s[66:67]
	s_cbranch_execz .LBB155_274
; %bb.273:                              ;   in Loop: Header=BB155_161 Depth=1
	v_trig_preop_f64 v[31:32], |v[15:16]|, 0
	v_ldexp_f64 v[33:34], |v[15:16]|, s74
	v_cmp_ge_f64_e64 vcc, |v[15:16]|, s[38:39]
	v_trig_preop_f64 v[35:36], |v[15:16]|, 1
	v_and_b32_e32 v18, 0x7fffffff, v16
	v_trig_preop_f64 v[50:51], |v[15:16]|, 2
	s_mov_b32 s18, s42
	s_mov_b32 s47, s23
	v_cndmask_b32_e32 v34, v18, v34, vcc
	v_cndmask_b32_e32 v33, v15, v33, vcc
	v_mul_f64 v[37:38], v[31:32], v[33:34]
	v_mul_f64 v[39:40], v[35:36], v[33:34]
	;; [unrolled: 1-line block ×3, first 2 shown]
	v_fma_f64 v[31:32], v[31:32], v[33:34], -v[37:38]
	v_fma_f64 v[35:36], v[35:36], v[33:34], -v[39:40]
	;; [unrolled: 1-line block ×3, first 2 shown]
	v_add_f64 v[41:42], v[39:40], v[31:32]
	v_add_f64 v[52:53], v[41:42], -v[39:40]
	v_add_f64 v[58:59], v[37:38], v[41:42]
	v_add_f64 v[54:55], v[41:42], -v[52:53]
	v_add_f64 v[31:32], v[31:32], -v[52:53]
	v_add_f64 v[52:53], v[56:57], v[35:36]
	v_add_f64 v[37:38], v[58:59], -v[37:38]
	v_add_f64 v[39:40], v[39:40], -v[54:55]
	v_ldexp_f64 v[54:55], v[58:59], -2
	v_add_f64 v[60:61], v[52:53], -v[56:57]
	v_add_f64 v[37:38], v[41:42], -v[37:38]
	v_add_f64 v[31:32], v[31:32], v[39:40]
	v_fract_f64_e32 v[39:40], v[54:55]
	v_cmp_neq_f64_e64 vcc, |v[54:55]|, s[40:41]
	v_add_f64 v[35:36], v[35:36], -v[60:61]
	v_add_f64 v[41:42], v[52:53], v[31:32]
	v_ldexp_f64 v[39:40], v[39:40], 2
	v_add_f64 v[54:55], v[37:38], v[41:42]
	v_cndmask_b32_e32 v40, 0, v40, vcc
	v_cndmask_b32_e32 v39, 0, v39, vcc
	v_add_f64 v[62:63], v[41:42], -v[52:53]
	v_add_f64 v[58:59], v[54:55], v[39:40]
	v_add_f64 v[37:38], v[54:55], -v[37:38]
	v_add_f64 v[64:65], v[41:42], -v[62:63]
	;; [unrolled: 1-line block ×3, first 2 shown]
	v_cmp_gt_f64_e32 vcc, 0, v[58:59]
	v_add_f64 v[58:59], v[52:53], -v[60:61]
	v_add_f64 v[37:38], v[41:42], -v[37:38]
	v_add_f64 v[52:53], v[52:53], -v[64:65]
	v_cndmask_b32_e32 v18, 0, v44, vcc
	v_add_f64 v[39:40], v[39:40], v[17:18]
	v_add_f64 v[58:59], v[56:57], -v[58:59]
	v_add_f64 v[31:32], v[31:32], v[52:53]
	v_add_f64 v[66:67], v[54:55], v[39:40]
	;; [unrolled: 1-line block ×3, first 2 shown]
	v_cvt_i32_f64_e32 v62, v[66:67]
	v_add_f64 v[31:32], v[35:36], v[31:32]
	v_cvt_f64_i32_e32 v[60:61], v62
	v_add_f64 v[39:40], v[39:40], -v[60:61]
	v_add_f64 v[31:32], v[33:34], v[31:32]
	v_add_f64 v[35:36], v[54:55], v[39:40]
	;; [unrolled: 1-line block ×3, first 2 shown]
	v_add_f64 v[33:34], v[35:36], -v[39:40]
	v_cmp_le_f64_e32 vcc, 0.5, v[35:36]
	v_add_f64 v[33:34], v[54:55], -v[33:34]
	v_cndmask_b32_e32 v18, 0, v45, vcc
	v_add_f64 v[31:32], v[31:32], v[33:34]
	v_add_f64 v[33:34], v[35:36], -v[17:18]
	v_add_f64 v[35:36], v[33:34], v[31:32]
	v_mul_f64 v[37:38], v[35:36], s[18:19]
	v_add_f64 v[33:34], v[35:36], -v[33:34]
	v_fma_f64 v[39:40], v[35:36], s[18:19], -v[37:38]
	v_add_f64 v[31:32], v[31:32], -v[33:34]
	v_fma_f64 v[33:34], v[35:36], s[46:47], v[39:40]
	v_addc_co_u32_e32 v39, vcc, 0, v62, vcc
	v_fma_f64 v[33:34], v[31:32], s[18:19], v[33:34]
	v_add_f64 v[31:32], v[37:38], v[33:34]
	v_add_f64 v[35:36], v[31:32], -v[37:38]
	v_add_f64 v[33:34], v[33:34], -v[35:36]
	s_andn2_saveexec_b64 s[66:67], s[66:67]
	s_cbranch_execz .LBB155_276
	s_branch .LBB155_275
.LBB155_274:                            ;   in Loop: Header=BB155_161 Depth=1
	s_andn2_saveexec_b64 s[66:67], s[66:67]
	s_cbranch_execz .LBB155_276
.LBB155_275:                            ;   in Loop: Header=BB155_161 Depth=1
	v_mul_f64 v[31:32], |v[15:16]|, s[20:21]
	s_mov_b32 s22, s44
	v_rndne_f64_e32 v[35:36], v[31:32]
	v_fma_f64 v[31:32], v[35:36], s[42:43], |v[15:16]|
	v_mul_f64 v[33:34], v[35:36], s[44:45]
	v_fma_f64 v[41:42], v[35:36], s[44:45], v[31:32]
	v_add_f64 v[37:38], v[31:32], v[33:34]
	v_add_f64 v[39:40], v[31:32], -v[37:38]
	v_add_f64 v[37:38], v[37:38], -v[41:42]
	v_add_f64 v[31:32], v[39:40], v[33:34]
	v_fma_f64 v[33:34], v[35:36], s[22:23], v[33:34]
	v_cvt_i32_f64_e32 v39, v[35:36]
	v_add_f64 v[31:32], v[37:38], v[31:32]
	v_add_f64 v[31:32], v[31:32], -v[33:34]
	v_fma_f64 v[33:34], v[35:36], s[24:25], v[31:32]
	v_add_f64 v[31:32], v[41:42], v[33:34]
	v_add_f64 v[37:38], v[31:32], -v[41:42]
	v_add_f64 v[33:34], v[33:34], -v[37:38]
.LBB155_276:                            ;   in Loop: Header=BB155_161 Depth=1
	s_or_b64 exec, exec, s[66:67]
                                        ; implicit-def: $vgpr18
                                        ; implicit-def: $vgpr35_vgpr36
                                        ; implicit-def: $vgpr37_vgpr38
	s_and_saveexec_b64 s[66:67], s[8:9]
	s_xor_b64 s[8:9], exec, s[66:67]
	s_cbranch_execz .LBB155_278
; %bb.277:                              ;   in Loop: Header=BB155_161 Depth=1
	v_trig_preop_f64 v[35:36], |v[15:16]|, 0
	v_ldexp_f64 v[37:38], |v[15:16]|, s74
	v_cmp_ge_f64_e64 vcc, |v[15:16]|, s[38:39]
	v_trig_preop_f64 v[40:41], |v[15:16]|, 1
	v_and_b32_e32 v18, 0x7fffffff, v16
	v_trig_preop_f64 v[56:57], |v[15:16]|, 2
	s_mov_b32 s18, s42
	s_mov_b32 s47, s23
	v_cndmask_b32_e32 v38, v18, v38, vcc
	v_cndmask_b32_e32 v37, v15, v37, vcc
	v_mul_f64 v[50:51], v[35:36], v[37:38]
	v_mul_f64 v[52:53], v[40:41], v[37:38]
	;; [unrolled: 1-line block ×3, first 2 shown]
	v_fma_f64 v[35:36], v[35:36], v[37:38], -v[50:51]
	v_fma_f64 v[40:41], v[40:41], v[37:38], -v[52:53]
	;; [unrolled: 1-line block ×3, first 2 shown]
	v_add_f64 v[54:55], v[52:53], v[35:36]
	v_add_f64 v[58:59], v[54:55], -v[52:53]
	v_add_f64 v[64:65], v[50:51], v[54:55]
	v_add_f64 v[60:61], v[54:55], -v[58:59]
	v_add_f64 v[35:36], v[35:36], -v[58:59]
	v_add_f64 v[58:59], v[62:63], v[40:41]
	v_add_f64 v[50:51], v[64:65], -v[50:51]
	v_add_f64 v[52:53], v[52:53], -v[60:61]
	v_ldexp_f64 v[60:61], v[64:65], -2
	v_add_f64 v[66:67], v[58:59], -v[62:63]
	v_add_f64 v[50:51], v[54:55], -v[50:51]
	v_add_f64 v[35:36], v[35:36], v[52:53]
	v_fract_f64_e32 v[52:53], v[60:61]
	v_cmp_neq_f64_e64 vcc, |v[60:61]|, s[40:41]
	v_add_f64 v[40:41], v[40:41], -v[66:67]
	v_add_f64 v[54:55], v[58:59], v[35:36]
	v_ldexp_f64 v[52:53], v[52:53], 2
	v_add_f64 v[60:61], v[50:51], v[54:55]
	v_cndmask_b32_e32 v53, 0, v53, vcc
	v_cndmask_b32_e32 v52, 0, v52, vcc
	v_add_f64 v[68:69], v[54:55], -v[58:59]
	v_add_f64 v[64:65], v[60:61], v[52:53]
	v_add_f64 v[50:51], v[60:61], -v[50:51]
	v_add_f64 v[70:71], v[54:55], -v[68:69]
	;; [unrolled: 1-line block ×3, first 2 shown]
	v_cmp_gt_f64_e32 vcc, 0, v[64:65]
	v_add_f64 v[64:65], v[58:59], -v[66:67]
	v_add_f64 v[50:51], v[54:55], -v[50:51]
	;; [unrolled: 1-line block ×3, first 2 shown]
	v_cndmask_b32_e32 v18, 0, v44, vcc
	v_add_f64 v[52:53], v[52:53], v[17:18]
	v_add_f64 v[64:65], v[62:63], -v[64:65]
	v_add_f64 v[35:36], v[35:36], v[58:59]
	v_add_f64 v[72:73], v[60:61], v[52:53]
	;; [unrolled: 1-line block ×3, first 2 shown]
	v_cvt_i32_f64_e32 v42, v[72:73]
	v_add_f64 v[35:36], v[40:41], v[35:36]
	v_cvt_f64_i32_e32 v[66:67], v42
	v_add_f64 v[52:53], v[52:53], -v[66:67]
	v_add_f64 v[35:36], v[37:38], v[35:36]
	v_add_f64 v[40:41], v[60:61], v[52:53]
	;; [unrolled: 1-line block ×3, first 2 shown]
	v_add_f64 v[37:38], v[40:41], -v[52:53]
	v_cmp_le_f64_e32 vcc, 0.5, v[40:41]
	v_add_f64 v[37:38], v[60:61], -v[37:38]
	v_cndmask_b32_e32 v18, 0, v45, vcc
	v_add_f64 v[35:36], v[35:36], v[37:38]
	v_add_f64 v[37:38], v[40:41], -v[17:18]
	v_addc_co_u32_e32 v18, vcc, 0, v42, vcc
	v_add_f64 v[40:41], v[37:38], v[35:36]
	v_mul_f64 v[50:51], v[40:41], s[18:19]
	v_add_f64 v[37:38], v[40:41], -v[37:38]
	v_fma_f64 v[52:53], v[40:41], s[18:19], -v[50:51]
	v_add_f64 v[35:36], v[35:36], -v[37:38]
	v_fma_f64 v[37:38], v[40:41], s[46:47], v[52:53]
	v_fma_f64 v[37:38], v[35:36], s[18:19], v[37:38]
	v_add_f64 v[35:36], v[50:51], v[37:38]
	v_add_f64 v[40:41], v[35:36], -v[50:51]
	v_add_f64 v[37:38], v[37:38], -v[40:41]
	s_andn2_saveexec_b64 s[8:9], s[8:9]
	s_cbranch_execnz .LBB155_279
	s_branch .LBB155_280
.LBB155_278:                            ;   in Loop: Header=BB155_161 Depth=1
	s_andn2_saveexec_b64 s[8:9], s[8:9]
	s_cbranch_execz .LBB155_280
.LBB155_279:                            ;   in Loop: Header=BB155_161 Depth=1
	v_mul_f64 v[35:36], |v[15:16]|, s[20:21]
	s_mov_b32 s22, s44
	v_rndne_f64_e32 v[40:41], v[35:36]
	v_fma_f64 v[35:36], v[40:41], s[42:43], |v[15:16]|
	v_mul_f64 v[37:38], v[40:41], s[44:45]
	v_cvt_i32_f64_e32 v18, v[40:41]
	v_fma_f64 v[54:55], v[40:41], s[44:45], v[35:36]
	v_add_f64 v[50:51], v[35:36], v[37:38]
	v_add_f64 v[52:53], v[35:36], -v[50:51]
	v_add_f64 v[50:51], v[50:51], -v[54:55]
	v_add_f64 v[35:36], v[52:53], v[37:38]
	v_fma_f64 v[37:38], v[40:41], s[22:23], v[37:38]
	v_add_f64 v[35:36], v[50:51], v[35:36]
	v_add_f64 v[35:36], v[35:36], -v[37:38]
	v_fma_f64 v[37:38], v[40:41], s[24:25], v[35:36]
	v_add_f64 v[35:36], v[54:55], v[37:38]
	v_add_f64 v[50:51], v[35:36], -v[54:55]
	v_add_f64 v[37:38], v[37:38], -v[50:51]
.LBB155_280:                            ;   in Loop: Header=BB155_161 Depth=1
	s_or_b64 exec, exec, s[8:9]
	v_mul_f64 v[40:41], v[31:32], v[31:32]
	v_mul_f64 v[50:51], v[35:36], v[35:36]
	v_mov_b32_e32 v52, s90
	v_mov_b32_e32 v53, s91
	;; [unrolled: 1-line block ×4, first 2 shown]
	v_mul_f64 v[66:67], v[33:34], 0.5
	v_mul_f64 v[74:75], v[37:38], 0.5
	v_fma_f64 v[54:55], v[40:41], s[92:93], v[52:53]
	v_fma_f64 v[52:53], v[50:51], s[92:93], v[52:53]
	;; [unrolled: 1-line block ×3, first 2 shown]
	v_mul_f64 v[60:61], v[40:41], 0.5
	v_fma_f64 v[56:57], v[50:51], s[80:81], v[56:57]
	v_mul_f64 v[62:63], v[50:51], 0.5
	v_mul_f64 v[68:69], v[31:32], -v[40:41]
	v_mul_f64 v[76:77], v[35:36], -v[50:51]
	v_fma_f64 v[54:55], v[40:41], v[54:55], s[94:95]
	v_fma_f64 v[52:53], v[50:51], v[52:53], s[94:95]
	v_fma_f64 v[58:59], v[40:41], v[58:59], s[82:83]
	v_add_f64 v[64:65], -v[60:61], 1.0
	v_fma_f64 v[56:57], v[50:51], v[56:57], s[82:83]
	v_add_f64 v[70:71], -v[62:63], 1.0
	s_mov_b32 s60, s76
	v_and_b32_e32 v42, 1, v39
	v_fma_f64 v[54:55], v[40:41], v[54:55], s[26:27]
	v_fma_f64 v[52:53], v[50:51], v[52:53], s[26:27]
	;; [unrolled: 1-line block ×3, first 2 shown]
	v_add_f64 v[72:73], -v[64:65], 1.0
	v_fma_f64 v[56:57], v[50:51], v[56:57], s[84:85]
	v_add_f64 v[78:79], -v[70:71], 1.0
	v_cmp_class_f64_e64 s[8:9], v[15:16], s72
	v_cmp_eq_u32_e32 vcc, 0, v42
	v_fma_f64 v[54:55], v[40:41], v[54:55], s[58:59]
	v_fma_f64 v[52:53], v[50:51], v[52:53], s[58:59]
	;; [unrolled: 1-line block ×3, first 2 shown]
	v_add_f64 v[60:61], v[72:73], -v[60:61]
	v_fma_f64 v[56:57], v[50:51], v[56:57], s[86:87]
	v_add_f64 v[62:63], v[78:79], -v[62:63]
	v_fma_f64 v[54:55], v[68:69], v[54:55], v[66:67]
	v_fma_f64 v[52:53], v[76:77], v[52:53], v[74:75]
	v_mul_f64 v[66:67], v[40:41], v[40:41]
	v_fma_f64 v[58:59], v[40:41], v[58:59], s[76:77]
	v_fma_f64 v[60:61], v[31:32], -v[33:34], v[60:61]
	v_fma_f64 v[33:34], v[40:41], v[54:55], -v[33:34]
	v_fma_f64 v[52:53], v[50:51], v[52:53], -v[37:38]
	v_mul_f64 v[40:41], v[50:51], v[50:51]
	v_fma_f64 v[50:51], v[50:51], v[56:57], s[76:77]
	v_fma_f64 v[37:38], v[35:36], -v[37:38], v[62:63]
	v_fma_f64 v[54:55], v[66:67], v[58:59], v[60:61]
	v_lshlrev_b32_e32 v56, 30, v39
	v_fma_f64 v[33:34], v[68:69], s[60:61], v[33:34]
	v_fma_f64 v[52:53], v[76:77], s[60:61], v[52:53]
	v_fma_f64 v[37:38], v[40:41], v[50:51], v[37:38]
	v_add_f64 v[39:40], v[64:65], v[54:55]
	v_and_b32_e32 v41, 1, v18
	v_lshlrev_b32_e32 v18, 30, v18
	v_add_f64 v[31:32], v[31:32], -v[33:34]
	v_add_f64 v[33:34], v[35:36], -v[52:53]
	v_xor_b32_e32 v50, v56, v16
	v_and_b32_e32 v18, 0x80000000, v18
	v_add_f64 v[35:36], v[70:71], v[37:38]
	v_and_b32_e32 v37, 0x80000000, v50
	v_cndmask_b32_e32 v31, v39, v31, vcc
	v_cndmask_b32_e32 v15, v40, v32, vcc
	v_xor_b32_e32 v16, 0x80000000, v34
	v_cmp_eq_u32_e32 vcc, 0, v41
	v_cndmask_b32_e32 v16, v16, v36, vcc
	v_cndmask_b32_e32 v32, v33, v35, vcc
	v_xor_b32_e32 v33, v15, v37
	v_xor_b32_e32 v18, v16, v18
	v_cndmask_b32_e64 v15, 0, v31, s[8:9]
	v_cndmask_b32_e64 v16, v49, v33, s[8:9]
	;; [unrolled: 1-line block ×4, first 2 shown]
	v_mul_f64 v[15:16], v[15:16], v[31:32]
.LBB155_281:                            ;   in Loop: Header=BB155_161 Depth=1
	s_or_b64 exec, exec, s[56:57]
	v_bfi_b32 v18, s70, 0, v16
	v_mov_b32_e32 v15, v17
	v_add_u32_e32 v14, -2.0, v14
	v_mov_b32_e32 v16, v18
.LBB155_282:                            ;   in Loop: Header=BB155_161 Depth=1
	s_or_b64 exec, exec, s[12:13]
.LBB155_283:                            ;   in Loop: Header=BB155_161 Depth=1
	s_or_b64 exec, exec, s[10:11]
	v_and_b32_e32 v35, 0x7fffffff, v10
	v_cmp_gt_u32_e32 vcc, s71, v35
	s_and_saveexec_b64 s[8:9], vcc
	s_xor_b64 s[56:57], exec, s[8:9]
	s_cbranch_execz .LBB155_294
; %bb.284:                              ;   in Loop: Header=BB155_161 Depth=1
	v_cmp_class_f64_e64 s[8:9], v[11:12], s72
	s_and_saveexec_b64 s[10:11], s[8:9]
	s_xor_b64 s[10:11], exec, s[10:11]
	s_cbranch_execz .LBB155_313
; %bb.285:                              ;   in Loop: Header=BB155_161 Depth=1
	v_cmp_gt_u32_e32 vcc, s73, v35
	s_and_saveexec_b64 s[8:9], vcc
	s_xor_b64 s[12:13], exec, s[8:9]
	s_cbranch_execz .LBB155_291
; %bb.286:                              ;   in Loop: Header=BB155_161 Depth=1
	v_cmp_nlt_f64_e64 s[8:9], |v[11:12]|, s[36:37]
                                        ; implicit-def: $vgpr18
                                        ; implicit-def: $vgpr31_vgpr32
                                        ; implicit-def: $vgpr33_vgpr34
	s_and_saveexec_b64 s[66:67], s[8:9]
	s_xor_b64 s[8:9], exec, s[66:67]
	s_cbranch_execz .LBB155_288
; %bb.287:                              ;   in Loop: Header=BB155_161 Depth=1
	v_trig_preop_f64 v[31:32], |v[11:12]|, 0
	v_ldexp_f64 v[33:34], |v[11:12]|, s74
	v_cmp_ge_f64_e64 vcc, |v[11:12]|, s[38:39]
	v_trig_preop_f64 v[36:37], |v[11:12]|, 1
	v_and_b32_e32 v18, 0x7fffffff, v12
	v_trig_preop_f64 v[52:53], |v[11:12]|, 2
	s_mov_b32 s18, s42
	s_mov_b32 s47, s23
	v_cndmask_b32_e32 v34, v18, v34, vcc
	v_cndmask_b32_e32 v33, v11, v33, vcc
	v_mul_f64 v[38:39], v[31:32], v[33:34]
	v_mul_f64 v[40:41], v[36:37], v[33:34]
	;; [unrolled: 1-line block ×3, first 2 shown]
	v_fma_f64 v[31:32], v[31:32], v[33:34], -v[38:39]
	v_fma_f64 v[36:37], v[36:37], v[33:34], -v[40:41]
	;; [unrolled: 1-line block ×3, first 2 shown]
	v_add_f64 v[50:51], v[40:41], v[31:32]
	v_add_f64 v[54:55], v[50:51], -v[40:41]
	v_add_f64 v[60:61], v[38:39], v[50:51]
	v_add_f64 v[56:57], v[50:51], -v[54:55]
	v_add_f64 v[31:32], v[31:32], -v[54:55]
	v_add_f64 v[54:55], v[58:59], v[36:37]
	v_add_f64 v[38:39], v[60:61], -v[38:39]
	v_add_f64 v[40:41], v[40:41], -v[56:57]
	v_ldexp_f64 v[56:57], v[60:61], -2
	v_add_f64 v[62:63], v[54:55], -v[58:59]
	v_add_f64 v[38:39], v[50:51], -v[38:39]
	v_add_f64 v[31:32], v[31:32], v[40:41]
	v_fract_f64_e32 v[40:41], v[56:57]
	v_cmp_neq_f64_e64 vcc, |v[56:57]|, s[40:41]
	v_add_f64 v[36:37], v[36:37], -v[62:63]
	v_add_f64 v[50:51], v[54:55], v[31:32]
	v_ldexp_f64 v[40:41], v[40:41], 2
	v_add_f64 v[56:57], v[38:39], v[50:51]
	v_cndmask_b32_e32 v41, 0, v41, vcc
	v_cndmask_b32_e32 v40, 0, v40, vcc
	v_add_f64 v[64:65], v[50:51], -v[54:55]
	v_add_f64 v[60:61], v[56:57], v[40:41]
	v_add_f64 v[38:39], v[56:57], -v[38:39]
	v_add_f64 v[66:67], v[50:51], -v[64:65]
	;; [unrolled: 1-line block ×3, first 2 shown]
	v_cmp_gt_f64_e32 vcc, 0, v[60:61]
	v_add_f64 v[60:61], v[54:55], -v[62:63]
	v_add_f64 v[38:39], v[50:51], -v[38:39]
	v_add_f64 v[54:55], v[54:55], -v[66:67]
	v_cndmask_b32_e32 v18, 0, v44, vcc
	v_add_f64 v[40:41], v[40:41], v[17:18]
	v_add_f64 v[60:61], v[58:59], -v[60:61]
	v_add_f64 v[31:32], v[31:32], v[54:55]
	v_add_f64 v[68:69], v[56:57], v[40:41]
	;; [unrolled: 1-line block ×3, first 2 shown]
	v_cvt_i32_f64_e32 v42, v[68:69]
	v_add_f64 v[31:32], v[36:37], v[31:32]
	v_cvt_f64_i32_e32 v[62:63], v42
	v_add_f64 v[40:41], v[40:41], -v[62:63]
	v_add_f64 v[31:32], v[33:34], v[31:32]
	v_add_f64 v[36:37], v[56:57], v[40:41]
	;; [unrolled: 1-line block ×3, first 2 shown]
	v_add_f64 v[33:34], v[36:37], -v[40:41]
	v_cmp_le_f64_e32 vcc, 0.5, v[36:37]
	v_add_f64 v[33:34], v[56:57], -v[33:34]
	v_cndmask_b32_e32 v18, 0, v45, vcc
	v_add_f64 v[31:32], v[31:32], v[33:34]
	v_add_f64 v[33:34], v[36:37], -v[17:18]
	v_addc_co_u32_e32 v18, vcc, 0, v42, vcc
	v_add_f64 v[36:37], v[33:34], v[31:32]
	v_mul_f64 v[38:39], v[36:37], s[18:19]
	v_add_f64 v[33:34], v[36:37], -v[33:34]
	v_fma_f64 v[40:41], v[36:37], s[18:19], -v[38:39]
	v_add_f64 v[31:32], v[31:32], -v[33:34]
	v_fma_f64 v[33:34], v[36:37], s[46:47], v[40:41]
	v_fma_f64 v[33:34], v[31:32], s[18:19], v[33:34]
	v_add_f64 v[31:32], v[38:39], v[33:34]
	v_add_f64 v[36:37], v[31:32], -v[38:39]
	v_add_f64 v[33:34], v[33:34], -v[36:37]
.LBB155_288:                            ;   in Loop: Header=BB155_161 Depth=1
	s_andn2_saveexec_b64 s[8:9], s[8:9]
	s_cbranch_execz .LBB155_290
; %bb.289:                              ;   in Loop: Header=BB155_161 Depth=1
	v_mul_f64 v[31:32], |v[11:12]|, s[20:21]
	s_mov_b32 s22, s44
	v_rndne_f64_e32 v[36:37], v[31:32]
	v_fma_f64 v[31:32], v[36:37], s[42:43], |v[11:12]|
	v_mul_f64 v[33:34], v[36:37], s[44:45]
	v_cvt_i32_f64_e32 v18, v[36:37]
	v_fma_f64 v[50:51], v[36:37], s[44:45], v[31:32]
	v_add_f64 v[38:39], v[31:32], v[33:34]
	v_add_f64 v[40:41], v[31:32], -v[38:39]
	v_add_f64 v[38:39], v[38:39], -v[50:51]
	v_add_f64 v[31:32], v[40:41], v[33:34]
	v_fma_f64 v[33:34], v[36:37], s[22:23], v[33:34]
	v_add_f64 v[31:32], v[38:39], v[31:32]
	v_add_f64 v[31:32], v[31:32], -v[33:34]
	v_fma_f64 v[33:34], v[36:37], s[24:25], v[31:32]
	v_add_f64 v[31:32], v[50:51], v[33:34]
	v_add_f64 v[38:39], v[31:32], -v[50:51]
	v_add_f64 v[33:34], v[33:34], -v[38:39]
.LBB155_290:                            ;   in Loop: Header=BB155_161 Depth=1
	s_or_b64 exec, exec, s[8:9]
	v_add_f64 v[36:37], |v[9:10]|, s[52:53]
	s_mov_b32 s54, s52
	s_mov_b32 s8, 0x3b39803f
	;; [unrolled: 1-line block ×7, first 2 shown]
	v_add_f64 v[38:39], v[36:37], -|v[9:10]|
	v_and_b32_e32 v18, 1, v18
	v_add_f64 v[40:41], v[38:39], -v[36:37]
	v_add_f64 v[38:39], v[38:39], s[54:55]
	v_add_f64 v[40:41], |v[9:10]|, v[40:41]
	v_add_f64 v[38:39], v[40:41], -v[38:39]
	v_add_f64 v[38:39], v[38:39], s[8:9]
	s_mov_b32 s8, 0xf278e000
	s_mov_b32 s9, 0xbd53de6a
	v_add_f64 v[40:41], v[36:37], v[38:39]
	v_mul_f64 v[50:51], v[40:41], s[30:31]
	v_add_f64 v[36:37], v[36:37], -v[40:41]
	v_rndne_f64_e32 v[50:51], v[50:51]
	v_add_f64 v[36:37], v[38:39], v[36:37]
	v_fma_f64 v[38:39], v[50:51], s[48:49], v[40:41]
	v_mul_f64 v[40:41], v[50:51], s[8:9]
	s_mov_b32 s8, 0xf97b57a0
	s_mov_b32 s9, 0xbac9cc01
	v_cvt_i32_f64_e32 v11, v[50:51]
	v_add_f64 v[52:53], v[36:37], v[38:39]
	v_add_f64 v[54:55], v[52:53], v[40:41]
	v_add_f64 v[38:39], v[38:39], -v[52:53]
	v_add_f64 v[52:53], v[52:53], -v[54:55]
	v_add_f64 v[36:37], v[36:37], v[38:39]
	v_add_f64 v[38:39], v[52:53], v[40:41]
	;; [unrolled: 1-line block ×3, first 2 shown]
	v_mul_f64 v[38:39], v[50:51], s[8:9]
	s_mov_b32 s8, 0x6a5dcb37
	s_mov_b32 s9, 0x3e5ade15
	v_add_f64 v[40:41], v[54:55], v[36:37]
	v_add_f64 v[52:53], v[40:41], v[38:39]
	v_add_f64 v[54:55], v[54:55], -v[40:41]
	v_add_f64 v[40:41], v[40:41], -v[52:53]
	v_add_f64 v[36:37], v[36:37], v[54:55]
	v_add_f64 v[38:39], v[40:41], v[38:39]
	;; [unrolled: 1-line block ×4, first 2 shown]
	v_fma_f64 v[40:41], v[38:39], s[8:9], v[21:22]
	s_mov_b32 s8, 0x623fde64
	s_mov_b32 s9, 0x3ec71dee
	v_add_f64 v[52:53], v[52:53], -v[38:39]
	v_mul_f64 v[54:55], v[38:39], v[38:39]
	v_fma_f64 v[40:41], v[38:39], v[40:41], s[8:9]
	s_mov_b32 s8, 0x7c89e6b0
	s_mov_b32 s9, 0x3efa0199
	v_add_f64 v[36:37], v[36:37], v[52:53]
	v_fma_f64 v[52:53], v[38:39], v[38:39], -v[54:55]
	v_fma_f64 v[40:41], v[38:39], v[40:41], s[8:9]
	s_mov_b32 s8, 0x14761f6e
	s_mov_b32 s9, 0x3f2a01a0
	v_add_f64 v[56:57], v[36:37], v[36:37]
	v_fma_f64 v[40:41], v[38:39], v[40:41], s[8:9]
	s_mov_b32 s8, 0x1852b7b0
	s_mov_b32 s9, 0x3f56c16c
	v_fma_f64 v[52:53], v[38:39], v[56:57], v[52:53]
	v_fma_f64 v[40:41], v[38:39], v[40:41], s[8:9]
	s_mov_b32 s8, 0x55555511
	s_mov_b32 s9, 0x3fc55555
	v_add_f64 v[56:57], v[54:55], v[52:53]
	v_fma_f64 v[40:41], v[38:39], v[40:41], s[28:29]
	v_add_f64 v[54:55], v[56:57], -v[54:55]
	v_fma_f64 v[40:41], v[38:39], v[40:41], s[88:89]
	v_add_f64 v[52:53], v[52:53], -v[54:55]
	v_fma_f64 v[40:41], v[38:39], v[40:41], s[8:9]
	s_mov_b32 s8, 11
	s_mov_b32 s9, 0x3fe00000
	v_fma_f64 v[40:41], v[38:39], v[40:41], s[8:9]
	s_mov_b32 s8, 0xc751c08c
	s_mov_b32 s9, 0x3ef5e089
	v_mul_f64 v[58:59], v[56:57], v[40:41]
	v_fma_f64 v[54:55], v[56:57], v[40:41], -v[58:59]
	v_fma_f64 v[40:41], v[52:53], v[40:41], v[54:55]
	v_add_f64 v[52:53], v[58:59], v[40:41]
	v_add_f64 v[54:55], v[38:39], v[52:53]
	v_add_f64 v[56:57], v[52:53], -v[58:59]
	v_add_f64 v[38:39], v[54:55], -v[38:39]
	;; [unrolled: 1-line block ×3, first 2 shown]
	v_add_f64 v[56:57], v[33:34], v[33:34]
	v_add_f64 v[38:39], v[52:53], -v[38:39]
	v_add_f64 v[36:37], v[36:37], v[40:41]
	v_add_f64 v[36:37], v[36:37], v[38:39]
	;; [unrolled: 1-line block ×3, first 2 shown]
	v_add_f64 v[40:41], v[38:39], 1.0
	v_add_f64 v[52:53], v[38:39], -v[54:55]
	v_add_f64 v[54:55], v[40:41], -1.0
	v_add_f64 v[36:37], v[36:37], -v[52:53]
	v_add_f64 v[38:39], v[38:39], -v[54:55]
	v_add_f64 v[36:37], v[36:37], v[38:39]
	v_add_f64 v[38:39], v[40:41], v[36:37]
	v_ldexp_f64 v[50:51], v[38:39], v11
	v_add_f64 v[38:39], v[38:39], -v[40:41]
	v_rcp_f64_e32 v[52:53], v[50:51]
	v_add_f64 v[36:37], v[36:37], -v[38:39]
	v_ldexp_f64 v[36:37], v[36:37], v11
	v_fma_f64 v[54:55], -v[50:51], v[52:53], 1.0
	v_fma_f64 v[52:53], v[54:55], v[52:53], v[52:53]
	v_fma_f64 v[54:55], -v[50:51], v[52:53], 1.0
	v_fma_f64 v[40:41], v[54:55], v[52:53], v[52:53]
	v_mul_f64 v[52:53], v[31:32], v[31:32]
	v_mul_f64 v[38:39], v[50:51], v[40:41]
	v_fma_f64 v[58:59], v[31:32], v[31:32], -v[52:53]
	v_fma_f64 v[54:55], v[40:41], v[50:51], -v[38:39]
	v_fma_f64 v[56:57], v[31:32], v[56:57], v[58:59]
	v_fma_f64 v[54:55], v[40:41], v[36:37], v[54:55]
	v_add_f64 v[52:53], v[52:53], v[56:57]
	v_add_f64 v[58:59], v[38:39], v[54:55]
	v_fma_f64 v[60:61], v[52:53], s[8:9], v[19:20]
	s_mov_b32 s8, 0x90a8aae0
	s_mov_b32 s9, 0x3f17746f
	v_add_f64 v[56:57], -v[58:59], 1.0
	v_add_f64 v[38:39], v[58:59], -v[38:39]
	v_fma_f64 v[60:61], v[52:53], v[60:61], s[8:9]
	s_mov_b32 s8, 0xa6fbf144
	s_mov_b32 s9, 0xbefbb44d
	v_add_f64 v[62:63], -v[56:57], 1.0
	v_add_f64 v[38:39], v[38:39], -v[54:55]
	v_add_f64 v[54:55], v[62:63], -v[58:59]
	v_fma_f64 v[58:59], v[52:53], v[60:61], s[8:9]
	s_mov_b32 s8, 0xa7943acf
	s_mov_b32 s9, 0x3f21e634
	v_add_f64 v[38:39], v[38:39], v[54:55]
	v_fma_f64 v[54:55], v[52:53], v[58:59], s[8:9]
	s_mov_b32 s8, 0xdeb68feb
	s_mov_b32 s9, 0x3f2d250f
	v_add_f64 v[58:59], v[56:57], v[38:39]
	v_fma_f64 v[54:55], v[52:53], v[54:55], s[8:9]
	s_mov_b32 s8, 0xb58c4d95
	s_mov_b32 s9, 0x3f437fd9
	v_mul_f64 v[60:61], v[40:41], v[58:59]
	v_fma_f64 v[54:55], v[52:53], v[54:55], s[8:9]
	s_mov_b32 s8, 0x15120e2c
	s_mov_b32 s9, 0x3f57d5af
	v_add_f64 v[56:57], v[56:57], -v[58:59]
	v_mul_f64 v[62:63], v[50:51], v[60:61]
	v_fma_f64 v[54:55], v[52:53], v[54:55], s[8:9]
	s_mov_b32 s8, 0xe09491df
	s_mov_b32 s9, 0x3f6d6d93
	v_add_f64 v[38:39], v[38:39], v[56:57]
	v_fma_f64 v[64:65], v[60:61], v[50:51], -v[62:63]
	v_fma_f64 v[54:55], v[52:53], v[54:55], s[8:9]
	s_mov_b32 s8, 0x2033784d
	s_mov_b32 s9, 0x3f8226e1
	v_fma_f64 v[64:65], v[60:61], v[36:37], v[64:65]
	v_fma_f64 v[54:55], v[52:53], v[54:55], s[8:9]
	s_mov_b32 s8, 0x9ac36ae2
	s_mov_b32 s9, 0x3f9664f4
	v_add_f64 v[66:67], v[62:63], v[64:65]
	v_fma_f64 v[54:55], v[52:53], v[54:55], s[8:9]
	s_mov_b32 s8, 0x1b451c21
	s_mov_b32 s9, 0x3faba1ba
	v_add_f64 v[68:69], v[58:59], -v[66:67]
	v_fma_f64 v[54:55], v[52:53], v[54:55], s[8:9]
	s_mov_b32 s8, 0x111185b7
	s_mov_b32 s9, 0x3fc11111
	v_add_f64 v[56:57], v[66:67], -v[62:63]
	v_add_f64 v[58:59], v[58:59], -v[68:69]
	v_fma_f64 v[54:55], v[52:53], v[54:55], s[8:9]
	s_mov_b32 s8, 0x555554ee
	s_mov_b32 s9, 0x3fd55555
	v_add_f64 v[56:57], v[56:57], -v[64:65]
	v_add_f64 v[58:59], v[58:59], -v[66:67]
	v_fma_f64 v[54:55], v[52:53], v[54:55], s[8:9]
	s_mov_b32 s8, 0x8fb9f87e
	s_mov_b32 s9, 0x408633ce
	v_cmp_nge_f64_e64 vcc, |v[9:10]|, s[8:9]
	s_mov_b32 s8, 0
	s_mov_b32 s9, 0x3e400000
	v_add_f64 v[38:39], v[38:39], v[58:59]
	v_mul_f64 v[52:53], v[52:53], v[54:55]
	v_add_f64 v[54:55], v[40:41], v[60:61]
	v_add_f64 v[38:39], v[56:57], v[38:39]
	v_mul_f64 v[56:57], v[31:32], v[52:53]
	v_add_f64 v[58:59], v[54:55], -v[40:41]
	v_add_f64 v[38:39], v[68:69], v[38:39]
	v_add_f64 v[62:63], v[31:32], v[56:57]
	v_add_f64 v[58:59], v[60:61], -v[58:59]
	v_mul_f64 v[38:39], v[40:41], v[38:39]
	v_fma_f64 v[40:41], v[31:32], v[52:53], -v[56:57]
	v_add_f64 v[31:32], v[62:63], -v[31:32]
	v_add_f64 v[38:39], v[58:59], v[38:39]
	v_add_f64 v[33:34], v[33:34], v[40:41]
	v_add_f64 v[31:32], v[56:57], -v[31:32]
	v_add_f64 v[40:41], v[54:55], v[38:39]
	v_add_f64 v[31:32], v[33:34], v[31:32]
	v_ldexp_f64 v[33:34], v[40:41], -2
	v_add_f64 v[40:41], v[40:41], -v[54:55]
	v_add_f64 v[52:53], v[62:63], v[31:32]
	v_add_f64 v[56:57], v[50:51], -v[33:34]
	v_add_f64 v[38:39], v[38:39], -v[40:41]
	v_rcp_f64_e32 v[58:59], v[52:53]
	v_add_f64 v[50:51], v[50:51], -v[56:57]
	v_ldexp_f64 v[38:39], v[38:39], -2
	v_add_f64 v[33:34], v[50:51], -v[33:34]
	v_fma_f64 v[40:41], -v[52:53], v[58:59], 1.0
	v_add_f64 v[33:34], v[36:37], v[33:34]
	v_fma_f64 v[36:37], v[40:41], v[58:59], v[58:59]
	v_add_f64 v[33:34], v[33:34], -v[38:39]
	v_fma_f64 v[38:39], -v[52:53], v[36:37], 1.0
	v_add_f64 v[33:34], v[56:57], v[33:34]
	v_fma_f64 v[36:37], v[38:39], v[36:37], v[36:37]
	v_cndmask_b32_e32 v11, v46, v34, vcc
	v_cndmask_b32_e32 v40, 0, v33, vcc
	v_cmp_lt_f64_e64 vcc, |v[9:10]|, s[8:9]
	v_add_f64 v[33:34], v[52:53], -v[62:63]
	v_mul_f64 v[38:39], v[52:53], v[36:37]
	s_mov_b32 s8, 0
	s_brev_b32 s9, 8
	v_cndmask_b32_e32 v11, v11, v35, vcc
	v_cndmask_b32_e32 v9, v40, v9, vcc
	v_bfi_b32 v10, s70, v11, v10
	v_fma_f64 v[40:41], v[9:10], v[9:10], 1.0
	v_add_f64 v[31:32], v[31:32], -v[33:34]
	v_fma_f64 v[33:34], v[36:37], v[52:53], -v[38:39]
	v_and_b32_e32 v35, 0x80000000, v12
	v_cmp_gt_f64_e32 vcc, s[8:9], v[40:41]
	v_cmp_eq_u32_e64 s[8:9], 0, v18
	v_fma_f64 v[31:32], v[36:37], v[31:32], v[33:34]
	v_cndmask_b32_e32 v11, 0, v47, vcc
	v_ldexp_f64 v[40:41], v[40:41], v11
	v_add_f64 v[50:51], v[38:39], v[31:32]
	v_rsq_f64_e32 v[33:34], v[40:41]
	v_add_f64 v[54:55], -v[50:51], 1.0
	v_add_f64 v[38:39], v[50:51], -v[38:39]
	v_add_f64 v[58:59], -v[54:55], 1.0
	v_add_f64 v[31:32], v[38:39], -v[31:32]
	v_mul_f64 v[56:57], v[40:41], v[33:34]
	v_mul_f64 v[33:34], v[33:34], 0.5
	v_add_f64 v[50:51], v[58:59], -v[50:51]
	v_fma_f64 v[38:39], -v[33:34], v[56:57], 0.5
	v_add_f64 v[31:32], v[31:32], v[50:51]
	v_fma_f64 v[56:57], v[56:57], v[38:39], v[56:57]
	v_fma_f64 v[33:34], v[33:34], v[38:39], v[33:34]
	v_add_f64 v[31:32], v[54:55], v[31:32]
	v_fma_f64 v[38:39], -v[56:57], v[56:57], v[40:41]
	v_mul_f64 v[31:32], v[36:37], v[31:32]
	v_fma_f64 v[38:39], v[38:39], v[33:34], v[56:57]
	v_add_f64 v[31:32], v[36:37], v[31:32]
	v_fma_f64 v[50:51], -v[38:39], v[38:39], v[40:41]
	v_xor_b32_e32 v32, 0x80000000, v32
	v_cndmask_b32_e64 v18, v32, v53, s[8:9]
	v_xor_b32_e32 v32, v18, v35
	v_cndmask_b32_e32 v18, 0, v48, vcc
	v_cndmask_b32_e64 v31, v31, v52, s[8:9]
	v_cmp_class_f64_e32 vcc, v[40:41], v43
	v_fma_f64 v[11:12], v[50:51], v[33:34], v[38:39]
	v_fma_f64 v[33:34], v[31:32], v[31:32], 1.0
	v_ldexp_f64 v[11:12], v[11:12], v18
	v_mul_f64 v[35:36], v[9:10], v[33:34]
	v_cndmask_b32_e32 v12, v12, v41, vcc
	v_cndmask_b32_e32 v11, v11, v40, vcc
	v_mul_f64 v[11:12], v[11:12], v[33:34]
	v_fma_f64 v[33:34], v[9:10], v[35:36], 1.0
	v_mul_f64 v[9:10], v[9:10], v[11:12]
	v_div_scale_f64 v[35:36], s[8:9], v[33:34], v[33:34], v[31:32]
	v_div_scale_f64 v[11:12], s[8:9], v[33:34], v[33:34], v[9:10]
	;; [unrolled: 1-line block ×3, first 2 shown]
	v_rcp_f64_e32 v[39:40], v[35:36]
	v_rcp_f64_e32 v[37:38], v[11:12]
	v_fma_f64 v[50:51], -v[35:36], v[39:40], 1.0
	v_fma_f64 v[41:42], -v[11:12], v[37:38], 1.0
	v_fma_f64 v[39:40], v[39:40], v[50:51], v[39:40]
	v_fma_f64 v[37:38], v[37:38], v[41:42], v[37:38]
	v_div_scale_f64 v[41:42], vcc, v[9:10], v[33:34], v[9:10]
	v_fma_f64 v[54:55], -v[35:36], v[39:40], 1.0
	v_fma_f64 v[50:51], -v[11:12], v[37:38], 1.0
	v_fma_f64 v[39:40], v[39:40], v[54:55], v[39:40]
	v_fma_f64 v[37:38], v[37:38], v[50:51], v[37:38]
	v_mul_f64 v[54:55], v[52:53], v[39:40]
	v_mul_f64 v[50:51], v[41:42], v[37:38]
	v_fma_f64 v[35:36], -v[35:36], v[54:55], v[52:53]
	v_fma_f64 v[11:12], -v[11:12], v[50:51], v[41:42]
	v_div_fmas_f64 v[11:12], v[11:12], v[37:38], v[50:51]
	s_mov_b64 vcc, s[8:9]
	v_div_fmas_f64 v[35:36], v[35:36], v[39:40], v[54:55]
	v_div_fixup_f64 v[9:10], v[11:12], v[33:34], v[9:10]
	v_div_fixup_f64 v[11:12], v[35:36], v[33:34], v[31:32]
.LBB155_291:                            ;   in Loop: Header=BB155_161 Depth=1
	s_andn2_saveexec_b64 s[8:9], s[12:13]
	s_cbranch_execz .LBB155_312
; %bb.292:                              ;   in Loop: Header=BB155_161 Depth=1
	v_cmp_nlt_f64_e64 s[12:13], |v[11:12]|, s[36:37]
                                        ; implicit-def: $vgpr51
                                        ; implicit-def: $vgpr35_vgpr36
                                        ; implicit-def: $vgpr41_vgpr42
	s_and_saveexec_b64 s[66:67], s[12:13]
	s_xor_b64 s[66:67], exec, s[66:67]
	s_cbranch_execz .LBB155_301
; %bb.293:                              ;   in Loop: Header=BB155_161 Depth=1
	v_trig_preop_f64 v[31:32], |v[11:12]|, 0
	v_ldexp_f64 v[33:34], |v[11:12]|, s74
	v_cmp_ge_f64_e64 vcc, |v[11:12]|, s[38:39]
	v_trig_preop_f64 v[35:36], |v[11:12]|, 1
	v_and_b32_e32 v18, 0x7fffffff, v12
	v_trig_preop_f64 v[50:51], |v[11:12]|, 2
	s_mov_b32 s18, s42
	s_mov_b32 s47, s23
	v_cndmask_b32_e32 v34, v18, v34, vcc
	v_cndmask_b32_e32 v33, v11, v33, vcc
	v_mul_f64 v[37:38], v[31:32], v[33:34]
	v_mul_f64 v[39:40], v[35:36], v[33:34]
	;; [unrolled: 1-line block ×3, first 2 shown]
	v_fma_f64 v[31:32], v[31:32], v[33:34], -v[37:38]
	v_fma_f64 v[35:36], v[35:36], v[33:34], -v[39:40]
	;; [unrolled: 1-line block ×3, first 2 shown]
	v_add_f64 v[41:42], v[39:40], v[31:32]
	v_add_f64 v[52:53], v[41:42], -v[39:40]
	v_add_f64 v[58:59], v[37:38], v[41:42]
	v_add_f64 v[54:55], v[41:42], -v[52:53]
	v_add_f64 v[31:32], v[31:32], -v[52:53]
	v_add_f64 v[52:53], v[56:57], v[35:36]
	v_add_f64 v[37:38], v[58:59], -v[37:38]
	v_add_f64 v[39:40], v[39:40], -v[54:55]
	v_ldexp_f64 v[54:55], v[58:59], -2
	v_add_f64 v[60:61], v[52:53], -v[56:57]
	v_add_f64 v[37:38], v[41:42], -v[37:38]
	v_add_f64 v[31:32], v[31:32], v[39:40]
	v_fract_f64_e32 v[39:40], v[54:55]
	v_cmp_neq_f64_e64 vcc, |v[54:55]|, s[40:41]
	v_add_f64 v[35:36], v[35:36], -v[60:61]
	v_add_f64 v[41:42], v[52:53], v[31:32]
	v_ldexp_f64 v[39:40], v[39:40], 2
	v_add_f64 v[54:55], v[37:38], v[41:42]
	v_cndmask_b32_e32 v40, 0, v40, vcc
	v_cndmask_b32_e32 v39, 0, v39, vcc
	v_add_f64 v[62:63], v[41:42], -v[52:53]
	v_add_f64 v[58:59], v[54:55], v[39:40]
	v_add_f64 v[37:38], v[54:55], -v[37:38]
	v_add_f64 v[64:65], v[41:42], -v[62:63]
	;; [unrolled: 1-line block ×3, first 2 shown]
	v_cmp_gt_f64_e32 vcc, 0, v[58:59]
	v_add_f64 v[58:59], v[52:53], -v[60:61]
	v_add_f64 v[37:38], v[41:42], -v[37:38]
	;; [unrolled: 1-line block ×3, first 2 shown]
	v_cndmask_b32_e32 v18, 0, v44, vcc
	v_add_f64 v[39:40], v[39:40], v[17:18]
	v_add_f64 v[58:59], v[56:57], -v[58:59]
	v_add_f64 v[31:32], v[31:32], v[52:53]
	v_add_f64 v[66:67], v[54:55], v[39:40]
	v_add_f64 v[35:36], v[35:36], v[58:59]
	v_cvt_i32_f64_e32 v62, v[66:67]
	v_add_f64 v[31:32], v[35:36], v[31:32]
	v_cvt_f64_i32_e32 v[60:61], v62
	v_add_f64 v[39:40], v[39:40], -v[60:61]
	v_add_f64 v[31:32], v[33:34], v[31:32]
	v_add_f64 v[35:36], v[54:55], v[39:40]
	;; [unrolled: 1-line block ×3, first 2 shown]
	v_add_f64 v[33:34], v[35:36], -v[39:40]
	v_cmp_le_f64_e32 vcc, 0.5, v[35:36]
	v_add_f64 v[33:34], v[54:55], -v[33:34]
	v_cndmask_b32_e32 v18, 0, v45, vcc
	v_addc_co_u32_e32 v51, vcc, 0, v62, vcc
	v_add_f64 v[31:32], v[31:32], v[33:34]
	v_add_f64 v[33:34], v[35:36], -v[17:18]
	v_add_f64 v[35:36], v[33:34], v[31:32]
	v_mul_f64 v[37:38], v[35:36], s[18:19]
	v_add_f64 v[33:34], v[35:36], -v[33:34]
	v_fma_f64 v[39:40], v[35:36], s[18:19], -v[37:38]
	v_add_f64 v[31:32], v[31:32], -v[33:34]
	v_fma_f64 v[33:34], v[35:36], s[46:47], v[39:40]
	v_fma_f64 v[31:32], v[31:32], s[18:19], v[33:34]
	v_add_f64 v[35:36], v[37:38], v[31:32]
	v_add_f64 v[33:34], v[35:36], -v[37:38]
	v_add_f64 v[41:42], v[31:32], -v[33:34]
	s_andn2_saveexec_b64 s[66:67], s[66:67]
	s_cbranch_execz .LBB155_303
	s_branch .LBB155_302
.LBB155_294:                            ;   in Loop: Header=BB155_161 Depth=1
	s_andn2_saveexec_b64 s[10:11], s[56:57]
	s_cbranch_execz .LBB155_316
.LBB155_295:                            ;   in Loop: Header=BB155_161 Depth=1
	v_and_or_b32 v18, v10, s75, v9
	v_cmp_ne_u32_e32 vcc, 0, v18
	s_and_saveexec_b64 s[8:9], vcc
	s_xor_b64 s[8:9], exec, s[8:9]
	s_cbranch_execz .LBB155_297
; %bb.296:                              ;   in Loop: Header=BB155_161 Depth=1
	v_mul_f64 v[31:32], v[11:12], v[9:10]
	v_cmp_eq_f64_e32 vcc, 0, v[11:12]
	v_cndmask_b32_e32 v12, v32, v12, vcc
	v_cndmask_b32_e32 v11, v31, v11, vcc
.LBB155_297:                            ;   in Loop: Header=BB155_161 Depth=1
	s_andn2_saveexec_b64 s[12:13], s[8:9]
	s_cbranch_execz .LBB155_324
; %bb.298:                              ;   in Loop: Header=BB155_161 Depth=1
	v_cmp_neq_f64_e64 s[8:9], |v[11:12]|, s[40:41]
	s_and_saveexec_b64 s[56:57], s[8:9]
	s_cbranch_execz .LBB155_323
; %bb.299:                              ;   in Loop: Header=BB155_161 Depth=1
	v_cmp_nlt_f64_e64 s[8:9], |v[11:12]|, s[36:37]
                                        ; implicit-def: $vgpr39
                                        ; implicit-def: $vgpr31_vgpr32
                                        ; implicit-def: $vgpr33_vgpr34
	s_and_saveexec_b64 s[66:67], s[8:9]
	s_xor_b64 s[66:67], exec, s[66:67]
	s_cbranch_execz .LBB155_305
; %bb.300:                              ;   in Loop: Header=BB155_161 Depth=1
	v_trig_preop_f64 v[31:32], |v[11:12]|, 0
	v_ldexp_f64 v[33:34], |v[11:12]|, s74
	v_cmp_ge_f64_e64 vcc, |v[11:12]|, s[38:39]
	v_trig_preop_f64 v[35:36], |v[11:12]|, 1
	v_and_b32_e32 v18, 0x7fffffff, v12
	v_trig_preop_f64 v[50:51], |v[11:12]|, 2
	s_mov_b32 s18, s42
	s_mov_b32 s47, s23
	v_cndmask_b32_e32 v34, v18, v34, vcc
	v_cndmask_b32_e32 v33, v11, v33, vcc
	v_mul_f64 v[37:38], v[31:32], v[33:34]
	v_mul_f64 v[39:40], v[35:36], v[33:34]
	;; [unrolled: 1-line block ×3, first 2 shown]
	v_fma_f64 v[31:32], v[31:32], v[33:34], -v[37:38]
	v_fma_f64 v[35:36], v[35:36], v[33:34], -v[39:40]
	;; [unrolled: 1-line block ×3, first 2 shown]
	v_add_f64 v[41:42], v[39:40], v[31:32]
	v_add_f64 v[52:53], v[41:42], -v[39:40]
	v_add_f64 v[58:59], v[37:38], v[41:42]
	v_add_f64 v[54:55], v[41:42], -v[52:53]
	v_add_f64 v[31:32], v[31:32], -v[52:53]
	v_add_f64 v[52:53], v[56:57], v[35:36]
	v_add_f64 v[37:38], v[58:59], -v[37:38]
	v_add_f64 v[39:40], v[39:40], -v[54:55]
	v_ldexp_f64 v[54:55], v[58:59], -2
	v_add_f64 v[60:61], v[52:53], -v[56:57]
	v_add_f64 v[37:38], v[41:42], -v[37:38]
	v_add_f64 v[31:32], v[31:32], v[39:40]
	v_fract_f64_e32 v[39:40], v[54:55]
	v_cmp_neq_f64_e64 vcc, |v[54:55]|, s[40:41]
	v_add_f64 v[35:36], v[35:36], -v[60:61]
	v_add_f64 v[41:42], v[52:53], v[31:32]
	v_ldexp_f64 v[39:40], v[39:40], 2
	v_add_f64 v[54:55], v[37:38], v[41:42]
	v_cndmask_b32_e32 v40, 0, v40, vcc
	v_cndmask_b32_e32 v39, 0, v39, vcc
	v_add_f64 v[62:63], v[41:42], -v[52:53]
	v_add_f64 v[58:59], v[54:55], v[39:40]
	v_add_f64 v[37:38], v[54:55], -v[37:38]
	v_add_f64 v[64:65], v[41:42], -v[62:63]
	;; [unrolled: 1-line block ×3, first 2 shown]
	v_cmp_gt_f64_e32 vcc, 0, v[58:59]
	v_add_f64 v[58:59], v[52:53], -v[60:61]
	v_add_f64 v[37:38], v[41:42], -v[37:38]
	;; [unrolled: 1-line block ×3, first 2 shown]
	v_cndmask_b32_e32 v18, 0, v44, vcc
	v_add_f64 v[39:40], v[39:40], v[17:18]
	v_add_f64 v[58:59], v[56:57], -v[58:59]
	v_add_f64 v[31:32], v[31:32], v[52:53]
	v_add_f64 v[66:67], v[54:55], v[39:40]
	;; [unrolled: 1-line block ×3, first 2 shown]
	v_cvt_i32_f64_e32 v62, v[66:67]
	v_add_f64 v[31:32], v[35:36], v[31:32]
	v_cvt_f64_i32_e32 v[60:61], v62
	v_add_f64 v[39:40], v[39:40], -v[60:61]
	v_add_f64 v[31:32], v[33:34], v[31:32]
	v_add_f64 v[35:36], v[54:55], v[39:40]
	;; [unrolled: 1-line block ×3, first 2 shown]
	v_add_f64 v[33:34], v[35:36], -v[39:40]
	v_cmp_le_f64_e32 vcc, 0.5, v[35:36]
	v_add_f64 v[33:34], v[54:55], -v[33:34]
	v_cndmask_b32_e32 v18, 0, v45, vcc
	v_add_f64 v[31:32], v[31:32], v[33:34]
	v_add_f64 v[33:34], v[35:36], -v[17:18]
	v_add_f64 v[35:36], v[33:34], v[31:32]
	v_mul_f64 v[37:38], v[35:36], s[18:19]
	v_add_f64 v[33:34], v[35:36], -v[33:34]
	v_fma_f64 v[39:40], v[35:36], s[18:19], -v[37:38]
	v_add_f64 v[31:32], v[31:32], -v[33:34]
	v_fma_f64 v[33:34], v[35:36], s[46:47], v[39:40]
	v_addc_co_u32_e32 v39, vcc, 0, v62, vcc
	v_fma_f64 v[33:34], v[31:32], s[18:19], v[33:34]
	v_add_f64 v[31:32], v[37:38], v[33:34]
	v_add_f64 v[35:36], v[31:32], -v[37:38]
	v_add_f64 v[33:34], v[33:34], -v[35:36]
	s_andn2_saveexec_b64 s[66:67], s[66:67]
	s_cbranch_execz .LBB155_307
	s_branch .LBB155_306
.LBB155_301:                            ;   in Loop: Header=BB155_161 Depth=1
	s_andn2_saveexec_b64 s[66:67], s[66:67]
	s_cbranch_execz .LBB155_303
.LBB155_302:                            ;   in Loop: Header=BB155_161 Depth=1
	v_mul_f64 v[31:32], |v[11:12]|, s[20:21]
	s_mov_b32 s22, s44
	v_rndne_f64_e32 v[31:32], v[31:32]
	v_fma_f64 v[33:34], v[31:32], s[42:43], |v[11:12]|
	v_mul_f64 v[35:36], v[31:32], s[44:45]
	v_cvt_i32_f64_e32 v51, v[31:32]
	v_add_f64 v[37:38], v[33:34], v[35:36]
	v_add_f64 v[39:40], v[33:34], -v[37:38]
	v_fma_f64 v[33:34], v[31:32], s[44:45], v[33:34]
	v_add_f64 v[39:40], v[39:40], v[35:36]
	v_add_f64 v[37:38], v[37:38], -v[33:34]
	v_fma_f64 v[35:36], v[31:32], s[22:23], v[35:36]
	;; [unrolled: 3-line block ×3, first 2 shown]
	v_add_f64 v[35:36], v[33:34], v[37:38]
	v_add_f64 v[33:34], v[35:36], -v[33:34]
	v_add_f64 v[41:42], v[37:38], -v[33:34]
.LBB155_303:                            ;   in Loop: Header=BB155_161 Depth=1
	s_or_b64 exec, exec, s[66:67]
                                        ; implicit-def: $vgpr50
                                        ; implicit-def: $vgpr31_vgpr32
                                        ; implicit-def: $vgpr33_vgpr34
	s_and_saveexec_b64 s[66:67], s[12:13]
	s_xor_b64 s[12:13], exec, s[66:67]
	s_cbranch_execz .LBB155_309
; %bb.304:                              ;   in Loop: Header=BB155_161 Depth=1
	v_trig_preop_f64 v[31:32], |v[11:12]|, 0
	v_ldexp_f64 v[33:34], |v[11:12]|, s74
	v_cmp_ge_f64_e64 vcc, |v[11:12]|, s[38:39]
	v_trig_preop_f64 v[37:38], |v[11:12]|, 1
	v_and_b32_e32 v18, 0x7fffffff, v12
	v_trig_preop_f64 v[56:57], |v[11:12]|, 2
	s_mov_b32 s18, s42
	s_mov_b32 s47, s23
	v_cndmask_b32_e32 v34, v18, v34, vcc
	v_cndmask_b32_e32 v33, v11, v33, vcc
	v_mul_f64 v[39:40], v[31:32], v[33:34]
	v_mul_f64 v[52:53], v[37:38], v[33:34]
	;; [unrolled: 1-line block ×3, first 2 shown]
	v_fma_f64 v[31:32], v[31:32], v[33:34], -v[39:40]
	v_fma_f64 v[37:38], v[37:38], v[33:34], -v[52:53]
	;; [unrolled: 1-line block ×3, first 2 shown]
	v_add_f64 v[54:55], v[52:53], v[31:32]
	v_add_f64 v[58:59], v[54:55], -v[52:53]
	v_add_f64 v[64:65], v[39:40], v[54:55]
	v_add_f64 v[60:61], v[54:55], -v[58:59]
	v_add_f64 v[31:32], v[31:32], -v[58:59]
	v_add_f64 v[58:59], v[62:63], v[37:38]
	v_add_f64 v[39:40], v[64:65], -v[39:40]
	v_add_f64 v[52:53], v[52:53], -v[60:61]
	v_ldexp_f64 v[60:61], v[64:65], -2
	v_add_f64 v[66:67], v[58:59], -v[62:63]
	v_add_f64 v[39:40], v[54:55], -v[39:40]
	v_add_f64 v[31:32], v[31:32], v[52:53]
	v_fract_f64_e32 v[52:53], v[60:61]
	v_cmp_neq_f64_e64 vcc, |v[60:61]|, s[40:41]
	v_add_f64 v[37:38], v[37:38], -v[66:67]
	v_add_f64 v[54:55], v[58:59], v[31:32]
	v_ldexp_f64 v[52:53], v[52:53], 2
	v_add_f64 v[60:61], v[39:40], v[54:55]
	v_cndmask_b32_e32 v53, 0, v53, vcc
	v_cndmask_b32_e32 v52, 0, v52, vcc
	v_add_f64 v[68:69], v[54:55], -v[58:59]
	v_add_f64 v[64:65], v[60:61], v[52:53]
	v_add_f64 v[39:40], v[60:61], -v[39:40]
	v_add_f64 v[70:71], v[54:55], -v[68:69]
	;; [unrolled: 1-line block ×3, first 2 shown]
	v_cmp_gt_f64_e32 vcc, 0, v[64:65]
	v_add_f64 v[64:65], v[58:59], -v[66:67]
	v_add_f64 v[39:40], v[54:55], -v[39:40]
	;; [unrolled: 1-line block ×3, first 2 shown]
	v_cndmask_b32_e32 v18, 0, v44, vcc
	v_add_f64 v[52:53], v[52:53], v[17:18]
	v_add_f64 v[64:65], v[62:63], -v[64:65]
	v_add_f64 v[31:32], v[31:32], v[58:59]
	v_add_f64 v[72:73], v[60:61], v[52:53]
	;; [unrolled: 1-line block ×3, first 2 shown]
	v_cvt_i32_f64_e32 v50, v[72:73]
	v_add_f64 v[31:32], v[37:38], v[31:32]
	v_cvt_f64_i32_e32 v[66:67], v50
	v_add_f64 v[52:53], v[52:53], -v[66:67]
	v_add_f64 v[31:32], v[33:34], v[31:32]
	v_add_f64 v[37:38], v[60:61], v[52:53]
	;; [unrolled: 1-line block ×3, first 2 shown]
	v_add_f64 v[33:34], v[37:38], -v[52:53]
	v_cmp_le_f64_e32 vcc, 0.5, v[37:38]
	v_add_f64 v[33:34], v[60:61], -v[33:34]
	v_cndmask_b32_e32 v18, 0, v45, vcc
	v_addc_co_u32_e32 v50, vcc, 0, v50, vcc
	v_add_f64 v[31:32], v[31:32], v[33:34]
	v_add_f64 v[33:34], v[37:38], -v[17:18]
	v_add_f64 v[37:38], v[33:34], v[31:32]
	v_mul_f64 v[39:40], v[37:38], s[18:19]
	v_add_f64 v[33:34], v[37:38], -v[33:34]
	v_fma_f64 v[52:53], v[37:38], s[18:19], -v[39:40]
	v_add_f64 v[31:32], v[31:32], -v[33:34]
	v_fma_f64 v[33:34], v[37:38], s[46:47], v[52:53]
	v_fma_f64 v[33:34], v[31:32], s[18:19], v[33:34]
	v_add_f64 v[31:32], v[39:40], v[33:34]
	v_add_f64 v[37:38], v[31:32], -v[39:40]
	v_add_f64 v[33:34], v[33:34], -v[37:38]
	s_andn2_saveexec_b64 s[12:13], s[12:13]
	s_cbranch_execnz .LBB155_310
	s_branch .LBB155_311
.LBB155_305:                            ;   in Loop: Header=BB155_161 Depth=1
	s_andn2_saveexec_b64 s[66:67], s[66:67]
	s_cbranch_execz .LBB155_307
.LBB155_306:                            ;   in Loop: Header=BB155_161 Depth=1
	v_mul_f64 v[31:32], |v[11:12]|, s[20:21]
	s_mov_b32 s22, s44
	v_rndne_f64_e32 v[35:36], v[31:32]
	v_fma_f64 v[31:32], v[35:36], s[42:43], |v[11:12]|
	v_mul_f64 v[33:34], v[35:36], s[44:45]
	v_fma_f64 v[41:42], v[35:36], s[44:45], v[31:32]
	v_add_f64 v[37:38], v[31:32], v[33:34]
	v_add_f64 v[39:40], v[31:32], -v[37:38]
	v_add_f64 v[37:38], v[37:38], -v[41:42]
	v_add_f64 v[31:32], v[39:40], v[33:34]
	v_fma_f64 v[33:34], v[35:36], s[22:23], v[33:34]
	v_cvt_i32_f64_e32 v39, v[35:36]
	v_add_f64 v[31:32], v[37:38], v[31:32]
	v_add_f64 v[31:32], v[31:32], -v[33:34]
	v_fma_f64 v[33:34], v[35:36], s[24:25], v[31:32]
	v_add_f64 v[31:32], v[41:42], v[33:34]
	v_add_f64 v[37:38], v[31:32], -v[41:42]
	v_add_f64 v[33:34], v[33:34], -v[37:38]
.LBB155_307:                            ;   in Loop: Header=BB155_161 Depth=1
	s_or_b64 exec, exec, s[66:67]
                                        ; implicit-def: $vgpr18
                                        ; implicit-def: $vgpr35_vgpr36
                                        ; implicit-def: $vgpr37_vgpr38
	s_and_saveexec_b64 s[66:67], s[8:9]
	s_xor_b64 s[8:9], exec, s[66:67]
	s_cbranch_execz .LBB155_320
; %bb.308:                              ;   in Loop: Header=BB155_161 Depth=1
	v_trig_preop_f64 v[35:36], |v[11:12]|, 0
	v_ldexp_f64 v[37:38], |v[11:12]|, s74
	v_cmp_ge_f64_e64 vcc, |v[11:12]|, s[38:39]
	v_trig_preop_f64 v[40:41], |v[11:12]|, 1
	v_and_b32_e32 v18, 0x7fffffff, v12
	v_trig_preop_f64 v[56:57], |v[11:12]|, 2
	s_mov_b32 s18, s42
	s_mov_b32 s47, s23
	v_cndmask_b32_e32 v38, v18, v38, vcc
	v_cndmask_b32_e32 v37, v11, v37, vcc
	v_mul_f64 v[50:51], v[35:36], v[37:38]
	v_mul_f64 v[52:53], v[40:41], v[37:38]
	;; [unrolled: 1-line block ×3, first 2 shown]
	v_fma_f64 v[35:36], v[35:36], v[37:38], -v[50:51]
	v_fma_f64 v[40:41], v[40:41], v[37:38], -v[52:53]
	;; [unrolled: 1-line block ×3, first 2 shown]
	v_add_f64 v[54:55], v[52:53], v[35:36]
	v_add_f64 v[58:59], v[54:55], -v[52:53]
	v_add_f64 v[64:65], v[50:51], v[54:55]
	v_add_f64 v[60:61], v[54:55], -v[58:59]
	v_add_f64 v[35:36], v[35:36], -v[58:59]
	v_add_f64 v[58:59], v[62:63], v[40:41]
	v_add_f64 v[50:51], v[64:65], -v[50:51]
	v_add_f64 v[52:53], v[52:53], -v[60:61]
	v_ldexp_f64 v[60:61], v[64:65], -2
	v_add_f64 v[66:67], v[58:59], -v[62:63]
	v_add_f64 v[50:51], v[54:55], -v[50:51]
	v_add_f64 v[35:36], v[35:36], v[52:53]
	v_fract_f64_e32 v[52:53], v[60:61]
	v_cmp_neq_f64_e64 vcc, |v[60:61]|, s[40:41]
	v_add_f64 v[40:41], v[40:41], -v[66:67]
	v_add_f64 v[54:55], v[58:59], v[35:36]
	v_ldexp_f64 v[52:53], v[52:53], 2
	v_add_f64 v[60:61], v[50:51], v[54:55]
	v_cndmask_b32_e32 v53, 0, v53, vcc
	v_cndmask_b32_e32 v52, 0, v52, vcc
	v_add_f64 v[68:69], v[54:55], -v[58:59]
	v_add_f64 v[64:65], v[60:61], v[52:53]
	v_add_f64 v[50:51], v[60:61], -v[50:51]
	v_add_f64 v[70:71], v[54:55], -v[68:69]
	;; [unrolled: 1-line block ×3, first 2 shown]
	v_cmp_gt_f64_e32 vcc, 0, v[64:65]
	v_add_f64 v[64:65], v[58:59], -v[66:67]
	v_add_f64 v[50:51], v[54:55], -v[50:51]
	;; [unrolled: 1-line block ×3, first 2 shown]
	v_cndmask_b32_e32 v18, 0, v44, vcc
	v_add_f64 v[52:53], v[52:53], v[17:18]
	v_add_f64 v[64:65], v[62:63], -v[64:65]
	v_add_f64 v[35:36], v[35:36], v[58:59]
	v_add_f64 v[72:73], v[60:61], v[52:53]
	;; [unrolled: 1-line block ×3, first 2 shown]
	v_cvt_i32_f64_e32 v42, v[72:73]
	v_add_f64 v[35:36], v[40:41], v[35:36]
	v_cvt_f64_i32_e32 v[66:67], v42
	v_add_f64 v[52:53], v[52:53], -v[66:67]
	v_add_f64 v[35:36], v[37:38], v[35:36]
	v_add_f64 v[40:41], v[60:61], v[52:53]
	;; [unrolled: 1-line block ×3, first 2 shown]
	v_add_f64 v[37:38], v[40:41], -v[52:53]
	v_cmp_le_f64_e32 vcc, 0.5, v[40:41]
	v_add_f64 v[37:38], v[60:61], -v[37:38]
	v_cndmask_b32_e32 v18, 0, v45, vcc
	v_add_f64 v[35:36], v[35:36], v[37:38]
	v_add_f64 v[37:38], v[40:41], -v[17:18]
	v_addc_co_u32_e32 v18, vcc, 0, v42, vcc
	v_add_f64 v[40:41], v[37:38], v[35:36]
	v_mul_f64 v[50:51], v[40:41], s[18:19]
	v_add_f64 v[37:38], v[40:41], -v[37:38]
	v_fma_f64 v[52:53], v[40:41], s[18:19], -v[50:51]
	v_add_f64 v[35:36], v[35:36], -v[37:38]
	v_fma_f64 v[37:38], v[40:41], s[46:47], v[52:53]
	v_fma_f64 v[37:38], v[35:36], s[18:19], v[37:38]
	v_add_f64 v[35:36], v[50:51], v[37:38]
	v_add_f64 v[40:41], v[35:36], -v[50:51]
	v_add_f64 v[37:38], v[37:38], -v[40:41]
	s_andn2_saveexec_b64 s[8:9], s[8:9]
	s_cbranch_execnz .LBB155_321
	s_branch .LBB155_322
.LBB155_309:                            ;   in Loop: Header=BB155_161 Depth=1
	s_andn2_saveexec_b64 s[12:13], s[12:13]
	s_cbranch_execz .LBB155_311
.LBB155_310:                            ;   in Loop: Header=BB155_161 Depth=1
	v_mul_f64 v[31:32], |v[11:12]|, s[20:21]
	s_mov_b32 s22, s44
	v_rndne_f64_e32 v[37:38], v[31:32]
	v_fma_f64 v[31:32], v[37:38], s[42:43], |v[11:12]|
	v_mul_f64 v[33:34], v[37:38], s[44:45]
	v_cvt_i32_f64_e32 v50, v[37:38]
	v_fma_f64 v[54:55], v[37:38], s[44:45], v[31:32]
	v_add_f64 v[39:40], v[31:32], v[33:34]
	v_add_f64 v[52:53], v[31:32], -v[39:40]
	v_add_f64 v[39:40], v[39:40], -v[54:55]
	v_add_f64 v[31:32], v[52:53], v[33:34]
	v_fma_f64 v[33:34], v[37:38], s[22:23], v[33:34]
	v_add_f64 v[31:32], v[39:40], v[31:32]
	v_add_f64 v[31:32], v[31:32], -v[33:34]
	v_fma_f64 v[33:34], v[37:38], s[24:25], v[31:32]
	v_add_f64 v[31:32], v[54:55], v[33:34]
	v_add_f64 v[39:40], v[31:32], -v[54:55]
	v_add_f64 v[33:34], v[33:34], -v[39:40]
.LBB155_311:                            ;   in Loop: Header=BB155_161 Depth=1
	s_or_b64 exec, exec, s[12:13]
	v_mul_f64 v[52:53], v[35:36], v[35:36]
	v_mul_f64 v[60:61], v[41:42], 0.5
	s_mov_b32 s60, s76
	v_and_b32_e32 v11, 1, v51
	v_cmp_eq_u32_e32 vcc, 0, v11
	s_mov_b32 s12, 0x3b39803f
	s_mov_b32 s13, 0xbc7abc9e
	;; [unrolled: 1-line block ×3, first 2 shown]
	v_mul_f64 v[37:38], v[52:53], 0.5
	v_mul_f64 v[56:57], v[52:53], v[52:53]
	s_mov_b32 s89, s77
	v_add_f64 v[54:55], -v[37:38], 1.0
	v_add_f64 v[39:40], -v[54:55], 1.0
	v_add_f64 v[37:38], v[39:40], -v[37:38]
	v_mov_b32_e32 v39, s78
	v_mov_b32_e32 v40, s79
	v_fma_f64 v[58:59], v[52:53], s[80:81], v[39:40]
	v_fma_f64 v[37:38], v[35:36], -v[41:42], v[37:38]
	v_fma_f64 v[58:59], v[52:53], v[58:59], s[82:83]
	v_fma_f64 v[58:59], v[52:53], v[58:59], s[84:85]
	;; [unrolled: 1-line block ×5, first 2 shown]
	v_mul_f64 v[58:59], v[35:36], -v[52:53]
	v_add_f64 v[54:55], v[54:55], v[37:38]
	v_mov_b32_e32 v37, s90
	v_mov_b32_e32 v38, s91
	v_fma_f64 v[56:57], v[52:53], s[92:93], v[37:38]
	v_fma_f64 v[56:57], v[52:53], v[56:57], s[94:95]
	;; [unrolled: 1-line block ×5, first 2 shown]
	v_fma_f64 v[41:42], v[52:53], v[56:57], -v[41:42]
	v_fma_f64 v[41:42], v[58:59], s[60:61], v[41:42]
	v_add_f64 v[35:36], v[35:36], -v[41:42]
	v_cndmask_b32_e32 v11, v54, v35, vcc
	v_lshlrev_b32_e32 v35, 30, v51
	v_cndmask_b32_e32 v18, v55, v36, vcc
	v_xor_b32_e32 v12, v35, v12
	v_mul_f64 v[35:36], |v[9:10]|, s[50:51]
	v_and_b32_e32 v12, 0x80000000, v12
	v_xor_b32_e32 v12, v18, v12
	v_mul_f64 v[11:12], v[11:12], 4.0
	v_rndne_f64_e32 v[35:36], v[35:36]
	v_fma_f64 v[41:42], v[35:36], s[52:53], -|v[9:10]|
	v_cvt_i32_f64_e32 v18, v[35:36]
	v_fma_f64 v[41:42], v[35:36], s[12:13], v[41:42]
	s_mov_b32 s12, 0x6a5dcb37
	s_mov_b32 s13, 0x3e5ade15
	v_fma_f64 v[51:52], v[41:42], s[12:13], v[21:22]
	s_mov_b32 s12, 0x623fde64
	s_mov_b32 s13, 0x3ec71dee
	;; [unrolled: 3-line block ×6, first 2 shown]
	v_fma_f64 v[51:52], v[41:42], v[51:52], s[28:29]
	v_fma_f64 v[51:52], v[41:42], v[51:52], s[88:89]
	;; [unrolled: 1-line block ×3, first 2 shown]
	s_mov_b32 s12, 11
	s_mov_b32 s13, 0x3fe00000
	v_fma_f64 v[51:52], v[41:42], v[51:52], s[12:13]
	s_mov_b32 s12, 0
	s_mov_b32 s13, 0x4090cc00
	v_cmp_ngt_f64_e64 vcc, |v[9:10]|, s[12:13]
	v_fma_f64 v[51:52], v[41:42], v[51:52], 1.0
	v_fma_f64 v[41:42], v[41:42], v[51:52], 1.0
	v_ldexp_f64 v[35:36], v[41:42], v18
	v_mul_f64 v[41:42], v[31:32], v[31:32]
	v_bfi_b32 v18, s70, v45, v10
	v_cndmask_b32_e32 v36, 0, v36, vcc
	v_mul_f64 v[9:10], v[41:42], 0.5
	v_fma_f64 v[39:40], v[41:42], s[80:81], v[39:40]
	v_fma_f64 v[37:38], v[41:42], s[92:93], v[37:38]
	v_cndmask_b32_e32 v35, 0, v35, vcc
	v_add_f64 v[51:52], -v[9:10], 1.0
	v_fma_f64 v[39:40], v[41:42], v[39:40], s[82:83]
	v_fma_f64 v[37:38], v[41:42], v[37:38], s[94:95]
	v_add_f64 v[53:54], -v[51:52], 1.0
	v_fma_f64 v[39:40], v[41:42], v[39:40], s[84:85]
	v_fma_f64 v[37:38], v[41:42], v[37:38], s[26:27]
	v_add_f64 v[9:10], v[53:54], -v[9:10]
	v_fma_f64 v[39:40], v[41:42], v[39:40], s[86:87]
	v_mul_f64 v[53:54], v[41:42], v[41:42]
	v_fma_f64 v[37:38], v[41:42], v[37:38], s[58:59]
	v_fma_f64 v[9:10], v[31:32], -v[33:34], v[9:10]
	v_fma_f64 v[39:40], v[41:42], v[39:40], s[76:77]
	v_fma_f64 v[9:10], v[53:54], v[39:40], v[9:10]
	v_mul_f64 v[39:40], v[31:32], -v[41:42]
	v_add_f64 v[9:10], v[51:52], v[9:10]
	v_mul_f64 v[51:52], v[33:34], 0.5
	v_fma_f64 v[37:38], v[39:40], v[37:38], v[51:52]
	v_fma_f64 v[33:34], v[41:42], v[37:38], -v[33:34]
	v_fma_f64 v[33:34], v[39:40], s[60:61], v[33:34]
	v_add_f64 v[31:32], v[31:32], -v[33:34]
	v_and_b32_e32 v33, 1, v50
	v_cmp_eq_u32_e32 vcc, 0, v33
	v_xor_b32_e32 v32, 0x80000000, v32
	v_cndmask_b32_e32 v9, v31, v9, vcc
	v_lshlrev_b32_e32 v31, 30, v50
	v_cndmask_b32_e32 v10, v32, v10, vcc
	v_and_b32_e32 v31, 0x80000000, v31
	v_xor_b32_e32 v10, v10, v31
	v_mul_f64 v[9:10], v[11:12], v[9:10]
	v_mul_f64 v[9:10], v[35:36], v[9:10]
	;; [unrolled: 1-line block ×3, first 2 shown]
	v_mov_b32_e32 v9, v17
	v_mov_b32_e32 v10, v18
.LBB155_312:                            ;   in Loop: Header=BB155_161 Depth=1
	s_or_b64 exec, exec, s[8:9]
.LBB155_313:                            ;   in Loop: Header=BB155_161 Depth=1
	s_andn2_saveexec_b64 s[8:9], s[10:11]
	s_cbranch_execz .LBB155_315
; %bb.314:                              ;   in Loop: Header=BB155_161 Depth=1
	v_add_f64 v[11:12], v[11:12], -v[11:12]
	v_mov_b32_e32 v9, v11
	v_mov_b32_e32 v10, v12
.LBB155_315:                            ;   in Loop: Header=BB155_161 Depth=1
	s_or_b64 exec, exec, s[8:9]
	s_andn2_saveexec_b64 s[10:11], s[56:57]
	s_cbranch_execnz .LBB155_295
.LBB155_316:                            ;   in Loop: Header=BB155_161 Depth=1
	s_or_b64 exec, exec, s[10:11]
	s_and_saveexec_b64 s[8:9], s[0:1]
	s_xor_b64 s[0:1], exec, s[8:9]
	s_cbranch_execz .LBB155_325
.LBB155_317:                            ;   in Loop: Header=BB155_161 Depth=1
	v_lshlrev_b64 v[23:24], 4, v[23:24]
	v_mov_b32_e32 v18, s65
	v_add_co_u32_e32 v23, vcc, s64, v23
	v_addc_co_u32_e32 v24, vcc, v18, v24, vcc
	global_store_dwordx4 v[23:24], v[5:8], off
	s_or_b64 exec, exec, s[0:1]
	s_and_saveexec_b64 s[0:1], s[2:3]
	s_cbranch_execnz .LBB155_326
.LBB155_318:                            ;   in Loop: Header=BB155_161 Depth=1
	s_or_b64 exec, exec, s[0:1]
	s_and_saveexec_b64 s[0:1], s[4:5]
	s_cbranch_execz .LBB155_327
.LBB155_319:                            ;   in Loop: Header=BB155_161 Depth=1
	v_lshlrev_b64 v[1:2], 4, v[27:28]
	v_mov_b32_e32 v3, s65
	v_add_co_u32_e32 v1, vcc, s64, v1
	v_addc_co_u32_e32 v2, vcc, v3, v2, vcc
	global_store_dwordx4 v[1:2], v[13:16], off
	s_or_b64 exec, exec, s[0:1]
	s_and_saveexec_b64 s[0:1], s[6:7]
	s_cbranch_execz .LBB155_160
	s_branch .LBB155_328
.LBB155_320:                            ;   in Loop: Header=BB155_161 Depth=1
	s_andn2_saveexec_b64 s[8:9], s[8:9]
	s_cbranch_execz .LBB155_322
.LBB155_321:                            ;   in Loop: Header=BB155_161 Depth=1
	v_mul_f64 v[35:36], |v[11:12]|, s[20:21]
	s_mov_b32 s22, s44
	v_rndne_f64_e32 v[40:41], v[35:36]
	v_fma_f64 v[35:36], v[40:41], s[42:43], |v[11:12]|
	v_mul_f64 v[37:38], v[40:41], s[44:45]
	v_cvt_i32_f64_e32 v18, v[40:41]
	v_fma_f64 v[54:55], v[40:41], s[44:45], v[35:36]
	v_add_f64 v[50:51], v[35:36], v[37:38]
	v_add_f64 v[52:53], v[35:36], -v[50:51]
	v_add_f64 v[50:51], v[50:51], -v[54:55]
	v_add_f64 v[35:36], v[52:53], v[37:38]
	v_fma_f64 v[37:38], v[40:41], s[22:23], v[37:38]
	v_add_f64 v[35:36], v[50:51], v[35:36]
	v_add_f64 v[35:36], v[35:36], -v[37:38]
	v_fma_f64 v[37:38], v[40:41], s[24:25], v[35:36]
	v_add_f64 v[35:36], v[54:55], v[37:38]
	v_add_f64 v[50:51], v[35:36], -v[54:55]
	v_add_f64 v[37:38], v[37:38], -v[50:51]
.LBB155_322:                            ;   in Loop: Header=BB155_161 Depth=1
	s_or_b64 exec, exec, s[8:9]
	v_mul_f64 v[40:41], v[31:32], v[31:32]
	v_mul_f64 v[50:51], v[35:36], v[35:36]
	v_mov_b32_e32 v52, s90
	v_mov_b32_e32 v53, s91
	;; [unrolled: 1-line block ×4, first 2 shown]
	v_mul_f64 v[66:67], v[33:34], 0.5
	v_mul_f64 v[74:75], v[37:38], 0.5
	v_fma_f64 v[54:55], v[40:41], s[92:93], v[52:53]
	v_fma_f64 v[52:53], v[50:51], s[92:93], v[52:53]
	;; [unrolled: 1-line block ×3, first 2 shown]
	v_mul_f64 v[60:61], v[40:41], 0.5
	v_fma_f64 v[56:57], v[50:51], s[80:81], v[56:57]
	v_mul_f64 v[62:63], v[50:51], 0.5
	v_mul_f64 v[68:69], v[31:32], -v[40:41]
	v_mul_f64 v[76:77], v[35:36], -v[50:51]
	v_fma_f64 v[54:55], v[40:41], v[54:55], s[94:95]
	v_fma_f64 v[52:53], v[50:51], v[52:53], s[94:95]
	;; [unrolled: 1-line block ×3, first 2 shown]
	v_add_f64 v[64:65], -v[60:61], 1.0
	v_fma_f64 v[56:57], v[50:51], v[56:57], s[82:83]
	v_add_f64 v[70:71], -v[62:63], 1.0
	s_mov_b32 s60, s76
	v_and_b32_e32 v42, 1, v39
	v_fma_f64 v[54:55], v[40:41], v[54:55], s[26:27]
	v_fma_f64 v[52:53], v[50:51], v[52:53], s[26:27]
	;; [unrolled: 1-line block ×3, first 2 shown]
	v_add_f64 v[72:73], -v[64:65], 1.0
	v_fma_f64 v[56:57], v[50:51], v[56:57], s[84:85]
	v_add_f64 v[78:79], -v[70:71], 1.0
	v_cmp_class_f64_e64 s[8:9], v[11:12], s72
	v_cmp_eq_u32_e32 vcc, 0, v42
	v_fma_f64 v[54:55], v[40:41], v[54:55], s[58:59]
	v_fma_f64 v[52:53], v[50:51], v[52:53], s[58:59]
	;; [unrolled: 1-line block ×3, first 2 shown]
	v_add_f64 v[60:61], v[72:73], -v[60:61]
	v_fma_f64 v[56:57], v[50:51], v[56:57], s[86:87]
	v_add_f64 v[62:63], v[78:79], -v[62:63]
	v_fma_f64 v[54:55], v[68:69], v[54:55], v[66:67]
	v_fma_f64 v[52:53], v[76:77], v[52:53], v[74:75]
	v_mul_f64 v[66:67], v[40:41], v[40:41]
	v_fma_f64 v[58:59], v[40:41], v[58:59], s[76:77]
	v_fma_f64 v[60:61], v[31:32], -v[33:34], v[60:61]
	v_fma_f64 v[33:34], v[40:41], v[54:55], -v[33:34]
	v_fma_f64 v[52:53], v[50:51], v[52:53], -v[37:38]
	v_mul_f64 v[40:41], v[50:51], v[50:51]
	v_fma_f64 v[50:51], v[50:51], v[56:57], s[76:77]
	v_fma_f64 v[37:38], v[35:36], -v[37:38], v[62:63]
	v_fma_f64 v[54:55], v[66:67], v[58:59], v[60:61]
	v_lshlrev_b32_e32 v56, 30, v39
	v_fma_f64 v[33:34], v[68:69], s[60:61], v[33:34]
	v_fma_f64 v[52:53], v[76:77], s[60:61], v[52:53]
	;; [unrolled: 1-line block ×3, first 2 shown]
	v_add_f64 v[39:40], v[64:65], v[54:55]
	v_and_b32_e32 v41, 1, v18
	v_lshlrev_b32_e32 v18, 30, v18
	v_add_f64 v[31:32], v[31:32], -v[33:34]
	v_add_f64 v[33:34], v[35:36], -v[52:53]
	v_xor_b32_e32 v50, v56, v12
	v_and_b32_e32 v18, 0x80000000, v18
	v_add_f64 v[35:36], v[70:71], v[37:38]
	v_and_b32_e32 v37, 0x80000000, v50
	v_cndmask_b32_e32 v31, v39, v31, vcc
	v_cndmask_b32_e32 v11, v40, v32, vcc
	v_xor_b32_e32 v12, 0x80000000, v34
	v_cmp_eq_u32_e32 vcc, 0, v41
	v_cndmask_b32_e32 v12, v12, v36, vcc
	v_cndmask_b32_e32 v32, v33, v35, vcc
	v_xor_b32_e32 v33, v11, v37
	v_xor_b32_e32 v18, v12, v18
	v_cndmask_b32_e64 v11, 0, v31, s[8:9]
	v_cndmask_b32_e64 v12, v49, v33, s[8:9]
	;; [unrolled: 1-line block ×4, first 2 shown]
	v_mul_f64 v[11:12], v[11:12], v[31:32]
.LBB155_323:                            ;   in Loop: Header=BB155_161 Depth=1
	s_or_b64 exec, exec, s[56:57]
	v_bfi_b32 v18, s70, 0, v12
	v_mov_b32_e32 v11, v17
	v_add_u32_e32 v10, -2.0, v10
	v_mov_b32_e32 v12, v18
.LBB155_324:                            ;   in Loop: Header=BB155_161 Depth=1
	s_or_b64 exec, exec, s[12:13]
	s_or_b64 exec, exec, s[10:11]
	s_and_saveexec_b64 s[8:9], s[0:1]
	s_xor_b64 s[0:1], exec, s[8:9]
	s_cbranch_execnz .LBB155_317
.LBB155_325:                            ;   in Loop: Header=BB155_161 Depth=1
	s_or_b64 exec, exec, s[0:1]
	s_and_saveexec_b64 s[0:1], s[2:3]
	s_cbranch_execz .LBB155_318
.LBB155_326:                            ;   in Loop: Header=BB155_161 Depth=1
	v_lshlrev_b64 v[5:6], 4, v[25:26]
	v_mov_b32_e32 v7, s65
	v_add_co_u32_e32 v5, vcc, s64, v5
	v_addc_co_u32_e32 v6, vcc, v7, v6, vcc
	global_store_dwordx4 v[5:6], v[1:4], off
	s_or_b64 exec, exec, s[0:1]
	s_and_saveexec_b64 s[0:1], s[4:5]
	s_cbranch_execnz .LBB155_319
.LBB155_327:                            ;   in Loop: Header=BB155_161 Depth=1
	s_or_b64 exec, exec, s[0:1]
	s_and_saveexec_b64 s[0:1], s[6:7]
	s_cbranch_execz .LBB155_160
.LBB155_328:                            ;   in Loop: Header=BB155_161 Depth=1
	v_lshlrev_b64 v[1:2], 4, v[29:30]
	v_mov_b32_e32 v3, s65
	v_add_co_u32_e32 v1, vcc, s64, v1
	v_addc_co_u32_e32 v2, vcc, v3, v2, vcc
	global_store_dwordx4 v[1:2], v[9:12], off
	s_branch .LBB155_160
.LBB155_329:
	s_endpgm
	.section	.rodata,"a",@progbits
	.p2align	6, 0x0
	.amdhsa_kernel _ZN2at6native12_GLOBAL__N_125multi_tensor_apply_kernelINS1_18TensorListMetadataILi2EEENS1_14UnaryOpFunctorIN3c107complexIdEELi2ELi1ELi1EEEJNS0_4TanhIS8_EEEEEvT_T0_DpT1_
		.amdhsa_group_segment_fixed_size 0
		.amdhsa_private_segment_fixed_size 0
		.amdhsa_kernarg_size 3408
		.amdhsa_user_sgpr_count 6
		.amdhsa_user_sgpr_private_segment_buffer 1
		.amdhsa_user_sgpr_dispatch_ptr 0
		.amdhsa_user_sgpr_queue_ptr 0
		.amdhsa_user_sgpr_kernarg_segment_ptr 1
		.amdhsa_user_sgpr_dispatch_id 0
		.amdhsa_user_sgpr_flat_scratch_init 0
		.amdhsa_user_sgpr_private_segment_size 0
		.amdhsa_uses_dynamic_stack 0
		.amdhsa_system_sgpr_private_segment_wavefront_offset 0
		.amdhsa_system_sgpr_workgroup_id_x 1
		.amdhsa_system_sgpr_workgroup_id_y 0
		.amdhsa_system_sgpr_workgroup_id_z 0
		.amdhsa_system_sgpr_workgroup_info 0
		.amdhsa_system_vgpr_workitem_id 0
		.amdhsa_next_free_vgpr 82
		.amdhsa_next_free_sgpr 96
		.amdhsa_reserve_vcc 1
		.amdhsa_reserve_flat_scratch 0
		.amdhsa_float_round_mode_32 0
		.amdhsa_float_round_mode_16_64 0
		.amdhsa_float_denorm_mode_32 3
		.amdhsa_float_denorm_mode_16_64 3
		.amdhsa_dx10_clamp 1
		.amdhsa_ieee_mode 1
		.amdhsa_fp16_overflow 0
		.amdhsa_exception_fp_ieee_invalid_op 0
		.amdhsa_exception_fp_denorm_src 0
		.amdhsa_exception_fp_ieee_div_zero 0
		.amdhsa_exception_fp_ieee_overflow 0
		.amdhsa_exception_fp_ieee_underflow 0
		.amdhsa_exception_fp_ieee_inexact 0
		.amdhsa_exception_int_div_zero 0
	.end_amdhsa_kernel
	.section	.text._ZN2at6native12_GLOBAL__N_125multi_tensor_apply_kernelINS1_18TensorListMetadataILi2EEENS1_14UnaryOpFunctorIN3c107complexIdEELi2ELi1ELi1EEEJNS0_4TanhIS8_EEEEEvT_T0_DpT1_,"axG",@progbits,_ZN2at6native12_GLOBAL__N_125multi_tensor_apply_kernelINS1_18TensorListMetadataILi2EEENS1_14UnaryOpFunctorIN3c107complexIdEELi2ELi1ELi1EEEJNS0_4TanhIS8_EEEEEvT_T0_DpT1_,comdat
.Lfunc_end155:
	.size	_ZN2at6native12_GLOBAL__N_125multi_tensor_apply_kernelINS1_18TensorListMetadataILi2EEENS1_14UnaryOpFunctorIN3c107complexIdEELi2ELi1ELi1EEEJNS0_4TanhIS8_EEEEEvT_T0_DpT1_, .Lfunc_end155-_ZN2at6native12_GLOBAL__N_125multi_tensor_apply_kernelINS1_18TensorListMetadataILi2EEENS1_14UnaryOpFunctorIN3c107complexIdEELi2ELi1ELi1EEEJNS0_4TanhIS8_EEEEEvT_T0_DpT1_
                                        ; -- End function
	.set _ZN2at6native12_GLOBAL__N_125multi_tensor_apply_kernelINS1_18TensorListMetadataILi2EEENS1_14UnaryOpFunctorIN3c107complexIdEELi2ELi1ELi1EEEJNS0_4TanhIS8_EEEEEvT_T0_DpT1_.num_vgpr, 82
	.set _ZN2at6native12_GLOBAL__N_125multi_tensor_apply_kernelINS1_18TensorListMetadataILi2EEENS1_14UnaryOpFunctorIN3c107complexIdEELi2ELi1ELi1EEEJNS0_4TanhIS8_EEEEEvT_T0_DpT1_.num_agpr, 0
	.set _ZN2at6native12_GLOBAL__N_125multi_tensor_apply_kernelINS1_18TensorListMetadataILi2EEENS1_14UnaryOpFunctorIN3c107complexIdEELi2ELi1ELi1EEEJNS0_4TanhIS8_EEEEEvT_T0_DpT1_.numbered_sgpr, 96
	.set _ZN2at6native12_GLOBAL__N_125multi_tensor_apply_kernelINS1_18TensorListMetadataILi2EEENS1_14UnaryOpFunctorIN3c107complexIdEELi2ELi1ELi1EEEJNS0_4TanhIS8_EEEEEvT_T0_DpT1_.num_named_barrier, 0
	.set _ZN2at6native12_GLOBAL__N_125multi_tensor_apply_kernelINS1_18TensorListMetadataILi2EEENS1_14UnaryOpFunctorIN3c107complexIdEELi2ELi1ELi1EEEJNS0_4TanhIS8_EEEEEvT_T0_DpT1_.private_seg_size, 0
	.set _ZN2at6native12_GLOBAL__N_125multi_tensor_apply_kernelINS1_18TensorListMetadataILi2EEENS1_14UnaryOpFunctorIN3c107complexIdEELi2ELi1ELi1EEEJNS0_4TanhIS8_EEEEEvT_T0_DpT1_.uses_vcc, 1
	.set _ZN2at6native12_GLOBAL__N_125multi_tensor_apply_kernelINS1_18TensorListMetadataILi2EEENS1_14UnaryOpFunctorIN3c107complexIdEELi2ELi1ELi1EEEJNS0_4TanhIS8_EEEEEvT_T0_DpT1_.uses_flat_scratch, 0
	.set _ZN2at6native12_GLOBAL__N_125multi_tensor_apply_kernelINS1_18TensorListMetadataILi2EEENS1_14UnaryOpFunctorIN3c107complexIdEELi2ELi1ELi1EEEJNS0_4TanhIS8_EEEEEvT_T0_DpT1_.has_dyn_sized_stack, 0
	.set _ZN2at6native12_GLOBAL__N_125multi_tensor_apply_kernelINS1_18TensorListMetadataILi2EEENS1_14UnaryOpFunctorIN3c107complexIdEELi2ELi1ELi1EEEJNS0_4TanhIS8_EEEEEvT_T0_DpT1_.has_recursion, 0
	.set _ZN2at6native12_GLOBAL__N_125multi_tensor_apply_kernelINS1_18TensorListMetadataILi2EEENS1_14UnaryOpFunctorIN3c107complexIdEELi2ELi1ELi1EEEJNS0_4TanhIS8_EEEEEvT_T0_DpT1_.has_indirect_call, 0
	.section	.AMDGPU.csdata,"",@progbits
; Kernel info:
; codeLenInByte = 60224
; TotalNumSgprs: 100
; NumVgprs: 82
; ScratchSize: 0
; MemoryBound: 1
; FloatMode: 240
; IeeeMode: 1
; LDSByteSize: 0 bytes/workgroup (compile time only)
; SGPRBlocks: 12
; VGPRBlocks: 20
; NumSGPRsForWavesPerEU: 100
; NumVGPRsForWavesPerEU: 82
; Occupancy: 3
; WaveLimiterHint : 0
; COMPUTE_PGM_RSRC2:SCRATCH_EN: 0
; COMPUTE_PGM_RSRC2:USER_SGPR: 6
; COMPUTE_PGM_RSRC2:TRAP_HANDLER: 0
; COMPUTE_PGM_RSRC2:TGID_X_EN: 1
; COMPUTE_PGM_RSRC2:TGID_Y_EN: 0
; COMPUTE_PGM_RSRC2:TGID_Z_EN: 0
; COMPUTE_PGM_RSRC2:TIDIG_COMP_CNT: 0
	.section	.text._ZN2at6native12_GLOBAL__N_125multi_tensor_apply_kernelINS1_18TensorListMetadataILi2EEENS1_14UnaryOpFunctorIN3c107complexIfEELi2ELi1ELi1EEEJNS0_4TanhIS8_EEEEEvT_T0_DpT1_,"axG",@progbits,_ZN2at6native12_GLOBAL__N_125multi_tensor_apply_kernelINS1_18TensorListMetadataILi2EEENS1_14UnaryOpFunctorIN3c107complexIfEELi2ELi1ELi1EEEJNS0_4TanhIS8_EEEEEvT_T0_DpT1_,comdat
	.globl	_ZN2at6native12_GLOBAL__N_125multi_tensor_apply_kernelINS1_18TensorListMetadataILi2EEENS1_14UnaryOpFunctorIN3c107complexIfEELi2ELi1ELi1EEEJNS0_4TanhIS8_EEEEEvT_T0_DpT1_ ; -- Begin function _ZN2at6native12_GLOBAL__N_125multi_tensor_apply_kernelINS1_18TensorListMetadataILi2EEENS1_14UnaryOpFunctorIN3c107complexIfEELi2ELi1ELi1EEEJNS0_4TanhIS8_EEEEEvT_T0_DpT1_
	.p2align	8
	.type	_ZN2at6native12_GLOBAL__N_125multi_tensor_apply_kernelINS1_18TensorListMetadataILi2EEENS1_14UnaryOpFunctorIN3c107complexIfEELi2ELi1ELi1EEEJNS0_4TanhIS8_EEEEEvT_T0_DpT1_,@function
_ZN2at6native12_GLOBAL__N_125multi_tensor_apply_kernelINS1_18TensorListMetadataILi2EEENS1_14UnaryOpFunctorIN3c107complexIfEELi2ELi1ELi1EEEJNS0_4TanhIS8_EEEEEvT_T0_DpT1_: ; @_ZN2at6native12_GLOBAL__N_125multi_tensor_apply_kernelINS1_18TensorListMetadataILi2EEENS1_14UnaryOpFunctorIN3c107complexIfEELi2ELi1ELi1EEEJNS0_4TanhIS8_EEEEEvT_T0_DpT1_
; %bb.0:
	v_mov_b32_e32 v1, s6
	global_load_ubyte v1, v1, s[4:5] offset:1536
	s_add_u32 s0, s4, s6
	s_mul_hi_u32 s2, s6, 3
	s_mul_i32 s6, s6, 3
	s_addc_u32 s7, s5, 0
	s_add_u32 s6, s0, s6
	s_addc_u32 s7, s7, s2
	s_load_dword s6, s[6:7], 0x740
	s_mov_b32 s1, 0
	s_mov_b32 s3, s1
	s_waitcnt lgkmcnt(0)
	s_ashr_i32 s7, s6, 31
	s_lshl_b64 s[16:17], s[6:7], 19
	s_waitcnt vmcnt(0)
	v_readfirstlane_b32 s0, v1
	s_lshl_b32 s0, s0, 3
	s_load_dwordx2 s[8:9], s[4:5], s0 offset:0x0
	s_load_dwordx2 s[10:11], s[4:5], s0 offset:0x400
	;; [unrolled: 1-line block ×3, first 2 shown]
	s_waitcnt lgkmcnt(0)
	s_add_u32 s14, s8, s16
	s_addc_u32 s15, s9, s17
	s_and_b32 s0, s14, 31
	s_add_u32 s16, s12, s16
	s_addc_u32 s17, s13, s17
	s_lshl_b64 s[6:7], s[6:7], 16
	s_and_b32 s2, s16, 31
	s_sub_u32 s8, s10, s6
	s_subb_u32 s9, s11, s7
	s_and_b32 s6, s10, 3
	s_mov_b32 s7, s1
	s_or_b64 s[2:3], s[2:3], s[6:7]
	s_or_b64 s[0:1], s[2:3], s[0:1]
	s_cmp_eq_u64 s[0:1], 0
	s_mov_b64 s[0:1], -1
	s_cbranch_scc0 .LBB156_157
; %bb.1:
	v_mov_b32_e32 v1, 0x10000
	v_mov_b32_e32 v2, 0
	v_cmp_lt_i64_e32 vcc, s[8:9], v[1:2]
	v_mov_b32_e32 v14, 0
	s_and_b64 s[0:1], vcc, exec
	s_cselect_b32 s11, s9, 0
	s_cselect_b32 s10, s8, 0x10000
	v_lshlrev_b32_e32 v13, 2, v0
	v_cmp_gt_i64_e32 vcc, s[10:11], v[13:14]
	s_and_saveexec_b64 s[12:13], vcc
	s_cbranch_execz .LBB156_156
; %bb.2:
	s_load_dword s0, s[4:5], 0xc5c
	v_mov_b32_e32 v1, v14
	v_mov_b32_e32 v16, v1
	v_lshlrev_b32_e32 v17, 5, v0
	s_mov_b64 s[18:19], 0
	s_waitcnt lgkmcnt(0)
	s_and_b32 s36, s0, 0xffff
	s_brev_b32 s33, -2
	s_lshl_b32 s37, s36, 5
	s_mov_b32 s38, 0x7f800000
	s_movk_i32 s39, 0x1f8
	s_mov_b32 s40, 0x41300000
	s_brev_b32 s41, 18
	s_mov_b32 s42, 0xfe5163ab
	s_mov_b32 s43, 0x3c439041
	;; [unrolled: 1-line block ×10, first 2 shown]
	v_mov_b32_e32 v18, 0x3f93f425
	s_mov_b32 s52, 0xbf317218
	v_mov_b32_e32 v19, 0x3d2aadcc
	v_mov_b32_e32 v20, 0x3e2aaa47
	;; [unrolled: 1-line block ×3, first 2 shown]
	s_mov_b32 s53, 0x42b2d4fc
	s_mov_b32 s54, 0x39800000
	;; [unrolled: 1-line block ×3, first 2 shown]
	v_mov_b32_e32 v22, 0x260
	v_mov_b32_e32 v23, 0xbe2aaa9d
	;; [unrolled: 1-line block ×4, first 2 shown]
	s_mov_b32 s56, 0xbfb8aa3b
	s_mov_b32 s57, 0xb2a5705f
	;; [unrolled: 1-line block ×4, first 2 shown]
	v_not_b32_e32 v26, 63
	v_not_b32_e32 v27, 31
	v_mov_b32_e32 v28, 0x7f800000
	v_mov_b32_e32 v29, 0x7fc00000
	s_mov_b64 s[20:21], s[14:15]
	s_mov_b64 s[22:23], s[16:17]
	v_mov_b32_e32 v15, v0
	s_branch .LBB156_7
.LBB156_3:                              ;   in Loop: Header=BB156_7 Depth=1
	s_or_b64 exec, exec, s[0:1]
	v_mul_f32_e32 v2, v12, v12
	v_mov_b32_e32 v30, 0x3c0881c4
	v_fmac_f32_e32 v30, 0xb94c1982, v2
	v_fma_f32 v30, v2, v30, v23
	v_mul_f32_e32 v30, v2, v30
	v_fmac_f32_e32 v12, v12, v30
	v_mov_b32_e32 v30, 0xbab64f3b
	v_fmac_f32_e32 v30, 0x37d75334, v2
	v_fma_f32 v30, v2, v30, v24
	v_fma_f32 v30, v2, v30, v25
	v_fma_f32 v2, v2, v30, 1.0
	v_and_b32_e32 v30, 1, v11
	v_lshlrev_b32_e32 v11, 30, v11
	v_cmp_eq_u32_e32 vcc, 0, v30
	v_and_b32_e32 v11, 0x80000000, v11
	v_cndmask_b32_e32 v2, v2, v12, vcc
	v_xor_b32_e32 v1, v1, v11
	v_xor_b32_e32 v1, v1, v2
	v_mul_f32_e32 v2, v31, v31
	v_mov_b32_e32 v11, 0x3c0881c4
	v_fmac_f32_e32 v11, 0xb94c1982, v2
	v_fma_f32 v11, v2, v11, v23
	v_mul_f32_e32 v11, v2, v11
	v_fmac_f32_e32 v31, v31, v11
	v_mov_b32_e32 v11, 0xbab64f3b
	v_fmac_f32_e32 v11, 0x37d75334, v2
	v_fma_f32 v11, v2, v11, v24
	v_fma_f32 v11, v2, v11, v25
	v_fma_f32 v2, v2, v11, 1.0
	v_and_b32_e32 v11, 1, v13
	v_cmp_eq_u32_e32 vcc, 0, v11
	v_lshlrev_b32_e32 v11, 30, v13
	v_cndmask_b32_e64 v2, -v31, v2, vcc
	v_and_b32_e32 v11, 0x80000000, v11
	v_xor_b32_e32 v1, v1, v4
	v_xor_b32_e32 v2, v11, v2
	v_mul_f32_e32 v1, v1, v2
	v_cmp_class_f32_e64 vcc, v4, s39
	v_cndmask_b32_e32 v4, v29, v1, vcc
.LBB156_4:                              ;   in Loop: Header=BB156_7 Depth=1
	s_or_b64 exec, exec, s[28:29]
	v_add_u32_e32 v3, -2.0, v3
	v_bfi_b32 v12, s33, 0, v4
.LBB156_5:                              ;   in Loop: Header=BB156_7 Depth=1
	s_or_b64 exec, exec, s[26:27]
	v_mov_b32_e32 v11, v3
.LBB156_6:                              ;   in Loop: Header=BB156_7 Depth=1
	s_or_b64 exec, exec, s[24:25]
	v_mov_b32_e32 v2, s23
	v_add_co_u32_e32 v1, vcc, s22, v17
	v_addc_co_u32_e32 v2, vcc, 0, v2, vcc
	v_add_co_u32_e32 v15, vcc, s36, v15
	v_addc_co_u32_e32 v16, vcc, 0, v16, vcc
	v_lshlrev_b64 v[3:4], 2, v[15:16]
	s_add_u32 s22, s22, s37
	s_addc_u32 s23, s23, 0
	s_add_u32 s20, s20, s37
	v_cmp_le_i64_e32 vcc, s[10:11], v[3:4]
	s_addc_u32 s21, s21, 0
	s_or_b64 s[18:19], vcc, s[18:19]
	global_store_dwordx4 v[1:2], v[5:8], off
	global_store_dwordx4 v[1:2], v[9:12], off offset:16
	s_andn2_b64 exec, exec, s[18:19]
	s_cbranch_execz .LBB156_156
.LBB156_7:                              ; =>This Inner Loop Header: Depth=1
	v_mov_b32_e32 v1, s21
	v_add_co_u32_e32 v5, vcc, s20, v17
	v_addc_co_u32_e32 v6, vcc, 0, v1, vcc
	global_load_dwordx4 v[9:12], v[5:6], off
	global_load_dwordx4 v[1:4], v[5:6], off offset:16
                                        ; implicit-def: $vgpr6
	s_waitcnt vmcnt(1)
	v_and_b32_e32 v5, 0x7fffffff, v9
	v_cmp_gt_u32_e32 vcc, s38, v5
	s_and_saveexec_b64 s[0:1], vcc
	s_xor_b64 s[24:25], exec, s[0:1]
	s_cbranch_execz .LBB156_29
; %bb.8:                                ;   in Loop: Header=BB156_7 Depth=1
	v_cmp_class_f32_e64 s[0:1], v10, s39
                                        ; implicit-def: $vgpr6
	s_and_saveexec_b64 s[2:3], s[0:1]
	s_xor_b64 s[26:27], exec, s[2:3]
	s_cbranch_execz .LBB156_26
; %bb.9:                                ;   in Loop: Header=BB156_7 Depth=1
	v_and_b32_e32 v7, 0x7fffffff, v10
	v_cmp_gt_u32_e32 vcc, s40, v5
                                        ; implicit-def: $vgpr6
	s_and_saveexec_b64 s[0:1], vcc
	s_xor_b64 s[28:29], exec, s[0:1]
	s_cbranch_execz .LBB156_15
; %bb.10:                               ;   in Loop: Header=BB156_7 Depth=1
	v_cmp_nlt_f32_e64 s[0:1], |v10|, s41
                                        ; implicit-def: $vgpr6
                                        ; implicit-def: $vgpr5
	s_and_saveexec_b64 s[2:3], s[0:1]
	s_xor_b64 s[30:31], exec, s[2:3]
	s_cbranch_execz .LBB156_12
; %bb.11:                               ;   in Loop: Header=BB156_7 Depth=1
	v_and_b32_e32 v5, 0x7fffff, v7
	v_or_b32_e32 v8, 0x800000, v5
	v_mad_u64_u32 v[5:6], s[0:1], v8, s42, 0
	v_mov_b32_e32 v13, v6
	v_mad_u64_u32 v[30:31], s[0:1], v8, s43, v[13:14]
	v_lshrrev_b32_e32 v6, 23, v7
	v_add_u32_e32 v6, 0xffffff88, v6
	v_mov_b32_e32 v13, v31
	v_mad_u64_u32 v[31:32], s[0:1], v8, s44, v[13:14]
	v_cmp_lt_u32_e32 vcc, 63, v6
	v_mov_b32_e32 v13, v32
	v_mad_u64_u32 v[32:33], s[0:1], v8, s45, v[13:14]
	v_cndmask_b32_e32 v5, v31, v5, vcc
	v_mov_b32_e32 v13, v33
	v_mad_u64_u32 v[33:34], s[0:1], v8, s46, v[13:14]
	v_cndmask_b32_e32 v13, 0, v26, vcc
	v_add_u32_e32 v6, v13, v6
	v_mov_b32_e32 v13, v34
	v_mad_u64_u32 v[34:35], s[0:1], v8, s47, v[13:14]
	v_cmp_lt_u32_e64 s[0:1], 31, v6
	v_cndmask_b32_e64 v13, 0, v27, s[0:1]
	v_add_u32_e32 v6, v13, v6
	v_mov_b32_e32 v13, v35
	v_mad_u64_u32 v[35:36], s[2:3], v8, s48, v[13:14]
	v_cmp_lt_u32_e64 s[2:3], 31, v6
	v_cndmask_b32_e64 v8, 0, v27, s[2:3]
	v_add_u32_e32 v6, v8, v6
	v_cndmask_b32_e32 v8, v34, v32, vcc
	v_cndmask_b32_e32 v13, v35, v33, vcc
	v_cndmask_b32_e32 v34, v36, v34, vcc
	v_cndmask_b32_e32 v33, v33, v31, vcc
	v_cndmask_b32_e64 v35, v13, v8, s[0:1]
	v_cndmask_b32_e64 v13, v34, v13, s[0:1]
	;; [unrolled: 1-line block ×5, first 2 shown]
	v_sub_u32_e32 v35, 32, v6
	v_alignbit_b32 v36, v13, v34, v35
	v_cmp_eq_u32_e64 s[6:7], 0, v6
	v_cndmask_b32_e64 v6, v36, v13, s[6:7]
	v_cndmask_b32_e32 v13, v32, v30, vcc
	v_cndmask_b32_e64 v30, v33, v13, s[0:1]
	v_cndmask_b32_e64 v8, v8, v30, s[2:3]
	v_alignbit_b32 v32, v34, v8, v35
	v_cndmask_b32_e64 v32, v32, v34, s[6:7]
	v_bfe_u32 v36, v6, 29, 1
	v_cndmask_b32_e64 v5, v13, v5, s[0:1]
	v_alignbit_b32 v33, v6, v32, 30
	v_sub_u32_e32 v37, 0, v36
	v_cndmask_b32_e64 v5, v30, v5, s[2:3]
	v_xor_b32_e32 v33, v33, v37
	v_alignbit_b32 v13, v8, v5, v35
	v_cndmask_b32_e64 v8, v13, v8, s[6:7]
	v_ffbh_u32_e32 v30, v33
	v_alignbit_b32 v13, v32, v8, 30
	v_min_u32_e32 v30, 32, v30
	v_alignbit_b32 v5, v8, v5, 30
	v_xor_b32_e32 v13, v13, v37
	v_sub_u32_e32 v31, 31, v30
	v_xor_b32_e32 v5, v5, v37
	v_alignbit_b32 v32, v33, v13, v31
	v_alignbit_b32 v5, v13, v5, v31
	;; [unrolled: 1-line block ×3, first 2 shown]
	v_ffbh_u32_e32 v13, v8
	v_min_u32_e32 v13, 32, v13
	v_lshrrev_b32_e32 v34, 29, v6
	v_not_b32_e32 v31, v13
	v_alignbit_b32 v5, v8, v5, v31
	v_lshlrev_b32_e32 v8, 31, v34
	v_or_b32_e32 v31, 0x33000000, v8
	v_add_lshl_u32 v13, v13, v30, 23
	v_lshrrev_b32_e32 v5, 9, v5
	v_sub_u32_e32 v13, v31, v13
	v_or_b32_e32 v8, 0.5, v8
	v_lshlrev_b32_e32 v30, 23, v30
	v_or_b32_e32 v5, v13, v5
	v_lshrrev_b32_e32 v13, 9, v32
	v_sub_u32_e32 v8, v8, v30
	v_or_b32_e32 v8, v13, v8
	v_mul_f32_e32 v13, 0x3fc90fda, v8
	v_fma_f32 v30, v8, s49, -v13
	v_fmac_f32_e32 v30, 0x33a22168, v8
	v_fmac_f32_e32 v30, 0x3fc90fda, v5
	v_lshrrev_b32_e32 v6, 30, v6
	v_add_f32_e32 v5, v13, v30
	v_add_u32_e32 v6, v36, v6
.LBB156_12:                             ;   in Loop: Header=BB156_7 Depth=1
	s_andn2_saveexec_b64 s[0:1], s[30:31]
; %bb.13:                               ;   in Loop: Header=BB156_7 Depth=1
	v_mul_f32_e64 v5, |v10|, s50
	v_rndne_f32_e32 v8, v5
	v_cvt_i32_f32_e32 v6, v8
	v_fma_f32 v5, v8, s51, |v10|
	v_fmac_f32_e32 v5, 0xb3a22168, v8
	v_fmac_f32_e32 v5, 0xa7c234c4, v8
; %bb.14:                               ;   in Loop: Header=BB156_7 Depth=1
	s_or_b64 exec, exec, s[0:1]
	v_mul_f32_e32 v8, v5, v5
	v_mov_b32_e32 v13, 0xbf039337
	v_fmac_f32_e32 v13, 0x3c971480, v8
	v_fma_f32 v13, v8, v13, v18
	v_rcp_f32_e32 v13, v13
	v_mov_b32_e32 v30, 0x3ec54587
	v_fmac_f32_e32 v30, 0xbc8cedd3, v8
	v_and_b32_e32 v6, 1, v6
	v_mul_f32_e32 v13, v30, v13
	v_mul_f32_e32 v8, v8, v13
	v_fma_f32 v13, v8, v5, v5
	v_rcp_f32_e32 v30, v13
	v_sub_f32_e32 v31, v13, v5
	v_fma_f32 v5, v8, v5, -v31
	v_cmp_eq_u32_e32 vcc, 0, v6
	v_fma_f32 v8, v13, -v30, 1.0
	v_fma_f32 v5, v5, -v30, v8
	v_add_f32_e64 v6, |v9|, s52
	v_fma_f32 v5, v5, -v30, -v30
	v_sub_f32_e64 v8, v6, |v9|
	v_cndmask_b32_e32 v5, v5, v13, vcc
	v_sub_f32_e32 v13, v8, v6
	v_add_f32_e64 v13, |v9|, v13
	v_add_f32_e32 v8, 0x3f317218, v8
	v_sub_f32_e32 v8, v13, v8
	v_add_f32_e32 v8, 0x3102e308, v8
	v_add_f32_e32 v13, v6, v8
	v_sub_f32_e32 v6, v6, v13
	v_add_f32_e32 v6, v8, v6
	v_mul_f32_e32 v8, 0x3fb8aa3b, v13
	v_rndne_f32_e32 v8, v8
	v_fmac_f32_e32 v13, 0xbf317200, v8
	v_add_f32_e32 v30, v6, v13
	v_sub_f32_e32 v13, v13, v30
	v_add_f32_e32 v6, v6, v13
	v_mul_f32_e32 v13, 0x35bfbc00, v8
	v_sub_f32_e32 v31, v30, v13
	v_sub_f32_e32 v30, v30, v31
	;; [unrolled: 1-line block ×3, first 2 shown]
	v_add_f32_e32 v6, v6, v13
	v_add_f32_e32 v13, v31, v6
	v_sub_f32_e32 v30, v31, v13
	v_add_f32_e32 v6, v6, v30
	v_mul_f32_e32 v30, 0x2ea39ef3, v8
	v_sub_f32_e32 v31, v13, v30
	v_sub_f32_e32 v13, v13, v31
	;; [unrolled: 1-line block ×3, first 2 shown]
	v_add_f32_e32 v6, v6, v13
	v_add_f32_e32 v13, v31, v6
	v_sub_f32_e32 v31, v31, v13
	v_mov_b32_e32 v30, 0x3c091de6
	v_add_f32_e32 v6, v6, v31
	v_mul_f32_e32 v32, v13, v13
	v_fmac_f32_e32 v30, 0x3ab42872, v13
	v_add_f32_e32 v31, v6, v6
	v_fma_f32 v33, v13, v13, -v32
	v_fma_f32 v30, v13, v30, v19
	v_fmac_f32_e32 v33, v13, v31
	v_fma_f32 v30, v13, v30, v20
	v_add_f32_e32 v31, v32, v33
	v_fma_f32 v30, v13, v30, v21
	v_sub_f32_e32 v32, v31, v32
	v_sub_f32_e32 v32, v33, v32
	v_mul_f32_e32 v33, v30, v31
	v_fma_f32 v31, v31, v30, -v33
	v_fmac_f32_e32 v31, v32, v30
	v_add_f32_e32 v30, v33, v31
	v_sub_f32_e32 v32, v30, v33
	v_sub_f32_e32 v31, v31, v32
	v_add_f32_e32 v32, v13, v30
	v_sub_f32_e32 v13, v32, v13
	v_sub_f32_e32 v13, v30, v13
	v_add_f32_e32 v6, v6, v31
	v_add_f32_e32 v6, v6, v13
	;; [unrolled: 1-line block ×3, first 2 shown]
	v_sub_f32_e32 v30, v13, v32
	v_sub_f32_e32 v6, v6, v30
	v_add_f32_e32 v30, 1.0, v13
	v_add_f32_e32 v31, -1.0, v30
	v_cvt_i32_f32_e32 v8, v8
	v_sub_f32_e32 v13, v13, v31
	v_add_f32_e32 v6, v6, v13
	v_add_f32_e32 v13, v30, v6
	v_ldexp_f32 v31, v13, v8
	v_rcp_f32_e32 v32, v31
	v_sub_f32_e32 v13, v13, v30
	v_sub_f32_e32 v6, v6, v13
	v_ldexp_f32 v6, v6, v8
	v_mul_f32_e32 v8, v31, v32
	v_fma_f32 v13, v32, v31, -v8
	v_fmac_f32_e32 v13, v32, v6
	v_add_f32_e32 v30, v8, v13
	v_sub_f32_e32 v33, 1.0, v30
	v_sub_f32_e32 v34, 1.0, v33
	v_sub_f32_e32 v8, v30, v8
	v_sub_f32_e32 v34, v34, v30
	;; [unrolled: 1-line block ×3, first 2 shown]
	v_add_f32_e32 v8, v8, v34
	v_add_f32_e32 v13, v33, v8
	v_mul_f32_e32 v30, v32, v13
	v_mul_f32_e32 v34, v31, v30
	v_fma_f32 v35, v30, v31, -v34
	v_fmac_f32_e32 v35, v30, v6
	v_sub_f32_e32 v33, v33, v13
	v_add_f32_e32 v8, v8, v33
	v_add_f32_e32 v33, v34, v35
	v_sub_f32_e32 v36, v13, v33
	v_sub_f32_e32 v13, v13, v36
	;; [unrolled: 1-line block ×4, first 2 shown]
	v_add_f32_e32 v8, v8, v13
	v_sub_f32_e32 v13, v34, v35
	v_add_f32_e32 v8, v13, v8
	v_add_f32_e32 v8, v36, v8
	;; [unrolled: 1-line block ×3, first 2 shown]
	v_mul_f32_e32 v8, v32, v8
	v_sub_f32_e32 v32, v13, v32
	v_sub_f32_e32 v30, v30, v32
	v_add_f32_e32 v8, v30, v8
	v_add_f32_e32 v30, v13, v8
	v_sub_f32_e32 v13, v30, v13
	v_sub_f32_e32 v8, v8, v13
	v_ldexp_f32 v13, v30, -2
	v_sub_f32_e32 v30, v31, v13
	v_sub_f32_e32 v31, v31, v30
	;; [unrolled: 1-line block ×3, first 2 shown]
	v_ldexp_f32 v8, v8, -2
	v_add_f32_e32 v6, v6, v13
	v_sub_f32_e32 v6, v6, v8
	v_add_f32_e32 v6, v30, v6
	v_cmp_ngt_f32_e64 vcc, |v9|, s53
	v_cndmask_b32_e32 v6, v28, v6, vcc
	v_cmp_lt_f32_e64 s[0:1], |v9|, s54
	v_cndmask_b32_e64 v6, v6, |v9|, s[0:1]
	v_bfi_b32 v6, s33, v6, v9
	v_fma_f32 v8, v6, v6, 1.0
	v_mul_f32_e32 v13, 0x4f800000, v8
	v_cmp_gt_f32_e32 vcc, s55, v8
	v_cndmask_b32_e32 v8, v8, v13, vcc
	v_sqrt_f32_e32 v13, v8
	v_xor_b32_e32 v5, v7, v5
	v_xor_b32_e32 v7, v5, v10
	v_fma_f32 v5, v7, v7, 1.0
	v_add_u32_e32 v30, -1, v13
	v_fma_f32 v31, -v30, v13, v8
	v_cmp_ge_f32_e64 s[0:1], 0, v31
	v_add_u32_e32 v31, 1, v13
	v_cndmask_b32_e64 v30, v13, v30, s[0:1]
	v_fma_f32 v13, -v31, v13, v8
	v_cmp_lt_f32_e64 s[0:1], 0, v13
	v_cndmask_b32_e64 v13, v30, v31, s[0:1]
	v_mul_f32_e32 v30, 0x37800000, v13
	v_cndmask_b32_e32 v13, v13, v30, vcc
	v_cmp_class_f32_e32 vcc, v8, v22
	v_cndmask_b32_e32 v8, v13, v8, vcc
	v_mul_f32_e32 v13, v6, v5
	v_mul_f32_e32 v5, v8, v5
	v_fma_f32 v13, v6, v13, 1.0
	v_mul_f32_e32 v5, v6, v5
	v_div_scale_f32 v6, s[0:1], v13, v13, v5
	v_div_scale_f32 v8, vcc, v5, v13, v5
	v_div_scale_f32 v30, s[0:1], v13, v13, v7
	v_div_scale_f32 v31, s[0:1], v7, v13, v7
	v_rcp_f32_e32 v32, v6
	v_fma_f32 v33, -v6, v32, 1.0
	v_fmac_f32_e32 v32, v33, v32
	v_mul_f32_e32 v33, v8, v32
	v_fma_f32 v34, -v6, v33, v8
	v_fmac_f32_e32 v33, v34, v32
	v_rcp_f32_e32 v34, v30
	v_fma_f32 v6, -v6, v33, v8
	v_div_fmas_f32 v6, v6, v32, v33
	s_mov_b64 vcc, s[0:1]
	v_fma_f32 v8, -v30, v34, 1.0
	v_fmac_f32_e32 v34, v8, v34
	v_mul_f32_e32 v8, v31, v34
	v_fma_f32 v32, -v30, v8, v31
	v_fmac_f32_e32 v8, v32, v34
	v_fma_f32 v30, -v30, v8, v31
	v_div_fmas_f32 v8, v30, v34, v8
	v_div_fixup_f32 v5, v6, v13, v5
	v_div_fixup_f32 v6, v8, v13, v7
                                        ; implicit-def: $vgpr7
.LBB156_15:                             ;   in Loop: Header=BB156_7 Depth=1
	s_andn2_saveexec_b64 s[28:29], s[28:29]
	s_cbranch_execz .LBB156_18
; %bb.16:                               ;   in Loop: Header=BB156_7 Depth=1
	v_lshrrev_b32_e32 v5, 23, v7
	v_and_b32_e32 v6, 0x7fffff, v7
	v_cmp_nlt_f32_e64 s[30:31], |v10|, s41
	v_add_u32_e32 v30, 0xffffff88, v5
	v_or_b32_e32 v5, 0x800000, v6
                                        ; implicit-def: $vgpr6
                                        ; implicit-def: $vgpr8
	s_and_saveexec_b64 s[0:1], s[30:31]
	s_xor_b64 s[34:35], exec, s[0:1]
	s_cbranch_execz .LBB156_19
; %bb.17:                               ;   in Loop: Header=BB156_7 Depth=1
	v_mad_u64_u32 v[31:32], s[0:1], v5, s42, 0
	v_cmp_lt_u32_e32 vcc, 63, v30
	v_cndmask_b32_e32 v6, 0, v26, vcc
	v_mov_b32_e32 v13, v32
	v_mad_u64_u32 v[32:33], s[0:1], v5, s43, v[13:14]
	v_add_u32_e32 v6, v6, v30
	v_mov_b32_e32 v13, v33
	v_mad_u64_u32 v[33:34], s[0:1], v5, s44, v[13:14]
	v_mov_b32_e32 v13, v34
	v_mad_u64_u32 v[34:35], s[0:1], v5, s45, v[13:14]
	v_cndmask_b32_e32 v31, v33, v31, vcc
	v_mov_b32_e32 v13, v35
	v_mad_u64_u32 v[35:36], s[0:1], v5, s46, v[13:14]
	v_cmp_lt_u32_e64 s[0:1], 31, v6
	v_cndmask_b32_e64 v8, 0, v27, s[0:1]
	v_mov_b32_e32 v13, v36
	v_mad_u64_u32 v[36:37], s[2:3], v5, s47, v[13:14]
	v_add_u32_e32 v6, v8, v6
	v_cmp_lt_u32_e64 s[2:3], 31, v6
	v_mov_b32_e32 v13, v37
	v_mad_u64_u32 v[37:38], s[6:7], v5, s48, v[13:14]
	v_cndmask_b32_e64 v8, 0, v27, s[2:3]
	v_add_u32_e32 v6, v8, v6
	v_cndmask_b32_e32 v8, v35, v33, vcc
	v_cndmask_b32_e32 v13, v36, v34, vcc
	;; [unrolled: 1-line block ×4, first 2 shown]
	v_cndmask_b32_e64 v39, v13, v8, s[0:1]
	v_cndmask_b32_e64 v13, v35, v13, s[0:1]
	;; [unrolled: 1-line block ×3, first 2 shown]
	v_cndmask_b32_e32 v32, v34, v32, vcc
	v_cndmask_b32_e64 v35, v35, v13, s[2:3]
	v_cndmask_b32_e64 v13, v13, v39, s[2:3]
	v_sub_u32_e32 v36, 32, v6
	v_cndmask_b32_e64 v8, v8, v32, s[0:1]
	v_alignbit_b32 v37, v35, v13, v36
	v_cmp_eq_u32_e64 s[6:7], 0, v6
	v_cndmask_b32_e64 v34, v39, v8, s[2:3]
	v_cndmask_b32_e64 v6, v37, v35, s[6:7]
	v_alignbit_b32 v35, v13, v34, v36
	v_cndmask_b32_e64 v13, v35, v13, s[6:7]
	v_bfe_u32 v38, v6, 29, 1
	v_cndmask_b32_e64 v31, v32, v31, s[0:1]
	v_alignbit_b32 v35, v6, v13, 30
	v_sub_u32_e32 v39, 0, v38
	v_cndmask_b32_e64 v8, v8, v31, s[2:3]
	v_xor_b32_e32 v35, v35, v39
	v_alignbit_b32 v31, v34, v8, v36
	v_cndmask_b32_e64 v31, v31, v34, s[6:7]
	v_ffbh_u32_e32 v32, v35
	v_alignbit_b32 v13, v13, v31, 30
	v_min_u32_e32 v32, 32, v32
	v_alignbit_b32 v8, v31, v8, 30
	v_xor_b32_e32 v13, v13, v39
	v_sub_u32_e32 v33, 31, v32
	v_xor_b32_e32 v8, v8, v39
	v_alignbit_b32 v34, v35, v13, v33
	v_alignbit_b32 v8, v13, v8, v33
	;; [unrolled: 1-line block ×3, first 2 shown]
	v_ffbh_u32_e32 v31, v13
	v_min_u32_e32 v31, 32, v31
	v_lshrrev_b32_e32 v37, 29, v6
	v_not_b32_e32 v33, v31
	v_alignbit_b32 v8, v13, v8, v33
	v_lshlrev_b32_e32 v13, 31, v37
	v_or_b32_e32 v33, 0x33000000, v13
	v_add_lshl_u32 v31, v31, v32, 23
	v_lshrrev_b32_e32 v8, 9, v8
	v_sub_u32_e32 v31, v33, v31
	v_or_b32_e32 v13, 0.5, v13
	v_lshlrev_b32_e32 v32, 23, v32
	v_or_b32_e32 v8, v31, v8
	v_lshrrev_b32_e32 v31, 9, v34
	v_sub_u32_e32 v13, v13, v32
	v_or_b32_e32 v13, v31, v13
	v_mul_f32_e32 v31, 0x3fc90fda, v13
	v_fma_f32 v32, v13, s49, -v31
	v_fmac_f32_e32 v32, 0x33a22168, v13
	v_fmac_f32_e32 v32, 0x3fc90fda, v8
	v_lshrrev_b32_e32 v6, 30, v6
	v_add_f32_e32 v8, v31, v32
	v_add_u32_e32 v6, v38, v6
	s_andn2_saveexec_b64 s[0:1], s[34:35]
	s_branch .LBB156_20
.LBB156_18:                             ;   in Loop: Header=BB156_7 Depth=1
	s_or_b64 exec, exec, s[28:29]
	s_andn2_saveexec_b64 s[0:1], s[26:27]
	s_cbranch_execnz .LBB156_27
	s_branch .LBB156_28
.LBB156_19:                             ;   in Loop: Header=BB156_7 Depth=1
	s_andn2_saveexec_b64 s[0:1], s[34:35]
.LBB156_20:                             ;   in Loop: Header=BB156_7 Depth=1
	v_mul_f32_e64 v6, |v10|, s50
	v_rndne_f32_e32 v13, v6
	v_cvt_i32_f32_e32 v6, v13
	v_fma_f32 v8, v13, s51, |v10|
	v_fmac_f32_e32 v8, 0xb3a22168, v13
	v_fmac_f32_e32 v8, 0xa7c234c4, v13
; %bb.21:                               ;   in Loop: Header=BB156_7 Depth=1
	s_or_b64 exec, exec, s[0:1]
                                        ; implicit-def: $vgpr13
                                        ; implicit-def: $vgpr31
	s_and_saveexec_b64 s[0:1], s[30:31]
	s_xor_b64 s[30:31], exec, s[0:1]
	s_cbranch_execz .LBB156_23
; %bb.22:                               ;   in Loop: Header=BB156_7 Depth=1
	v_mad_u64_u32 v[31:32], s[0:1], v5, s42, 0
	v_cmp_lt_u32_e32 vcc, 63, v30
	v_mov_b32_e32 v13, v32
	v_mad_u64_u32 v[32:33], s[0:1], v5, s43, v[13:14]
	v_mov_b32_e32 v13, v33
	v_mad_u64_u32 v[33:34], s[0:1], v5, s44, v[13:14]
	;; [unrolled: 2-line block ×3, first 2 shown]
	v_cndmask_b32_e32 v13, 0, v26, vcc
	v_add_u32_e32 v30, v13, v30
	v_mov_b32_e32 v13, v35
	v_mad_u64_u32 v[35:36], s[0:1], v5, s46, v[13:14]
	v_cmp_lt_u32_e64 s[0:1], 31, v30
	v_cndmask_b32_e64 v13, 0, v27, s[0:1]
	v_add_u32_e32 v30, v13, v30
	v_mov_b32_e32 v13, v36
	v_mad_u64_u32 v[36:37], s[2:3], v5, s47, v[13:14]
	v_cmp_lt_u32_e64 s[2:3], 31, v30
	v_cndmask_b32_e64 v13, 0, v27, s[2:3]
	v_add_u32_e32 v30, v13, v30
	v_mov_b32_e32 v13, v37
	v_mad_u64_u32 v[37:38], s[6:7], v5, s48, v[13:14]
	v_cndmask_b32_e32 v5, v35, v33, vcc
	v_cndmask_b32_e32 v13, v36, v34, vcc
	;; [unrolled: 1-line block ×4, first 2 shown]
	v_cndmask_b32_e64 v39, v13, v5, s[0:1]
	v_cndmask_b32_e64 v13, v35, v13, s[0:1]
	;; [unrolled: 1-line block ×3, first 2 shown]
	v_cndmask_b32_e32 v32, v34, v32, vcc
	v_cndmask_b32_e64 v35, v35, v13, s[2:3]
	v_cndmask_b32_e64 v13, v13, v39, s[2:3]
	v_sub_u32_e32 v36, 32, v30
	v_cndmask_b32_e64 v5, v5, v32, s[0:1]
	v_alignbit_b32 v37, v35, v13, v36
	v_cmp_eq_u32_e64 s[6:7], 0, v30
	v_cndmask_b32_e64 v34, v39, v5, s[2:3]
	v_cndmask_b32_e64 v30, v37, v35, s[6:7]
	v_alignbit_b32 v35, v13, v34, v36
	v_cndmask_b32_e32 v31, v33, v31, vcc
	v_cndmask_b32_e64 v13, v35, v13, s[6:7]
	v_bfe_u32 v38, v30, 29, 1
	v_cndmask_b32_e64 v31, v32, v31, s[0:1]
	v_alignbit_b32 v35, v30, v13, 30
	v_sub_u32_e32 v39, 0, v38
	v_cndmask_b32_e64 v5, v5, v31, s[2:3]
	v_xor_b32_e32 v35, v35, v39
	v_alignbit_b32 v31, v34, v5, v36
	v_cndmask_b32_e64 v31, v31, v34, s[6:7]
	v_ffbh_u32_e32 v32, v35
	v_alignbit_b32 v13, v13, v31, 30
	v_min_u32_e32 v32, 32, v32
	v_alignbit_b32 v5, v31, v5, 30
	v_xor_b32_e32 v13, v13, v39
	v_sub_u32_e32 v33, 31, v32
	v_xor_b32_e32 v5, v5, v39
	v_alignbit_b32 v34, v35, v13, v33
	v_alignbit_b32 v5, v13, v5, v33
	;; [unrolled: 1-line block ×3, first 2 shown]
	v_ffbh_u32_e32 v31, v13
	v_min_u32_e32 v31, 32, v31
	v_lshrrev_b32_e32 v37, 29, v30
	v_not_b32_e32 v33, v31
	v_alignbit_b32 v5, v13, v5, v33
	v_lshlrev_b32_e32 v13, 31, v37
	v_or_b32_e32 v33, 0x33000000, v13
	v_add_lshl_u32 v31, v31, v32, 23
	v_lshrrev_b32_e32 v5, 9, v5
	v_sub_u32_e32 v31, v33, v31
	v_or_b32_e32 v13, 0.5, v13
	v_lshlrev_b32_e32 v32, 23, v32
	v_or_b32_e32 v5, v31, v5
	v_lshrrev_b32_e32 v31, 9, v34
	v_sub_u32_e32 v13, v13, v32
	v_or_b32_e32 v13, v31, v13
	v_mul_f32_e32 v31, 0x3fc90fda, v13
	v_fma_f32 v32, v13, s49, -v31
	v_fmac_f32_e32 v32, 0x33a22168, v13
	v_fmac_f32_e32 v32, 0x3fc90fda, v5
	v_lshrrev_b32_e32 v5, 30, v30
	v_add_f32_e32 v31, v31, v32
	v_add_u32_e32 v13, v38, v5
	s_andn2_saveexec_b64 s[0:1], s[30:31]
	s_cbranch_execnz .LBB156_24
	s_branch .LBB156_25
.LBB156_23:                             ;   in Loop: Header=BB156_7 Depth=1
	s_andn2_saveexec_b64 s[0:1], s[30:31]
.LBB156_24:                             ;   in Loop: Header=BB156_7 Depth=1
	v_mul_f32_e64 v5, |v10|, s50
	v_rndne_f32_e32 v5, v5
	v_cvt_i32_f32_e32 v13, v5
	v_fma_f32 v31, v5, s51, |v10|
	v_fmac_f32_e32 v31, 0xb3a22168, v5
	v_fmac_f32_e32 v31, 0xa7c234c4, v5
.LBB156_25:                             ;   in Loop: Header=BB156_7 Depth=1
	s_or_b64 exec, exec, s[0:1]
	v_mul_f32_e32 v5, v8, v8
	v_mov_b32_e32 v30, 0x3c0881c4
	v_fmac_f32_e32 v30, 0xb94c1982, v5
	v_fma_f32 v30, v5, v30, v23
	v_mul_f32_e32 v30, v5, v30
	v_fmac_f32_e32 v8, v8, v30
	v_mov_b32_e32 v30, 0xbab64f3b
	v_fmac_f32_e32 v30, 0x37d75334, v5
	v_fma_f32 v30, v5, v30, v24
	v_fma_f32 v30, v5, v30, v25
	v_fma_f32 v5, v5, v30, 1.0
	v_and_b32_e32 v30, 1, v6
	v_lshlrev_b32_e32 v6, 30, v6
	v_and_b32_e32 v6, 0x80000000, v6
	v_cmp_eq_u32_e32 vcc, 0, v30
	v_xor_b32_e32 v6, v7, v6
	v_mul_f32_e64 v7, |v9|, s56
	v_cndmask_b32_e32 v5, v5, v8, vcc
	v_rndne_f32_e32 v8, v7
	v_sub_f32_e32 v30, v7, v8
	v_fma_f32 v7, |v9|, s56, -v7
	v_fma_f32 v7, |v9|, s57, v7
	v_add_f32_e32 v7, v30, v7
	v_exp_f32_e32 v7, v7
	v_cvt_i32_f32_e32 v8, v8
	v_xor_b32_e32 v5, v6, v5
	v_xor_b32_e32 v5, v5, v10
	v_mul_f32_e32 v6, 4.0, v5
	v_ldexp_f32 v5, v7, v8
	v_mul_f32_e32 v8, v31, v31
	v_mov_b32_e32 v30, 0x3c0881c4
	v_fmac_f32_e32 v30, 0xb94c1982, v8
	v_fma_f32 v30, v8, v30, v23
	v_mul_f32_e32 v30, v8, v30
	v_fmac_f32_e32 v31, v31, v30
	v_mov_b32_e32 v30, 0xbab64f3b
	v_fmac_f32_e32 v30, 0x37d75334, v8
	v_fma_f32 v30, v8, v30, v24
	v_cmp_ngt_f32_e64 vcc, |v9|, s58
	v_fma_f32 v30, v8, v30, v25
	v_cndmask_b32_e32 v5, 0, v5, vcc
	v_cmp_nlt_f32_e64 vcc, |v9|, s59
	v_fma_f32 v8, v8, v30, 1.0
	v_and_b32_e32 v30, 1, v13
	v_cndmask_b32_e32 v7, v28, v5, vcc
	v_cmp_eq_u32_e32 vcc, 0, v30
	v_lshlrev_b32_e32 v13, 30, v13
	v_cndmask_b32_e64 v8, -v31, v8, vcc
	v_and_b32_e32 v13, 0x80000000, v13
	v_xor_b32_e32 v8, v13, v8
	v_mul_f32_e32 v6, v6, v8
	v_mul_f32_e32 v6, v7, v6
	v_bfi_b32 v5, s33, 1.0, v9
	v_mul_f32_e32 v6, v7, v6
	s_or_b64 exec, exec, s[28:29]
.LBB156_26:                             ;   in Loop: Header=BB156_7 Depth=1
	s_andn2_saveexec_b64 s[0:1], s[26:27]
.LBB156_27:                             ;   in Loop: Header=BB156_7 Depth=1
	v_sub_f32_e32 v6, v10, v10
	v_mov_b32_e32 v5, v6
.LBB156_28:                             ;   in Loop: Header=BB156_7 Depth=1
	s_or_b64 exec, exec, s[0:1]
.LBB156_29:                             ;   in Loop: Header=BB156_7 Depth=1
	s_andn2_saveexec_b64 s[24:25], s[24:25]
	s_cbranch_execz .LBB156_45
; %bb.30:                               ;   in Loop: Header=BB156_7 Depth=1
	v_and_b32_e32 v5, 0x7fffff, v9
	v_cmp_ne_u32_e32 vcc, 0, v5
                                        ; implicit-def: $vgpr6
	s_and_saveexec_b64 s[0:1], vcc
	s_xor_b64 s[0:1], exec, s[0:1]
; %bb.31:                               ;   in Loop: Header=BB156_7 Depth=1
	v_mul_f32_e32 v5, v9, v10
	v_cmp_eq_f32_e32 vcc, 0, v10
	v_cndmask_b32_e32 v6, v5, v10, vcc
; %bb.32:                               ;   in Loop: Header=BB156_7 Depth=1
	s_andn2_saveexec_b64 s[26:27], s[0:1]
	s_cbranch_execz .LBB156_44
; %bb.33:                               ;   in Loop: Header=BB156_7 Depth=1
	v_cmp_neq_f32_e64 s[0:1], |v10|, s38
	s_and_saveexec_b64 s[28:29], s[0:1]
	s_cbranch_execz .LBB156_43
; %bb.34:                               ;   in Loop: Header=BB156_7 Depth=1
	v_and_b32_e32 v5, 0x7fffffff, v10
	v_lshrrev_b32_e32 v6, 23, v5
	v_and_b32_e32 v7, 0x7fffff, v5
	v_cmp_nlt_f32_e64 s[30:31], |v10|, s41
	v_add_u32_e32 v30, 0xffffff88, v6
	v_or_b32_e32 v7, 0x800000, v7
                                        ; implicit-def: $vgpr6
                                        ; implicit-def: $vgpr8
	s_and_saveexec_b64 s[0:1], s[30:31]
	s_xor_b64 s[34:35], exec, s[0:1]
	s_cbranch_execz .LBB156_36
; %bb.35:                               ;   in Loop: Header=BB156_7 Depth=1
	v_mad_u64_u32 v[31:32], s[0:1], v7, s42, 0
	v_cmp_lt_u32_e32 vcc, 63, v30
	v_cndmask_b32_e32 v6, 0, v26, vcc
	v_mov_b32_e32 v13, v32
	v_mad_u64_u32 v[32:33], s[0:1], v7, s43, v[13:14]
	v_add_u32_e32 v6, v6, v30
	v_mov_b32_e32 v13, v33
	v_mad_u64_u32 v[33:34], s[0:1], v7, s44, v[13:14]
	v_mov_b32_e32 v13, v34
	v_mad_u64_u32 v[34:35], s[0:1], v7, s45, v[13:14]
	v_cndmask_b32_e32 v31, v33, v31, vcc
	v_mov_b32_e32 v13, v35
	v_mad_u64_u32 v[35:36], s[0:1], v7, s46, v[13:14]
	v_cmp_lt_u32_e64 s[0:1], 31, v6
	v_cndmask_b32_e64 v8, 0, v27, s[0:1]
	v_mov_b32_e32 v13, v36
	v_mad_u64_u32 v[36:37], s[2:3], v7, s47, v[13:14]
	v_add_u32_e32 v6, v8, v6
	v_cmp_lt_u32_e64 s[2:3], 31, v6
	v_mov_b32_e32 v13, v37
	v_mad_u64_u32 v[37:38], s[6:7], v7, s48, v[13:14]
	v_cndmask_b32_e64 v8, 0, v27, s[2:3]
	v_add_u32_e32 v6, v8, v6
	v_cndmask_b32_e32 v8, v35, v33, vcc
	v_cndmask_b32_e32 v13, v36, v34, vcc
	;; [unrolled: 1-line block ×4, first 2 shown]
	v_cndmask_b32_e64 v39, v13, v8, s[0:1]
	v_cndmask_b32_e64 v13, v35, v13, s[0:1]
	;; [unrolled: 1-line block ×3, first 2 shown]
	v_cndmask_b32_e32 v32, v34, v32, vcc
	v_cndmask_b32_e64 v35, v35, v13, s[2:3]
	v_cndmask_b32_e64 v13, v13, v39, s[2:3]
	v_sub_u32_e32 v36, 32, v6
	v_cndmask_b32_e64 v8, v8, v32, s[0:1]
	v_alignbit_b32 v37, v35, v13, v36
	v_cmp_eq_u32_e64 s[6:7], 0, v6
	v_cndmask_b32_e64 v34, v39, v8, s[2:3]
	v_cndmask_b32_e64 v6, v37, v35, s[6:7]
	v_alignbit_b32 v35, v13, v34, v36
	v_cndmask_b32_e64 v13, v35, v13, s[6:7]
	v_bfe_u32 v38, v6, 29, 1
	v_cndmask_b32_e64 v31, v32, v31, s[0:1]
	v_alignbit_b32 v35, v6, v13, 30
	v_sub_u32_e32 v39, 0, v38
	v_cndmask_b32_e64 v8, v8, v31, s[2:3]
	v_xor_b32_e32 v35, v35, v39
	v_alignbit_b32 v31, v34, v8, v36
	v_cndmask_b32_e64 v31, v31, v34, s[6:7]
	v_ffbh_u32_e32 v32, v35
	v_alignbit_b32 v13, v13, v31, 30
	v_min_u32_e32 v32, 32, v32
	v_alignbit_b32 v8, v31, v8, 30
	v_xor_b32_e32 v13, v13, v39
	v_sub_u32_e32 v33, 31, v32
	v_xor_b32_e32 v8, v8, v39
	v_alignbit_b32 v34, v35, v13, v33
	v_alignbit_b32 v8, v13, v8, v33
	;; [unrolled: 1-line block ×3, first 2 shown]
	v_ffbh_u32_e32 v31, v13
	v_min_u32_e32 v31, 32, v31
	v_lshrrev_b32_e32 v37, 29, v6
	v_not_b32_e32 v33, v31
	v_alignbit_b32 v8, v13, v8, v33
	v_lshlrev_b32_e32 v13, 31, v37
	v_or_b32_e32 v33, 0x33000000, v13
	v_add_lshl_u32 v31, v31, v32, 23
	v_lshrrev_b32_e32 v8, 9, v8
	v_sub_u32_e32 v31, v33, v31
	v_or_b32_e32 v13, 0.5, v13
	v_lshlrev_b32_e32 v32, 23, v32
	v_or_b32_e32 v8, v31, v8
	v_lshrrev_b32_e32 v31, 9, v34
	v_sub_u32_e32 v13, v13, v32
	v_or_b32_e32 v13, v31, v13
	v_mul_f32_e32 v31, 0x3fc90fda, v13
	v_fma_f32 v32, v13, s49, -v31
	v_fmac_f32_e32 v32, 0x33a22168, v13
	v_fmac_f32_e32 v32, 0x3fc90fda, v8
	v_lshrrev_b32_e32 v6, 30, v6
	v_add_f32_e32 v8, v31, v32
	v_add_u32_e32 v6, v38, v6
.LBB156_36:                             ;   in Loop: Header=BB156_7 Depth=1
	s_or_saveexec_b64 s[0:1], s[34:35]
	v_mul_f32_e64 v13, |v10|, s50
	v_rndne_f32_e32 v32, v13
	s_xor_b64 exec, exec, s[0:1]
; %bb.37:                               ;   in Loop: Header=BB156_7 Depth=1
	v_cvt_i32_f32_e32 v6, v32
	v_fma_f32 v8, v32, s51, |v10|
	v_fmac_f32_e32 v8, 0xb3a22168, v32
	v_fmac_f32_e32 v8, 0xa7c234c4, v32
; %bb.38:                               ;   in Loop: Header=BB156_7 Depth=1
	s_or_b64 exec, exec, s[0:1]
                                        ; implicit-def: $vgpr13
                                        ; implicit-def: $vgpr31
	s_and_saveexec_b64 s[0:1], s[30:31]
	s_xor_b64 s[30:31], exec, s[0:1]
	s_cbranch_execz .LBB156_40
; %bb.39:                               ;   in Loop: Header=BB156_7 Depth=1
	v_mad_u64_u32 v[31:32], s[0:1], v7, s42, 0
	v_cmp_lt_u32_e32 vcc, 63, v30
	v_mov_b32_e32 v13, v32
	v_mad_u64_u32 v[32:33], s[0:1], v7, s43, v[13:14]
	v_mov_b32_e32 v13, v33
	v_mad_u64_u32 v[33:34], s[0:1], v7, s44, v[13:14]
	;; [unrolled: 2-line block ×3, first 2 shown]
	v_cndmask_b32_e32 v13, 0, v26, vcc
	v_add_u32_e32 v30, v13, v30
	v_mov_b32_e32 v13, v35
	v_mad_u64_u32 v[35:36], s[0:1], v7, s46, v[13:14]
	v_cmp_lt_u32_e64 s[0:1], 31, v30
	v_cndmask_b32_e64 v13, 0, v27, s[0:1]
	v_add_u32_e32 v30, v13, v30
	v_mov_b32_e32 v13, v36
	v_mad_u64_u32 v[36:37], s[2:3], v7, s47, v[13:14]
	v_cmp_lt_u32_e64 s[2:3], 31, v30
	v_cndmask_b32_e64 v13, 0, v27, s[2:3]
	v_add_u32_e32 v30, v13, v30
	v_mov_b32_e32 v13, v37
	v_mad_u64_u32 v[37:38], s[6:7], v7, s48, v[13:14]
	v_cndmask_b32_e32 v7, v35, v33, vcc
	v_cndmask_b32_e32 v13, v36, v34, vcc
	;; [unrolled: 1-line block ×4, first 2 shown]
	v_cndmask_b32_e64 v39, v13, v7, s[0:1]
	v_cndmask_b32_e64 v13, v35, v13, s[0:1]
	;; [unrolled: 1-line block ×3, first 2 shown]
	v_cndmask_b32_e32 v32, v34, v32, vcc
	v_cndmask_b32_e64 v35, v35, v13, s[2:3]
	v_cndmask_b32_e64 v13, v13, v39, s[2:3]
	v_sub_u32_e32 v36, 32, v30
	v_cndmask_b32_e64 v7, v7, v32, s[0:1]
	v_alignbit_b32 v37, v35, v13, v36
	v_cmp_eq_u32_e64 s[6:7], 0, v30
	v_cndmask_b32_e64 v34, v39, v7, s[2:3]
	v_cndmask_b32_e64 v30, v37, v35, s[6:7]
	v_alignbit_b32 v35, v13, v34, v36
	v_cndmask_b32_e32 v31, v33, v31, vcc
	v_cndmask_b32_e64 v13, v35, v13, s[6:7]
	v_bfe_u32 v38, v30, 29, 1
	v_cndmask_b32_e64 v31, v32, v31, s[0:1]
	v_alignbit_b32 v35, v30, v13, 30
	v_sub_u32_e32 v39, 0, v38
	v_cndmask_b32_e64 v7, v7, v31, s[2:3]
	v_xor_b32_e32 v35, v35, v39
	v_alignbit_b32 v31, v34, v7, v36
	v_cndmask_b32_e64 v31, v31, v34, s[6:7]
	v_ffbh_u32_e32 v32, v35
	v_alignbit_b32 v13, v13, v31, 30
	v_min_u32_e32 v32, 32, v32
	v_alignbit_b32 v7, v31, v7, 30
	v_xor_b32_e32 v13, v13, v39
	v_sub_u32_e32 v33, 31, v32
	v_xor_b32_e32 v7, v7, v39
	v_alignbit_b32 v34, v35, v13, v33
	v_alignbit_b32 v7, v13, v7, v33
	v_alignbit_b32 v13, v34, v7, 9
	v_ffbh_u32_e32 v31, v13
	v_min_u32_e32 v31, 32, v31
	v_lshrrev_b32_e32 v37, 29, v30
	v_not_b32_e32 v33, v31
	v_alignbit_b32 v7, v13, v7, v33
	v_lshlrev_b32_e32 v13, 31, v37
	v_or_b32_e32 v33, 0x33000000, v13
	v_add_lshl_u32 v31, v31, v32, 23
	v_lshrrev_b32_e32 v7, 9, v7
	v_sub_u32_e32 v31, v33, v31
	v_or_b32_e32 v13, 0.5, v13
	v_lshlrev_b32_e32 v32, 23, v32
	v_or_b32_e32 v7, v31, v7
	v_lshrrev_b32_e32 v31, 9, v34
	v_sub_u32_e32 v13, v13, v32
	v_or_b32_e32 v13, v31, v13
	v_mul_f32_e32 v31, 0x3fc90fda, v13
	v_fma_f32 v32, v13, s49, -v31
	v_fmac_f32_e32 v32, 0x33a22168, v13
	v_fmac_f32_e32 v32, 0x3fc90fda, v7
	v_lshrrev_b32_e32 v7, 30, v30
	v_add_f32_e32 v31, v31, v32
	v_add_u32_e32 v13, v38, v7
                                        ; implicit-def: $vgpr32
	s_andn2_saveexec_b64 s[0:1], s[30:31]
	s_cbranch_execnz .LBB156_41
	s_branch .LBB156_42
.LBB156_40:                             ;   in Loop: Header=BB156_7 Depth=1
	s_andn2_saveexec_b64 s[0:1], s[30:31]
.LBB156_41:                             ;   in Loop: Header=BB156_7 Depth=1
	v_cvt_i32_f32_e32 v13, v32
	v_fma_f32 v31, v32, s51, |v10|
	v_fmac_f32_e32 v31, 0xb3a22168, v32
	v_fmac_f32_e32 v31, 0xa7c234c4, v32
.LBB156_42:                             ;   in Loop: Header=BB156_7 Depth=1
	s_or_b64 exec, exec, s[0:1]
	v_mul_f32_e32 v7, v8, v8
	v_mov_b32_e32 v30, 0x3c0881c4
	v_fmac_f32_e32 v30, 0xb94c1982, v7
	v_fma_f32 v30, v7, v30, v23
	v_mul_f32_e32 v30, v7, v30
	v_fmac_f32_e32 v8, v8, v30
	v_mov_b32_e32 v30, 0xbab64f3b
	v_fmac_f32_e32 v30, 0x37d75334, v7
	v_fma_f32 v30, v7, v30, v24
	v_fma_f32 v30, v7, v30, v25
	v_fma_f32 v7, v7, v30, 1.0
	v_and_b32_e32 v30, 1, v6
	v_lshlrev_b32_e32 v6, 30, v6
	v_cmp_eq_u32_e32 vcc, 0, v30
	v_and_b32_e32 v6, 0x80000000, v6
	v_cndmask_b32_e32 v7, v7, v8, vcc
	v_xor_b32_e32 v5, v5, v6
	v_xor_b32_e32 v5, v5, v7
	v_mul_f32_e32 v6, v31, v31
	v_mov_b32_e32 v7, 0x3c0881c4
	v_fmac_f32_e32 v7, 0xb94c1982, v6
	v_fma_f32 v7, v6, v7, v23
	v_mul_f32_e32 v7, v6, v7
	v_fmac_f32_e32 v31, v31, v7
	v_mov_b32_e32 v7, 0xbab64f3b
	v_fmac_f32_e32 v7, 0x37d75334, v6
	v_fma_f32 v7, v6, v7, v24
	v_fma_f32 v7, v6, v7, v25
	v_fma_f32 v6, v6, v7, 1.0
	v_and_b32_e32 v7, 1, v13
	v_cmp_eq_u32_e32 vcc, 0, v7
	v_lshlrev_b32_e32 v7, 30, v13
	v_cndmask_b32_e64 v6, -v31, v6, vcc
	v_and_b32_e32 v7, 0x80000000, v7
	v_xor_b32_e32 v5, v5, v10
	v_xor_b32_e32 v6, v7, v6
	v_mul_f32_e32 v5, v5, v6
	v_cmp_class_f32_e64 vcc, v10, s39
	v_cndmask_b32_e32 v10, v29, v5, vcc
.LBB156_43:                             ;   in Loop: Header=BB156_7 Depth=1
	s_or_b64 exec, exec, s[28:29]
	v_add_u32_e32 v9, -2.0, v9
	v_bfi_b32 v6, s33, 0, v10
.LBB156_44:                             ;   in Loop: Header=BB156_7 Depth=1
	s_or_b64 exec, exec, s[26:27]
	v_mov_b32_e32 v5, v9
.LBB156_45:                             ;   in Loop: Header=BB156_7 Depth=1
	s_or_b64 exec, exec, s[24:25]
	v_and_b32_e32 v7, 0x7fffffff, v11
	v_cmp_gt_u32_e32 vcc, s38, v7
	s_and_saveexec_b64 s[0:1], vcc
	s_xor_b64 s[24:25], exec, s[0:1]
	s_cbranch_execz .LBB156_67
; %bb.46:                               ;   in Loop: Header=BB156_7 Depth=1
	v_cmp_class_f32_e64 s[0:1], v12, s39
	s_and_saveexec_b64 s[2:3], s[0:1]
	s_xor_b64 s[26:27], exec, s[2:3]
	s_cbranch_execz .LBB156_64
; %bb.47:                               ;   in Loop: Header=BB156_7 Depth=1
	v_and_b32_e32 v9, 0x7fffffff, v12
	v_cmp_gt_u32_e32 vcc, s40, v7
	s_and_saveexec_b64 s[0:1], vcc
	s_xor_b64 s[28:29], exec, s[0:1]
	s_cbranch_execz .LBB156_53
; %bb.48:                               ;   in Loop: Header=BB156_7 Depth=1
	v_cmp_nlt_f32_e64 s[0:1], |v12|, s41
                                        ; implicit-def: $vgpr8
                                        ; implicit-def: $vgpr7
	s_and_saveexec_b64 s[2:3], s[0:1]
	s_xor_b64 s[30:31], exec, s[2:3]
	s_cbranch_execz .LBB156_50
; %bb.49:                               ;   in Loop: Header=BB156_7 Depth=1
	v_and_b32_e32 v7, 0x7fffff, v9
	v_or_b32_e32 v10, 0x800000, v7
	v_mad_u64_u32 v[7:8], s[0:1], v10, s42, 0
	v_mov_b32_e32 v13, v8
	v_mad_u64_u32 v[30:31], s[0:1], v10, s43, v[13:14]
	v_lshrrev_b32_e32 v8, 23, v9
	v_add_u32_e32 v8, 0xffffff88, v8
	v_mov_b32_e32 v13, v31
	v_mad_u64_u32 v[31:32], s[0:1], v10, s44, v[13:14]
	v_cmp_lt_u32_e32 vcc, 63, v8
	v_mov_b32_e32 v13, v32
	v_mad_u64_u32 v[32:33], s[0:1], v10, s45, v[13:14]
	v_cndmask_b32_e32 v7, v31, v7, vcc
	v_mov_b32_e32 v13, v33
	v_mad_u64_u32 v[33:34], s[0:1], v10, s46, v[13:14]
	v_cndmask_b32_e32 v13, 0, v26, vcc
	v_add_u32_e32 v8, v13, v8
	v_mov_b32_e32 v13, v34
	v_mad_u64_u32 v[34:35], s[0:1], v10, s47, v[13:14]
	v_cmp_lt_u32_e64 s[0:1], 31, v8
	v_cndmask_b32_e64 v13, 0, v27, s[0:1]
	v_add_u32_e32 v8, v13, v8
	v_mov_b32_e32 v13, v35
	v_mad_u64_u32 v[35:36], s[2:3], v10, s48, v[13:14]
	v_cmp_lt_u32_e64 s[2:3], 31, v8
	v_cndmask_b32_e64 v10, 0, v27, s[2:3]
	v_add_u32_e32 v8, v10, v8
	v_cndmask_b32_e32 v10, v34, v32, vcc
	v_cndmask_b32_e32 v13, v35, v33, vcc
	;; [unrolled: 1-line block ×4, first 2 shown]
	v_cndmask_b32_e64 v35, v13, v10, s[0:1]
	v_cndmask_b32_e64 v13, v34, v13, s[0:1]
	;; [unrolled: 1-line block ×5, first 2 shown]
	v_sub_u32_e32 v35, 32, v8
	v_alignbit_b32 v36, v13, v34, v35
	v_cmp_eq_u32_e64 s[6:7], 0, v8
	v_cndmask_b32_e64 v8, v36, v13, s[6:7]
	v_cndmask_b32_e32 v13, v32, v30, vcc
	v_cndmask_b32_e64 v30, v33, v13, s[0:1]
	v_cndmask_b32_e64 v10, v10, v30, s[2:3]
	v_alignbit_b32 v32, v34, v10, v35
	v_cndmask_b32_e64 v32, v32, v34, s[6:7]
	v_bfe_u32 v36, v8, 29, 1
	v_cndmask_b32_e64 v7, v13, v7, s[0:1]
	v_alignbit_b32 v33, v8, v32, 30
	v_sub_u32_e32 v37, 0, v36
	v_cndmask_b32_e64 v7, v30, v7, s[2:3]
	v_xor_b32_e32 v33, v33, v37
	v_alignbit_b32 v13, v10, v7, v35
	v_cndmask_b32_e64 v10, v13, v10, s[6:7]
	v_ffbh_u32_e32 v30, v33
	v_alignbit_b32 v13, v32, v10, 30
	v_min_u32_e32 v30, 32, v30
	v_alignbit_b32 v7, v10, v7, 30
	v_xor_b32_e32 v13, v13, v37
	v_sub_u32_e32 v31, 31, v30
	v_xor_b32_e32 v7, v7, v37
	v_alignbit_b32 v32, v33, v13, v31
	v_alignbit_b32 v7, v13, v7, v31
	;; [unrolled: 1-line block ×3, first 2 shown]
	v_ffbh_u32_e32 v13, v10
	v_min_u32_e32 v13, 32, v13
	v_lshrrev_b32_e32 v34, 29, v8
	v_not_b32_e32 v31, v13
	v_alignbit_b32 v7, v10, v7, v31
	v_lshlrev_b32_e32 v10, 31, v34
	v_or_b32_e32 v31, 0x33000000, v10
	v_add_lshl_u32 v13, v13, v30, 23
	v_lshrrev_b32_e32 v7, 9, v7
	v_sub_u32_e32 v13, v31, v13
	v_or_b32_e32 v10, 0.5, v10
	v_lshlrev_b32_e32 v30, 23, v30
	v_or_b32_e32 v7, v13, v7
	v_lshrrev_b32_e32 v13, 9, v32
	v_sub_u32_e32 v10, v10, v30
	v_or_b32_e32 v10, v13, v10
	v_mul_f32_e32 v13, 0x3fc90fda, v10
	v_fma_f32 v30, v10, s49, -v13
	v_fmac_f32_e32 v30, 0x33a22168, v10
	v_fmac_f32_e32 v30, 0x3fc90fda, v7
	v_lshrrev_b32_e32 v8, 30, v8
	v_add_f32_e32 v7, v13, v30
	v_add_u32_e32 v8, v36, v8
.LBB156_50:                             ;   in Loop: Header=BB156_7 Depth=1
	s_andn2_saveexec_b64 s[0:1], s[30:31]
; %bb.51:                               ;   in Loop: Header=BB156_7 Depth=1
	v_mul_f32_e64 v7, |v12|, s50
	v_rndne_f32_e32 v10, v7
	v_cvt_i32_f32_e32 v8, v10
	v_fma_f32 v7, v10, s51, |v12|
	v_fmac_f32_e32 v7, 0xb3a22168, v10
	v_fmac_f32_e32 v7, 0xa7c234c4, v10
; %bb.52:                               ;   in Loop: Header=BB156_7 Depth=1
	s_or_b64 exec, exec, s[0:1]
	v_mul_f32_e32 v10, v7, v7
	v_mov_b32_e32 v13, 0xbf039337
	v_fmac_f32_e32 v13, 0x3c971480, v10
	v_fma_f32 v13, v10, v13, v18
	v_rcp_f32_e32 v13, v13
	v_mov_b32_e32 v30, 0x3ec54587
	v_fmac_f32_e32 v30, 0xbc8cedd3, v10
	v_and_b32_e32 v8, 1, v8
	v_mul_f32_e32 v13, v30, v13
	v_mul_f32_e32 v10, v10, v13
	v_fma_f32 v13, v10, v7, v7
	v_rcp_f32_e32 v30, v13
	v_sub_f32_e32 v31, v13, v7
	v_fma_f32 v7, v10, v7, -v31
	v_cmp_eq_u32_e32 vcc, 0, v8
	v_fma_f32 v10, v13, -v30, 1.0
	v_fma_f32 v7, v7, -v30, v10
	v_add_f32_e64 v8, |v11|, s52
	v_fma_f32 v7, v7, -v30, -v30
	v_sub_f32_e64 v10, v8, |v11|
	v_cndmask_b32_e32 v7, v7, v13, vcc
	v_sub_f32_e32 v13, v10, v8
	v_add_f32_e64 v13, |v11|, v13
	v_add_f32_e32 v10, 0x3f317218, v10
	v_sub_f32_e32 v10, v13, v10
	v_add_f32_e32 v10, 0x3102e308, v10
	v_add_f32_e32 v13, v8, v10
	v_sub_f32_e32 v8, v8, v13
	v_add_f32_e32 v8, v10, v8
	v_mul_f32_e32 v10, 0x3fb8aa3b, v13
	v_rndne_f32_e32 v10, v10
	v_fmac_f32_e32 v13, 0xbf317200, v10
	v_add_f32_e32 v30, v8, v13
	v_sub_f32_e32 v13, v13, v30
	v_add_f32_e32 v8, v8, v13
	v_mul_f32_e32 v13, 0x35bfbc00, v10
	v_sub_f32_e32 v31, v30, v13
	v_sub_f32_e32 v30, v30, v31
	;; [unrolled: 1-line block ×3, first 2 shown]
	v_add_f32_e32 v8, v8, v13
	v_add_f32_e32 v13, v31, v8
	v_sub_f32_e32 v30, v31, v13
	v_add_f32_e32 v8, v8, v30
	v_mul_f32_e32 v30, 0x2ea39ef3, v10
	v_sub_f32_e32 v31, v13, v30
	v_sub_f32_e32 v13, v13, v31
	;; [unrolled: 1-line block ×3, first 2 shown]
	v_add_f32_e32 v8, v8, v13
	v_add_f32_e32 v13, v31, v8
	v_sub_f32_e32 v31, v31, v13
	v_mov_b32_e32 v30, 0x3c091de6
	v_add_f32_e32 v8, v8, v31
	v_mul_f32_e32 v32, v13, v13
	v_fmac_f32_e32 v30, 0x3ab42872, v13
	v_add_f32_e32 v31, v8, v8
	v_fma_f32 v33, v13, v13, -v32
	v_fma_f32 v30, v13, v30, v19
	v_fmac_f32_e32 v33, v13, v31
	v_fma_f32 v30, v13, v30, v20
	v_add_f32_e32 v31, v32, v33
	v_fma_f32 v30, v13, v30, v21
	v_sub_f32_e32 v32, v31, v32
	v_sub_f32_e32 v32, v33, v32
	v_mul_f32_e32 v33, v30, v31
	v_fma_f32 v31, v31, v30, -v33
	v_fmac_f32_e32 v31, v32, v30
	v_add_f32_e32 v30, v33, v31
	v_sub_f32_e32 v32, v30, v33
	v_sub_f32_e32 v31, v31, v32
	v_add_f32_e32 v32, v13, v30
	v_sub_f32_e32 v13, v32, v13
	v_sub_f32_e32 v13, v30, v13
	v_add_f32_e32 v8, v8, v31
	v_add_f32_e32 v8, v8, v13
	;; [unrolled: 1-line block ×3, first 2 shown]
	v_sub_f32_e32 v30, v13, v32
	v_sub_f32_e32 v8, v8, v30
	v_add_f32_e32 v30, 1.0, v13
	v_add_f32_e32 v31, -1.0, v30
	v_cvt_i32_f32_e32 v10, v10
	v_sub_f32_e32 v13, v13, v31
	v_add_f32_e32 v8, v8, v13
	v_add_f32_e32 v13, v30, v8
	v_ldexp_f32 v31, v13, v10
	v_rcp_f32_e32 v32, v31
	v_sub_f32_e32 v13, v13, v30
	v_sub_f32_e32 v8, v8, v13
	v_ldexp_f32 v8, v8, v10
	v_mul_f32_e32 v10, v31, v32
	v_fma_f32 v13, v32, v31, -v10
	v_fmac_f32_e32 v13, v32, v8
	v_add_f32_e32 v30, v10, v13
	v_sub_f32_e32 v33, 1.0, v30
	v_sub_f32_e32 v34, 1.0, v33
	v_sub_f32_e32 v10, v30, v10
	v_sub_f32_e32 v34, v34, v30
	;; [unrolled: 1-line block ×3, first 2 shown]
	v_add_f32_e32 v10, v10, v34
	v_add_f32_e32 v13, v33, v10
	v_mul_f32_e32 v30, v32, v13
	v_mul_f32_e32 v34, v31, v30
	v_fma_f32 v35, v30, v31, -v34
	v_fmac_f32_e32 v35, v30, v8
	v_sub_f32_e32 v33, v33, v13
	v_add_f32_e32 v10, v10, v33
	v_add_f32_e32 v33, v34, v35
	v_sub_f32_e32 v36, v13, v33
	v_sub_f32_e32 v13, v13, v36
	;; [unrolled: 1-line block ×4, first 2 shown]
	v_add_f32_e32 v10, v10, v13
	v_sub_f32_e32 v13, v34, v35
	v_add_f32_e32 v10, v13, v10
	v_add_f32_e32 v10, v36, v10
	;; [unrolled: 1-line block ×3, first 2 shown]
	v_mul_f32_e32 v10, v32, v10
	v_sub_f32_e32 v32, v13, v32
	v_sub_f32_e32 v30, v30, v32
	v_add_f32_e32 v10, v30, v10
	v_add_f32_e32 v30, v13, v10
	v_sub_f32_e32 v13, v30, v13
	v_sub_f32_e32 v10, v10, v13
	v_ldexp_f32 v13, v30, -2
	v_sub_f32_e32 v30, v31, v13
	v_sub_f32_e32 v31, v31, v30
	;; [unrolled: 1-line block ×3, first 2 shown]
	v_ldexp_f32 v10, v10, -2
	v_add_f32_e32 v8, v8, v13
	v_sub_f32_e32 v8, v8, v10
	v_add_f32_e32 v8, v30, v8
	v_cmp_ngt_f32_e64 vcc, |v11|, s53
	v_cndmask_b32_e32 v8, v28, v8, vcc
	v_cmp_lt_f32_e64 s[0:1], |v11|, s54
	v_cndmask_b32_e64 v8, v8, |v11|, s[0:1]
	v_bfi_b32 v8, s33, v8, v11
	v_fma_f32 v10, v8, v8, 1.0
	v_mul_f32_e32 v11, 0x4f800000, v10
	v_cmp_gt_f32_e32 vcc, s55, v10
	v_cndmask_b32_e32 v10, v10, v11, vcc
	v_sqrt_f32_e32 v11, v10
	v_xor_b32_e32 v7, v9, v7
	v_xor_b32_e32 v9, v7, v12
	v_fma_f32 v7, v9, v9, 1.0
	v_add_u32_e32 v12, -1, v11
	v_fma_f32 v13, -v12, v11, v10
	v_cmp_ge_f32_e64 s[0:1], 0, v13
	v_add_u32_e32 v13, 1, v11
	v_cndmask_b32_e64 v12, v11, v12, s[0:1]
	v_fma_f32 v11, -v13, v11, v10
	v_cmp_lt_f32_e64 s[0:1], 0, v11
	v_cndmask_b32_e64 v11, v12, v13, s[0:1]
	v_mul_f32_e32 v12, 0x37800000, v11
	v_cndmask_b32_e32 v11, v11, v12, vcc
	v_cmp_class_f32_e32 vcc, v10, v22
	v_cndmask_b32_e32 v10, v11, v10, vcc
	v_mul_f32_e32 v11, v8, v7
	v_mul_f32_e32 v7, v10, v7
	v_fma_f32 v11, v8, v11, 1.0
	v_mul_f32_e32 v7, v8, v7
	v_div_scale_f32 v8, s[0:1], v11, v11, v7
	v_div_scale_f32 v10, vcc, v7, v11, v7
	v_div_scale_f32 v12, s[0:1], v11, v11, v9
	v_div_scale_f32 v13, s[0:1], v9, v11, v9
	v_rcp_f32_e32 v30, v8
	v_fma_f32 v31, -v8, v30, 1.0
	v_fmac_f32_e32 v30, v31, v30
	v_mul_f32_e32 v31, v10, v30
	v_fma_f32 v32, -v8, v31, v10
	v_fmac_f32_e32 v31, v32, v30
	v_rcp_f32_e32 v32, v12
	v_fma_f32 v8, -v8, v31, v10
	v_div_fmas_f32 v8, v8, v30, v31
	s_mov_b64 vcc, s[0:1]
	v_fma_f32 v10, -v12, v32, 1.0
	v_fmac_f32_e32 v32, v10, v32
	v_mul_f32_e32 v10, v13, v32
	v_fma_f32 v30, -v12, v10, v13
	v_fmac_f32_e32 v10, v30, v32
	v_fma_f32 v12, -v12, v10, v13
	v_div_fmas_f32 v10, v12, v32, v10
	v_div_fixup_f32 v7, v8, v11, v7
	v_div_fixup_f32 v8, v10, v11, v9
                                        ; implicit-def: $vgpr9_vgpr10_vgpr11_vgpr12
                                        ; implicit-def: $vgpr9
.LBB156_53:                             ;   in Loop: Header=BB156_7 Depth=1
	s_andn2_saveexec_b64 s[28:29], s[28:29]
	s_cbranch_execz .LBB156_63
; %bb.54:                               ;   in Loop: Header=BB156_7 Depth=1
	v_lshrrev_b32_e32 v7, 23, v9
	v_and_b32_e32 v8, 0x7fffff, v9
	v_cmp_nlt_f32_e64 s[30:31], |v12|, s41
	v_add_u32_e32 v30, 0xffffff88, v7
	v_or_b32_e32 v7, 0x800000, v8
                                        ; implicit-def: $vgpr8
                                        ; implicit-def: $vgpr10
	s_and_saveexec_b64 s[0:1], s[30:31]
	s_xor_b64 s[34:35], exec, s[0:1]
	s_cbranch_execz .LBB156_56
; %bb.55:                               ;   in Loop: Header=BB156_7 Depth=1
	v_mad_u64_u32 v[31:32], s[0:1], v7, s42, 0
	v_cmp_lt_u32_e32 vcc, 63, v30
	v_cndmask_b32_e32 v8, 0, v26, vcc
	v_mov_b32_e32 v13, v32
	v_mad_u64_u32 v[32:33], s[0:1], v7, s43, v[13:14]
	v_add_u32_e32 v8, v8, v30
	v_mov_b32_e32 v13, v33
	v_mad_u64_u32 v[33:34], s[0:1], v7, s44, v[13:14]
	v_mov_b32_e32 v13, v34
	v_mad_u64_u32 v[34:35], s[0:1], v7, s45, v[13:14]
	v_cndmask_b32_e32 v31, v33, v31, vcc
	v_mov_b32_e32 v13, v35
	v_mad_u64_u32 v[35:36], s[0:1], v7, s46, v[13:14]
	v_cmp_lt_u32_e64 s[0:1], 31, v8
	v_cndmask_b32_e64 v10, 0, v27, s[0:1]
	v_mov_b32_e32 v13, v36
	v_mad_u64_u32 v[36:37], s[2:3], v7, s47, v[13:14]
	v_add_u32_e32 v8, v10, v8
	v_cmp_lt_u32_e64 s[2:3], 31, v8
	v_mov_b32_e32 v13, v37
	v_mad_u64_u32 v[37:38], s[6:7], v7, s48, v[13:14]
	v_cndmask_b32_e64 v10, 0, v27, s[2:3]
	v_add_u32_e32 v8, v10, v8
	v_cndmask_b32_e32 v10, v35, v33, vcc
	v_cndmask_b32_e32 v13, v36, v34, vcc
	v_cndmask_b32_e32 v35, v37, v35, vcc
	v_cndmask_b32_e32 v36, v38, v36, vcc
	v_cndmask_b32_e64 v39, v13, v10, s[0:1]
	v_cndmask_b32_e64 v13, v35, v13, s[0:1]
	;; [unrolled: 1-line block ×3, first 2 shown]
	v_cndmask_b32_e32 v32, v34, v32, vcc
	v_cndmask_b32_e64 v35, v35, v13, s[2:3]
	v_cndmask_b32_e64 v13, v13, v39, s[2:3]
	v_sub_u32_e32 v36, 32, v8
	v_cndmask_b32_e64 v10, v10, v32, s[0:1]
	v_alignbit_b32 v37, v35, v13, v36
	v_cmp_eq_u32_e64 s[6:7], 0, v8
	v_cndmask_b32_e64 v34, v39, v10, s[2:3]
	v_cndmask_b32_e64 v8, v37, v35, s[6:7]
	v_alignbit_b32 v35, v13, v34, v36
	v_cndmask_b32_e64 v13, v35, v13, s[6:7]
	v_bfe_u32 v38, v8, 29, 1
	v_cndmask_b32_e64 v31, v32, v31, s[0:1]
	v_alignbit_b32 v35, v8, v13, 30
	v_sub_u32_e32 v39, 0, v38
	v_cndmask_b32_e64 v10, v10, v31, s[2:3]
	v_xor_b32_e32 v35, v35, v39
	v_alignbit_b32 v31, v34, v10, v36
	v_cndmask_b32_e64 v31, v31, v34, s[6:7]
	v_ffbh_u32_e32 v32, v35
	v_alignbit_b32 v13, v13, v31, 30
	v_min_u32_e32 v32, 32, v32
	v_alignbit_b32 v10, v31, v10, 30
	v_xor_b32_e32 v13, v13, v39
	v_sub_u32_e32 v33, 31, v32
	v_xor_b32_e32 v10, v10, v39
	v_alignbit_b32 v34, v35, v13, v33
	v_alignbit_b32 v10, v13, v10, v33
	;; [unrolled: 1-line block ×3, first 2 shown]
	v_ffbh_u32_e32 v31, v13
	v_min_u32_e32 v31, 32, v31
	v_lshrrev_b32_e32 v37, 29, v8
	v_not_b32_e32 v33, v31
	v_alignbit_b32 v10, v13, v10, v33
	v_lshlrev_b32_e32 v13, 31, v37
	v_or_b32_e32 v33, 0x33000000, v13
	v_add_lshl_u32 v31, v31, v32, 23
	v_lshrrev_b32_e32 v10, 9, v10
	v_sub_u32_e32 v31, v33, v31
	v_or_b32_e32 v13, 0.5, v13
	v_lshlrev_b32_e32 v32, 23, v32
	v_or_b32_e32 v10, v31, v10
	v_lshrrev_b32_e32 v31, 9, v34
	v_sub_u32_e32 v13, v13, v32
	v_or_b32_e32 v13, v31, v13
	v_mul_f32_e32 v31, 0x3fc90fda, v13
	v_fma_f32 v32, v13, s49, -v31
	v_fmac_f32_e32 v32, 0x33a22168, v13
	v_fmac_f32_e32 v32, 0x3fc90fda, v10
	v_lshrrev_b32_e32 v8, 30, v8
	v_add_f32_e32 v10, v31, v32
	v_add_u32_e32 v8, v38, v8
	s_andn2_saveexec_b64 s[0:1], s[34:35]
	s_branch .LBB156_57
.LBB156_56:                             ;   in Loop: Header=BB156_7 Depth=1
	s_andn2_saveexec_b64 s[0:1], s[34:35]
.LBB156_57:                             ;   in Loop: Header=BB156_7 Depth=1
	v_mul_f32_e64 v8, |v12|, s50
	v_rndne_f32_e32 v13, v8
	v_cvt_i32_f32_e32 v8, v13
	v_fma_f32 v10, v13, s51, |v12|
	v_fmac_f32_e32 v10, 0xb3a22168, v13
	v_fmac_f32_e32 v10, 0xa7c234c4, v13
; %bb.58:                               ;   in Loop: Header=BB156_7 Depth=1
	s_or_b64 exec, exec, s[0:1]
                                        ; implicit-def: $vgpr13
                                        ; implicit-def: $vgpr31
	s_and_saveexec_b64 s[0:1], s[30:31]
	s_xor_b64 s[30:31], exec, s[0:1]
	s_cbranch_execz .LBB156_60
; %bb.59:                               ;   in Loop: Header=BB156_7 Depth=1
	v_mad_u64_u32 v[31:32], s[0:1], v7, s42, 0
	v_cmp_lt_u32_e32 vcc, 63, v30
	v_mov_b32_e32 v13, v32
	v_mad_u64_u32 v[32:33], s[0:1], v7, s43, v[13:14]
	v_mov_b32_e32 v13, v33
	v_mad_u64_u32 v[33:34], s[0:1], v7, s44, v[13:14]
	;; [unrolled: 2-line block ×3, first 2 shown]
	v_cndmask_b32_e32 v13, 0, v26, vcc
	v_add_u32_e32 v30, v13, v30
	v_mov_b32_e32 v13, v35
	v_mad_u64_u32 v[35:36], s[0:1], v7, s46, v[13:14]
	v_cmp_lt_u32_e64 s[0:1], 31, v30
	v_cndmask_b32_e64 v13, 0, v27, s[0:1]
	v_add_u32_e32 v30, v13, v30
	v_mov_b32_e32 v13, v36
	v_mad_u64_u32 v[36:37], s[2:3], v7, s47, v[13:14]
	v_cmp_lt_u32_e64 s[2:3], 31, v30
	v_cndmask_b32_e64 v13, 0, v27, s[2:3]
	v_add_u32_e32 v30, v13, v30
	v_mov_b32_e32 v13, v37
	v_mad_u64_u32 v[37:38], s[6:7], v7, s48, v[13:14]
	v_cndmask_b32_e32 v7, v35, v33, vcc
	v_cndmask_b32_e32 v13, v36, v34, vcc
	;; [unrolled: 1-line block ×4, first 2 shown]
	v_cndmask_b32_e64 v39, v13, v7, s[0:1]
	v_cndmask_b32_e64 v13, v35, v13, s[0:1]
	;; [unrolled: 1-line block ×3, first 2 shown]
	v_cndmask_b32_e32 v32, v34, v32, vcc
	v_cndmask_b32_e64 v35, v35, v13, s[2:3]
	v_cndmask_b32_e64 v13, v13, v39, s[2:3]
	v_sub_u32_e32 v36, 32, v30
	v_cndmask_b32_e64 v7, v7, v32, s[0:1]
	v_alignbit_b32 v37, v35, v13, v36
	v_cmp_eq_u32_e64 s[6:7], 0, v30
	v_cndmask_b32_e64 v34, v39, v7, s[2:3]
	v_cndmask_b32_e64 v30, v37, v35, s[6:7]
	v_alignbit_b32 v35, v13, v34, v36
	v_cndmask_b32_e32 v31, v33, v31, vcc
	v_cndmask_b32_e64 v13, v35, v13, s[6:7]
	v_bfe_u32 v38, v30, 29, 1
	v_cndmask_b32_e64 v31, v32, v31, s[0:1]
	v_alignbit_b32 v35, v30, v13, 30
	v_sub_u32_e32 v39, 0, v38
	v_cndmask_b32_e64 v7, v7, v31, s[2:3]
	v_xor_b32_e32 v35, v35, v39
	v_alignbit_b32 v31, v34, v7, v36
	v_cndmask_b32_e64 v31, v31, v34, s[6:7]
	v_ffbh_u32_e32 v32, v35
	v_alignbit_b32 v13, v13, v31, 30
	v_min_u32_e32 v32, 32, v32
	v_alignbit_b32 v7, v31, v7, 30
	v_xor_b32_e32 v13, v13, v39
	v_sub_u32_e32 v33, 31, v32
	v_xor_b32_e32 v7, v7, v39
	v_alignbit_b32 v34, v35, v13, v33
	v_alignbit_b32 v7, v13, v7, v33
	;; [unrolled: 1-line block ×3, first 2 shown]
	v_ffbh_u32_e32 v31, v13
	v_min_u32_e32 v31, 32, v31
	v_lshrrev_b32_e32 v37, 29, v30
	v_not_b32_e32 v33, v31
	v_alignbit_b32 v7, v13, v7, v33
	v_lshlrev_b32_e32 v13, 31, v37
	v_or_b32_e32 v33, 0x33000000, v13
	v_add_lshl_u32 v31, v31, v32, 23
	v_lshrrev_b32_e32 v7, 9, v7
	v_sub_u32_e32 v31, v33, v31
	v_or_b32_e32 v13, 0.5, v13
	v_lshlrev_b32_e32 v32, 23, v32
	v_or_b32_e32 v7, v31, v7
	v_lshrrev_b32_e32 v31, 9, v34
	v_sub_u32_e32 v13, v13, v32
	v_or_b32_e32 v13, v31, v13
	v_mul_f32_e32 v31, 0x3fc90fda, v13
	v_fma_f32 v32, v13, s49, -v31
	v_fmac_f32_e32 v32, 0x33a22168, v13
	v_fmac_f32_e32 v32, 0x3fc90fda, v7
	v_lshrrev_b32_e32 v7, 30, v30
	v_add_f32_e32 v31, v31, v32
	v_add_u32_e32 v13, v38, v7
	s_andn2_saveexec_b64 s[0:1], s[30:31]
	s_cbranch_execnz .LBB156_61
	s_branch .LBB156_62
.LBB156_60:                             ;   in Loop: Header=BB156_7 Depth=1
	s_andn2_saveexec_b64 s[0:1], s[30:31]
.LBB156_61:                             ;   in Loop: Header=BB156_7 Depth=1
	v_mul_f32_e64 v7, |v12|, s50
	v_rndne_f32_e32 v7, v7
	v_cvt_i32_f32_e32 v13, v7
	v_fma_f32 v31, v7, s51, |v12|
	v_fmac_f32_e32 v31, 0xb3a22168, v7
	v_fmac_f32_e32 v31, 0xa7c234c4, v7
.LBB156_62:                             ;   in Loop: Header=BB156_7 Depth=1
	s_or_b64 exec, exec, s[0:1]
	v_mul_f32_e32 v7, v10, v10
	v_mov_b32_e32 v30, 0x3c0881c4
	v_fmac_f32_e32 v30, 0xb94c1982, v7
	v_fma_f32 v30, v7, v30, v23
	v_mul_f32_e32 v30, v7, v30
	v_fmac_f32_e32 v10, v10, v30
	v_mov_b32_e32 v30, 0xbab64f3b
	v_fmac_f32_e32 v30, 0x37d75334, v7
	v_fma_f32 v30, v7, v30, v24
	v_fma_f32 v30, v7, v30, v25
	v_fma_f32 v7, v7, v30, 1.0
	v_and_b32_e32 v30, 1, v8
	v_lshlrev_b32_e32 v8, 30, v8
	v_and_b32_e32 v8, 0x80000000, v8
	v_cmp_eq_u32_e32 vcc, 0, v30
	v_xor_b32_e32 v8, v9, v8
	v_mul_f32_e64 v9, |v11|, s56
	v_cndmask_b32_e32 v7, v7, v10, vcc
	v_rndne_f32_e32 v10, v9
	v_sub_f32_e32 v30, v9, v10
	v_fma_f32 v9, |v11|, s56, -v9
	v_fma_f32 v9, |v11|, s57, v9
	v_add_f32_e32 v9, v30, v9
	v_exp_f32_e32 v9, v9
	v_cvt_i32_f32_e32 v10, v10
	v_xor_b32_e32 v7, v8, v7
	v_xor_b32_e32 v7, v7, v12
	v_mul_f32_e32 v8, 4.0, v7
	v_ldexp_f32 v7, v9, v10
	v_cmp_ngt_f32_e64 vcc, |v11|, s58
	v_cndmask_b32_e32 v7, 0, v7, vcc
	v_cmp_nlt_f32_e64 vcc, |v11|, s59
	v_cndmask_b32_e32 v9, v28, v7, vcc
	v_bfi_b32 v7, s33, 1.0, v11
	v_mul_f32_e32 v10, v31, v31
	v_mov_b32_e32 v11, 0x3c0881c4
	v_fmac_f32_e32 v11, 0xb94c1982, v10
	v_fma_f32 v11, v10, v11, v23
	v_mul_f32_e32 v11, v10, v11
	v_fmac_f32_e32 v31, v31, v11
	v_mov_b32_e32 v11, 0xbab64f3b
	v_fmac_f32_e32 v11, 0x37d75334, v10
	v_fma_f32 v11, v10, v11, v24
	v_fma_f32 v11, v10, v11, v25
	v_fma_f32 v10, v10, v11, 1.0
	v_and_b32_e32 v11, 1, v13
	v_cmp_eq_u32_e32 vcc, 0, v11
	v_lshlrev_b32_e32 v11, 30, v13
	v_cndmask_b32_e64 v10, -v31, v10, vcc
	v_and_b32_e32 v11, 0x80000000, v11
	v_xor_b32_e32 v10, v11, v10
	v_mul_f32_e32 v8, v8, v10
	v_mul_f32_e32 v8, v9, v8
	;; [unrolled: 1-line block ×3, first 2 shown]
.LBB156_63:                             ;   in Loop: Header=BB156_7 Depth=1
	s_or_b64 exec, exec, s[28:29]
                                        ; implicit-def: $vgpr9_vgpr10_vgpr11_vgpr12
.LBB156_64:                             ;   in Loop: Header=BB156_7 Depth=1
	s_andn2_saveexec_b64 s[0:1], s[26:27]
; %bb.65:                               ;   in Loop: Header=BB156_7 Depth=1
	v_sub_f32_e32 v8, v12, v12
	v_mov_b32_e32 v7, v8
; %bb.66:                               ;   in Loop: Header=BB156_7 Depth=1
	s_or_b64 exec, exec, s[0:1]
                                        ; implicit-def: $vgpr11
.LBB156_67:                             ;   in Loop: Header=BB156_7 Depth=1
	s_andn2_saveexec_b64 s[24:25], s[24:25]
	s_cbranch_execz .LBB156_83
; %bb.68:                               ;   in Loop: Header=BB156_7 Depth=1
	v_and_b32_e32 v7, 0x7fffff, v11
	v_cmp_ne_u32_e32 vcc, 0, v7
	s_and_saveexec_b64 s[0:1], vcc
	s_xor_b64 s[0:1], exec, s[0:1]
; %bb.69:                               ;   in Loop: Header=BB156_7 Depth=1
	v_mul_f32_e32 v7, v11, v12
	v_cmp_eq_f32_e32 vcc, 0, v12
	v_cndmask_b32_e32 v8, v7, v12, vcc
; %bb.70:                               ;   in Loop: Header=BB156_7 Depth=1
	s_andn2_saveexec_b64 s[26:27], s[0:1]
	s_cbranch_execz .LBB156_82
; %bb.71:                               ;   in Loop: Header=BB156_7 Depth=1
	v_cmp_neq_f32_e64 s[0:1], |v12|, s38
	s_and_saveexec_b64 s[28:29], s[0:1]
	s_cbranch_execz .LBB156_81
; %bb.72:                               ;   in Loop: Header=BB156_7 Depth=1
	v_and_b32_e32 v7, 0x7fffffff, v12
	v_lshrrev_b32_e32 v8, 23, v7
	v_and_b32_e32 v9, 0x7fffff, v7
	v_cmp_nlt_f32_e64 s[30:31], |v12|, s41
	v_add_u32_e32 v30, 0xffffff88, v8
	v_or_b32_e32 v8, 0x800000, v9
                                        ; implicit-def: $vgpr9
                                        ; implicit-def: $vgpr10
	s_and_saveexec_b64 s[0:1], s[30:31]
	s_xor_b64 s[34:35], exec, s[0:1]
	s_cbranch_execz .LBB156_74
; %bb.73:                               ;   in Loop: Header=BB156_7 Depth=1
	v_mad_u64_u32 v[9:10], s[0:1], v8, s42, 0
	v_cmp_lt_u32_e32 vcc, 63, v30
	v_mov_b32_e32 v13, v10
	v_mad_u64_u32 v[31:32], s[0:1], v8, s43, v[13:14]
	v_cndmask_b32_e32 v10, 0, v26, vcc
	v_add_u32_e32 v10, v10, v30
	v_mov_b32_e32 v13, v32
	v_mad_u64_u32 v[32:33], s[0:1], v8, s44, v[13:14]
	v_mov_b32_e32 v13, v33
	v_mad_u64_u32 v[33:34], s[0:1], v8, s45, v[13:14]
	v_cndmask_b32_e32 v9, v32, v9, vcc
	v_mov_b32_e32 v13, v34
	v_mad_u64_u32 v[34:35], s[0:1], v8, s46, v[13:14]
	v_cmp_lt_u32_e64 s[0:1], 31, v10
	v_cndmask_b32_e64 v13, 0, v27, s[0:1]
	v_add_u32_e32 v10, v13, v10
	v_mov_b32_e32 v13, v35
	v_mad_u64_u32 v[35:36], s[2:3], v8, s47, v[13:14]
	v_cmp_lt_u32_e64 s[2:3], 31, v10
	v_cndmask_b32_e64 v13, 0, v27, s[2:3]
	v_add_u32_e32 v10, v13, v10
	v_mov_b32_e32 v13, v36
	v_mad_u64_u32 v[36:37], s[6:7], v8, s48, v[13:14]
	v_cndmask_b32_e32 v13, v34, v32, vcc
	v_cndmask_b32_e32 v38, v35, v33, vcc
	v_cndmask_b32_e32 v34, v36, v34, vcc
	v_cndmask_b32_e32 v35, v37, v35, vcc
	v_cndmask_b32_e64 v39, v38, v13, s[0:1]
	v_cndmask_b32_e64 v36, v34, v38, s[0:1]
	;; [unrolled: 1-line block ×5, first 2 shown]
	v_sub_u32_e32 v36, 32, v10
	v_cmp_eq_u32_e64 s[6:7], 0, v10
	v_cndmask_b32_e32 v10, v33, v31, vcc
	v_cndmask_b32_e64 v13, v13, v10, s[0:1]
	v_alignbit_b32 v37, v34, v35, v36
	v_cndmask_b32_e64 v31, v39, v13, s[2:3]
	v_cndmask_b32_e64 v34, v37, v34, s[6:7]
	v_alignbit_b32 v33, v35, v31, v36
	v_cndmask_b32_e64 v33, v33, v35, s[6:7]
	v_bfe_u32 v38, v34, 29, 1
	v_cndmask_b32_e64 v9, v10, v9, s[0:1]
	v_alignbit_b32 v35, v34, v33, 30
	v_sub_u32_e32 v39, 0, v38
	v_cndmask_b32_e64 v9, v13, v9, s[2:3]
	v_xor_b32_e32 v35, v35, v39
	v_alignbit_b32 v10, v31, v9, v36
	v_cndmask_b32_e64 v10, v10, v31, s[6:7]
	v_ffbh_u32_e32 v31, v35
	v_alignbit_b32 v13, v33, v10, 30
	v_min_u32_e32 v31, 32, v31
	v_alignbit_b32 v9, v10, v9, 30
	v_xor_b32_e32 v13, v13, v39
	v_sub_u32_e32 v32, 31, v31
	v_xor_b32_e32 v9, v9, v39
	v_alignbit_b32 v33, v35, v13, v32
	v_alignbit_b32 v9, v13, v9, v32
	;; [unrolled: 1-line block ×3, first 2 shown]
	v_ffbh_u32_e32 v13, v10
	v_min_u32_e32 v13, 32, v13
	v_lshrrev_b32_e32 v37, 29, v34
	v_not_b32_e32 v32, v13
	v_alignbit_b32 v9, v10, v9, v32
	v_lshlrev_b32_e32 v10, 31, v37
	v_or_b32_e32 v32, 0x33000000, v10
	v_add_lshl_u32 v13, v13, v31, 23
	v_lshrrev_b32_e32 v9, 9, v9
	v_sub_u32_e32 v13, v32, v13
	v_or_b32_e32 v10, 0.5, v10
	v_lshlrev_b32_e32 v31, 23, v31
	v_or_b32_e32 v9, v13, v9
	v_lshrrev_b32_e32 v13, 9, v33
	v_sub_u32_e32 v10, v10, v31
	v_or_b32_e32 v10, v13, v10
	v_mul_f32_e32 v13, 0x3fc90fda, v10
	v_fma_f32 v31, v10, s49, -v13
	v_fmac_f32_e32 v31, 0x33a22168, v10
	v_fmac_f32_e32 v31, 0x3fc90fda, v9
	v_lshrrev_b32_e32 v9, 30, v34
	v_add_f32_e32 v10, v13, v31
	v_add_u32_e32 v9, v38, v9
.LBB156_74:                             ;   in Loop: Header=BB156_7 Depth=1
	s_or_saveexec_b64 s[0:1], s[34:35]
	v_mul_f32_e64 v13, |v12|, s50
	v_rndne_f32_e32 v32, v13
	s_xor_b64 exec, exec, s[0:1]
; %bb.75:                               ;   in Loop: Header=BB156_7 Depth=1
	v_cvt_i32_f32_e32 v9, v32
	v_fma_f32 v10, v32, s51, |v12|
	v_fmac_f32_e32 v10, 0xb3a22168, v32
	v_fmac_f32_e32 v10, 0xa7c234c4, v32
; %bb.76:                               ;   in Loop: Header=BB156_7 Depth=1
	s_or_b64 exec, exec, s[0:1]
                                        ; implicit-def: $vgpr13
                                        ; implicit-def: $vgpr31
	s_and_saveexec_b64 s[0:1], s[30:31]
	s_xor_b64 s[30:31], exec, s[0:1]
	s_cbranch_execz .LBB156_78
; %bb.77:                               ;   in Loop: Header=BB156_7 Depth=1
	v_mad_u64_u32 v[31:32], s[0:1], v8, s42, 0
	v_cmp_lt_u32_e32 vcc, 63, v30
	v_mov_b32_e32 v13, v32
	v_mad_u64_u32 v[32:33], s[0:1], v8, s43, v[13:14]
	v_mov_b32_e32 v13, v33
	v_mad_u64_u32 v[33:34], s[0:1], v8, s44, v[13:14]
	;; [unrolled: 2-line block ×3, first 2 shown]
	v_cndmask_b32_e32 v13, 0, v26, vcc
	v_add_u32_e32 v30, v13, v30
	v_mov_b32_e32 v13, v35
	v_mad_u64_u32 v[35:36], s[0:1], v8, s46, v[13:14]
	v_cmp_lt_u32_e64 s[0:1], 31, v30
	v_cndmask_b32_e64 v13, 0, v27, s[0:1]
	v_add_u32_e32 v30, v13, v30
	v_mov_b32_e32 v13, v36
	v_mad_u64_u32 v[36:37], s[2:3], v8, s47, v[13:14]
	v_cmp_lt_u32_e64 s[2:3], 31, v30
	v_cndmask_b32_e64 v13, 0, v27, s[2:3]
	v_add_u32_e32 v30, v13, v30
	v_mov_b32_e32 v13, v37
	v_mad_u64_u32 v[37:38], s[6:7], v8, s48, v[13:14]
	v_cndmask_b32_e32 v8, v35, v33, vcc
	v_cndmask_b32_e32 v13, v36, v34, vcc
	v_cndmask_b32_e32 v35, v37, v35, vcc
	v_cndmask_b32_e32 v36, v38, v36, vcc
	v_cndmask_b32_e64 v39, v13, v8, s[0:1]
	v_cndmask_b32_e64 v13, v35, v13, s[0:1]
	;; [unrolled: 1-line block ×3, first 2 shown]
	v_cndmask_b32_e32 v32, v34, v32, vcc
	v_cndmask_b32_e64 v35, v35, v13, s[2:3]
	v_cndmask_b32_e64 v13, v13, v39, s[2:3]
	v_sub_u32_e32 v36, 32, v30
	v_cndmask_b32_e64 v8, v8, v32, s[0:1]
	v_alignbit_b32 v37, v35, v13, v36
	v_cmp_eq_u32_e64 s[6:7], 0, v30
	v_cndmask_b32_e64 v34, v39, v8, s[2:3]
	v_cndmask_b32_e64 v30, v37, v35, s[6:7]
	v_alignbit_b32 v35, v13, v34, v36
	v_cndmask_b32_e32 v31, v33, v31, vcc
	v_cndmask_b32_e64 v13, v35, v13, s[6:7]
	v_bfe_u32 v38, v30, 29, 1
	v_cndmask_b32_e64 v31, v32, v31, s[0:1]
	v_alignbit_b32 v35, v30, v13, 30
	v_sub_u32_e32 v39, 0, v38
	v_cndmask_b32_e64 v8, v8, v31, s[2:3]
	v_xor_b32_e32 v35, v35, v39
	v_alignbit_b32 v31, v34, v8, v36
	v_cndmask_b32_e64 v31, v31, v34, s[6:7]
	v_ffbh_u32_e32 v32, v35
	v_alignbit_b32 v13, v13, v31, 30
	v_min_u32_e32 v32, 32, v32
	v_alignbit_b32 v8, v31, v8, 30
	v_xor_b32_e32 v13, v13, v39
	v_sub_u32_e32 v33, 31, v32
	v_xor_b32_e32 v8, v8, v39
	v_alignbit_b32 v34, v35, v13, v33
	v_alignbit_b32 v8, v13, v8, v33
	;; [unrolled: 1-line block ×3, first 2 shown]
	v_ffbh_u32_e32 v31, v13
	v_min_u32_e32 v31, 32, v31
	v_lshrrev_b32_e32 v37, 29, v30
	v_not_b32_e32 v33, v31
	v_alignbit_b32 v8, v13, v8, v33
	v_lshlrev_b32_e32 v13, 31, v37
	v_or_b32_e32 v33, 0x33000000, v13
	v_add_lshl_u32 v31, v31, v32, 23
	v_lshrrev_b32_e32 v8, 9, v8
	v_sub_u32_e32 v31, v33, v31
	v_or_b32_e32 v13, 0.5, v13
	v_lshlrev_b32_e32 v32, 23, v32
	v_or_b32_e32 v8, v31, v8
	v_lshrrev_b32_e32 v31, 9, v34
	v_sub_u32_e32 v13, v13, v32
	v_or_b32_e32 v13, v31, v13
	v_mul_f32_e32 v31, 0x3fc90fda, v13
	v_fma_f32 v32, v13, s49, -v31
	v_fmac_f32_e32 v32, 0x33a22168, v13
	v_fmac_f32_e32 v32, 0x3fc90fda, v8
	v_lshrrev_b32_e32 v8, 30, v30
	v_add_f32_e32 v31, v31, v32
	v_add_u32_e32 v13, v38, v8
                                        ; implicit-def: $vgpr32
	s_andn2_saveexec_b64 s[0:1], s[30:31]
	s_cbranch_execnz .LBB156_79
	s_branch .LBB156_80
.LBB156_78:                             ;   in Loop: Header=BB156_7 Depth=1
	s_andn2_saveexec_b64 s[0:1], s[30:31]
.LBB156_79:                             ;   in Loop: Header=BB156_7 Depth=1
	v_cvt_i32_f32_e32 v13, v32
	v_fma_f32 v31, v32, s51, |v12|
	v_fmac_f32_e32 v31, 0xb3a22168, v32
	v_fmac_f32_e32 v31, 0xa7c234c4, v32
.LBB156_80:                             ;   in Loop: Header=BB156_7 Depth=1
	s_or_b64 exec, exec, s[0:1]
	v_mul_f32_e32 v8, v10, v10
	v_mov_b32_e32 v30, 0x3c0881c4
	v_fmac_f32_e32 v30, 0xb94c1982, v8
	v_fma_f32 v30, v8, v30, v23
	v_mul_f32_e32 v30, v8, v30
	v_fmac_f32_e32 v10, v10, v30
	v_mov_b32_e32 v30, 0xbab64f3b
	v_fmac_f32_e32 v30, 0x37d75334, v8
	v_fma_f32 v30, v8, v30, v24
	v_fma_f32 v30, v8, v30, v25
	v_fma_f32 v8, v8, v30, 1.0
	v_and_b32_e32 v30, 1, v9
	v_lshlrev_b32_e32 v9, 30, v9
	v_cmp_eq_u32_e32 vcc, 0, v30
	v_and_b32_e32 v9, 0x80000000, v9
	v_cndmask_b32_e32 v8, v8, v10, vcc
	v_xor_b32_e32 v7, v7, v9
	v_xor_b32_e32 v7, v7, v8
	v_mul_f32_e32 v8, v31, v31
	v_mov_b32_e32 v9, 0x3c0881c4
	v_fmac_f32_e32 v9, 0xb94c1982, v8
	v_fma_f32 v9, v8, v9, v23
	v_mul_f32_e32 v9, v8, v9
	v_fmac_f32_e32 v31, v31, v9
	v_mov_b32_e32 v9, 0xbab64f3b
	v_fmac_f32_e32 v9, 0x37d75334, v8
	v_fma_f32 v9, v8, v9, v24
	v_fma_f32 v9, v8, v9, v25
	v_fma_f32 v8, v8, v9, 1.0
	v_and_b32_e32 v9, 1, v13
	v_cmp_eq_u32_e32 vcc, 0, v9
	v_lshlrev_b32_e32 v9, 30, v13
	v_cndmask_b32_e64 v8, -v31, v8, vcc
	v_and_b32_e32 v9, 0x80000000, v9
	v_xor_b32_e32 v7, v7, v12
	v_xor_b32_e32 v8, v9, v8
	v_mul_f32_e32 v7, v7, v8
	v_cmp_class_f32_e64 vcc, v12, s39
	v_cndmask_b32_e32 v12, v29, v7, vcc
.LBB156_81:                             ;   in Loop: Header=BB156_7 Depth=1
	s_or_b64 exec, exec, s[28:29]
	v_add_u32_e32 v11, -2.0, v11
	v_bfi_b32 v8, s33, 0, v12
.LBB156_82:                             ;   in Loop: Header=BB156_7 Depth=1
	s_or_b64 exec, exec, s[26:27]
	v_mov_b32_e32 v7, v11
.LBB156_83:                             ;   in Loop: Header=BB156_7 Depth=1
	s_or_b64 exec, exec, s[24:25]
	s_waitcnt vmcnt(0)
	v_and_b32_e32 v9, 0x7fffffff, v1
	v_cmp_gt_u32_e32 vcc, s38, v9
                                        ; implicit-def: $vgpr10
	s_and_saveexec_b64 s[0:1], vcc
	s_xor_b64 s[24:25], exec, s[0:1]
	s_cbranch_execz .LBB156_105
; %bb.84:                               ;   in Loop: Header=BB156_7 Depth=1
	v_cmp_class_f32_e64 s[0:1], v2, s39
                                        ; implicit-def: $vgpr10
	s_and_saveexec_b64 s[2:3], s[0:1]
	s_xor_b64 s[26:27], exec, s[2:3]
	s_cbranch_execz .LBB156_102
; %bb.85:                               ;   in Loop: Header=BB156_7 Depth=1
	v_and_b32_e32 v11, 0x7fffffff, v2
	v_cmp_gt_u32_e32 vcc, s40, v9
                                        ; implicit-def: $vgpr10
	s_and_saveexec_b64 s[0:1], vcc
	s_xor_b64 s[28:29], exec, s[0:1]
	s_cbranch_execz .LBB156_91
; %bb.86:                               ;   in Loop: Header=BB156_7 Depth=1
	v_cmp_nlt_f32_e64 s[0:1], |v2|, s41
                                        ; implicit-def: $vgpr10
                                        ; implicit-def: $vgpr9
	s_and_saveexec_b64 s[2:3], s[0:1]
	s_xor_b64 s[30:31], exec, s[2:3]
	s_cbranch_execz .LBB156_88
; %bb.87:                               ;   in Loop: Header=BB156_7 Depth=1
	v_and_b32_e32 v9, 0x7fffff, v11
	v_or_b32_e32 v35, 0x800000, v9
	v_mad_u64_u32 v[9:10], s[0:1], v35, s42, 0
	v_mov_b32_e32 v13, v10
	v_mad_u64_u32 v[12:13], s[0:1], v35, s43, v[13:14]
	v_lshrrev_b32_e32 v10, 23, v11
	v_add_u32_e32 v10, 0xffffff88, v10
	v_mad_u64_u32 v[30:31], s[0:1], v35, s44, v[13:14]
	v_cmp_lt_u32_e32 vcc, 63, v10
	v_mov_b32_e32 v13, v31
	v_mad_u64_u32 v[31:32], s[0:1], v35, s45, v[13:14]
	v_cndmask_b32_e32 v9, v30, v9, vcc
	v_mov_b32_e32 v13, v32
	v_mad_u64_u32 v[32:33], s[0:1], v35, s46, v[13:14]
	v_cndmask_b32_e32 v13, 0, v26, vcc
	v_add_u32_e32 v10, v13, v10
	v_mov_b32_e32 v13, v33
	v_mad_u64_u32 v[33:34], s[0:1], v35, s47, v[13:14]
	v_cmp_lt_u32_e64 s[0:1], 31, v10
	v_cndmask_b32_e64 v13, 0, v27, s[0:1]
	v_add_u32_e32 v10, v13, v10
	v_mov_b32_e32 v13, v34
	v_mad_u64_u32 v[34:35], s[2:3], v35, s48, v[13:14]
	v_cmp_lt_u32_e64 s[2:3], 31, v10
	v_cndmask_b32_e64 v13, 0, v27, s[2:3]
	v_add_u32_e32 v10, v13, v10
	v_cndmask_b32_e32 v13, v33, v31, vcc
	v_cndmask_b32_e32 v34, v34, v32, vcc
	;; [unrolled: 1-line block ×4, first 2 shown]
	v_cndmask_b32_e64 v35, v34, v13, s[0:1]
	v_cndmask_b32_e64 v33, v33, v34, s[0:1]
	;; [unrolled: 1-line block ×3, first 2 shown]
	v_cndmask_b32_e32 v12, v31, v12, vcc
	v_cndmask_b32_e64 v33, v33, v35, s[2:3]
	v_cndmask_b32_e64 v34, v35, v13, s[2:3]
	v_sub_u32_e32 v35, 32, v10
	v_cndmask_b32_e64 v31, v32, v12, s[0:1]
	v_alignbit_b32 v36, v33, v34, v35
	v_cmp_eq_u32_e64 s[6:7], 0, v10
	v_cndmask_b32_e64 v13, v13, v31, s[2:3]
	v_cndmask_b32_e64 v10, v36, v33, s[6:7]
	v_alignbit_b32 v32, v34, v13, v35
	v_cndmask_b32_e64 v32, v32, v34, s[6:7]
	v_bfe_u32 v36, v10, 29, 1
	v_cndmask_b32_e64 v9, v12, v9, s[0:1]
	v_alignbit_b32 v33, v10, v32, 30
	v_sub_u32_e32 v37, 0, v36
	v_cndmask_b32_e64 v9, v31, v9, s[2:3]
	v_xor_b32_e32 v33, v33, v37
	v_alignbit_b32 v12, v13, v9, v35
	v_cndmask_b32_e64 v12, v12, v13, s[6:7]
	v_ffbh_u32_e32 v30, v33
	v_alignbit_b32 v13, v32, v12, 30
	v_min_u32_e32 v30, 32, v30
	v_alignbit_b32 v9, v12, v9, 30
	v_xor_b32_e32 v13, v13, v37
	v_sub_u32_e32 v31, 31, v30
	v_xor_b32_e32 v9, v9, v37
	v_alignbit_b32 v32, v33, v13, v31
	v_alignbit_b32 v9, v13, v9, v31
	;; [unrolled: 1-line block ×3, first 2 shown]
	v_ffbh_u32_e32 v13, v12
	v_min_u32_e32 v13, 32, v13
	v_lshrrev_b32_e32 v34, 29, v10
	v_not_b32_e32 v31, v13
	v_alignbit_b32 v9, v12, v9, v31
	v_lshlrev_b32_e32 v12, 31, v34
	v_or_b32_e32 v31, 0x33000000, v12
	v_add_lshl_u32 v13, v13, v30, 23
	v_lshrrev_b32_e32 v9, 9, v9
	v_sub_u32_e32 v13, v31, v13
	v_or_b32_e32 v12, 0.5, v12
	v_lshlrev_b32_e32 v30, 23, v30
	v_or_b32_e32 v9, v13, v9
	v_lshrrev_b32_e32 v13, 9, v32
	v_sub_u32_e32 v12, v12, v30
	v_or_b32_e32 v12, v13, v12
	v_mul_f32_e32 v13, 0x3fc90fda, v12
	v_fma_f32 v30, v12, s49, -v13
	v_fmac_f32_e32 v30, 0x33a22168, v12
	v_fmac_f32_e32 v30, 0x3fc90fda, v9
	v_lshrrev_b32_e32 v10, 30, v10
	v_add_f32_e32 v9, v13, v30
	v_add_u32_e32 v10, v36, v10
.LBB156_88:                             ;   in Loop: Header=BB156_7 Depth=1
	s_andn2_saveexec_b64 s[0:1], s[30:31]
; %bb.89:                               ;   in Loop: Header=BB156_7 Depth=1
	v_mul_f32_e64 v9, |v2|, s50
	v_rndne_f32_e32 v12, v9
	v_cvt_i32_f32_e32 v10, v12
	v_fma_f32 v9, v12, s51, |v2|
	v_fmac_f32_e32 v9, 0xb3a22168, v12
	v_fmac_f32_e32 v9, 0xa7c234c4, v12
; %bb.90:                               ;   in Loop: Header=BB156_7 Depth=1
	s_or_b64 exec, exec, s[0:1]
	v_mul_f32_e32 v12, v9, v9
	v_mov_b32_e32 v13, 0xbf039337
	v_fmac_f32_e32 v13, 0x3c971480, v12
	v_fma_f32 v13, v12, v13, v18
	v_rcp_f32_e32 v13, v13
	v_mov_b32_e32 v30, 0x3ec54587
	v_fmac_f32_e32 v30, 0xbc8cedd3, v12
	v_and_b32_e32 v10, 1, v10
	v_mul_f32_e32 v13, v30, v13
	v_mul_f32_e32 v12, v12, v13
	v_fma_f32 v13, v12, v9, v9
	v_rcp_f32_e32 v30, v13
	v_sub_f32_e32 v31, v13, v9
	v_fma_f32 v9, v12, v9, -v31
	v_cmp_eq_u32_e32 vcc, 0, v10
	v_fma_f32 v12, v13, -v30, 1.0
	v_fma_f32 v9, v9, -v30, v12
	v_add_f32_e64 v10, |v1|, s52
	v_fma_f32 v9, v9, -v30, -v30
	v_sub_f32_e64 v12, v10, |v1|
	v_cndmask_b32_e32 v9, v9, v13, vcc
	v_sub_f32_e32 v13, v12, v10
	v_add_f32_e64 v13, |v1|, v13
	v_add_f32_e32 v12, 0x3f317218, v12
	v_sub_f32_e32 v12, v13, v12
	v_add_f32_e32 v12, 0x3102e308, v12
	v_add_f32_e32 v13, v10, v12
	v_sub_f32_e32 v10, v10, v13
	v_add_f32_e32 v10, v12, v10
	v_mul_f32_e32 v12, 0x3fb8aa3b, v13
	v_rndne_f32_e32 v12, v12
	v_fmac_f32_e32 v13, 0xbf317200, v12
	v_add_f32_e32 v30, v10, v13
	v_sub_f32_e32 v13, v13, v30
	v_add_f32_e32 v10, v10, v13
	v_mul_f32_e32 v13, 0x35bfbc00, v12
	v_sub_f32_e32 v31, v30, v13
	v_sub_f32_e32 v30, v30, v31
	;; [unrolled: 1-line block ×3, first 2 shown]
	v_add_f32_e32 v10, v10, v13
	v_add_f32_e32 v13, v31, v10
	v_sub_f32_e32 v30, v31, v13
	v_add_f32_e32 v10, v10, v30
	v_mul_f32_e32 v30, 0x2ea39ef3, v12
	v_sub_f32_e32 v31, v13, v30
	v_sub_f32_e32 v13, v13, v31
	;; [unrolled: 1-line block ×3, first 2 shown]
	v_add_f32_e32 v10, v10, v13
	v_add_f32_e32 v13, v31, v10
	v_sub_f32_e32 v31, v31, v13
	v_mov_b32_e32 v30, 0x3c091de6
	v_add_f32_e32 v10, v10, v31
	v_mul_f32_e32 v32, v13, v13
	v_fmac_f32_e32 v30, 0x3ab42872, v13
	v_add_f32_e32 v31, v10, v10
	v_fma_f32 v33, v13, v13, -v32
	v_fma_f32 v30, v13, v30, v19
	v_fmac_f32_e32 v33, v13, v31
	v_fma_f32 v30, v13, v30, v20
	v_add_f32_e32 v31, v32, v33
	v_fma_f32 v30, v13, v30, v21
	v_sub_f32_e32 v32, v31, v32
	v_sub_f32_e32 v32, v33, v32
	v_mul_f32_e32 v33, v30, v31
	v_fma_f32 v31, v31, v30, -v33
	v_fmac_f32_e32 v31, v32, v30
	v_add_f32_e32 v30, v33, v31
	v_sub_f32_e32 v32, v30, v33
	v_sub_f32_e32 v31, v31, v32
	v_add_f32_e32 v32, v13, v30
	v_sub_f32_e32 v13, v32, v13
	v_sub_f32_e32 v13, v30, v13
	v_add_f32_e32 v10, v10, v31
	v_add_f32_e32 v10, v10, v13
	;; [unrolled: 1-line block ×3, first 2 shown]
	v_sub_f32_e32 v30, v13, v32
	v_sub_f32_e32 v10, v10, v30
	v_add_f32_e32 v30, 1.0, v13
	v_add_f32_e32 v31, -1.0, v30
	v_cvt_i32_f32_e32 v12, v12
	v_sub_f32_e32 v13, v13, v31
	v_add_f32_e32 v10, v10, v13
	v_add_f32_e32 v13, v30, v10
	v_ldexp_f32 v31, v13, v12
	v_rcp_f32_e32 v32, v31
	v_sub_f32_e32 v13, v13, v30
	v_sub_f32_e32 v10, v10, v13
	v_ldexp_f32 v10, v10, v12
	v_mul_f32_e32 v12, v31, v32
	v_fma_f32 v13, v32, v31, -v12
	v_fmac_f32_e32 v13, v32, v10
	v_add_f32_e32 v30, v12, v13
	v_sub_f32_e32 v33, 1.0, v30
	v_sub_f32_e32 v34, 1.0, v33
	v_sub_f32_e32 v12, v30, v12
	v_sub_f32_e32 v34, v34, v30
	;; [unrolled: 1-line block ×3, first 2 shown]
	v_add_f32_e32 v12, v12, v34
	v_add_f32_e32 v13, v33, v12
	v_mul_f32_e32 v30, v32, v13
	v_mul_f32_e32 v34, v31, v30
	v_fma_f32 v35, v30, v31, -v34
	v_fmac_f32_e32 v35, v30, v10
	v_sub_f32_e32 v33, v33, v13
	v_add_f32_e32 v12, v12, v33
	v_add_f32_e32 v33, v34, v35
	v_sub_f32_e32 v36, v13, v33
	v_sub_f32_e32 v13, v13, v36
	;; [unrolled: 1-line block ×4, first 2 shown]
	v_add_f32_e32 v12, v12, v13
	v_sub_f32_e32 v13, v34, v35
	v_add_f32_e32 v12, v13, v12
	v_add_f32_e32 v12, v36, v12
	;; [unrolled: 1-line block ×3, first 2 shown]
	v_mul_f32_e32 v12, v32, v12
	v_sub_f32_e32 v32, v13, v32
	v_sub_f32_e32 v30, v30, v32
	v_add_f32_e32 v12, v30, v12
	v_add_f32_e32 v30, v13, v12
	v_sub_f32_e32 v13, v30, v13
	v_sub_f32_e32 v12, v12, v13
	v_ldexp_f32 v13, v30, -2
	v_sub_f32_e32 v30, v31, v13
	v_sub_f32_e32 v31, v31, v30
	;; [unrolled: 1-line block ×3, first 2 shown]
	v_ldexp_f32 v12, v12, -2
	v_add_f32_e32 v10, v10, v13
	v_sub_f32_e32 v10, v10, v12
	v_add_f32_e32 v10, v30, v10
	v_cmp_ngt_f32_e64 vcc, |v1|, s53
	v_cndmask_b32_e32 v10, v28, v10, vcc
	v_cmp_lt_f32_e64 s[0:1], |v1|, s54
	v_cndmask_b32_e64 v10, v10, |v1|, s[0:1]
	v_bfi_b32 v10, s33, v10, v1
	v_fma_f32 v12, v10, v10, 1.0
	v_mul_f32_e32 v13, 0x4f800000, v12
	v_cmp_gt_f32_e32 vcc, s55, v12
	v_cndmask_b32_e32 v12, v12, v13, vcc
	v_sqrt_f32_e32 v13, v12
	v_xor_b32_e32 v9, v11, v9
	v_xor_b32_e32 v11, v9, v2
	v_fma_f32 v9, v11, v11, 1.0
	v_add_u32_e32 v30, -1, v13
	v_fma_f32 v31, -v30, v13, v12
	v_cmp_ge_f32_e64 s[0:1], 0, v31
	v_add_u32_e32 v31, 1, v13
	v_cndmask_b32_e64 v30, v13, v30, s[0:1]
	v_fma_f32 v13, -v31, v13, v12
	v_cmp_lt_f32_e64 s[0:1], 0, v13
	v_cndmask_b32_e64 v13, v30, v31, s[0:1]
	v_mul_f32_e32 v30, 0x37800000, v13
	v_cndmask_b32_e32 v13, v13, v30, vcc
	v_cmp_class_f32_e32 vcc, v12, v22
	v_cndmask_b32_e32 v12, v13, v12, vcc
	v_mul_f32_e32 v13, v10, v9
	v_mul_f32_e32 v9, v12, v9
	v_fma_f32 v13, v10, v13, 1.0
	v_mul_f32_e32 v9, v10, v9
	v_div_scale_f32 v10, s[0:1], v13, v13, v9
	v_div_scale_f32 v12, vcc, v9, v13, v9
	v_div_scale_f32 v30, s[0:1], v13, v13, v11
	v_div_scale_f32 v31, s[0:1], v11, v13, v11
	v_rcp_f32_e32 v32, v10
	v_fma_f32 v33, -v10, v32, 1.0
	v_fmac_f32_e32 v32, v33, v32
	v_mul_f32_e32 v33, v12, v32
	v_fma_f32 v34, -v10, v33, v12
	v_fmac_f32_e32 v33, v34, v32
	v_rcp_f32_e32 v34, v30
	v_fma_f32 v10, -v10, v33, v12
	v_div_fmas_f32 v10, v10, v32, v33
	s_mov_b64 vcc, s[0:1]
	v_fma_f32 v12, -v30, v34, 1.0
	v_fmac_f32_e32 v34, v12, v34
	v_mul_f32_e32 v12, v31, v34
	v_fma_f32 v32, -v30, v12, v31
	v_fmac_f32_e32 v12, v32, v34
	v_fma_f32 v30, -v30, v12, v31
	v_div_fmas_f32 v12, v30, v34, v12
	v_div_fixup_f32 v9, v10, v13, v9
	v_div_fixup_f32 v10, v12, v13, v11
                                        ; implicit-def: $vgpr11
.LBB156_91:                             ;   in Loop: Header=BB156_7 Depth=1
	s_andn2_saveexec_b64 s[28:29], s[28:29]
	s_cbranch_execz .LBB156_101
; %bb.92:                               ;   in Loop: Header=BB156_7 Depth=1
	v_lshrrev_b32_e32 v9, 23, v11
	v_and_b32_e32 v10, 0x7fffff, v11
	v_cmp_nlt_f32_e64 s[30:31], |v2|, s41
	v_add_u32_e32 v30, 0xffffff88, v9
	v_or_b32_e32 v9, 0x800000, v10
                                        ; implicit-def: $vgpr10
                                        ; implicit-def: $vgpr12
	s_and_saveexec_b64 s[0:1], s[30:31]
	s_xor_b64 s[34:35], exec, s[0:1]
	s_cbranch_execz .LBB156_94
; %bb.93:                               ;   in Loop: Header=BB156_7 Depth=1
	v_mad_u64_u32 v[12:13], s[0:1], v9, s42, 0
	v_cmp_lt_u32_e32 vcc, 63, v30
	v_cndmask_b32_e32 v10, 0, v26, vcc
	v_mad_u64_u32 v[31:32], s[0:1], v9, s43, v[13:14]
	v_add_u32_e32 v10, v10, v30
	v_mov_b32_e32 v13, v32
	v_mad_u64_u32 v[32:33], s[0:1], v9, s44, v[13:14]
	v_mov_b32_e32 v13, v33
	v_mad_u64_u32 v[33:34], s[0:1], v9, s45, v[13:14]
	v_cndmask_b32_e32 v12, v32, v12, vcc
	v_mov_b32_e32 v13, v34
	v_mad_u64_u32 v[34:35], s[0:1], v9, s46, v[13:14]
	v_cmp_lt_u32_e64 s[0:1], 31, v10
	v_cndmask_b32_e64 v13, 0, v27, s[0:1]
	v_add_u32_e32 v10, v13, v10
	v_mov_b32_e32 v13, v35
	v_mad_u64_u32 v[35:36], s[2:3], v9, s47, v[13:14]
	v_cmp_lt_u32_e64 s[2:3], 31, v10
	v_cndmask_b32_e64 v13, 0, v27, s[2:3]
	v_add_u32_e32 v10, v13, v10
	v_mov_b32_e32 v13, v36
	v_mad_u64_u32 v[36:37], s[6:7], v9, s48, v[13:14]
	v_cndmask_b32_e32 v13, v34, v32, vcc
	v_cndmask_b32_e32 v38, v35, v33, vcc
	v_cndmask_b32_e32 v34, v36, v34, vcc
	v_cndmask_b32_e32 v35, v37, v35, vcc
	v_cndmask_b32_e64 v39, v38, v13, s[0:1]
	v_cndmask_b32_e64 v36, v34, v38, s[0:1]
	;; [unrolled: 1-line block ×3, first 2 shown]
	v_cndmask_b32_e32 v31, v33, v31, vcc
	v_cndmask_b32_e64 v34, v34, v36, s[2:3]
	v_cndmask_b32_e64 v35, v36, v39, s[2:3]
	v_sub_u32_e32 v36, 32, v10
	v_cndmask_b32_e64 v13, v13, v31, s[0:1]
	v_alignbit_b32 v37, v34, v35, v36
	v_cmp_eq_u32_e64 s[6:7], 0, v10
	v_cndmask_b32_e64 v33, v39, v13, s[2:3]
	v_cndmask_b32_e64 v10, v37, v34, s[6:7]
	v_alignbit_b32 v34, v35, v33, v36
	v_cndmask_b32_e64 v34, v34, v35, s[6:7]
	v_bfe_u32 v38, v10, 29, 1
	v_cndmask_b32_e64 v12, v31, v12, s[0:1]
	v_alignbit_b32 v35, v10, v34, 30
	v_sub_u32_e32 v39, 0, v38
	v_cndmask_b32_e64 v12, v13, v12, s[2:3]
	v_xor_b32_e32 v35, v35, v39
	v_alignbit_b32 v13, v33, v12, v36
	v_cndmask_b32_e64 v13, v13, v33, s[6:7]
	v_ffbh_u32_e32 v32, v35
	v_alignbit_b32 v31, v34, v13, 30
	v_min_u32_e32 v32, 32, v32
	v_alignbit_b32 v12, v13, v12, 30
	v_xor_b32_e32 v31, v31, v39
	v_sub_u32_e32 v33, 31, v32
	v_xor_b32_e32 v12, v12, v39
	v_alignbit_b32 v34, v35, v31, v33
	v_alignbit_b32 v12, v31, v12, v33
	v_alignbit_b32 v13, v34, v12, 9
	v_ffbh_u32_e32 v31, v13
	v_min_u32_e32 v31, 32, v31
	v_lshrrev_b32_e32 v37, 29, v10
	v_not_b32_e32 v33, v31
	v_alignbit_b32 v12, v13, v12, v33
	v_lshlrev_b32_e32 v13, 31, v37
	v_or_b32_e32 v33, 0x33000000, v13
	v_add_lshl_u32 v31, v31, v32, 23
	v_lshrrev_b32_e32 v12, 9, v12
	v_sub_u32_e32 v31, v33, v31
	v_or_b32_e32 v13, 0.5, v13
	v_lshlrev_b32_e32 v32, 23, v32
	v_or_b32_e32 v12, v31, v12
	v_lshrrev_b32_e32 v31, 9, v34
	v_sub_u32_e32 v13, v13, v32
	v_or_b32_e32 v13, v31, v13
	v_mul_f32_e32 v31, 0x3fc90fda, v13
	v_fma_f32 v32, v13, s49, -v31
	v_fmac_f32_e32 v32, 0x33a22168, v13
	v_fmac_f32_e32 v32, 0x3fc90fda, v12
	v_lshrrev_b32_e32 v10, 30, v10
	v_add_f32_e32 v12, v31, v32
	v_add_u32_e32 v10, v38, v10
	s_andn2_saveexec_b64 s[0:1], s[34:35]
	s_branch .LBB156_95
.LBB156_94:                             ;   in Loop: Header=BB156_7 Depth=1
	s_andn2_saveexec_b64 s[0:1], s[34:35]
.LBB156_95:                             ;   in Loop: Header=BB156_7 Depth=1
	v_mul_f32_e64 v10, |v2|, s50
	v_rndne_f32_e32 v13, v10
	v_cvt_i32_f32_e32 v10, v13
	v_fma_f32 v12, v13, s51, |v2|
	v_fmac_f32_e32 v12, 0xb3a22168, v13
	v_fmac_f32_e32 v12, 0xa7c234c4, v13
; %bb.96:                               ;   in Loop: Header=BB156_7 Depth=1
	s_or_b64 exec, exec, s[0:1]
                                        ; implicit-def: $vgpr13
                                        ; implicit-def: $vgpr31
	s_and_saveexec_b64 s[0:1], s[30:31]
	s_xor_b64 s[30:31], exec, s[0:1]
	s_cbranch_execz .LBB156_98
; %bb.97:                               ;   in Loop: Header=BB156_7 Depth=1
	v_mad_u64_u32 v[31:32], s[0:1], v9, s42, 0
	v_cmp_lt_u32_e32 vcc, 63, v30
	v_mov_b32_e32 v13, v32
	v_mad_u64_u32 v[32:33], s[0:1], v9, s43, v[13:14]
	v_mov_b32_e32 v13, v33
	v_mad_u64_u32 v[33:34], s[0:1], v9, s44, v[13:14]
	;; [unrolled: 2-line block ×3, first 2 shown]
	v_cndmask_b32_e32 v13, 0, v26, vcc
	v_add_u32_e32 v30, v13, v30
	v_mov_b32_e32 v13, v35
	v_mad_u64_u32 v[35:36], s[0:1], v9, s46, v[13:14]
	v_cmp_lt_u32_e64 s[0:1], 31, v30
	v_cndmask_b32_e64 v13, 0, v27, s[0:1]
	v_add_u32_e32 v30, v13, v30
	v_mov_b32_e32 v13, v36
	v_mad_u64_u32 v[36:37], s[2:3], v9, s47, v[13:14]
	v_cmp_lt_u32_e64 s[2:3], 31, v30
	v_cndmask_b32_e64 v13, 0, v27, s[2:3]
	v_add_u32_e32 v30, v13, v30
	v_mov_b32_e32 v13, v37
	v_mad_u64_u32 v[37:38], s[6:7], v9, s48, v[13:14]
	v_cndmask_b32_e32 v9, v35, v33, vcc
	v_cndmask_b32_e32 v13, v36, v34, vcc
	;; [unrolled: 1-line block ×4, first 2 shown]
	v_cndmask_b32_e64 v39, v13, v9, s[0:1]
	v_cndmask_b32_e64 v13, v35, v13, s[0:1]
	;; [unrolled: 1-line block ×3, first 2 shown]
	v_cndmask_b32_e32 v32, v34, v32, vcc
	v_cndmask_b32_e64 v35, v35, v13, s[2:3]
	v_cndmask_b32_e64 v13, v13, v39, s[2:3]
	v_sub_u32_e32 v36, 32, v30
	v_cndmask_b32_e64 v9, v9, v32, s[0:1]
	v_alignbit_b32 v37, v35, v13, v36
	v_cmp_eq_u32_e64 s[6:7], 0, v30
	v_cndmask_b32_e64 v34, v39, v9, s[2:3]
	v_cndmask_b32_e64 v30, v37, v35, s[6:7]
	v_alignbit_b32 v35, v13, v34, v36
	v_cndmask_b32_e32 v31, v33, v31, vcc
	v_cndmask_b32_e64 v13, v35, v13, s[6:7]
	v_bfe_u32 v38, v30, 29, 1
	v_cndmask_b32_e64 v31, v32, v31, s[0:1]
	v_alignbit_b32 v35, v30, v13, 30
	v_sub_u32_e32 v39, 0, v38
	v_cndmask_b32_e64 v9, v9, v31, s[2:3]
	v_xor_b32_e32 v35, v35, v39
	v_alignbit_b32 v31, v34, v9, v36
	v_cndmask_b32_e64 v31, v31, v34, s[6:7]
	v_ffbh_u32_e32 v32, v35
	v_alignbit_b32 v13, v13, v31, 30
	v_min_u32_e32 v32, 32, v32
	v_alignbit_b32 v9, v31, v9, 30
	v_xor_b32_e32 v13, v13, v39
	v_sub_u32_e32 v33, 31, v32
	v_xor_b32_e32 v9, v9, v39
	v_alignbit_b32 v34, v35, v13, v33
	v_alignbit_b32 v9, v13, v9, v33
	;; [unrolled: 1-line block ×3, first 2 shown]
	v_ffbh_u32_e32 v31, v13
	v_min_u32_e32 v31, 32, v31
	v_lshrrev_b32_e32 v37, 29, v30
	v_not_b32_e32 v33, v31
	v_alignbit_b32 v9, v13, v9, v33
	v_lshlrev_b32_e32 v13, 31, v37
	v_or_b32_e32 v33, 0x33000000, v13
	v_add_lshl_u32 v31, v31, v32, 23
	v_lshrrev_b32_e32 v9, 9, v9
	v_sub_u32_e32 v31, v33, v31
	v_or_b32_e32 v13, 0.5, v13
	v_lshlrev_b32_e32 v32, 23, v32
	v_or_b32_e32 v9, v31, v9
	v_lshrrev_b32_e32 v31, 9, v34
	v_sub_u32_e32 v13, v13, v32
	v_or_b32_e32 v13, v31, v13
	v_mul_f32_e32 v31, 0x3fc90fda, v13
	v_fma_f32 v32, v13, s49, -v31
	v_fmac_f32_e32 v32, 0x33a22168, v13
	v_fmac_f32_e32 v32, 0x3fc90fda, v9
	v_lshrrev_b32_e32 v9, 30, v30
	v_add_f32_e32 v31, v31, v32
	v_add_u32_e32 v13, v38, v9
	s_andn2_saveexec_b64 s[0:1], s[30:31]
	s_cbranch_execnz .LBB156_99
	s_branch .LBB156_100
.LBB156_98:                             ;   in Loop: Header=BB156_7 Depth=1
	s_andn2_saveexec_b64 s[0:1], s[30:31]
.LBB156_99:                             ;   in Loop: Header=BB156_7 Depth=1
	v_mul_f32_e64 v9, |v2|, s50
	v_rndne_f32_e32 v9, v9
	v_cvt_i32_f32_e32 v13, v9
	v_fma_f32 v31, v9, s51, |v2|
	v_fmac_f32_e32 v31, 0xb3a22168, v9
	v_fmac_f32_e32 v31, 0xa7c234c4, v9
.LBB156_100:                            ;   in Loop: Header=BB156_7 Depth=1
	s_or_b64 exec, exec, s[0:1]
	v_mul_f32_e32 v9, v12, v12
	v_mov_b32_e32 v30, 0x3c0881c4
	v_fmac_f32_e32 v30, 0xb94c1982, v9
	v_fma_f32 v30, v9, v30, v23
	v_mul_f32_e32 v30, v9, v30
	v_fmac_f32_e32 v12, v12, v30
	v_mov_b32_e32 v30, 0xbab64f3b
	v_fmac_f32_e32 v30, 0x37d75334, v9
	v_fma_f32 v30, v9, v30, v24
	v_fma_f32 v30, v9, v30, v25
	v_fma_f32 v9, v9, v30, 1.0
	v_and_b32_e32 v30, 1, v10
	v_lshlrev_b32_e32 v10, 30, v10
	v_and_b32_e32 v10, 0x80000000, v10
	v_cmp_eq_u32_e32 vcc, 0, v30
	v_xor_b32_e32 v10, v11, v10
	v_mul_f32_e64 v11, |v1|, s56
	v_cndmask_b32_e32 v9, v9, v12, vcc
	v_rndne_f32_e32 v12, v11
	v_sub_f32_e32 v30, v11, v12
	v_fma_f32 v11, |v1|, s56, -v11
	v_fma_f32 v11, |v1|, s57, v11
	v_add_f32_e32 v11, v30, v11
	v_exp_f32_e32 v11, v11
	v_cvt_i32_f32_e32 v12, v12
	v_xor_b32_e32 v9, v10, v9
	v_xor_b32_e32 v9, v9, v2
	v_mul_f32_e32 v10, 4.0, v9
	v_ldexp_f32 v9, v11, v12
	v_mul_f32_e32 v12, v31, v31
	v_mov_b32_e32 v30, 0x3c0881c4
	v_fmac_f32_e32 v30, 0xb94c1982, v12
	v_fma_f32 v30, v12, v30, v23
	v_mul_f32_e32 v30, v12, v30
	v_fmac_f32_e32 v31, v31, v30
	v_mov_b32_e32 v30, 0xbab64f3b
	v_fmac_f32_e32 v30, 0x37d75334, v12
	v_fma_f32 v30, v12, v30, v24
	v_cmp_ngt_f32_e64 vcc, |v1|, s58
	v_fma_f32 v30, v12, v30, v25
	v_cndmask_b32_e32 v9, 0, v9, vcc
	v_cmp_nlt_f32_e64 vcc, |v1|, s59
	v_fma_f32 v12, v12, v30, 1.0
	v_and_b32_e32 v30, 1, v13
	v_cndmask_b32_e32 v11, v28, v9, vcc
	v_cmp_eq_u32_e32 vcc, 0, v30
	v_lshlrev_b32_e32 v13, 30, v13
	v_cndmask_b32_e64 v12, -v31, v12, vcc
	v_and_b32_e32 v13, 0x80000000, v13
	v_xor_b32_e32 v12, v13, v12
	v_mul_f32_e32 v10, v10, v12
	v_mul_f32_e32 v10, v11, v10
	v_bfi_b32 v9, s33, 1.0, v1
	v_mul_f32_e32 v10, v11, v10
.LBB156_101:                            ;   in Loop: Header=BB156_7 Depth=1
	s_or_b64 exec, exec, s[28:29]
.LBB156_102:                            ;   in Loop: Header=BB156_7 Depth=1
	s_andn2_saveexec_b64 s[0:1], s[26:27]
; %bb.103:                              ;   in Loop: Header=BB156_7 Depth=1
	v_sub_f32_e32 v10, v2, v2
	v_mov_b32_e32 v9, v10
; %bb.104:                              ;   in Loop: Header=BB156_7 Depth=1
	s_or_b64 exec, exec, s[0:1]
.LBB156_105:                            ;   in Loop: Header=BB156_7 Depth=1
	s_andn2_saveexec_b64 s[24:25], s[24:25]
	s_cbranch_execz .LBB156_121
; %bb.106:                              ;   in Loop: Header=BB156_7 Depth=1
	v_and_b32_e32 v9, 0x7fffff, v1
	v_cmp_ne_u32_e32 vcc, 0, v9
                                        ; implicit-def: $vgpr10
	s_and_saveexec_b64 s[0:1], vcc
	s_xor_b64 s[0:1], exec, s[0:1]
; %bb.107:                              ;   in Loop: Header=BB156_7 Depth=1
	v_mul_f32_e32 v9, v1, v2
	v_cmp_eq_f32_e32 vcc, 0, v2
	v_cndmask_b32_e32 v10, v9, v2, vcc
; %bb.108:                              ;   in Loop: Header=BB156_7 Depth=1
	s_andn2_saveexec_b64 s[26:27], s[0:1]
	s_cbranch_execz .LBB156_120
; %bb.109:                              ;   in Loop: Header=BB156_7 Depth=1
	v_cmp_neq_f32_e64 s[0:1], |v2|, s38
	s_and_saveexec_b64 s[28:29], s[0:1]
	s_cbranch_execz .LBB156_119
; %bb.110:                              ;   in Loop: Header=BB156_7 Depth=1
	v_and_b32_e32 v9, 0x7fffffff, v2
	v_lshrrev_b32_e32 v10, 23, v9
	v_and_b32_e32 v11, 0x7fffff, v9
	v_cmp_nlt_f32_e64 s[30:31], |v2|, s41
	v_add_u32_e32 v30, 0xffffff88, v10
	v_or_b32_e32 v10, 0x800000, v11
                                        ; implicit-def: $vgpr11
                                        ; implicit-def: $vgpr12
	s_and_saveexec_b64 s[0:1], s[30:31]
	s_xor_b64 s[34:35], exec, s[0:1]
	s_cbranch_execz .LBB156_112
; %bb.111:                              ;   in Loop: Header=BB156_7 Depth=1
	v_mad_u64_u32 v[11:12], s[0:1], v10, s42, 0
	v_cmp_lt_u32_e32 vcc, 63, v30
	v_mov_b32_e32 v13, v12
	v_mad_u64_u32 v[12:13], s[0:1], v10, s43, v[13:14]
	v_mad_u64_u32 v[31:32], s[0:1], v10, s44, v[13:14]
	v_mov_b32_e32 v13, v32
	v_mad_u64_u32 v[32:33], s[0:1], v10, s45, v[13:14]
	v_cndmask_b32_e32 v13, 0, v26, vcc
	v_add_u32_e32 v35, v13, v30
	v_mov_b32_e32 v13, v33
	v_mad_u64_u32 v[33:34], s[0:1], v10, s46, v[13:14]
	v_cmp_lt_u32_e64 s[0:1], 31, v35
	v_cndmask_b32_e64 v13, 0, v27, s[0:1]
	v_add_u32_e32 v36, v13, v35
	v_mov_b32_e32 v13, v34
	v_mad_u64_u32 v[34:35], s[2:3], v10, s47, v[13:14]
	v_cmp_lt_u32_e64 s[2:3], 31, v36
	v_cndmask_b32_e64 v13, 0, v27, s[2:3]
	v_add_u32_e32 v37, v13, v36
	v_mov_b32_e32 v13, v35
	v_mad_u64_u32 v[35:36], s[6:7], v10, s48, v[13:14]
	v_cndmask_b32_e32 v13, v33, v31, vcc
	v_cndmask_b32_e32 v38, v34, v32, vcc
	;; [unrolled: 1-line block ×4, first 2 shown]
	v_cndmask_b32_e64 v39, v38, v13, s[0:1]
	v_cndmask_b32_e64 v35, v33, v38, s[0:1]
	;; [unrolled: 1-line block ×3, first 2 shown]
	v_cndmask_b32_e32 v12, v32, v12, vcc
	v_cndmask_b32_e64 v33, v33, v35, s[2:3]
	v_cndmask_b32_e64 v34, v35, v39, s[2:3]
	v_sub_u32_e32 v35, 32, v37
	v_cndmask_b32_e64 v13, v13, v12, s[0:1]
	v_alignbit_b32 v36, v33, v34, v35
	v_cmp_eq_u32_e64 s[6:7], 0, v37
	v_cndmask_b32_e64 v32, v39, v13, s[2:3]
	v_cndmask_b32_e64 v33, v36, v33, s[6:7]
	v_alignbit_b32 v36, v34, v32, v35
	v_cndmask_b32_e32 v11, v31, v11, vcc
	v_cndmask_b32_e64 v34, v36, v34, s[6:7]
	v_bfe_u32 v38, v33, 29, 1
	v_cndmask_b32_e64 v11, v12, v11, s[0:1]
	v_alignbit_b32 v36, v33, v34, 30
	v_sub_u32_e32 v39, 0, v38
	v_cndmask_b32_e64 v11, v13, v11, s[2:3]
	v_xor_b32_e32 v36, v36, v39
	v_alignbit_b32 v12, v32, v11, v35
	v_cndmask_b32_e64 v12, v12, v32, s[6:7]
	v_ffbh_u32_e32 v31, v36
	v_alignbit_b32 v13, v34, v12, 30
	v_min_u32_e32 v31, 32, v31
	v_alignbit_b32 v11, v12, v11, 30
	v_xor_b32_e32 v13, v13, v39
	v_sub_u32_e32 v32, 31, v31
	v_xor_b32_e32 v11, v11, v39
	v_alignbit_b32 v34, v36, v13, v32
	v_alignbit_b32 v11, v13, v11, v32
	;; [unrolled: 1-line block ×3, first 2 shown]
	v_ffbh_u32_e32 v13, v12
	v_min_u32_e32 v13, 32, v13
	v_lshrrev_b32_e32 v37, 29, v33
	v_not_b32_e32 v32, v13
	v_alignbit_b32 v11, v12, v11, v32
	v_lshlrev_b32_e32 v12, 31, v37
	v_or_b32_e32 v32, 0x33000000, v12
	v_add_lshl_u32 v13, v13, v31, 23
	v_lshrrev_b32_e32 v11, 9, v11
	v_sub_u32_e32 v13, v32, v13
	v_or_b32_e32 v12, 0.5, v12
	v_lshlrev_b32_e32 v31, 23, v31
	v_or_b32_e32 v11, v13, v11
	v_lshrrev_b32_e32 v13, 9, v34
	v_sub_u32_e32 v12, v12, v31
	v_or_b32_e32 v12, v13, v12
	v_mul_f32_e32 v13, 0x3fc90fda, v12
	v_fma_f32 v31, v12, s49, -v13
	v_fmac_f32_e32 v31, 0x33a22168, v12
	v_fmac_f32_e32 v31, 0x3fc90fda, v11
	v_lshrrev_b32_e32 v11, 30, v33
	v_add_f32_e32 v12, v13, v31
	v_add_u32_e32 v11, v38, v11
.LBB156_112:                            ;   in Loop: Header=BB156_7 Depth=1
	s_or_saveexec_b64 s[0:1], s[34:35]
	v_mul_f32_e64 v13, |v2|, s50
	v_rndne_f32_e32 v32, v13
	s_xor_b64 exec, exec, s[0:1]
; %bb.113:                              ;   in Loop: Header=BB156_7 Depth=1
	v_cvt_i32_f32_e32 v11, v32
	v_fma_f32 v12, v32, s51, |v2|
	v_fmac_f32_e32 v12, 0xb3a22168, v32
	v_fmac_f32_e32 v12, 0xa7c234c4, v32
; %bb.114:                              ;   in Loop: Header=BB156_7 Depth=1
	s_or_b64 exec, exec, s[0:1]
                                        ; implicit-def: $vgpr13
                                        ; implicit-def: $vgpr31
	s_and_saveexec_b64 s[0:1], s[30:31]
	s_xor_b64 s[30:31], exec, s[0:1]
	s_cbranch_execz .LBB156_116
; %bb.115:                              ;   in Loop: Header=BB156_7 Depth=1
	v_mad_u64_u32 v[31:32], s[0:1], v10, s42, 0
	v_cmp_lt_u32_e32 vcc, 63, v30
	v_mov_b32_e32 v13, v32
	v_mad_u64_u32 v[32:33], s[0:1], v10, s43, v[13:14]
	v_mov_b32_e32 v13, v33
	v_mad_u64_u32 v[33:34], s[0:1], v10, s44, v[13:14]
	;; [unrolled: 2-line block ×3, first 2 shown]
	v_cndmask_b32_e32 v13, 0, v26, vcc
	v_add_u32_e32 v30, v13, v30
	v_mov_b32_e32 v13, v35
	v_mad_u64_u32 v[35:36], s[0:1], v10, s46, v[13:14]
	v_cmp_lt_u32_e64 s[0:1], 31, v30
	v_cndmask_b32_e64 v13, 0, v27, s[0:1]
	v_add_u32_e32 v30, v13, v30
	v_mov_b32_e32 v13, v36
	v_mad_u64_u32 v[36:37], s[2:3], v10, s47, v[13:14]
	v_cmp_lt_u32_e64 s[2:3], 31, v30
	v_cndmask_b32_e64 v13, 0, v27, s[2:3]
	v_add_u32_e32 v30, v13, v30
	v_mov_b32_e32 v13, v37
	v_mad_u64_u32 v[37:38], s[6:7], v10, s48, v[13:14]
	v_cndmask_b32_e32 v10, v35, v33, vcc
	v_cndmask_b32_e32 v13, v36, v34, vcc
	;; [unrolled: 1-line block ×4, first 2 shown]
	v_cndmask_b32_e64 v39, v13, v10, s[0:1]
	v_cndmask_b32_e64 v13, v35, v13, s[0:1]
	;; [unrolled: 1-line block ×3, first 2 shown]
	v_cndmask_b32_e32 v32, v34, v32, vcc
	v_cndmask_b32_e64 v35, v35, v13, s[2:3]
	v_cndmask_b32_e64 v13, v13, v39, s[2:3]
	v_sub_u32_e32 v36, 32, v30
	v_cndmask_b32_e64 v10, v10, v32, s[0:1]
	v_alignbit_b32 v37, v35, v13, v36
	v_cmp_eq_u32_e64 s[6:7], 0, v30
	v_cndmask_b32_e64 v34, v39, v10, s[2:3]
	v_cndmask_b32_e64 v30, v37, v35, s[6:7]
	v_alignbit_b32 v35, v13, v34, v36
	v_cndmask_b32_e32 v31, v33, v31, vcc
	v_cndmask_b32_e64 v13, v35, v13, s[6:7]
	v_bfe_u32 v38, v30, 29, 1
	v_cndmask_b32_e64 v31, v32, v31, s[0:1]
	v_alignbit_b32 v35, v30, v13, 30
	v_sub_u32_e32 v39, 0, v38
	v_cndmask_b32_e64 v10, v10, v31, s[2:3]
	v_xor_b32_e32 v35, v35, v39
	v_alignbit_b32 v31, v34, v10, v36
	v_cndmask_b32_e64 v31, v31, v34, s[6:7]
	v_ffbh_u32_e32 v32, v35
	v_alignbit_b32 v13, v13, v31, 30
	v_min_u32_e32 v32, 32, v32
	v_alignbit_b32 v10, v31, v10, 30
	v_xor_b32_e32 v13, v13, v39
	v_sub_u32_e32 v33, 31, v32
	v_xor_b32_e32 v10, v10, v39
	v_alignbit_b32 v34, v35, v13, v33
	v_alignbit_b32 v10, v13, v10, v33
	v_alignbit_b32 v13, v34, v10, 9
	v_ffbh_u32_e32 v31, v13
	v_min_u32_e32 v31, 32, v31
	v_lshrrev_b32_e32 v37, 29, v30
	v_not_b32_e32 v33, v31
	v_alignbit_b32 v10, v13, v10, v33
	v_lshlrev_b32_e32 v13, 31, v37
	v_or_b32_e32 v33, 0x33000000, v13
	v_add_lshl_u32 v31, v31, v32, 23
	v_lshrrev_b32_e32 v10, 9, v10
	v_sub_u32_e32 v31, v33, v31
	v_or_b32_e32 v13, 0.5, v13
	v_lshlrev_b32_e32 v32, 23, v32
	v_or_b32_e32 v10, v31, v10
	v_lshrrev_b32_e32 v31, 9, v34
	v_sub_u32_e32 v13, v13, v32
	v_or_b32_e32 v13, v31, v13
	v_mul_f32_e32 v31, 0x3fc90fda, v13
	v_fma_f32 v32, v13, s49, -v31
	v_fmac_f32_e32 v32, 0x33a22168, v13
	v_fmac_f32_e32 v32, 0x3fc90fda, v10
	v_lshrrev_b32_e32 v10, 30, v30
	v_add_f32_e32 v31, v31, v32
	v_add_u32_e32 v13, v38, v10
                                        ; implicit-def: $vgpr32
	s_andn2_saveexec_b64 s[0:1], s[30:31]
	s_cbranch_execnz .LBB156_117
	s_branch .LBB156_118
.LBB156_116:                            ;   in Loop: Header=BB156_7 Depth=1
	s_andn2_saveexec_b64 s[0:1], s[30:31]
.LBB156_117:                            ;   in Loop: Header=BB156_7 Depth=1
	v_cvt_i32_f32_e32 v13, v32
	v_fma_f32 v31, v32, s51, |v2|
	v_fmac_f32_e32 v31, 0xb3a22168, v32
	v_fmac_f32_e32 v31, 0xa7c234c4, v32
.LBB156_118:                            ;   in Loop: Header=BB156_7 Depth=1
	s_or_b64 exec, exec, s[0:1]
	v_mul_f32_e32 v10, v12, v12
	v_mov_b32_e32 v30, 0x3c0881c4
	v_fmac_f32_e32 v30, 0xb94c1982, v10
	v_fma_f32 v30, v10, v30, v23
	v_mul_f32_e32 v30, v10, v30
	v_fmac_f32_e32 v12, v12, v30
	v_mov_b32_e32 v30, 0xbab64f3b
	v_fmac_f32_e32 v30, 0x37d75334, v10
	v_fma_f32 v30, v10, v30, v24
	v_fma_f32 v30, v10, v30, v25
	v_fma_f32 v10, v10, v30, 1.0
	v_and_b32_e32 v30, 1, v11
	v_lshlrev_b32_e32 v11, 30, v11
	v_cmp_eq_u32_e32 vcc, 0, v30
	v_and_b32_e32 v11, 0x80000000, v11
	v_cndmask_b32_e32 v10, v10, v12, vcc
	v_xor_b32_e32 v9, v9, v11
	v_xor_b32_e32 v9, v9, v10
	v_mul_f32_e32 v10, v31, v31
	v_mov_b32_e32 v11, 0x3c0881c4
	v_fmac_f32_e32 v11, 0xb94c1982, v10
	v_fma_f32 v11, v10, v11, v23
	v_mul_f32_e32 v11, v10, v11
	v_fmac_f32_e32 v31, v31, v11
	v_mov_b32_e32 v11, 0xbab64f3b
	v_fmac_f32_e32 v11, 0x37d75334, v10
	v_fma_f32 v11, v10, v11, v24
	v_fma_f32 v11, v10, v11, v25
	v_fma_f32 v10, v10, v11, 1.0
	v_and_b32_e32 v11, 1, v13
	v_cmp_eq_u32_e32 vcc, 0, v11
	v_lshlrev_b32_e32 v11, 30, v13
	v_cndmask_b32_e64 v10, -v31, v10, vcc
	v_and_b32_e32 v11, 0x80000000, v11
	v_xor_b32_e32 v9, v9, v2
	v_xor_b32_e32 v10, v11, v10
	v_mul_f32_e32 v9, v9, v10
	v_cmp_class_f32_e64 vcc, v2, s39
	v_cndmask_b32_e32 v2, v29, v9, vcc
.LBB156_119:                            ;   in Loop: Header=BB156_7 Depth=1
	s_or_b64 exec, exec, s[28:29]
	v_add_u32_e32 v1, -2.0, v1
	v_bfi_b32 v10, s33, 0, v2
.LBB156_120:                            ;   in Loop: Header=BB156_7 Depth=1
	s_or_b64 exec, exec, s[26:27]
	v_mov_b32_e32 v9, v1
.LBB156_121:                            ;   in Loop: Header=BB156_7 Depth=1
	s_or_b64 exec, exec, s[24:25]
	v_and_b32_e32 v2, 0x7fffffff, v3
	v_cmp_gt_u32_e32 vcc, s38, v2
	s_and_saveexec_b64 s[0:1], vcc
	s_xor_b64 s[24:25], exec, s[0:1]
	s_cbranch_execz .LBB156_143
; %bb.122:                              ;   in Loop: Header=BB156_7 Depth=1
	v_cmp_class_f32_e64 s[0:1], v4, s39
	s_and_saveexec_b64 s[2:3], s[0:1]
	s_xor_b64 s[26:27], exec, s[2:3]
	s_cbranch_execz .LBB156_140
; %bb.123:                              ;   in Loop: Header=BB156_7 Depth=1
	v_and_b32_e32 v1, 0x7fffffff, v4
	v_cmp_gt_u32_e32 vcc, s40, v2
	s_and_saveexec_b64 s[0:1], vcc
	s_xor_b64 s[28:29], exec, s[0:1]
	s_cbranch_execz .LBB156_129
; %bb.124:                              ;   in Loop: Header=BB156_7 Depth=1
	v_cmp_nlt_f32_e64 s[0:1], |v4|, s41
                                        ; implicit-def: $vgpr11
                                        ; implicit-def: $vgpr2
	s_and_saveexec_b64 s[2:3], s[0:1]
	s_xor_b64 s[30:31], exec, s[2:3]
	s_cbranch_execz .LBB156_126
; %bb.125:                              ;   in Loop: Header=BB156_7 Depth=1
	v_and_b32_e32 v2, 0x7fffff, v1
	v_or_b32_e32 v2, 0x800000, v2
	v_mad_u64_u32 v[11:12], s[0:1], v2, s42, 0
	v_mov_b32_e32 v13, v12
	v_mad_u64_u32 v[12:13], s[0:1], v2, s43, v[13:14]
	v_mad_u64_u32 v[30:31], s[0:1], v2, s44, v[13:14]
	v_mov_b32_e32 v13, v31
	v_mad_u64_u32 v[31:32], s[0:1], v2, s45, v[13:14]
	v_lshrrev_b32_e32 v13, 23, v1
	v_add_u32_e32 v34, 0xffffff88, v13
	v_mov_b32_e32 v13, v32
	v_mad_u64_u32 v[32:33], s[0:1], v2, s46, v[13:14]
	v_cmp_lt_u32_e32 vcc, 63, v34
	v_cndmask_b32_e32 v13, 0, v26, vcc
	v_add_u32_e32 v35, v13, v34
	v_mov_b32_e32 v13, v33
	v_mad_u64_u32 v[33:34], s[0:1], v2, s47, v[13:14]
	v_cmp_lt_u32_e64 s[0:1], 31, v35
	v_cndmask_b32_e64 v13, 0, v27, s[0:1]
	v_add_u32_e32 v36, v13, v35
	v_mov_b32_e32 v13, v34
	v_mad_u64_u32 v[34:35], s[2:3], v2, s48, v[13:14]
	v_cmp_lt_u32_e64 s[2:3], 31, v36
	v_cndmask_b32_e64 v2, 0, v27, s[2:3]
	v_cndmask_b32_e32 v13, v33, v31, vcc
	v_cndmask_b32_e32 v34, v34, v32, vcc
	;; [unrolled: 1-line block ×4, first 2 shown]
	v_add_u32_e32 v2, v2, v36
	v_cndmask_b32_e64 v35, v34, v13, s[0:1]
	v_cndmask_b32_e64 v33, v33, v34, s[0:1]
	;; [unrolled: 1-line block ×5, first 2 shown]
	v_sub_u32_e32 v35, 32, v2
	v_cmp_eq_u32_e64 s[6:7], 0, v2
	v_cndmask_b32_e32 v2, v31, v12, vcc
	v_cndmask_b32_e64 v12, v32, v2, s[0:1]
	v_alignbit_b32 v36, v33, v34, v35
	v_cndmask_b32_e64 v13, v13, v12, s[2:3]
	v_cndmask_b32_e64 v33, v36, v33, s[6:7]
	v_alignbit_b32 v31, v34, v13, v35
	v_cndmask_b32_e32 v11, v30, v11, vcc
	v_cndmask_b32_e64 v31, v31, v34, s[6:7]
	v_bfe_u32 v36, v33, 29, 1
	v_cndmask_b32_e64 v2, v2, v11, s[0:1]
	v_alignbit_b32 v32, v33, v31, 30
	v_sub_u32_e32 v37, 0, v36
	v_cndmask_b32_e64 v2, v12, v2, s[2:3]
	v_xor_b32_e32 v32, v32, v37
	v_alignbit_b32 v11, v13, v2, v35
	v_cndmask_b32_e64 v11, v11, v13, s[6:7]
	v_ffbh_u32_e32 v13, v32
	v_alignbit_b32 v12, v31, v11, 30
	v_min_u32_e32 v13, 32, v13
	v_alignbit_b32 v2, v11, v2, 30
	v_xor_b32_e32 v12, v12, v37
	v_sub_u32_e32 v30, 31, v13
	v_xor_b32_e32 v2, v2, v37
	v_alignbit_b32 v31, v32, v12, v30
	v_alignbit_b32 v2, v12, v2, v30
	;; [unrolled: 1-line block ×3, first 2 shown]
	v_ffbh_u32_e32 v12, v11
	v_min_u32_e32 v12, 32, v12
	v_lshrrev_b32_e32 v34, 29, v33
	v_not_b32_e32 v30, v12
	v_alignbit_b32 v2, v11, v2, v30
	v_lshlrev_b32_e32 v11, 31, v34
	v_or_b32_e32 v30, 0x33000000, v11
	v_add_lshl_u32 v12, v12, v13, 23
	v_lshrrev_b32_e32 v2, 9, v2
	v_sub_u32_e32 v12, v30, v12
	v_or_b32_e32 v11, 0.5, v11
	v_lshlrev_b32_e32 v13, 23, v13
	v_or_b32_e32 v2, v12, v2
	v_lshrrev_b32_e32 v12, 9, v31
	v_sub_u32_e32 v11, v11, v13
	v_or_b32_e32 v11, v12, v11
	v_mul_f32_e32 v12, 0x3fc90fda, v11
	v_fma_f32 v13, v11, s49, -v12
	v_fmac_f32_e32 v13, 0x33a22168, v11
	v_fmac_f32_e32 v13, 0x3fc90fda, v2
	v_lshrrev_b32_e32 v11, 30, v33
	v_add_f32_e32 v2, v12, v13
	v_add_u32_e32 v11, v36, v11
.LBB156_126:                            ;   in Loop: Header=BB156_7 Depth=1
	s_andn2_saveexec_b64 s[0:1], s[30:31]
; %bb.127:                              ;   in Loop: Header=BB156_7 Depth=1
	v_mul_f32_e64 v2, |v4|, s50
	v_rndne_f32_e32 v12, v2
	v_cvt_i32_f32_e32 v11, v12
	v_fma_f32 v2, v12, s51, |v4|
	v_fmac_f32_e32 v2, 0xb3a22168, v12
	v_fmac_f32_e32 v2, 0xa7c234c4, v12
; %bb.128:                              ;   in Loop: Header=BB156_7 Depth=1
	s_or_b64 exec, exec, s[0:1]
	v_mul_f32_e32 v12, v2, v2
	v_mov_b32_e32 v13, 0xbf039337
	v_fmac_f32_e32 v13, 0x3c971480, v12
	v_fma_f32 v13, v12, v13, v18
	v_rcp_f32_e32 v13, v13
	v_mov_b32_e32 v30, 0x3ec54587
	v_fmac_f32_e32 v30, 0xbc8cedd3, v12
	v_and_b32_e32 v11, 1, v11
	v_mul_f32_e32 v13, v30, v13
	v_mul_f32_e32 v12, v12, v13
	v_fma_f32 v13, v12, v2, v2
	v_rcp_f32_e32 v30, v13
	v_sub_f32_e32 v31, v13, v2
	v_fma_f32 v2, v12, v2, -v31
	v_cmp_eq_u32_e32 vcc, 0, v11
	v_fma_f32 v12, v13, -v30, 1.0
	v_fma_f32 v2, v2, -v30, v12
	v_add_f32_e64 v11, |v3|, s52
	v_fma_f32 v2, v2, -v30, -v30
	v_sub_f32_e64 v12, v11, |v3|
	v_cndmask_b32_e32 v2, v2, v13, vcc
	v_sub_f32_e32 v13, v12, v11
	v_add_f32_e64 v13, |v3|, v13
	v_add_f32_e32 v12, 0x3f317218, v12
	v_sub_f32_e32 v12, v13, v12
	v_add_f32_e32 v12, 0x3102e308, v12
	v_add_f32_e32 v13, v11, v12
	v_sub_f32_e32 v11, v11, v13
	v_add_f32_e32 v11, v12, v11
	v_mul_f32_e32 v12, 0x3fb8aa3b, v13
	v_rndne_f32_e32 v12, v12
	v_fmac_f32_e32 v13, 0xbf317200, v12
	v_add_f32_e32 v30, v11, v13
	v_sub_f32_e32 v13, v13, v30
	v_add_f32_e32 v11, v11, v13
	v_mul_f32_e32 v13, 0x35bfbc00, v12
	v_sub_f32_e32 v31, v30, v13
	v_sub_f32_e32 v30, v30, v31
	;; [unrolled: 1-line block ×3, first 2 shown]
	v_add_f32_e32 v11, v11, v13
	v_add_f32_e32 v13, v31, v11
	v_sub_f32_e32 v30, v31, v13
	v_add_f32_e32 v11, v11, v30
	v_mul_f32_e32 v30, 0x2ea39ef3, v12
	v_sub_f32_e32 v31, v13, v30
	v_sub_f32_e32 v13, v13, v31
	;; [unrolled: 1-line block ×3, first 2 shown]
	v_add_f32_e32 v11, v11, v13
	v_add_f32_e32 v13, v31, v11
	v_sub_f32_e32 v31, v31, v13
	v_mov_b32_e32 v30, 0x3c091de6
	v_add_f32_e32 v11, v11, v31
	v_mul_f32_e32 v32, v13, v13
	v_fmac_f32_e32 v30, 0x3ab42872, v13
	v_add_f32_e32 v31, v11, v11
	v_fma_f32 v33, v13, v13, -v32
	v_fma_f32 v30, v13, v30, v19
	v_fmac_f32_e32 v33, v13, v31
	v_fma_f32 v30, v13, v30, v20
	v_add_f32_e32 v31, v32, v33
	v_fma_f32 v30, v13, v30, v21
	v_sub_f32_e32 v32, v31, v32
	v_sub_f32_e32 v32, v33, v32
	v_mul_f32_e32 v33, v30, v31
	v_fma_f32 v31, v31, v30, -v33
	v_fmac_f32_e32 v31, v32, v30
	v_add_f32_e32 v30, v33, v31
	v_sub_f32_e32 v32, v30, v33
	v_sub_f32_e32 v31, v31, v32
	v_add_f32_e32 v32, v13, v30
	v_sub_f32_e32 v13, v32, v13
	v_sub_f32_e32 v13, v30, v13
	v_add_f32_e32 v11, v11, v31
	v_add_f32_e32 v11, v11, v13
	;; [unrolled: 1-line block ×3, first 2 shown]
	v_sub_f32_e32 v30, v13, v32
	v_sub_f32_e32 v11, v11, v30
	v_add_f32_e32 v30, 1.0, v13
	v_add_f32_e32 v31, -1.0, v30
	v_cvt_i32_f32_e32 v12, v12
	v_sub_f32_e32 v13, v13, v31
	v_add_f32_e32 v11, v11, v13
	v_add_f32_e32 v13, v30, v11
	v_ldexp_f32 v31, v13, v12
	v_rcp_f32_e32 v32, v31
	v_sub_f32_e32 v13, v13, v30
	v_sub_f32_e32 v11, v11, v13
	v_ldexp_f32 v11, v11, v12
	v_mul_f32_e32 v12, v31, v32
	v_fma_f32 v13, v32, v31, -v12
	v_fmac_f32_e32 v13, v32, v11
	v_add_f32_e32 v30, v12, v13
	v_sub_f32_e32 v33, 1.0, v30
	v_sub_f32_e32 v34, 1.0, v33
	v_sub_f32_e32 v12, v30, v12
	v_sub_f32_e32 v34, v34, v30
	v_sub_f32_e32 v12, v12, v13
	v_add_f32_e32 v12, v12, v34
	v_add_f32_e32 v13, v33, v12
	v_mul_f32_e32 v30, v32, v13
	v_mul_f32_e32 v34, v31, v30
	v_fma_f32 v35, v30, v31, -v34
	v_fmac_f32_e32 v35, v30, v11
	v_sub_f32_e32 v33, v33, v13
	v_add_f32_e32 v12, v12, v33
	v_add_f32_e32 v33, v34, v35
	v_sub_f32_e32 v36, v13, v33
	v_sub_f32_e32 v13, v13, v36
	;; [unrolled: 1-line block ×4, first 2 shown]
	v_add_f32_e32 v12, v12, v13
	v_sub_f32_e32 v13, v34, v35
	v_add_f32_e32 v12, v13, v12
	v_add_f32_e32 v12, v36, v12
	;; [unrolled: 1-line block ×3, first 2 shown]
	v_mul_f32_e32 v12, v32, v12
	v_sub_f32_e32 v32, v13, v32
	v_sub_f32_e32 v30, v30, v32
	v_add_f32_e32 v12, v30, v12
	v_add_f32_e32 v30, v13, v12
	v_sub_f32_e32 v13, v30, v13
	v_sub_f32_e32 v12, v12, v13
	v_ldexp_f32 v13, v30, -2
	v_sub_f32_e32 v30, v31, v13
	v_sub_f32_e32 v31, v31, v30
	;; [unrolled: 1-line block ×3, first 2 shown]
	v_ldexp_f32 v12, v12, -2
	v_add_f32_e32 v11, v11, v13
	v_sub_f32_e32 v11, v11, v12
	v_add_f32_e32 v11, v30, v11
	v_cmp_ngt_f32_e64 vcc, |v3|, s53
	v_cndmask_b32_e32 v11, v28, v11, vcc
	v_cmp_lt_f32_e64 s[0:1], |v3|, s54
	v_cndmask_b32_e64 v11, v11, |v3|, s[0:1]
	v_bfi_b32 v3, s33, v11, v3
	v_fma_f32 v11, v3, v3, 1.0
	v_mul_f32_e32 v12, 0x4f800000, v11
	v_cmp_gt_f32_e32 vcc, s55, v11
	v_cndmask_b32_e32 v11, v11, v12, vcc
	v_sqrt_f32_e32 v12, v11
	v_xor_b32_e32 v1, v1, v2
	v_xor_b32_e32 v1, v1, v4
	v_fma_f32 v2, v1, v1, 1.0
	v_add_u32_e32 v4, -1, v12
	v_fma_f32 v13, -v4, v12, v11
	v_cmp_ge_f32_e64 s[0:1], 0, v13
	v_add_u32_e32 v13, 1, v12
	v_cndmask_b32_e64 v4, v12, v4, s[0:1]
	v_fma_f32 v12, -v13, v12, v11
	v_cmp_lt_f32_e64 s[0:1], 0, v12
	v_cndmask_b32_e64 v4, v4, v13, s[0:1]
	v_mul_f32_e32 v12, 0x37800000, v4
	v_cndmask_b32_e32 v4, v4, v12, vcc
	v_cmp_class_f32_e32 vcc, v11, v22
	v_cndmask_b32_e32 v4, v4, v11, vcc
	v_mul_f32_e32 v11, v3, v2
	v_mul_f32_e32 v2, v4, v2
	v_fma_f32 v12, v3, v11, 1.0
	v_mul_f32_e32 v2, v3, v2
	v_div_scale_f32 v3, s[0:1], v12, v12, v2
	v_div_scale_f32 v4, vcc, v2, v12, v2
	v_div_scale_f32 v11, s[0:1], v12, v12, v1
	v_div_scale_f32 v13, s[0:1], v1, v12, v1
	v_rcp_f32_e32 v30, v3
	v_fma_f32 v31, -v3, v30, 1.0
	v_fmac_f32_e32 v30, v31, v30
	v_mul_f32_e32 v31, v4, v30
	v_fma_f32 v32, -v3, v31, v4
	v_fmac_f32_e32 v31, v32, v30
	v_rcp_f32_e32 v32, v11
	v_fma_f32 v3, -v3, v31, v4
	v_div_fmas_f32 v3, v3, v30, v31
	s_mov_b64 vcc, s[0:1]
	v_fma_f32 v4, -v11, v32, 1.0
	v_fmac_f32_e32 v32, v4, v32
	v_mul_f32_e32 v4, v13, v32
	v_fma_f32 v30, -v11, v4, v13
	v_fmac_f32_e32 v4, v30, v32
	v_fma_f32 v11, -v11, v4, v13
	v_div_fmas_f32 v4, v11, v32, v4
	v_div_fixup_f32 v11, v3, v12, v2
	v_div_fixup_f32 v12, v4, v12, v1
                                        ; implicit-def: $vgpr1_vgpr2_vgpr3_vgpr4
                                        ; implicit-def: $vgpr1
.LBB156_129:                            ;   in Loop: Header=BB156_7 Depth=1
	s_andn2_saveexec_b64 s[28:29], s[28:29]
	s_cbranch_execz .LBB156_139
; %bb.130:                              ;   in Loop: Header=BB156_7 Depth=1
	v_lshrrev_b32_e32 v2, 23, v1
	v_and_b32_e32 v11, 0x7fffff, v1
	v_cmp_nlt_f32_e64 s[30:31], |v4|, s41
	v_add_u32_e32 v30, 0xffffff88, v2
	v_or_b32_e32 v2, 0x800000, v11
                                        ; implicit-def: $vgpr11
                                        ; implicit-def: $vgpr12
	s_and_saveexec_b64 s[0:1], s[30:31]
	s_xor_b64 s[34:35], exec, s[0:1]
	s_cbranch_execz .LBB156_132
; %bb.131:                              ;   in Loop: Header=BB156_7 Depth=1
	v_mad_u64_u32 v[11:12], s[0:1], v2, s42, 0
	v_cmp_lt_u32_e32 vcc, 63, v30
	v_mov_b32_e32 v13, v12
	v_mad_u64_u32 v[12:13], s[0:1], v2, s43, v[13:14]
	v_mad_u64_u32 v[31:32], s[0:1], v2, s44, v[13:14]
	v_mov_b32_e32 v13, v32
	v_mad_u64_u32 v[32:33], s[0:1], v2, s45, v[13:14]
	v_cndmask_b32_e32 v13, 0, v26, vcc
	v_add_u32_e32 v35, v13, v30
	v_mov_b32_e32 v13, v33
	v_mad_u64_u32 v[33:34], s[0:1], v2, s46, v[13:14]
	v_cmp_lt_u32_e64 s[0:1], 31, v35
	v_cndmask_b32_e64 v13, 0, v27, s[0:1]
	v_add_u32_e32 v36, v13, v35
	v_mov_b32_e32 v13, v34
	v_mad_u64_u32 v[34:35], s[2:3], v2, s47, v[13:14]
	v_cmp_lt_u32_e64 s[2:3], 31, v36
	v_cndmask_b32_e64 v13, 0, v27, s[2:3]
	v_add_u32_e32 v37, v13, v36
	v_mov_b32_e32 v13, v35
	v_mad_u64_u32 v[35:36], s[6:7], v2, s48, v[13:14]
	v_cndmask_b32_e32 v13, v33, v31, vcc
	v_cndmask_b32_e32 v38, v34, v32, vcc
	;; [unrolled: 1-line block ×4, first 2 shown]
	v_cndmask_b32_e64 v39, v38, v13, s[0:1]
	v_cndmask_b32_e64 v35, v33, v38, s[0:1]
	;; [unrolled: 1-line block ×3, first 2 shown]
	v_cndmask_b32_e32 v12, v32, v12, vcc
	v_cndmask_b32_e64 v33, v33, v35, s[2:3]
	v_cndmask_b32_e64 v34, v35, v39, s[2:3]
	v_sub_u32_e32 v35, 32, v37
	v_cndmask_b32_e64 v13, v13, v12, s[0:1]
	v_alignbit_b32 v36, v33, v34, v35
	v_cmp_eq_u32_e64 s[6:7], 0, v37
	v_cndmask_b32_e64 v32, v39, v13, s[2:3]
	v_cndmask_b32_e64 v33, v36, v33, s[6:7]
	v_alignbit_b32 v36, v34, v32, v35
	v_cndmask_b32_e32 v11, v31, v11, vcc
	v_cndmask_b32_e64 v34, v36, v34, s[6:7]
	v_bfe_u32 v38, v33, 29, 1
	v_cndmask_b32_e64 v11, v12, v11, s[0:1]
	v_alignbit_b32 v36, v33, v34, 30
	v_sub_u32_e32 v39, 0, v38
	v_cndmask_b32_e64 v11, v13, v11, s[2:3]
	v_xor_b32_e32 v36, v36, v39
	v_alignbit_b32 v12, v32, v11, v35
	v_cndmask_b32_e64 v12, v12, v32, s[6:7]
	v_ffbh_u32_e32 v31, v36
	v_alignbit_b32 v13, v34, v12, 30
	v_min_u32_e32 v31, 32, v31
	v_alignbit_b32 v11, v12, v11, 30
	v_xor_b32_e32 v13, v13, v39
	v_sub_u32_e32 v32, 31, v31
	v_xor_b32_e32 v11, v11, v39
	v_alignbit_b32 v34, v36, v13, v32
	v_alignbit_b32 v11, v13, v11, v32
	;; [unrolled: 1-line block ×3, first 2 shown]
	v_ffbh_u32_e32 v13, v12
	v_min_u32_e32 v13, 32, v13
	v_lshrrev_b32_e32 v37, 29, v33
	v_not_b32_e32 v32, v13
	v_alignbit_b32 v11, v12, v11, v32
	v_lshlrev_b32_e32 v12, 31, v37
	v_or_b32_e32 v32, 0x33000000, v12
	v_add_lshl_u32 v13, v13, v31, 23
	v_lshrrev_b32_e32 v11, 9, v11
	v_sub_u32_e32 v13, v32, v13
	v_or_b32_e32 v12, 0.5, v12
	v_lshlrev_b32_e32 v31, 23, v31
	v_or_b32_e32 v11, v13, v11
	v_lshrrev_b32_e32 v13, 9, v34
	v_sub_u32_e32 v12, v12, v31
	v_or_b32_e32 v12, v13, v12
	v_mul_f32_e32 v13, 0x3fc90fda, v12
	v_fma_f32 v31, v12, s49, -v13
	v_fmac_f32_e32 v31, 0x33a22168, v12
	v_fmac_f32_e32 v31, 0x3fc90fda, v11
	v_lshrrev_b32_e32 v11, 30, v33
	v_add_f32_e32 v12, v13, v31
	v_add_u32_e32 v11, v38, v11
	s_andn2_saveexec_b64 s[0:1], s[34:35]
	s_branch .LBB156_133
.LBB156_132:                            ;   in Loop: Header=BB156_7 Depth=1
	s_andn2_saveexec_b64 s[0:1], s[34:35]
.LBB156_133:                            ;   in Loop: Header=BB156_7 Depth=1
	v_mul_f32_e64 v11, |v4|, s50
	v_rndne_f32_e32 v13, v11
	v_cvt_i32_f32_e32 v11, v13
	v_fma_f32 v12, v13, s51, |v4|
	v_fmac_f32_e32 v12, 0xb3a22168, v13
	v_fmac_f32_e32 v12, 0xa7c234c4, v13
; %bb.134:                              ;   in Loop: Header=BB156_7 Depth=1
	s_or_b64 exec, exec, s[0:1]
                                        ; implicit-def: $vgpr13
                                        ; implicit-def: $vgpr31
	s_and_saveexec_b64 s[0:1], s[30:31]
	s_xor_b64 s[30:31], exec, s[0:1]
	s_cbranch_execz .LBB156_136
; %bb.135:                              ;   in Loop: Header=BB156_7 Depth=1
	v_mad_u64_u32 v[31:32], s[0:1], v2, s42, 0
	v_cmp_lt_u32_e32 vcc, 63, v30
	v_mov_b32_e32 v13, v32
	v_mad_u64_u32 v[32:33], s[0:1], v2, s43, v[13:14]
	v_mov_b32_e32 v13, v33
	v_mad_u64_u32 v[33:34], s[0:1], v2, s44, v[13:14]
	;; [unrolled: 2-line block ×3, first 2 shown]
	v_cndmask_b32_e32 v13, 0, v26, vcc
	v_add_u32_e32 v30, v13, v30
	v_mov_b32_e32 v13, v35
	v_mad_u64_u32 v[35:36], s[0:1], v2, s46, v[13:14]
	v_cmp_lt_u32_e64 s[0:1], 31, v30
	v_cndmask_b32_e64 v13, 0, v27, s[0:1]
	v_add_u32_e32 v30, v13, v30
	v_mov_b32_e32 v13, v36
	v_mad_u64_u32 v[36:37], s[2:3], v2, s47, v[13:14]
	v_cmp_lt_u32_e64 s[2:3], 31, v30
	v_cndmask_b32_e64 v13, 0, v27, s[2:3]
	v_add_u32_e32 v30, v13, v30
	v_mov_b32_e32 v13, v37
	v_mad_u64_u32 v[37:38], s[6:7], v2, s48, v[13:14]
	v_cndmask_b32_e32 v2, v35, v33, vcc
	v_cndmask_b32_e32 v13, v36, v34, vcc
	;; [unrolled: 1-line block ×4, first 2 shown]
	v_cndmask_b32_e64 v39, v13, v2, s[0:1]
	v_cndmask_b32_e64 v13, v35, v13, s[0:1]
	;; [unrolled: 1-line block ×3, first 2 shown]
	v_cndmask_b32_e32 v32, v34, v32, vcc
	v_cndmask_b32_e64 v35, v35, v13, s[2:3]
	v_cndmask_b32_e64 v13, v13, v39, s[2:3]
	v_sub_u32_e32 v36, 32, v30
	v_cndmask_b32_e64 v2, v2, v32, s[0:1]
	v_alignbit_b32 v37, v35, v13, v36
	v_cmp_eq_u32_e64 s[6:7], 0, v30
	v_cndmask_b32_e64 v34, v39, v2, s[2:3]
	v_cndmask_b32_e64 v30, v37, v35, s[6:7]
	v_alignbit_b32 v35, v13, v34, v36
	v_cndmask_b32_e32 v31, v33, v31, vcc
	v_cndmask_b32_e64 v13, v35, v13, s[6:7]
	v_bfe_u32 v38, v30, 29, 1
	v_cndmask_b32_e64 v31, v32, v31, s[0:1]
	v_alignbit_b32 v35, v30, v13, 30
	v_sub_u32_e32 v39, 0, v38
	v_cndmask_b32_e64 v2, v2, v31, s[2:3]
	v_xor_b32_e32 v35, v35, v39
	v_alignbit_b32 v31, v34, v2, v36
	v_cndmask_b32_e64 v31, v31, v34, s[6:7]
	v_ffbh_u32_e32 v32, v35
	v_alignbit_b32 v13, v13, v31, 30
	v_min_u32_e32 v32, 32, v32
	v_alignbit_b32 v2, v31, v2, 30
	v_xor_b32_e32 v13, v13, v39
	v_sub_u32_e32 v33, 31, v32
	v_xor_b32_e32 v2, v2, v39
	v_alignbit_b32 v34, v35, v13, v33
	v_alignbit_b32 v2, v13, v2, v33
	;; [unrolled: 1-line block ×3, first 2 shown]
	v_ffbh_u32_e32 v31, v13
	v_min_u32_e32 v31, 32, v31
	v_lshrrev_b32_e32 v37, 29, v30
	v_not_b32_e32 v33, v31
	v_alignbit_b32 v2, v13, v2, v33
	v_lshlrev_b32_e32 v13, 31, v37
	v_or_b32_e32 v33, 0x33000000, v13
	v_add_lshl_u32 v31, v31, v32, 23
	v_lshrrev_b32_e32 v2, 9, v2
	v_sub_u32_e32 v31, v33, v31
	v_or_b32_e32 v13, 0.5, v13
	v_lshlrev_b32_e32 v32, 23, v32
	v_or_b32_e32 v2, v31, v2
	v_lshrrev_b32_e32 v31, 9, v34
	v_sub_u32_e32 v13, v13, v32
	v_or_b32_e32 v13, v31, v13
	v_mul_f32_e32 v31, 0x3fc90fda, v13
	v_fma_f32 v32, v13, s49, -v31
	v_fmac_f32_e32 v32, 0x33a22168, v13
	v_fmac_f32_e32 v32, 0x3fc90fda, v2
	v_lshrrev_b32_e32 v2, 30, v30
	v_add_f32_e32 v31, v31, v32
	v_add_u32_e32 v13, v38, v2
	s_andn2_saveexec_b64 s[0:1], s[30:31]
	s_cbranch_execnz .LBB156_137
	s_branch .LBB156_138
.LBB156_136:                            ;   in Loop: Header=BB156_7 Depth=1
	s_andn2_saveexec_b64 s[0:1], s[30:31]
.LBB156_137:                            ;   in Loop: Header=BB156_7 Depth=1
	v_mul_f32_e64 v2, |v4|, s50
	v_rndne_f32_e32 v2, v2
	v_cvt_i32_f32_e32 v13, v2
	v_fma_f32 v31, v2, s51, |v4|
	v_fmac_f32_e32 v31, 0xb3a22168, v2
	v_fmac_f32_e32 v31, 0xa7c234c4, v2
.LBB156_138:                            ;   in Loop: Header=BB156_7 Depth=1
	s_or_b64 exec, exec, s[0:1]
	v_mul_f32_e32 v2, v12, v12
	v_mov_b32_e32 v30, 0x3c0881c4
	v_fmac_f32_e32 v30, 0xb94c1982, v2
	v_fma_f32 v30, v2, v30, v23
	v_mul_f32_e32 v30, v2, v30
	v_fmac_f32_e32 v12, v12, v30
	v_mov_b32_e32 v30, 0xbab64f3b
	v_fmac_f32_e32 v30, 0x37d75334, v2
	v_fma_f32 v30, v2, v30, v24
	v_fma_f32 v30, v2, v30, v25
	v_fma_f32 v2, v2, v30, 1.0
	v_and_b32_e32 v30, 1, v11
	v_lshlrev_b32_e32 v11, 30, v11
	v_and_b32_e32 v11, 0x80000000, v11
	v_cmp_eq_u32_e32 vcc, 0, v30
	v_xor_b32_e32 v1, v1, v11
	v_mul_f32_e64 v11, |v3|, s56
	v_cndmask_b32_e32 v2, v2, v12, vcc
	v_rndne_f32_e32 v12, v11
	v_sub_f32_e32 v30, v11, v12
	v_fma_f32 v11, |v3|, s56, -v11
	v_fma_f32 v11, |v3|, s57, v11
	v_add_f32_e32 v11, v30, v11
	v_exp_f32_e32 v11, v11
	v_cvt_i32_f32_e32 v12, v12
	v_xor_b32_e32 v1, v1, v2
	v_cmp_ngt_f32_e64 vcc, |v3|, s58
	v_xor_b32_e32 v1, v1, v4
	v_ldexp_f32 v2, v11, v12
	v_cndmask_b32_e32 v2, 0, v2, vcc
	v_cmp_nlt_f32_e64 vcc, |v3|, s59
	v_bfi_b32 v11, s33, 1.0, v3
	v_mul_f32_e32 v3, v31, v31
	v_mov_b32_e32 v4, 0x3c0881c4
	v_fmac_f32_e32 v4, 0xb94c1982, v3
	v_fma_f32 v4, v3, v4, v23
	v_mul_f32_e32 v4, v3, v4
	v_fmac_f32_e32 v31, v31, v4
	v_mov_b32_e32 v4, 0xbab64f3b
	v_fmac_f32_e32 v4, 0x37d75334, v3
	v_fma_f32 v4, v3, v4, v24
	v_fma_f32 v4, v3, v4, v25
	v_fma_f32 v3, v3, v4, 1.0
	v_and_b32_e32 v4, 1, v13
	v_cndmask_b32_e32 v2, v28, v2, vcc
	v_cmp_eq_u32_e32 vcc, 0, v4
	v_lshlrev_b32_e32 v4, 30, v13
	v_cndmask_b32_e64 v3, -v31, v3, vcc
	v_and_b32_e32 v4, 0x80000000, v4
	v_mul_f32_e32 v1, 4.0, v1
	v_xor_b32_e32 v3, v4, v3
	v_mul_f32_e32 v1, v1, v3
	v_mul_f32_e32 v1, v2, v1
	;; [unrolled: 1-line block ×3, first 2 shown]
.LBB156_139:                            ;   in Loop: Header=BB156_7 Depth=1
	s_or_b64 exec, exec, s[28:29]
                                        ; implicit-def: $vgpr1_vgpr2_vgpr3_vgpr4
.LBB156_140:                            ;   in Loop: Header=BB156_7 Depth=1
	s_andn2_saveexec_b64 s[0:1], s[26:27]
; %bb.141:                              ;   in Loop: Header=BB156_7 Depth=1
	v_sub_f32_e32 v12, v4, v4
	v_mov_b32_e32 v11, v12
; %bb.142:                              ;   in Loop: Header=BB156_7 Depth=1
	s_or_b64 exec, exec, s[0:1]
                                        ; implicit-def: $vgpr3
.LBB156_143:                            ;   in Loop: Header=BB156_7 Depth=1
	s_andn2_saveexec_b64 s[24:25], s[24:25]
	s_cbranch_execz .LBB156_6
; %bb.144:                              ;   in Loop: Header=BB156_7 Depth=1
	v_and_b32_e32 v1, 0x7fffff, v3
	v_cmp_ne_u32_e32 vcc, 0, v1
	s_and_saveexec_b64 s[0:1], vcc
	s_xor_b64 s[0:1], exec, s[0:1]
; %bb.145:                              ;   in Loop: Header=BB156_7 Depth=1
	v_mul_f32_e32 v1, v3, v4
	v_cmp_eq_f32_e32 vcc, 0, v4
	v_cndmask_b32_e32 v12, v1, v4, vcc
; %bb.146:                              ;   in Loop: Header=BB156_7 Depth=1
	s_andn2_saveexec_b64 s[26:27], s[0:1]
	s_cbranch_execz .LBB156_5
; %bb.147:                              ;   in Loop: Header=BB156_7 Depth=1
	v_cmp_neq_f32_e64 s[0:1], |v4|, s38
	s_and_saveexec_b64 s[28:29], s[0:1]
	s_cbranch_execz .LBB156_4
; %bb.148:                              ;   in Loop: Header=BB156_7 Depth=1
	v_and_b32_e32 v1, 0x7fffffff, v4
	v_lshrrev_b32_e32 v2, 23, v1
	v_and_b32_e32 v11, 0x7fffff, v1
	v_cmp_nlt_f32_e64 s[30:31], |v4|, s41
	v_add_u32_e32 v30, 0xffffff88, v2
	v_or_b32_e32 v2, 0x800000, v11
                                        ; implicit-def: $vgpr11
                                        ; implicit-def: $vgpr12
	s_and_saveexec_b64 s[0:1], s[30:31]
	s_xor_b64 s[34:35], exec, s[0:1]
	s_cbranch_execz .LBB156_150
; %bb.149:                              ;   in Loop: Header=BB156_7 Depth=1
	v_mad_u64_u32 v[11:12], s[0:1], v2, s42, 0
	v_cmp_lt_u32_e32 vcc, 63, v30
	v_mov_b32_e32 v13, v12
	v_mad_u64_u32 v[12:13], s[0:1], v2, s43, v[13:14]
	v_mad_u64_u32 v[31:32], s[0:1], v2, s44, v[13:14]
	v_mov_b32_e32 v13, v32
	v_mad_u64_u32 v[32:33], s[0:1], v2, s45, v[13:14]
	v_cndmask_b32_e32 v13, 0, v26, vcc
	v_add_u32_e32 v35, v13, v30
	v_mov_b32_e32 v13, v33
	v_mad_u64_u32 v[33:34], s[0:1], v2, s46, v[13:14]
	v_cmp_lt_u32_e64 s[0:1], 31, v35
	v_cndmask_b32_e64 v13, 0, v27, s[0:1]
	v_add_u32_e32 v36, v13, v35
	v_mov_b32_e32 v13, v34
	v_mad_u64_u32 v[34:35], s[2:3], v2, s47, v[13:14]
	v_cmp_lt_u32_e64 s[2:3], 31, v36
	v_cndmask_b32_e64 v13, 0, v27, s[2:3]
	v_add_u32_e32 v37, v13, v36
	v_mov_b32_e32 v13, v35
	v_mad_u64_u32 v[35:36], s[6:7], v2, s48, v[13:14]
	v_cndmask_b32_e32 v13, v33, v31, vcc
	v_cndmask_b32_e32 v38, v34, v32, vcc
	;; [unrolled: 1-line block ×4, first 2 shown]
	v_cndmask_b32_e64 v39, v38, v13, s[0:1]
	v_cndmask_b32_e64 v35, v33, v38, s[0:1]
	;; [unrolled: 1-line block ×3, first 2 shown]
	v_cndmask_b32_e32 v12, v32, v12, vcc
	v_cndmask_b32_e64 v33, v33, v35, s[2:3]
	v_cndmask_b32_e64 v34, v35, v39, s[2:3]
	v_sub_u32_e32 v35, 32, v37
	v_cndmask_b32_e64 v13, v13, v12, s[0:1]
	v_alignbit_b32 v36, v33, v34, v35
	v_cmp_eq_u32_e64 s[6:7], 0, v37
	v_cndmask_b32_e64 v32, v39, v13, s[2:3]
	v_cndmask_b32_e64 v33, v36, v33, s[6:7]
	v_alignbit_b32 v36, v34, v32, v35
	v_cndmask_b32_e32 v11, v31, v11, vcc
	v_cndmask_b32_e64 v34, v36, v34, s[6:7]
	v_bfe_u32 v38, v33, 29, 1
	v_cndmask_b32_e64 v11, v12, v11, s[0:1]
	v_alignbit_b32 v36, v33, v34, 30
	v_sub_u32_e32 v39, 0, v38
	v_cndmask_b32_e64 v11, v13, v11, s[2:3]
	v_xor_b32_e32 v36, v36, v39
	v_alignbit_b32 v12, v32, v11, v35
	v_cndmask_b32_e64 v12, v12, v32, s[6:7]
	v_ffbh_u32_e32 v31, v36
	v_alignbit_b32 v13, v34, v12, 30
	v_min_u32_e32 v31, 32, v31
	v_alignbit_b32 v11, v12, v11, 30
	v_xor_b32_e32 v13, v13, v39
	v_sub_u32_e32 v32, 31, v31
	v_xor_b32_e32 v11, v11, v39
	v_alignbit_b32 v34, v36, v13, v32
	v_alignbit_b32 v11, v13, v11, v32
	;; [unrolled: 1-line block ×3, first 2 shown]
	v_ffbh_u32_e32 v13, v12
	v_min_u32_e32 v13, 32, v13
	v_lshrrev_b32_e32 v37, 29, v33
	v_not_b32_e32 v32, v13
	v_alignbit_b32 v11, v12, v11, v32
	v_lshlrev_b32_e32 v12, 31, v37
	v_or_b32_e32 v32, 0x33000000, v12
	v_add_lshl_u32 v13, v13, v31, 23
	v_lshrrev_b32_e32 v11, 9, v11
	v_sub_u32_e32 v13, v32, v13
	v_or_b32_e32 v12, 0.5, v12
	v_lshlrev_b32_e32 v31, 23, v31
	v_or_b32_e32 v11, v13, v11
	v_lshrrev_b32_e32 v13, 9, v34
	v_sub_u32_e32 v12, v12, v31
	v_or_b32_e32 v12, v13, v12
	v_mul_f32_e32 v13, 0x3fc90fda, v12
	v_fma_f32 v31, v12, s49, -v13
	v_fmac_f32_e32 v31, 0x33a22168, v12
	v_fmac_f32_e32 v31, 0x3fc90fda, v11
	v_lshrrev_b32_e32 v11, 30, v33
	v_add_f32_e32 v12, v13, v31
	v_add_u32_e32 v11, v38, v11
.LBB156_150:                            ;   in Loop: Header=BB156_7 Depth=1
	s_or_saveexec_b64 s[0:1], s[34:35]
	v_mul_f32_e64 v13, |v4|, s50
	v_rndne_f32_e32 v32, v13
	s_xor_b64 exec, exec, s[0:1]
; %bb.151:                              ;   in Loop: Header=BB156_7 Depth=1
	v_cvt_i32_f32_e32 v11, v32
	v_fma_f32 v12, v32, s51, |v4|
	v_fmac_f32_e32 v12, 0xb3a22168, v32
	v_fmac_f32_e32 v12, 0xa7c234c4, v32
; %bb.152:                              ;   in Loop: Header=BB156_7 Depth=1
	s_or_b64 exec, exec, s[0:1]
                                        ; implicit-def: $vgpr13
                                        ; implicit-def: $vgpr31
	s_and_saveexec_b64 s[0:1], s[30:31]
	s_xor_b64 s[30:31], exec, s[0:1]
	s_cbranch_execz .LBB156_154
; %bb.153:                              ;   in Loop: Header=BB156_7 Depth=1
	v_mad_u64_u32 v[31:32], s[0:1], v2, s42, 0
	v_cmp_lt_u32_e32 vcc, 63, v30
	v_mov_b32_e32 v13, v32
	v_mad_u64_u32 v[32:33], s[0:1], v2, s43, v[13:14]
	v_mov_b32_e32 v13, v33
	v_mad_u64_u32 v[33:34], s[0:1], v2, s44, v[13:14]
	;; [unrolled: 2-line block ×3, first 2 shown]
	v_cndmask_b32_e32 v13, 0, v26, vcc
	v_add_u32_e32 v30, v13, v30
	v_mov_b32_e32 v13, v35
	v_mad_u64_u32 v[35:36], s[0:1], v2, s46, v[13:14]
	v_cmp_lt_u32_e64 s[0:1], 31, v30
	v_cndmask_b32_e64 v13, 0, v27, s[0:1]
	v_add_u32_e32 v30, v13, v30
	v_mov_b32_e32 v13, v36
	v_mad_u64_u32 v[36:37], s[2:3], v2, s47, v[13:14]
	v_cmp_lt_u32_e64 s[2:3], 31, v30
	v_cndmask_b32_e64 v13, 0, v27, s[2:3]
	v_add_u32_e32 v30, v13, v30
	v_mov_b32_e32 v13, v37
	v_mad_u64_u32 v[37:38], s[6:7], v2, s48, v[13:14]
	v_cndmask_b32_e32 v2, v35, v33, vcc
	v_cndmask_b32_e32 v13, v36, v34, vcc
	;; [unrolled: 1-line block ×4, first 2 shown]
	v_cndmask_b32_e64 v39, v13, v2, s[0:1]
	v_cndmask_b32_e64 v13, v35, v13, s[0:1]
	;; [unrolled: 1-line block ×3, first 2 shown]
	v_cndmask_b32_e32 v32, v34, v32, vcc
	v_cndmask_b32_e64 v35, v35, v13, s[2:3]
	v_cndmask_b32_e64 v13, v13, v39, s[2:3]
	v_sub_u32_e32 v36, 32, v30
	v_cndmask_b32_e64 v2, v2, v32, s[0:1]
	v_alignbit_b32 v37, v35, v13, v36
	v_cmp_eq_u32_e64 s[6:7], 0, v30
	v_cndmask_b32_e64 v34, v39, v2, s[2:3]
	v_cndmask_b32_e64 v30, v37, v35, s[6:7]
	v_alignbit_b32 v35, v13, v34, v36
	v_cndmask_b32_e32 v31, v33, v31, vcc
	v_cndmask_b32_e64 v13, v35, v13, s[6:7]
	v_bfe_u32 v38, v30, 29, 1
	v_cndmask_b32_e64 v31, v32, v31, s[0:1]
	v_alignbit_b32 v35, v30, v13, 30
	v_sub_u32_e32 v39, 0, v38
	v_cndmask_b32_e64 v2, v2, v31, s[2:3]
	v_xor_b32_e32 v35, v35, v39
	v_alignbit_b32 v31, v34, v2, v36
	v_cndmask_b32_e64 v31, v31, v34, s[6:7]
	v_ffbh_u32_e32 v32, v35
	v_alignbit_b32 v13, v13, v31, 30
	v_min_u32_e32 v32, 32, v32
	v_alignbit_b32 v2, v31, v2, 30
	v_xor_b32_e32 v13, v13, v39
	v_sub_u32_e32 v33, 31, v32
	v_xor_b32_e32 v2, v2, v39
	v_alignbit_b32 v34, v35, v13, v33
	v_alignbit_b32 v2, v13, v2, v33
	v_alignbit_b32 v13, v34, v2, 9
	v_ffbh_u32_e32 v31, v13
	v_min_u32_e32 v31, 32, v31
	v_lshrrev_b32_e32 v37, 29, v30
	v_not_b32_e32 v33, v31
	v_alignbit_b32 v2, v13, v2, v33
	v_lshlrev_b32_e32 v13, 31, v37
	v_or_b32_e32 v33, 0x33000000, v13
	v_add_lshl_u32 v31, v31, v32, 23
	v_lshrrev_b32_e32 v2, 9, v2
	v_sub_u32_e32 v31, v33, v31
	v_or_b32_e32 v13, 0.5, v13
	v_lshlrev_b32_e32 v32, 23, v32
	v_or_b32_e32 v2, v31, v2
	v_lshrrev_b32_e32 v31, 9, v34
	v_sub_u32_e32 v13, v13, v32
	v_or_b32_e32 v13, v31, v13
	v_mul_f32_e32 v31, 0x3fc90fda, v13
	v_fma_f32 v32, v13, s49, -v31
	v_fmac_f32_e32 v32, 0x33a22168, v13
	v_fmac_f32_e32 v32, 0x3fc90fda, v2
	v_lshrrev_b32_e32 v2, 30, v30
	v_add_f32_e32 v31, v31, v32
	v_add_u32_e32 v13, v38, v2
                                        ; implicit-def: $vgpr32
	s_andn2_saveexec_b64 s[0:1], s[30:31]
	s_cbranch_execz .LBB156_3
	s_branch .LBB156_155
.LBB156_154:                            ;   in Loop: Header=BB156_7 Depth=1
	s_andn2_saveexec_b64 s[0:1], s[30:31]
	s_cbranch_execz .LBB156_3
.LBB156_155:                            ;   in Loop: Header=BB156_7 Depth=1
	v_cvt_i32_f32_e32 v13, v32
	v_fma_f32 v31, v32, s51, |v4|
	v_fmac_f32_e32 v31, 0xb3a22168, v32
	v_fmac_f32_e32 v31, 0xa7c234c4, v32
	s_branch .LBB156_3
.LBB156_156:
	s_or_b64 exec, exec, s[12:13]
	s_mov_b64 s[0:1], 0
.LBB156_157:
	s_andn2_b64 vcc, exec, s[0:1]
	s_cbranch_vccnz .LBB156_329
; %bb.158:
	v_cmp_lt_i64_e64 s[0:1], s[8:9], 1
	s_and_b64 vcc, exec, s[0:1]
	s_cbranch_vccnz .LBB156_329
; %bb.159:
	v_mov_b32_e32 v3, 0x10000
	s_load_dword s2, s[4:5], 0xc5c
	v_mov_b32_e32 v4, 0
	v_cmp_lt_i64_e32 vcc, s[8:9], v[3:4]
	v_mov_b32_e32 v2, 0
	s_and_b64 s[0:1], vcc, exec
	v_cmp_lt_u64_e32 vcc, s[8:9], v[3:4]
	s_cselect_b32 s19, s9, 0
	s_cselect_b32 s18, s8, 0x10000
	s_waitcnt lgkmcnt(0)
	s_and_b32 s33, s2, 0xffff
	s_and_b64 s[0:1], vcc, exec
	s_cselect_b32 s21, s9, 0
	s_cselect_b32 s20, s8, 0x10000
	s_lshl_b32 s36, s33, 1
	s_mul_i32 s37, s33, 3
	s_lshl_b32 s38, s33, 2
	s_mov_b64 s[22:23], 0
	s_brev_b32 s39, -2
	s_mov_b32 s40, 0x7f800000
	s_movk_i32 s41, 0x1f8
	s_mov_b32 s42, 0x41300000
	s_brev_b32 s43, 18
	s_mov_b32 s44, 0xfe5163ab
	s_mov_b32 s45, 0x3c439041
	;; [unrolled: 1-line block ×10, first 2 shown]
	v_mov_b32_e32 v19, 0x3f93f425
	s_mov_b32 s54, 0xbf317218
	v_mov_b32_e32 v20, 0x3d2aadcc
	v_mov_b32_e32 v21, 0x3e2aaa47
	;; [unrolled: 1-line block ×3, first 2 shown]
	s_mov_b32 s55, 0x42b2d4fc
	s_mov_b32 s56, 0x39800000
	;; [unrolled: 1-line block ×3, first 2 shown]
	v_mov_b32_e32 v23, 0x260
	v_mov_b32_e32 v24, 0xbe2aaa9d
	;; [unrolled: 1-line block ×4, first 2 shown]
	s_mov_b32 s58, 0xbfb8aa3b
	s_mov_b32 s59, 0xb2a5705f
	;; [unrolled: 1-line block ×4, first 2 shown]
	v_not_b32_e32 v27, 63
	v_not_b32_e32 v28, 31
	v_mov_b32_e32 v29, 0x7f800000
	v_mov_b32_e32 v30, 0x7fc00000
	s_branch .LBB156_161
.LBB156_160:                            ;   in Loop: Header=BB156_161 Depth=1
	s_or_b64 exec, exec, s[0:1]
	s_add_u32 s22, s22, s38
	v_mov_b32_e32 v3, s18
	s_addc_u32 s23, s23, 0
	v_mov_b32_e32 v4, s19
	v_cmp_ge_i64_e32 vcc, s[22:23], v[3:4]
	s_cbranch_vccnz .LBB156_329
.LBB156_161:                            ; =>This Inner Loop Header: Depth=1
	v_mov_b32_e32 v1, s23
	v_add_co_u32_e32 v3, vcc, s22, v0
	v_addc_co_u32_e32 v4, vcc, 0, v1, vcc
	v_cmp_gt_u64_e64 s[0:1], s[20:21], v[3:4]
	v_mov_b32_e32 v14, 0
	v_mov_b32_e32 v13, 0
	s_and_saveexec_b64 s[2:3], s[0:1]
	s_cbranch_execz .LBB156_163
; %bb.162:                              ;   in Loop: Header=BB156_161 Depth=1
	v_lshlrev_b64 v[5:6], 3, v[3:4]
	v_mov_b32_e32 v1, s15
	v_add_co_u32_e32 v5, vcc, s14, v5
	v_addc_co_u32_e32 v6, vcc, v1, v6, vcc
	global_load_dwordx2 v[13:14], v[5:6], off
.LBB156_163:                            ;   in Loop: Header=BB156_161 Depth=1
	s_or_b64 exec, exec, s[2:3]
	v_add_co_u32_e32 v5, vcc, s33, v3
	v_addc_co_u32_e32 v6, vcc, 0, v4, vcc
	v_cmp_gt_u64_e64 s[2:3], s[20:21], v[5:6]
	v_mov_b32_e32 v12, 0
	v_mov_b32_e32 v16, 0
	;; [unrolled: 1-line block ×3, first 2 shown]
	s_and_saveexec_b64 s[4:5], s[2:3]
	s_cbranch_execz .LBB156_165
; %bb.164:                              ;   in Loop: Header=BB156_161 Depth=1
	v_lshlrev_b64 v[7:8], 3, v[5:6]
	v_mov_b32_e32 v1, s15
	v_add_co_u32_e32 v7, vcc, s14, v7
	v_addc_co_u32_e32 v8, vcc, v1, v8, vcc
	global_load_dwordx2 v[15:16], v[7:8], off
.LBB156_165:                            ;   in Loop: Header=BB156_161 Depth=1
	s_or_b64 exec, exec, s[4:5]
	v_add_co_u32_e32 v7, vcc, s36, v3
	v_addc_co_u32_e32 v8, vcc, 0, v4, vcc
	v_cmp_gt_u64_e64 s[4:5], s[20:21], v[7:8]
	v_mov_b32_e32 v11, 0
	s_and_saveexec_b64 s[6:7], s[4:5]
	s_cbranch_execz .LBB156_167
; %bb.166:                              ;   in Loop: Header=BB156_161 Depth=1
	v_lshlrev_b64 v[9:10], 3, v[7:8]
	v_mov_b32_e32 v1, s15
	v_add_co_u32_e32 v9, vcc, s14, v9
	v_addc_co_u32_e32 v10, vcc, v1, v10, vcc
	global_load_dwordx2 v[11:12], v[9:10], off
.LBB156_167:                            ;   in Loop: Header=BB156_161 Depth=1
	s_or_b64 exec, exec, s[6:7]
	v_add_co_u32_e32 v9, vcc, s37, v3
	v_addc_co_u32_e32 v10, vcc, 0, v4, vcc
	v_cmp_gt_u64_e64 s[6:7], s[20:21], v[9:10]
	v_mov_b32_e32 v18, 0
	v_mov_b32_e32 v17, 0
	s_and_saveexec_b64 s[8:9], s[6:7]
	s_cbranch_execz .LBB156_169
; %bb.168:                              ;   in Loop: Header=BB156_161 Depth=1
	v_lshlrev_b64 v[17:18], 3, v[9:10]
	v_mov_b32_e32 v1, s15
	v_add_co_u32_e32 v17, vcc, s14, v17
	v_addc_co_u32_e32 v18, vcc, v1, v18, vcc
	global_load_dwordx2 v[17:18], v[17:18], off
.LBB156_169:                            ;   in Loop: Header=BB156_161 Depth=1
	s_or_b64 exec, exec, s[8:9]
	s_waitcnt vmcnt(0)
	v_and_b32_e32 v1, 0x7fffffff, v13
	v_cmp_gt_u32_e32 vcc, s40, v1
	s_and_saveexec_b64 s[8:9], vcc
	s_xor_b64 s[24:25], exec, s[8:9]
	s_cbranch_execz .LBB156_190
; %bb.170:                              ;   in Loop: Header=BB156_161 Depth=1
	v_cmp_class_f32_e64 s[8:9], v14, s41
	s_and_saveexec_b64 s[10:11], s[8:9]
	s_xor_b64 s[26:27], exec, s[10:11]
	s_cbranch_execz .LBB156_187
; %bb.171:                              ;   in Loop: Header=BB156_161 Depth=1
	v_and_b32_e32 v31, 0x7fffffff, v14
	v_cmp_gt_u32_e32 vcc, s42, v1
	s_and_saveexec_b64 s[8:9], vcc
	s_xor_b64 s[28:29], exec, s[8:9]
	s_cbranch_execz .LBB156_177
; %bb.172:                              ;   in Loop: Header=BB156_161 Depth=1
	v_cmp_nlt_f32_e64 s[8:9], |v14|, s43
                                        ; implicit-def: $vgpr32
                                        ; implicit-def: $vgpr1
	s_and_saveexec_b64 s[10:11], s[8:9]
	s_xor_b64 s[30:31], exec, s[10:11]
	s_cbranch_execz .LBB156_174
; %bb.173:                              ;   in Loop: Header=BB156_161 Depth=1
	v_and_b32_e32 v1, 0x7fffff, v31
	v_or_b32_e32 v39, 0x800000, v1
	v_mad_u64_u32 v[32:33], s[8:9], v39, s44, 0
	v_mov_b32_e32 v1, v33
	v_mad_u64_u32 v[33:34], s[8:9], v39, s45, v[1:2]
	v_mov_b32_e32 v1, v34
	;; [unrolled: 2-line block ×3, first 2 shown]
	v_mad_u64_u32 v[35:36], s[8:9], v39, s47, v[1:2]
	v_lshrrev_b32_e32 v1, 23, v31
	v_add_u32_e32 v38, 0xffffff88, v1
	v_mov_b32_e32 v1, v36
	v_mad_u64_u32 v[36:37], s[8:9], v39, s48, v[1:2]
	v_cmp_lt_u32_e32 vcc, 63, v38
	v_cndmask_b32_e32 v1, 0, v27, vcc
	v_add_u32_e32 v40, v1, v38
	v_mov_b32_e32 v1, v37
	v_mad_u64_u32 v[37:38], s[8:9], v39, s49, v[1:2]
	v_cmp_lt_u32_e64 s[8:9], 31, v40
	v_cndmask_b32_e64 v1, 0, v28, s[8:9]
	v_add_u32_e32 v40, v1, v40
	v_mov_b32_e32 v1, v38
	v_mad_u64_u32 v[38:39], s[10:11], v39, s50, v[1:2]
	v_cmp_lt_u32_e64 s[10:11], 31, v40
	v_cndmask_b32_e64 v1, 0, v28, s[10:11]
	v_add_u32_e32 v1, v1, v40
	v_cndmask_b32_e32 v40, v37, v35, vcc
	v_cndmask_b32_e32 v38, v38, v36, vcc
	;; [unrolled: 1-line block ×4, first 2 shown]
	v_cndmask_b32_e64 v39, v38, v40, s[8:9]
	v_cndmask_b32_e64 v37, v37, v38, s[8:9]
	;; [unrolled: 1-line block ×3, first 2 shown]
	v_sub_u32_e32 v40, 32, v1
	v_cmp_eq_u32_e64 s[12:13], 0, v1
	v_cndmask_b32_e32 v1, v35, v33, vcc
	v_cndmask_b32_e64 v37, v37, v39, s[10:11]
	v_cndmask_b32_e64 v39, v39, v38, s[10:11]
	;; [unrolled: 1-line block ×3, first 2 shown]
	v_alignbit_b32 v41, v37, v39, v40
	v_cndmask_b32_e64 v35, v38, v33, s[10:11]
	v_cndmask_b32_e64 v37, v41, v37, s[12:13]
	v_alignbit_b32 v36, v39, v35, v40
	v_cndmask_b32_e32 v32, v34, v32, vcc
	v_cndmask_b32_e64 v36, v36, v39, s[12:13]
	v_bfe_u32 v41, v37, 29, 1
	v_cndmask_b32_e64 v1, v1, v32, s[8:9]
	v_alignbit_b32 v38, v37, v36, 30
	v_sub_u32_e32 v42, 0, v41
	v_cndmask_b32_e64 v1, v33, v1, s[10:11]
	v_xor_b32_e32 v38, v38, v42
	v_alignbit_b32 v32, v35, v1, v40
	v_cndmask_b32_e64 v32, v32, v35, s[12:13]
	v_ffbh_u32_e32 v34, v38
	v_alignbit_b32 v33, v36, v32, 30
	v_min_u32_e32 v34, 32, v34
	v_alignbit_b32 v1, v32, v1, 30
	v_xor_b32_e32 v33, v33, v42
	v_sub_u32_e32 v35, 31, v34
	v_xor_b32_e32 v1, v1, v42
	v_alignbit_b32 v36, v38, v33, v35
	v_alignbit_b32 v1, v33, v1, v35
	v_alignbit_b32 v32, v36, v1, 9
	v_ffbh_u32_e32 v33, v32
	v_min_u32_e32 v33, 32, v33
	v_lshrrev_b32_e32 v39, 29, v37
	v_not_b32_e32 v35, v33
	v_alignbit_b32 v1, v32, v1, v35
	v_lshlrev_b32_e32 v32, 31, v39
	v_or_b32_e32 v35, 0x33000000, v32
	v_add_lshl_u32 v33, v33, v34, 23
	v_lshrrev_b32_e32 v1, 9, v1
	v_sub_u32_e32 v33, v35, v33
	v_or_b32_e32 v32, 0.5, v32
	v_lshlrev_b32_e32 v34, 23, v34
	v_or_b32_e32 v1, v33, v1
	v_lshrrev_b32_e32 v33, 9, v36
	v_sub_u32_e32 v32, v32, v34
	v_or_b32_e32 v32, v33, v32
	v_mul_f32_e32 v33, 0x3fc90fda, v32
	v_fma_f32 v34, v32, s51, -v33
	v_fmac_f32_e32 v34, 0x33a22168, v32
	v_fmac_f32_e32 v34, 0x3fc90fda, v1
	v_lshrrev_b32_e32 v32, 30, v37
	v_add_f32_e32 v1, v33, v34
	v_add_u32_e32 v32, v41, v32
.LBB156_174:                            ;   in Loop: Header=BB156_161 Depth=1
	s_andn2_saveexec_b64 s[8:9], s[30:31]
; %bb.175:                              ;   in Loop: Header=BB156_161 Depth=1
	v_mul_f32_e64 v1, |v14|, s52
	v_rndne_f32_e32 v33, v1
	v_cvt_i32_f32_e32 v32, v33
	v_fma_f32 v1, v33, s53, |v14|
	v_fmac_f32_e32 v1, 0xb3a22168, v33
	v_fmac_f32_e32 v1, 0xa7c234c4, v33
; %bb.176:                              ;   in Loop: Header=BB156_161 Depth=1
	s_or_b64 exec, exec, s[8:9]
	v_mul_f32_e32 v33, v1, v1
	v_mov_b32_e32 v34, 0xbf039337
	v_fmac_f32_e32 v34, 0x3c971480, v33
	v_fma_f32 v34, v33, v34, v19
	v_rcp_f32_e32 v34, v34
	v_mov_b32_e32 v35, 0x3ec54587
	v_fmac_f32_e32 v35, 0xbc8cedd3, v33
	v_and_b32_e32 v32, 1, v32
	v_mul_f32_e32 v34, v35, v34
	v_mul_f32_e32 v33, v33, v34
	v_fma_f32 v34, v33, v1, v1
	v_rcp_f32_e32 v35, v34
	v_sub_f32_e32 v36, v34, v1
	v_fma_f32 v1, v33, v1, -v36
	v_cmp_eq_u32_e32 vcc, 0, v32
	v_fma_f32 v33, v34, -v35, 1.0
	v_fma_f32 v1, v1, -v35, v33
	v_add_f32_e64 v32, |v13|, s54
	v_fma_f32 v1, v1, -v35, -v35
	v_sub_f32_e64 v33, v32, |v13|
	v_cndmask_b32_e32 v1, v1, v34, vcc
	v_sub_f32_e32 v34, v33, v32
	v_add_f32_e64 v34, |v13|, v34
	v_add_f32_e32 v33, 0x3f317218, v33
	v_sub_f32_e32 v33, v34, v33
	v_add_f32_e32 v33, 0x3102e308, v33
	v_add_f32_e32 v34, v32, v33
	v_sub_f32_e32 v32, v32, v34
	v_add_f32_e32 v32, v33, v32
	v_mul_f32_e32 v33, 0x3fb8aa3b, v34
	v_rndne_f32_e32 v33, v33
	v_fmac_f32_e32 v34, 0xbf317200, v33
	v_add_f32_e32 v35, v32, v34
	v_sub_f32_e32 v34, v34, v35
	v_add_f32_e32 v32, v32, v34
	v_mul_f32_e32 v34, 0x35bfbc00, v33
	v_sub_f32_e32 v36, v35, v34
	v_sub_f32_e32 v35, v35, v36
	;; [unrolled: 1-line block ×3, first 2 shown]
	v_add_f32_e32 v32, v32, v34
	v_add_f32_e32 v34, v36, v32
	v_sub_f32_e32 v35, v36, v34
	v_add_f32_e32 v32, v32, v35
	v_mul_f32_e32 v35, 0x2ea39ef3, v33
	v_sub_f32_e32 v36, v34, v35
	v_sub_f32_e32 v34, v34, v36
	;; [unrolled: 1-line block ×3, first 2 shown]
	v_add_f32_e32 v32, v32, v34
	v_add_f32_e32 v34, v36, v32
	v_sub_f32_e32 v36, v36, v34
	v_mov_b32_e32 v35, 0x3c091de6
	v_add_f32_e32 v32, v32, v36
	v_mul_f32_e32 v37, v34, v34
	v_fmac_f32_e32 v35, 0x3ab42872, v34
	v_add_f32_e32 v36, v32, v32
	v_fma_f32 v38, v34, v34, -v37
	v_fma_f32 v35, v34, v35, v20
	v_fmac_f32_e32 v38, v34, v36
	v_fma_f32 v35, v34, v35, v21
	v_add_f32_e32 v36, v37, v38
	v_fma_f32 v35, v34, v35, v22
	v_sub_f32_e32 v37, v36, v37
	v_sub_f32_e32 v37, v38, v37
	v_mul_f32_e32 v38, v35, v36
	v_fma_f32 v36, v36, v35, -v38
	v_fmac_f32_e32 v36, v37, v35
	v_add_f32_e32 v35, v38, v36
	v_sub_f32_e32 v37, v35, v38
	v_sub_f32_e32 v36, v36, v37
	v_add_f32_e32 v37, v34, v35
	v_sub_f32_e32 v34, v37, v34
	v_sub_f32_e32 v34, v35, v34
	v_add_f32_e32 v32, v32, v36
	v_add_f32_e32 v32, v32, v34
	;; [unrolled: 1-line block ×3, first 2 shown]
	v_sub_f32_e32 v35, v34, v37
	v_sub_f32_e32 v32, v32, v35
	v_add_f32_e32 v35, 1.0, v34
	v_add_f32_e32 v36, -1.0, v35
	v_cvt_i32_f32_e32 v33, v33
	v_sub_f32_e32 v34, v34, v36
	v_add_f32_e32 v32, v32, v34
	v_add_f32_e32 v34, v35, v32
	v_ldexp_f32 v36, v34, v33
	v_rcp_f32_e32 v37, v36
	v_sub_f32_e32 v34, v34, v35
	v_sub_f32_e32 v32, v32, v34
	v_ldexp_f32 v32, v32, v33
	v_mul_f32_e32 v33, v36, v37
	v_fma_f32 v34, v37, v36, -v33
	v_fmac_f32_e32 v34, v37, v32
	v_add_f32_e32 v35, v33, v34
	v_sub_f32_e32 v38, 1.0, v35
	v_sub_f32_e32 v39, 1.0, v38
	v_sub_f32_e32 v33, v35, v33
	v_sub_f32_e32 v39, v39, v35
	;; [unrolled: 1-line block ×3, first 2 shown]
	v_add_f32_e32 v33, v33, v39
	v_add_f32_e32 v34, v38, v33
	v_mul_f32_e32 v35, v37, v34
	v_mul_f32_e32 v39, v36, v35
	v_fma_f32 v40, v35, v36, -v39
	v_fmac_f32_e32 v40, v35, v32
	v_sub_f32_e32 v38, v38, v34
	v_add_f32_e32 v33, v33, v38
	v_add_f32_e32 v38, v39, v40
	v_sub_f32_e32 v41, v34, v38
	v_sub_f32_e32 v34, v34, v41
	;; [unrolled: 1-line block ×4, first 2 shown]
	v_add_f32_e32 v33, v33, v34
	v_sub_f32_e32 v34, v39, v40
	v_add_f32_e32 v33, v34, v33
	v_add_f32_e32 v33, v41, v33
	;; [unrolled: 1-line block ×3, first 2 shown]
	v_mul_f32_e32 v33, v37, v33
	v_sub_f32_e32 v37, v34, v37
	v_sub_f32_e32 v35, v35, v37
	v_add_f32_e32 v33, v35, v33
	v_add_f32_e32 v35, v34, v33
	v_sub_f32_e32 v34, v35, v34
	v_sub_f32_e32 v33, v33, v34
	v_ldexp_f32 v34, v35, -2
	v_sub_f32_e32 v35, v36, v34
	v_sub_f32_e32 v36, v36, v35
	;; [unrolled: 1-line block ×3, first 2 shown]
	v_ldexp_f32 v33, v33, -2
	v_add_f32_e32 v32, v32, v34
	v_sub_f32_e32 v32, v32, v33
	v_add_f32_e32 v32, v35, v32
	v_cmp_ngt_f32_e64 vcc, |v13|, s55
	v_cndmask_b32_e32 v32, v29, v32, vcc
	v_cmp_lt_f32_e64 s[8:9], |v13|, s56
	v_cndmask_b32_e64 v32, v32, |v13|, s[8:9]
	v_bfi_b32 v13, s39, v32, v13
	v_fma_f32 v32, v13, v13, 1.0
	v_mul_f32_e32 v33, 0x4f800000, v32
	v_cmp_gt_f32_e32 vcc, s57, v32
	v_cndmask_b32_e32 v32, v32, v33, vcc
	v_sqrt_f32_e32 v33, v32
	v_xor_b32_e32 v1, v31, v1
	v_xor_b32_e32 v1, v1, v14
	v_fma_f32 v14, v1, v1, 1.0
	v_add_u32_e32 v31, -1, v33
	v_fma_f32 v34, -v31, v33, v32
	v_cmp_ge_f32_e64 s[8:9], 0, v34
	v_add_u32_e32 v34, 1, v33
	v_cndmask_b32_e64 v31, v33, v31, s[8:9]
	v_fma_f32 v33, -v34, v33, v32
	v_cmp_lt_f32_e64 s[8:9], 0, v33
	v_cndmask_b32_e64 v31, v31, v34, s[8:9]
	v_mul_f32_e32 v33, 0x37800000, v31
	v_cndmask_b32_e32 v31, v31, v33, vcc
	v_cmp_class_f32_e32 vcc, v32, v23
	v_cndmask_b32_e32 v31, v31, v32, vcc
	v_mul_f32_e32 v32, v13, v14
	v_mul_f32_e32 v14, v31, v14
	v_fma_f32 v32, v13, v32, 1.0
	v_mul_f32_e32 v13, v13, v14
	v_div_scale_f32 v14, s[8:9], v32, v32, v13
	v_div_scale_f32 v31, vcc, v13, v32, v13
	v_div_scale_f32 v33, s[8:9], v32, v32, v1
	v_div_scale_f32 v34, s[8:9], v1, v32, v1
	v_rcp_f32_e32 v35, v14
	v_fma_f32 v36, -v14, v35, 1.0
	v_fmac_f32_e32 v35, v36, v35
	v_mul_f32_e32 v36, v31, v35
	v_fma_f32 v37, -v14, v36, v31
	v_fmac_f32_e32 v36, v37, v35
	v_rcp_f32_e32 v37, v33
	v_fma_f32 v14, -v14, v36, v31
	v_div_fmas_f32 v14, v14, v35, v36
	s_mov_b64 vcc, s[8:9]
	v_fma_f32 v31, -v33, v37, 1.0
	v_fmac_f32_e32 v37, v31, v37
	v_mul_f32_e32 v31, v34, v37
	v_fma_f32 v35, -v33, v31, v34
	v_fmac_f32_e32 v31, v35, v37
	v_fma_f32 v33, -v33, v31, v34
	v_div_fmas_f32 v31, v33, v37, v31
	v_div_fixup_f32 v13, v14, v32, v13
	v_div_fixup_f32 v14, v31, v32, v1
                                        ; implicit-def: $vgpr31
.LBB156_177:                            ;   in Loop: Header=BB156_161 Depth=1
	s_andn2_saveexec_b64 s[28:29], s[28:29]
	s_cbranch_execz .LBB156_197
; %bb.178:                              ;   in Loop: Header=BB156_161 Depth=1
	v_cmp_nlt_f32_e64 s[30:31], |v14|, s43
                                        ; implicit-def: $vgpr32
                                        ; implicit-def: $vgpr33
	s_and_saveexec_b64 s[8:9], s[30:31]
	s_xor_b64 s[34:35], exec, s[8:9]
	s_cbranch_execz .LBB156_180
; %bb.179:                              ;   in Loop: Header=BB156_161 Depth=1
	v_and_b32_e32 v1, 0x7fffff, v31
	v_or_b32_e32 v39, 0x800000, v1
	v_mad_u64_u32 v[32:33], s[8:9], v39, s44, 0
	v_mov_b32_e32 v1, v33
	v_mad_u64_u32 v[33:34], s[8:9], v39, s45, v[1:2]
	v_mov_b32_e32 v1, v34
	;; [unrolled: 2-line block ×3, first 2 shown]
	v_mad_u64_u32 v[35:36], s[8:9], v39, s47, v[1:2]
	v_lshrrev_b32_e32 v1, 23, v31
	v_add_u32_e32 v38, 0xffffff88, v1
	v_mov_b32_e32 v1, v36
	v_mad_u64_u32 v[36:37], s[8:9], v39, s48, v[1:2]
	v_cmp_lt_u32_e32 vcc, 63, v38
	v_cndmask_b32_e32 v1, 0, v27, vcc
	v_add_u32_e32 v40, v1, v38
	v_mov_b32_e32 v1, v37
	v_mad_u64_u32 v[37:38], s[8:9], v39, s49, v[1:2]
	v_cmp_lt_u32_e64 s[8:9], 31, v40
	v_cndmask_b32_e64 v1, 0, v28, s[8:9]
	v_add_u32_e32 v40, v1, v40
	v_mov_b32_e32 v1, v38
	v_mad_u64_u32 v[38:39], s[10:11], v39, s50, v[1:2]
	v_cmp_lt_u32_e64 s[10:11], 31, v40
	v_cndmask_b32_e64 v1, 0, v28, s[10:11]
	v_add_u32_e32 v1, v1, v40
	v_cndmask_b32_e32 v40, v37, v35, vcc
	v_cndmask_b32_e32 v38, v38, v36, vcc
	v_cndmask_b32_e32 v37, v39, v37, vcc
	v_cndmask_b32_e32 v36, v36, v34, vcc
	v_cndmask_b32_e64 v39, v38, v40, s[8:9]
	v_cndmask_b32_e64 v37, v37, v38, s[8:9]
	;; [unrolled: 1-line block ×3, first 2 shown]
	v_cndmask_b32_e32 v33, v35, v33, vcc
	v_cndmask_b32_e64 v37, v37, v39, s[10:11]
	v_cndmask_b32_e64 v39, v39, v38, s[10:11]
	v_sub_u32_e32 v40, 32, v1
	v_cndmask_b32_e64 v35, v36, v33, s[8:9]
	v_alignbit_b32 v41, v37, v39, v40
	v_cmp_eq_u32_e64 s[12:13], 0, v1
	v_cndmask_b32_e64 v36, v38, v35, s[10:11]
	v_cndmask_b32_e64 v1, v41, v37, s[12:13]
	v_alignbit_b32 v37, v39, v36, v40
	v_cndmask_b32_e32 v32, v34, v32, vcc
	v_cndmask_b32_e64 v37, v37, v39, s[12:13]
	v_bfe_u32 v41, v1, 29, 1
	v_cndmask_b32_e64 v32, v33, v32, s[8:9]
	v_alignbit_b32 v38, v1, v37, 30
	v_sub_u32_e32 v42, 0, v41
	v_cndmask_b32_e64 v32, v35, v32, s[10:11]
	v_xor_b32_e32 v38, v38, v42
	v_alignbit_b32 v33, v36, v32, v40
	v_cndmask_b32_e64 v33, v33, v36, s[12:13]
	v_ffbh_u32_e32 v35, v38
	v_alignbit_b32 v34, v37, v33, 30
	v_min_u32_e32 v35, 32, v35
	v_alignbit_b32 v32, v33, v32, 30
	v_xor_b32_e32 v34, v34, v42
	v_sub_u32_e32 v36, 31, v35
	v_xor_b32_e32 v32, v32, v42
	v_alignbit_b32 v37, v38, v34, v36
	v_alignbit_b32 v32, v34, v32, v36
	v_alignbit_b32 v33, v37, v32, 9
	v_ffbh_u32_e32 v34, v33
	v_min_u32_e32 v34, 32, v34
	v_lshrrev_b32_e32 v39, 29, v1
	v_not_b32_e32 v36, v34
	v_alignbit_b32 v32, v33, v32, v36
	v_lshlrev_b32_e32 v33, 31, v39
	v_or_b32_e32 v36, 0x33000000, v33
	v_add_lshl_u32 v34, v34, v35, 23
	v_lshrrev_b32_e32 v32, 9, v32
	v_sub_u32_e32 v34, v36, v34
	v_or_b32_e32 v33, 0.5, v33
	v_lshlrev_b32_e32 v35, 23, v35
	v_or_b32_e32 v32, v34, v32
	v_lshrrev_b32_e32 v34, 9, v37
	v_sub_u32_e32 v33, v33, v35
	v_or_b32_e32 v33, v34, v33
	v_mul_f32_e32 v34, 0x3fc90fda, v33
	v_fma_f32 v35, v33, s51, -v34
	v_fmac_f32_e32 v35, 0x33a22168, v33
	v_fmac_f32_e32 v35, 0x3fc90fda, v32
	v_lshrrev_b32_e32 v1, 30, v1
	v_add_f32_e32 v33, v34, v35
	v_add_u32_e32 v32, v41, v1
	s_andn2_saveexec_b64 s[8:9], s[34:35]
	s_branch .LBB156_181
.LBB156_180:                            ;   in Loop: Header=BB156_161 Depth=1
	s_andn2_saveexec_b64 s[8:9], s[34:35]
.LBB156_181:                            ;   in Loop: Header=BB156_161 Depth=1
	v_mul_f32_e64 v1, |v14|, s52
	v_rndne_f32_e32 v1, v1
	v_cvt_i32_f32_e32 v32, v1
	v_fma_f32 v33, v1, s53, |v14|
	v_fmac_f32_e32 v33, 0xb3a22168, v1
	v_fmac_f32_e32 v33, 0xa7c234c4, v1
; %bb.182:                              ;   in Loop: Header=BB156_161 Depth=1
	s_or_b64 exec, exec, s[8:9]
                                        ; implicit-def: $vgpr1
                                        ; implicit-def: $vgpr34
	s_and_saveexec_b64 s[8:9], s[30:31]
	s_xor_b64 s[30:31], exec, s[8:9]
	s_cbranch_execz .LBB156_184
; %bb.183:                              ;   in Loop: Header=BB156_161 Depth=1
	v_and_b32_e32 v1, 0x7fffff, v31
	v_or_b32_e32 v41, 0x800000, v1
	v_mad_u64_u32 v[34:35], s[8:9], v41, s44, 0
	v_mov_b32_e32 v1, v35
	v_mad_u64_u32 v[35:36], s[8:9], v41, s45, v[1:2]
	v_mov_b32_e32 v1, v36
	;; [unrolled: 2-line block ×3, first 2 shown]
	v_mad_u64_u32 v[37:38], s[8:9], v41, s47, v[1:2]
	v_lshrrev_b32_e32 v1, 23, v31
	v_add_u32_e32 v40, 0xffffff88, v1
	v_mov_b32_e32 v1, v38
	v_mad_u64_u32 v[38:39], s[8:9], v41, s48, v[1:2]
	v_cmp_lt_u32_e32 vcc, 63, v40
	v_cndmask_b32_e32 v1, 0, v27, vcc
	v_add_u32_e32 v42, v1, v40
	v_mov_b32_e32 v1, v39
	v_mad_u64_u32 v[39:40], s[8:9], v41, s49, v[1:2]
	v_cmp_lt_u32_e64 s[8:9], 31, v42
	v_cndmask_b32_e64 v1, 0, v28, s[8:9]
	v_add_u32_e32 v42, v1, v42
	v_mov_b32_e32 v1, v40
	v_mad_u64_u32 v[40:41], s[10:11], v41, s50, v[1:2]
	v_cmp_lt_u32_e64 s[10:11], 31, v42
	v_cndmask_b32_e64 v1, 0, v28, s[10:11]
	v_add_u32_e32 v1, v1, v42
	v_cndmask_b32_e32 v42, v39, v37, vcc
	v_cndmask_b32_e32 v40, v40, v38, vcc
	;; [unrolled: 1-line block ×4, first 2 shown]
	v_cndmask_b32_e64 v41, v40, v42, s[8:9]
	v_cndmask_b32_e64 v39, v39, v40, s[8:9]
	;; [unrolled: 1-line block ×3, first 2 shown]
	v_cndmask_b32_e32 v35, v37, v35, vcc
	v_cndmask_b32_e64 v39, v39, v41, s[10:11]
	v_cndmask_b32_e64 v41, v41, v40, s[10:11]
	v_sub_u32_e32 v42, 32, v1
	v_cndmask_b32_e64 v37, v38, v35, s[8:9]
	v_alignbit_b32 v43, v39, v41, v42
	v_cmp_eq_u32_e64 s[12:13], 0, v1
	v_cndmask_b32_e64 v38, v40, v37, s[10:11]
	v_cndmask_b32_e64 v1, v43, v39, s[12:13]
	v_alignbit_b32 v39, v41, v38, v42
	v_cndmask_b32_e32 v34, v36, v34, vcc
	v_cndmask_b32_e64 v39, v39, v41, s[12:13]
	v_bfe_u32 v43, v1, 29, 1
	v_cndmask_b32_e64 v34, v35, v34, s[8:9]
	v_alignbit_b32 v40, v1, v39, 30
	v_sub_u32_e32 v44, 0, v43
	v_cndmask_b32_e64 v34, v37, v34, s[10:11]
	v_xor_b32_e32 v40, v40, v44
	v_alignbit_b32 v35, v38, v34, v42
	v_cndmask_b32_e64 v35, v35, v38, s[12:13]
	v_ffbh_u32_e32 v37, v40
	v_alignbit_b32 v36, v39, v35, 30
	v_min_u32_e32 v37, 32, v37
	v_alignbit_b32 v34, v35, v34, 30
	v_xor_b32_e32 v36, v36, v44
	v_sub_u32_e32 v38, 31, v37
	v_xor_b32_e32 v34, v34, v44
	v_alignbit_b32 v39, v40, v36, v38
	v_alignbit_b32 v34, v36, v34, v38
	;; [unrolled: 1-line block ×3, first 2 shown]
	v_ffbh_u32_e32 v36, v35
	v_min_u32_e32 v36, 32, v36
	v_lshrrev_b32_e32 v41, 29, v1
	v_not_b32_e32 v38, v36
	v_alignbit_b32 v34, v35, v34, v38
	v_lshlrev_b32_e32 v35, 31, v41
	v_or_b32_e32 v38, 0x33000000, v35
	v_add_lshl_u32 v36, v36, v37, 23
	v_lshrrev_b32_e32 v34, 9, v34
	v_sub_u32_e32 v36, v38, v36
	v_or_b32_e32 v35, 0.5, v35
	v_lshlrev_b32_e32 v37, 23, v37
	v_or_b32_e32 v34, v36, v34
	v_lshrrev_b32_e32 v36, 9, v39
	v_sub_u32_e32 v35, v35, v37
	v_or_b32_e32 v35, v36, v35
	v_mul_f32_e32 v36, 0x3fc90fda, v35
	v_fma_f32 v37, v35, s51, -v36
	v_fmac_f32_e32 v37, 0x33a22168, v35
	v_fmac_f32_e32 v37, 0x3fc90fda, v34
	v_lshrrev_b32_e32 v1, 30, v1
	v_add_f32_e32 v34, v36, v37
	v_add_u32_e32 v1, v43, v1
	s_andn2_saveexec_b64 s[8:9], s[30:31]
	s_cbranch_execnz .LBB156_185
	s_branch .LBB156_186
.LBB156_184:                            ;   in Loop: Header=BB156_161 Depth=1
	s_andn2_saveexec_b64 s[8:9], s[30:31]
.LBB156_185:                            ;   in Loop: Header=BB156_161 Depth=1
	v_mul_f32_e64 v1, |v14|, s52
	v_rndne_f32_e32 v35, v1
	v_cvt_i32_f32_e32 v1, v35
	v_fma_f32 v34, v35, s53, |v14|
	v_fmac_f32_e32 v34, 0xb3a22168, v35
	v_fmac_f32_e32 v34, 0xa7c234c4, v35
.LBB156_186:                            ;   in Loop: Header=BB156_161 Depth=1
	s_or_b64 exec, exec, s[8:9]
	v_mul_f32_e32 v35, v33, v33
	v_mov_b32_e32 v36, 0x3c0881c4
	v_fmac_f32_e32 v36, 0xb94c1982, v35
	v_fma_f32 v36, v35, v36, v24
	v_mul_f32_e32 v36, v35, v36
	v_fmac_f32_e32 v33, v33, v36
	v_mov_b32_e32 v36, 0xbab64f3b
	v_fmac_f32_e32 v36, 0x37d75334, v35
	v_fma_f32 v36, v35, v36, v25
	v_fma_f32 v36, v35, v36, v26
	v_fma_f32 v35, v35, v36, 1.0
	v_and_b32_e32 v36, 1, v32
	v_lshlrev_b32_e32 v32, 30, v32
	v_and_b32_e32 v32, 0x80000000, v32
	v_cmp_eq_u32_e32 vcc, 0, v36
	v_xor_b32_e32 v31, v31, v32
	v_mul_f32_e64 v32, |v13|, s58
	v_cndmask_b32_e32 v33, v35, v33, vcc
	v_rndne_f32_e32 v35, v32
	v_sub_f32_e32 v36, v32, v35
	v_fma_f32 v32, |v13|, s58, -v32
	v_fma_f32 v32, |v13|, s59, v32
	v_add_f32_e32 v32, v36, v32
	v_exp_f32_e32 v32, v32
	v_cvt_i32_f32_e32 v35, v35
	v_xor_b32_e32 v31, v31, v33
	v_xor_b32_e32 v14, v31, v14
	v_mov_b32_e32 v33, 0x3c0881c4
	v_ldexp_f32 v31, v32, v35
	v_mul_f32_e32 v32, v34, v34
	v_fmac_f32_e32 v33, 0xb94c1982, v32
	v_fma_f32 v33, v32, v33, v24
	v_mul_f32_e32 v33, v32, v33
	v_fmac_f32_e32 v34, v34, v33
	v_mov_b32_e32 v33, 0xbab64f3b
	v_fmac_f32_e32 v33, 0x37d75334, v32
	v_fma_f32 v33, v32, v33, v25
	v_cmp_ngt_f32_e64 vcc, |v13|, s60
	v_fma_f32 v33, v32, v33, v26
	v_cndmask_b32_e32 v31, 0, v31, vcc
	v_cmp_nlt_f32_e64 vcc, |v13|, s61
	v_fma_f32 v32, v32, v33, 1.0
	v_and_b32_e32 v33, 1, v1
	v_cndmask_b32_e32 v31, v29, v31, vcc
	v_cmp_eq_u32_e32 vcc, 0, v33
	v_lshlrev_b32_e32 v1, 30, v1
	v_cndmask_b32_e64 v32, -v34, v32, vcc
	v_and_b32_e32 v1, 0x80000000, v1
	v_mul_f32_e32 v14, 4.0, v14
	v_xor_b32_e32 v1, v1, v32
	v_mul_f32_e32 v1, v14, v1
	v_mul_f32_e32 v1, v31, v1
	v_bfi_b32 v13, s39, 1.0, v13
	v_mul_f32_e32 v14, v31, v1
	s_or_b64 exec, exec, s[28:29]
.LBB156_187:                            ;   in Loop: Header=BB156_161 Depth=1
	s_andn2_saveexec_b64 s[8:9], s[26:27]
.LBB156_188:                            ;   in Loop: Header=BB156_161 Depth=1
	v_sub_f32_e32 v14, v14, v14
	v_mov_b32_e32 v13, v14
.LBB156_189:                            ;   in Loop: Header=BB156_161 Depth=1
	s_or_b64 exec, exec, s[8:9]
.LBB156_190:                            ;   in Loop: Header=BB156_161 Depth=1
	s_andn2_saveexec_b64 s[24:25], s[24:25]
	s_cbranch_execz .LBB156_207
; %bb.191:                              ;   in Loop: Header=BB156_161 Depth=1
	v_and_b32_e32 v1, 0x7fffff, v13
	v_cmp_ne_u32_e32 vcc, 0, v1
	s_and_saveexec_b64 s[8:9], vcc
	s_xor_b64 s[8:9], exec, s[8:9]
; %bb.192:                              ;   in Loop: Header=BB156_161 Depth=1
	v_mul_f32_e32 v1, v14, v13
	v_cmp_eq_f32_e32 vcc, 0, v14
	v_cndmask_b32_e32 v14, v1, v14, vcc
; %bb.193:                              ;   in Loop: Header=BB156_161 Depth=1
	s_andn2_saveexec_b64 s[26:27], s[8:9]
	s_cbranch_execz .LBB156_206
; %bb.194:                              ;   in Loop: Header=BB156_161 Depth=1
	v_cmp_neq_f32_e64 s[8:9], |v14|, s40
	s_and_saveexec_b64 s[28:29], s[8:9]
	s_cbranch_execz .LBB156_205
; %bb.195:                              ;   in Loop: Header=BB156_161 Depth=1
	v_and_b32_e32 v31, 0x7fffffff, v14
	v_cmp_nlt_f32_e64 s[30:31], |v14|, s43
                                        ; implicit-def: $vgpr32
                                        ; implicit-def: $vgpr33
	s_and_saveexec_b64 s[8:9], s[30:31]
	s_xor_b64 s[34:35], exec, s[8:9]
	s_cbranch_execz .LBB156_198
; %bb.196:                              ;   in Loop: Header=BB156_161 Depth=1
	v_and_b32_e32 v1, 0x7fffff, v31
	v_or_b32_e32 v39, 0x800000, v1
	v_mad_u64_u32 v[32:33], s[8:9], v39, s44, 0
	v_mov_b32_e32 v1, v33
	v_mad_u64_u32 v[33:34], s[8:9], v39, s45, v[1:2]
	v_mov_b32_e32 v1, v34
	;; [unrolled: 2-line block ×3, first 2 shown]
	v_mad_u64_u32 v[35:36], s[8:9], v39, s47, v[1:2]
	v_lshrrev_b32_e32 v1, 23, v31
	v_add_u32_e32 v38, 0xffffff88, v1
	v_mov_b32_e32 v1, v36
	v_mad_u64_u32 v[36:37], s[8:9], v39, s48, v[1:2]
	v_cmp_lt_u32_e32 vcc, 63, v38
	v_cndmask_b32_e32 v1, 0, v27, vcc
	v_add_u32_e32 v40, v1, v38
	v_mov_b32_e32 v1, v37
	v_mad_u64_u32 v[37:38], s[8:9], v39, s49, v[1:2]
	v_cmp_lt_u32_e64 s[8:9], 31, v40
	v_cndmask_b32_e64 v1, 0, v28, s[8:9]
	v_add_u32_e32 v40, v1, v40
	v_mov_b32_e32 v1, v38
	v_mad_u64_u32 v[38:39], s[10:11], v39, s50, v[1:2]
	v_cmp_lt_u32_e64 s[10:11], 31, v40
	v_cndmask_b32_e64 v1, 0, v28, s[10:11]
	v_add_u32_e32 v1, v1, v40
	v_cndmask_b32_e32 v40, v37, v35, vcc
	v_cndmask_b32_e32 v38, v38, v36, vcc
	;; [unrolled: 1-line block ×4, first 2 shown]
	v_cndmask_b32_e64 v39, v38, v40, s[8:9]
	v_cndmask_b32_e64 v37, v37, v38, s[8:9]
	;; [unrolled: 1-line block ×3, first 2 shown]
	v_cndmask_b32_e32 v33, v35, v33, vcc
	v_cndmask_b32_e64 v37, v37, v39, s[10:11]
	v_cndmask_b32_e64 v39, v39, v38, s[10:11]
	v_sub_u32_e32 v40, 32, v1
	v_cndmask_b32_e64 v35, v36, v33, s[8:9]
	v_alignbit_b32 v41, v37, v39, v40
	v_cmp_eq_u32_e64 s[12:13], 0, v1
	v_cndmask_b32_e64 v36, v38, v35, s[10:11]
	v_cndmask_b32_e64 v1, v41, v37, s[12:13]
	v_alignbit_b32 v37, v39, v36, v40
	v_cndmask_b32_e32 v32, v34, v32, vcc
	v_cndmask_b32_e64 v37, v37, v39, s[12:13]
	v_bfe_u32 v41, v1, 29, 1
	v_cndmask_b32_e64 v32, v33, v32, s[8:9]
	v_alignbit_b32 v38, v1, v37, 30
	v_sub_u32_e32 v42, 0, v41
	v_cndmask_b32_e64 v32, v35, v32, s[10:11]
	v_xor_b32_e32 v38, v38, v42
	v_alignbit_b32 v33, v36, v32, v40
	v_cndmask_b32_e64 v33, v33, v36, s[12:13]
	v_ffbh_u32_e32 v35, v38
	v_alignbit_b32 v34, v37, v33, 30
	v_min_u32_e32 v35, 32, v35
	v_alignbit_b32 v32, v33, v32, 30
	v_xor_b32_e32 v34, v34, v42
	v_sub_u32_e32 v36, 31, v35
	v_xor_b32_e32 v32, v32, v42
	v_alignbit_b32 v37, v38, v34, v36
	v_alignbit_b32 v32, v34, v32, v36
	;; [unrolled: 1-line block ×3, first 2 shown]
	v_ffbh_u32_e32 v34, v33
	v_min_u32_e32 v34, 32, v34
	v_lshrrev_b32_e32 v39, 29, v1
	v_not_b32_e32 v36, v34
	v_alignbit_b32 v32, v33, v32, v36
	v_lshlrev_b32_e32 v33, 31, v39
	v_or_b32_e32 v36, 0x33000000, v33
	v_add_lshl_u32 v34, v34, v35, 23
	v_lshrrev_b32_e32 v32, 9, v32
	v_sub_u32_e32 v34, v36, v34
	v_or_b32_e32 v33, 0.5, v33
	v_lshlrev_b32_e32 v35, 23, v35
	v_or_b32_e32 v32, v34, v32
	v_lshrrev_b32_e32 v34, 9, v37
	v_sub_u32_e32 v33, v33, v35
	v_or_b32_e32 v33, v34, v33
	v_mul_f32_e32 v34, 0x3fc90fda, v33
	v_fma_f32 v35, v33, s51, -v34
	v_fmac_f32_e32 v35, 0x33a22168, v33
	v_fmac_f32_e32 v35, 0x3fc90fda, v32
	v_lshrrev_b32_e32 v1, 30, v1
	v_add_f32_e32 v33, v34, v35
	v_add_u32_e32 v32, v41, v1
	s_andn2_saveexec_b64 s[8:9], s[34:35]
	s_branch .LBB156_199
.LBB156_197:                            ;   in Loop: Header=BB156_161 Depth=1
	s_or_b64 exec, exec, s[28:29]
	s_andn2_saveexec_b64 s[8:9], s[26:27]
	s_cbranch_execnz .LBB156_188
	s_branch .LBB156_189
.LBB156_198:                            ;   in Loop: Header=BB156_161 Depth=1
	s_andn2_saveexec_b64 s[8:9], s[34:35]
.LBB156_199:                            ;   in Loop: Header=BB156_161 Depth=1
	v_mul_f32_e64 v1, |v14|, s52
	v_rndne_f32_e32 v1, v1
	v_cvt_i32_f32_e32 v32, v1
	v_fma_f32 v33, v1, s53, |v14|
	v_fmac_f32_e32 v33, 0xb3a22168, v1
	v_fmac_f32_e32 v33, 0xa7c234c4, v1
; %bb.200:                              ;   in Loop: Header=BB156_161 Depth=1
	s_or_b64 exec, exec, s[8:9]
                                        ; implicit-def: $vgpr1
                                        ; implicit-def: $vgpr34
	s_and_saveexec_b64 s[8:9], s[30:31]
	s_xor_b64 s[30:31], exec, s[8:9]
	s_cbranch_execz .LBB156_202
; %bb.201:                              ;   in Loop: Header=BB156_161 Depth=1
	v_and_b32_e32 v1, 0x7fffff, v31
	v_or_b32_e32 v41, 0x800000, v1
	v_mad_u64_u32 v[34:35], s[8:9], v41, s44, 0
	v_mov_b32_e32 v1, v35
	v_mad_u64_u32 v[35:36], s[8:9], v41, s45, v[1:2]
	v_mov_b32_e32 v1, v36
	;; [unrolled: 2-line block ×3, first 2 shown]
	v_mad_u64_u32 v[37:38], s[8:9], v41, s47, v[1:2]
	v_lshrrev_b32_e32 v1, 23, v31
	v_add_u32_e32 v40, 0xffffff88, v1
	v_mov_b32_e32 v1, v38
	v_mad_u64_u32 v[38:39], s[8:9], v41, s48, v[1:2]
	v_cmp_lt_u32_e32 vcc, 63, v40
	v_cndmask_b32_e32 v1, 0, v27, vcc
	v_add_u32_e32 v42, v1, v40
	v_mov_b32_e32 v1, v39
	v_mad_u64_u32 v[39:40], s[8:9], v41, s49, v[1:2]
	v_cmp_lt_u32_e64 s[8:9], 31, v42
	v_cndmask_b32_e64 v1, 0, v28, s[8:9]
	v_add_u32_e32 v42, v1, v42
	v_mov_b32_e32 v1, v40
	v_mad_u64_u32 v[40:41], s[10:11], v41, s50, v[1:2]
	v_cmp_lt_u32_e64 s[10:11], 31, v42
	v_cndmask_b32_e64 v1, 0, v28, s[10:11]
	v_add_u32_e32 v1, v1, v42
	v_cndmask_b32_e32 v42, v39, v37, vcc
	v_cndmask_b32_e32 v40, v40, v38, vcc
	;; [unrolled: 1-line block ×4, first 2 shown]
	v_cndmask_b32_e64 v41, v40, v42, s[8:9]
	v_cndmask_b32_e64 v39, v39, v40, s[8:9]
	;; [unrolled: 1-line block ×3, first 2 shown]
	v_cndmask_b32_e32 v35, v37, v35, vcc
	v_cndmask_b32_e64 v39, v39, v41, s[10:11]
	v_cndmask_b32_e64 v41, v41, v40, s[10:11]
	v_sub_u32_e32 v42, 32, v1
	v_cndmask_b32_e64 v37, v38, v35, s[8:9]
	v_alignbit_b32 v43, v39, v41, v42
	v_cmp_eq_u32_e64 s[12:13], 0, v1
	v_cndmask_b32_e64 v38, v40, v37, s[10:11]
	v_cndmask_b32_e64 v1, v43, v39, s[12:13]
	v_alignbit_b32 v39, v41, v38, v42
	v_cndmask_b32_e32 v34, v36, v34, vcc
	v_cndmask_b32_e64 v39, v39, v41, s[12:13]
	v_bfe_u32 v43, v1, 29, 1
	v_cndmask_b32_e64 v34, v35, v34, s[8:9]
	v_alignbit_b32 v40, v1, v39, 30
	v_sub_u32_e32 v44, 0, v43
	v_cndmask_b32_e64 v34, v37, v34, s[10:11]
	v_xor_b32_e32 v40, v40, v44
	v_alignbit_b32 v35, v38, v34, v42
	v_cndmask_b32_e64 v35, v35, v38, s[12:13]
	v_ffbh_u32_e32 v37, v40
	v_alignbit_b32 v36, v39, v35, 30
	v_min_u32_e32 v37, 32, v37
	v_alignbit_b32 v34, v35, v34, 30
	v_xor_b32_e32 v36, v36, v44
	v_sub_u32_e32 v38, 31, v37
	v_xor_b32_e32 v34, v34, v44
	v_alignbit_b32 v39, v40, v36, v38
	v_alignbit_b32 v34, v36, v34, v38
	;; [unrolled: 1-line block ×3, first 2 shown]
	v_ffbh_u32_e32 v36, v35
	v_min_u32_e32 v36, 32, v36
	v_lshrrev_b32_e32 v41, 29, v1
	v_not_b32_e32 v38, v36
	v_alignbit_b32 v34, v35, v34, v38
	v_lshlrev_b32_e32 v35, 31, v41
	v_or_b32_e32 v38, 0x33000000, v35
	v_add_lshl_u32 v36, v36, v37, 23
	v_lshrrev_b32_e32 v34, 9, v34
	v_sub_u32_e32 v36, v38, v36
	v_or_b32_e32 v35, 0.5, v35
	v_lshlrev_b32_e32 v37, 23, v37
	v_or_b32_e32 v34, v36, v34
	v_lshrrev_b32_e32 v36, 9, v39
	v_sub_u32_e32 v35, v35, v37
	v_or_b32_e32 v35, v36, v35
	v_mul_f32_e32 v36, 0x3fc90fda, v35
	v_fma_f32 v37, v35, s51, -v36
	v_fmac_f32_e32 v37, 0x33a22168, v35
	v_fmac_f32_e32 v37, 0x3fc90fda, v34
	v_lshrrev_b32_e32 v1, 30, v1
	v_add_f32_e32 v34, v36, v37
	v_add_u32_e32 v1, v43, v1
	s_andn2_saveexec_b64 s[8:9], s[30:31]
	s_cbranch_execnz .LBB156_203
	s_branch .LBB156_204
.LBB156_202:                            ;   in Loop: Header=BB156_161 Depth=1
	s_andn2_saveexec_b64 s[8:9], s[30:31]
.LBB156_203:                            ;   in Loop: Header=BB156_161 Depth=1
	v_mul_f32_e64 v1, |v14|, s52
	v_rndne_f32_e32 v35, v1
	v_cvt_i32_f32_e32 v1, v35
	v_fma_f32 v34, v35, s53, |v14|
	v_fmac_f32_e32 v34, 0xb3a22168, v35
	v_fmac_f32_e32 v34, 0xa7c234c4, v35
.LBB156_204:                            ;   in Loop: Header=BB156_161 Depth=1
	s_or_b64 exec, exec, s[8:9]
	v_mul_f32_e32 v35, v33, v33
	v_mov_b32_e32 v36, 0x3c0881c4
	v_fmac_f32_e32 v36, 0xb94c1982, v35
	v_fma_f32 v36, v35, v36, v24
	v_mul_f32_e32 v36, v35, v36
	v_fmac_f32_e32 v33, v33, v36
	v_mov_b32_e32 v36, 0xbab64f3b
	v_fmac_f32_e32 v36, 0x37d75334, v35
	v_fma_f32 v36, v35, v36, v25
	v_fma_f32 v36, v35, v36, v26
	v_fma_f32 v35, v35, v36, 1.0
	v_and_b32_e32 v36, 1, v32
	v_lshlrev_b32_e32 v32, 30, v32
	v_cmp_eq_u32_e32 vcc, 0, v36
	v_and_b32_e32 v32, 0x80000000, v32
	v_cndmask_b32_e32 v33, v35, v33, vcc
	v_xor_b32_e32 v31, v31, v32
	v_xor_b32_e32 v31, v31, v33
	v_mul_f32_e32 v32, v34, v34
	v_mov_b32_e32 v33, 0x3c0881c4
	v_fmac_f32_e32 v33, 0xb94c1982, v32
	v_fma_f32 v33, v32, v33, v24
	v_mul_f32_e32 v33, v32, v33
	v_fmac_f32_e32 v34, v34, v33
	v_mov_b32_e32 v33, 0xbab64f3b
	v_fmac_f32_e32 v33, 0x37d75334, v32
	v_fma_f32 v33, v32, v33, v25
	v_fma_f32 v33, v32, v33, v26
	v_fma_f32 v32, v32, v33, 1.0
	v_and_b32_e32 v33, 1, v1
	v_cmp_eq_u32_e32 vcc, 0, v33
	v_lshlrev_b32_e32 v1, 30, v1
	v_cndmask_b32_e64 v32, -v34, v32, vcc
	v_and_b32_e32 v1, 0x80000000, v1
	v_xor_b32_e32 v31, v31, v14
	v_xor_b32_e32 v1, v1, v32
	v_mul_f32_e32 v1, v31, v1
	v_cmp_class_f32_e64 vcc, v14, s41
	v_cndmask_b32_e32 v14, v30, v1, vcc
.LBB156_205:                            ;   in Loop: Header=BB156_161 Depth=1
	s_or_b64 exec, exec, s[28:29]
	v_add_u32_e32 v13, -2.0, v13
	v_bfi_b32 v14, s39, 0, v14
.LBB156_206:                            ;   in Loop: Header=BB156_161 Depth=1
	s_or_b64 exec, exec, s[26:27]
.LBB156_207:                            ;   in Loop: Header=BB156_161 Depth=1
	s_or_b64 exec, exec, s[24:25]
	v_and_b32_e32 v1, 0x7fffffff, v15
	v_cmp_gt_u32_e32 vcc, s40, v1
	s_and_saveexec_b64 s[8:9], vcc
	s_xor_b64 s[24:25], exec, s[8:9]
	s_cbranch_execz .LBB156_229
; %bb.208:                              ;   in Loop: Header=BB156_161 Depth=1
	v_cmp_class_f32_e64 s[8:9], v16, s41
	s_and_saveexec_b64 s[10:11], s[8:9]
	s_xor_b64 s[26:27], exec, s[10:11]
	s_cbranch_execz .LBB156_226
; %bb.209:                              ;   in Loop: Header=BB156_161 Depth=1
	v_and_b32_e32 v31, 0x7fffffff, v16
	v_cmp_gt_u32_e32 vcc, s42, v1
	s_and_saveexec_b64 s[8:9], vcc
	s_xor_b64 s[28:29], exec, s[8:9]
	s_cbranch_execz .LBB156_215
; %bb.210:                              ;   in Loop: Header=BB156_161 Depth=1
	v_cmp_nlt_f32_e64 s[8:9], |v16|, s43
                                        ; implicit-def: $vgpr32
                                        ; implicit-def: $vgpr1
	s_and_saveexec_b64 s[10:11], s[8:9]
	s_xor_b64 s[30:31], exec, s[10:11]
	s_cbranch_execz .LBB156_212
; %bb.211:                              ;   in Loop: Header=BB156_161 Depth=1
	v_and_b32_e32 v1, 0x7fffff, v31
	v_or_b32_e32 v39, 0x800000, v1
	v_mad_u64_u32 v[32:33], s[8:9], v39, s44, 0
	v_mov_b32_e32 v1, v33
	v_mad_u64_u32 v[33:34], s[8:9], v39, s45, v[1:2]
	v_mov_b32_e32 v1, v34
	;; [unrolled: 2-line block ×3, first 2 shown]
	v_mad_u64_u32 v[35:36], s[8:9], v39, s47, v[1:2]
	v_lshrrev_b32_e32 v1, 23, v31
	v_add_u32_e32 v38, 0xffffff88, v1
	v_mov_b32_e32 v1, v36
	v_mad_u64_u32 v[36:37], s[8:9], v39, s48, v[1:2]
	v_cmp_lt_u32_e32 vcc, 63, v38
	v_cndmask_b32_e32 v1, 0, v27, vcc
	v_add_u32_e32 v40, v1, v38
	v_mov_b32_e32 v1, v37
	v_mad_u64_u32 v[37:38], s[8:9], v39, s49, v[1:2]
	v_cmp_lt_u32_e64 s[8:9], 31, v40
	v_cndmask_b32_e64 v1, 0, v28, s[8:9]
	v_add_u32_e32 v40, v1, v40
	v_mov_b32_e32 v1, v38
	v_mad_u64_u32 v[38:39], s[10:11], v39, s50, v[1:2]
	v_cmp_lt_u32_e64 s[10:11], 31, v40
	v_cndmask_b32_e64 v1, 0, v28, s[10:11]
	v_add_u32_e32 v1, v1, v40
	v_cndmask_b32_e32 v40, v37, v35, vcc
	v_cndmask_b32_e32 v38, v38, v36, vcc
	;; [unrolled: 1-line block ×4, first 2 shown]
	v_cndmask_b32_e64 v39, v38, v40, s[8:9]
	v_cndmask_b32_e64 v37, v37, v38, s[8:9]
	;; [unrolled: 1-line block ×3, first 2 shown]
	v_sub_u32_e32 v40, 32, v1
	v_cmp_eq_u32_e64 s[12:13], 0, v1
	v_cndmask_b32_e32 v1, v35, v33, vcc
	v_cndmask_b32_e64 v37, v37, v39, s[10:11]
	v_cndmask_b32_e64 v39, v39, v38, s[10:11]
	;; [unrolled: 1-line block ×3, first 2 shown]
	v_alignbit_b32 v41, v37, v39, v40
	v_cndmask_b32_e64 v35, v38, v33, s[10:11]
	v_cndmask_b32_e64 v37, v41, v37, s[12:13]
	v_alignbit_b32 v36, v39, v35, v40
	v_cndmask_b32_e32 v32, v34, v32, vcc
	v_cndmask_b32_e64 v36, v36, v39, s[12:13]
	v_bfe_u32 v41, v37, 29, 1
	v_cndmask_b32_e64 v1, v1, v32, s[8:9]
	v_alignbit_b32 v38, v37, v36, 30
	v_sub_u32_e32 v42, 0, v41
	v_cndmask_b32_e64 v1, v33, v1, s[10:11]
	v_xor_b32_e32 v38, v38, v42
	v_alignbit_b32 v32, v35, v1, v40
	v_cndmask_b32_e64 v32, v32, v35, s[12:13]
	v_ffbh_u32_e32 v34, v38
	v_alignbit_b32 v33, v36, v32, 30
	v_min_u32_e32 v34, 32, v34
	v_alignbit_b32 v1, v32, v1, 30
	v_xor_b32_e32 v33, v33, v42
	v_sub_u32_e32 v35, 31, v34
	v_xor_b32_e32 v1, v1, v42
	v_alignbit_b32 v36, v38, v33, v35
	v_alignbit_b32 v1, v33, v1, v35
	;; [unrolled: 1-line block ×3, first 2 shown]
	v_ffbh_u32_e32 v33, v32
	v_min_u32_e32 v33, 32, v33
	v_lshrrev_b32_e32 v39, 29, v37
	v_not_b32_e32 v35, v33
	v_alignbit_b32 v1, v32, v1, v35
	v_lshlrev_b32_e32 v32, 31, v39
	v_or_b32_e32 v35, 0x33000000, v32
	v_add_lshl_u32 v33, v33, v34, 23
	v_lshrrev_b32_e32 v1, 9, v1
	v_sub_u32_e32 v33, v35, v33
	v_or_b32_e32 v32, 0.5, v32
	v_lshlrev_b32_e32 v34, 23, v34
	v_or_b32_e32 v1, v33, v1
	v_lshrrev_b32_e32 v33, 9, v36
	v_sub_u32_e32 v32, v32, v34
	v_or_b32_e32 v32, v33, v32
	v_mul_f32_e32 v33, 0x3fc90fda, v32
	v_fma_f32 v34, v32, s51, -v33
	v_fmac_f32_e32 v34, 0x33a22168, v32
	v_fmac_f32_e32 v34, 0x3fc90fda, v1
	v_lshrrev_b32_e32 v32, 30, v37
	v_add_f32_e32 v1, v33, v34
	v_add_u32_e32 v32, v41, v32
.LBB156_212:                            ;   in Loop: Header=BB156_161 Depth=1
	s_andn2_saveexec_b64 s[8:9], s[30:31]
; %bb.213:                              ;   in Loop: Header=BB156_161 Depth=1
	v_mul_f32_e64 v1, |v16|, s52
	v_rndne_f32_e32 v33, v1
	v_cvt_i32_f32_e32 v32, v33
	v_fma_f32 v1, v33, s53, |v16|
	v_fmac_f32_e32 v1, 0xb3a22168, v33
	v_fmac_f32_e32 v1, 0xa7c234c4, v33
; %bb.214:                              ;   in Loop: Header=BB156_161 Depth=1
	s_or_b64 exec, exec, s[8:9]
	v_mul_f32_e32 v33, v1, v1
	v_mov_b32_e32 v34, 0xbf039337
	v_fmac_f32_e32 v34, 0x3c971480, v33
	v_fma_f32 v34, v33, v34, v19
	v_rcp_f32_e32 v34, v34
	v_mov_b32_e32 v35, 0x3ec54587
	v_fmac_f32_e32 v35, 0xbc8cedd3, v33
	v_and_b32_e32 v32, 1, v32
	v_mul_f32_e32 v34, v35, v34
	v_mul_f32_e32 v33, v33, v34
	v_fma_f32 v34, v33, v1, v1
	v_rcp_f32_e32 v35, v34
	v_sub_f32_e32 v36, v34, v1
	v_fma_f32 v1, v33, v1, -v36
	v_cmp_eq_u32_e32 vcc, 0, v32
	v_fma_f32 v33, v34, -v35, 1.0
	v_fma_f32 v1, v1, -v35, v33
	v_add_f32_e64 v32, |v15|, s54
	v_fma_f32 v1, v1, -v35, -v35
	v_sub_f32_e64 v33, v32, |v15|
	v_cndmask_b32_e32 v1, v1, v34, vcc
	v_sub_f32_e32 v34, v33, v32
	v_add_f32_e64 v34, |v15|, v34
	v_add_f32_e32 v33, 0x3f317218, v33
	v_sub_f32_e32 v33, v34, v33
	v_add_f32_e32 v33, 0x3102e308, v33
	v_add_f32_e32 v34, v32, v33
	v_sub_f32_e32 v32, v32, v34
	v_add_f32_e32 v32, v33, v32
	v_mul_f32_e32 v33, 0x3fb8aa3b, v34
	v_rndne_f32_e32 v33, v33
	v_fmac_f32_e32 v34, 0xbf317200, v33
	v_add_f32_e32 v35, v32, v34
	v_sub_f32_e32 v34, v34, v35
	v_add_f32_e32 v32, v32, v34
	v_mul_f32_e32 v34, 0x35bfbc00, v33
	v_sub_f32_e32 v36, v35, v34
	v_sub_f32_e32 v35, v35, v36
	;; [unrolled: 1-line block ×3, first 2 shown]
	v_add_f32_e32 v32, v32, v34
	v_add_f32_e32 v34, v36, v32
	v_sub_f32_e32 v35, v36, v34
	v_add_f32_e32 v32, v32, v35
	v_mul_f32_e32 v35, 0x2ea39ef3, v33
	v_sub_f32_e32 v36, v34, v35
	v_sub_f32_e32 v34, v34, v36
	;; [unrolled: 1-line block ×3, first 2 shown]
	v_add_f32_e32 v32, v32, v34
	v_add_f32_e32 v34, v36, v32
	v_sub_f32_e32 v36, v36, v34
	v_mov_b32_e32 v35, 0x3c091de6
	v_add_f32_e32 v32, v32, v36
	v_mul_f32_e32 v37, v34, v34
	v_fmac_f32_e32 v35, 0x3ab42872, v34
	v_add_f32_e32 v36, v32, v32
	v_fma_f32 v38, v34, v34, -v37
	v_fma_f32 v35, v34, v35, v20
	v_fmac_f32_e32 v38, v34, v36
	v_fma_f32 v35, v34, v35, v21
	v_add_f32_e32 v36, v37, v38
	v_fma_f32 v35, v34, v35, v22
	v_sub_f32_e32 v37, v36, v37
	v_sub_f32_e32 v37, v38, v37
	v_mul_f32_e32 v38, v35, v36
	v_fma_f32 v36, v36, v35, -v38
	v_fmac_f32_e32 v36, v37, v35
	v_add_f32_e32 v35, v38, v36
	v_sub_f32_e32 v37, v35, v38
	v_sub_f32_e32 v36, v36, v37
	v_add_f32_e32 v37, v34, v35
	v_sub_f32_e32 v34, v37, v34
	v_sub_f32_e32 v34, v35, v34
	v_add_f32_e32 v32, v32, v36
	v_add_f32_e32 v32, v32, v34
	;; [unrolled: 1-line block ×3, first 2 shown]
	v_sub_f32_e32 v35, v34, v37
	v_sub_f32_e32 v32, v32, v35
	v_add_f32_e32 v35, 1.0, v34
	v_add_f32_e32 v36, -1.0, v35
	v_cvt_i32_f32_e32 v33, v33
	v_sub_f32_e32 v34, v34, v36
	v_add_f32_e32 v32, v32, v34
	v_add_f32_e32 v34, v35, v32
	v_ldexp_f32 v36, v34, v33
	v_rcp_f32_e32 v37, v36
	v_sub_f32_e32 v34, v34, v35
	v_sub_f32_e32 v32, v32, v34
	v_ldexp_f32 v32, v32, v33
	v_mul_f32_e32 v33, v36, v37
	v_fma_f32 v34, v37, v36, -v33
	v_fmac_f32_e32 v34, v37, v32
	v_add_f32_e32 v35, v33, v34
	v_sub_f32_e32 v38, 1.0, v35
	v_sub_f32_e32 v39, 1.0, v38
	v_sub_f32_e32 v33, v35, v33
	v_sub_f32_e32 v39, v39, v35
	;; [unrolled: 1-line block ×3, first 2 shown]
	v_add_f32_e32 v33, v33, v39
	v_add_f32_e32 v34, v38, v33
	v_mul_f32_e32 v35, v37, v34
	v_mul_f32_e32 v39, v36, v35
	v_fma_f32 v40, v35, v36, -v39
	v_fmac_f32_e32 v40, v35, v32
	v_sub_f32_e32 v38, v38, v34
	v_add_f32_e32 v33, v33, v38
	v_add_f32_e32 v38, v39, v40
	v_sub_f32_e32 v41, v34, v38
	v_sub_f32_e32 v34, v34, v41
	;; [unrolled: 1-line block ×4, first 2 shown]
	v_add_f32_e32 v33, v33, v34
	v_sub_f32_e32 v34, v39, v40
	v_add_f32_e32 v33, v34, v33
	v_add_f32_e32 v33, v41, v33
	;; [unrolled: 1-line block ×3, first 2 shown]
	v_mul_f32_e32 v33, v37, v33
	v_sub_f32_e32 v37, v34, v37
	v_sub_f32_e32 v35, v35, v37
	v_add_f32_e32 v33, v35, v33
	v_add_f32_e32 v35, v34, v33
	v_sub_f32_e32 v34, v35, v34
	v_sub_f32_e32 v33, v33, v34
	v_ldexp_f32 v34, v35, -2
	v_sub_f32_e32 v35, v36, v34
	v_sub_f32_e32 v36, v36, v35
	;; [unrolled: 1-line block ×3, first 2 shown]
	v_ldexp_f32 v33, v33, -2
	v_add_f32_e32 v32, v32, v34
	v_sub_f32_e32 v32, v32, v33
	v_add_f32_e32 v32, v35, v32
	v_cmp_ngt_f32_e64 vcc, |v15|, s55
	v_cndmask_b32_e32 v32, v29, v32, vcc
	v_cmp_lt_f32_e64 s[8:9], |v15|, s56
	v_cndmask_b32_e64 v32, v32, |v15|, s[8:9]
	v_bfi_b32 v15, s39, v32, v15
	v_fma_f32 v32, v15, v15, 1.0
	v_mul_f32_e32 v33, 0x4f800000, v32
	v_cmp_gt_f32_e32 vcc, s57, v32
	v_cndmask_b32_e32 v32, v32, v33, vcc
	v_sqrt_f32_e32 v33, v32
	v_xor_b32_e32 v1, v31, v1
	v_xor_b32_e32 v1, v1, v16
	v_fma_f32 v16, v1, v1, 1.0
	v_add_u32_e32 v31, -1, v33
	v_fma_f32 v34, -v31, v33, v32
	v_cmp_ge_f32_e64 s[8:9], 0, v34
	v_add_u32_e32 v34, 1, v33
	v_cndmask_b32_e64 v31, v33, v31, s[8:9]
	v_fma_f32 v33, -v34, v33, v32
	v_cmp_lt_f32_e64 s[8:9], 0, v33
	v_cndmask_b32_e64 v31, v31, v34, s[8:9]
	v_mul_f32_e32 v33, 0x37800000, v31
	v_cndmask_b32_e32 v31, v31, v33, vcc
	v_cmp_class_f32_e32 vcc, v32, v23
	v_cndmask_b32_e32 v31, v31, v32, vcc
	v_mul_f32_e32 v32, v15, v16
	v_mul_f32_e32 v16, v31, v16
	v_fma_f32 v32, v15, v32, 1.0
	v_mul_f32_e32 v15, v15, v16
	v_div_scale_f32 v16, s[8:9], v32, v32, v15
	v_div_scale_f32 v31, vcc, v15, v32, v15
	v_div_scale_f32 v33, s[8:9], v32, v32, v1
	v_div_scale_f32 v34, s[8:9], v1, v32, v1
	v_rcp_f32_e32 v35, v16
	v_fma_f32 v36, -v16, v35, 1.0
	v_fmac_f32_e32 v35, v36, v35
	v_mul_f32_e32 v36, v31, v35
	v_fma_f32 v37, -v16, v36, v31
	v_fmac_f32_e32 v36, v37, v35
	v_rcp_f32_e32 v37, v33
	v_fma_f32 v16, -v16, v36, v31
	v_div_fmas_f32 v16, v16, v35, v36
	s_mov_b64 vcc, s[8:9]
	v_fma_f32 v31, -v33, v37, 1.0
	v_fmac_f32_e32 v37, v31, v37
	v_mul_f32_e32 v31, v34, v37
	v_fma_f32 v35, -v33, v31, v34
	v_fmac_f32_e32 v31, v35, v37
	v_fma_f32 v33, -v33, v31, v34
	v_div_fmas_f32 v31, v33, v37, v31
	v_div_fixup_f32 v15, v16, v32, v15
	v_div_fixup_f32 v16, v31, v32, v1
                                        ; implicit-def: $vgpr31
.LBB156_215:                            ;   in Loop: Header=BB156_161 Depth=1
	s_andn2_saveexec_b64 s[28:29], s[28:29]
	s_cbranch_execz .LBB156_225
; %bb.216:                              ;   in Loop: Header=BB156_161 Depth=1
	v_cmp_nlt_f32_e64 s[30:31], |v16|, s43
                                        ; implicit-def: $vgpr32
                                        ; implicit-def: $vgpr33
	s_and_saveexec_b64 s[8:9], s[30:31]
	s_xor_b64 s[34:35], exec, s[8:9]
	s_cbranch_execz .LBB156_218
; %bb.217:                              ;   in Loop: Header=BB156_161 Depth=1
	v_and_b32_e32 v1, 0x7fffff, v31
	v_or_b32_e32 v39, 0x800000, v1
	v_mad_u64_u32 v[32:33], s[8:9], v39, s44, 0
	v_mov_b32_e32 v1, v33
	v_mad_u64_u32 v[33:34], s[8:9], v39, s45, v[1:2]
	v_mov_b32_e32 v1, v34
	;; [unrolled: 2-line block ×3, first 2 shown]
	v_mad_u64_u32 v[35:36], s[8:9], v39, s47, v[1:2]
	v_lshrrev_b32_e32 v1, 23, v31
	v_add_u32_e32 v38, 0xffffff88, v1
	v_mov_b32_e32 v1, v36
	v_mad_u64_u32 v[36:37], s[8:9], v39, s48, v[1:2]
	v_cmp_lt_u32_e32 vcc, 63, v38
	v_cndmask_b32_e32 v1, 0, v27, vcc
	v_add_u32_e32 v40, v1, v38
	v_mov_b32_e32 v1, v37
	v_mad_u64_u32 v[37:38], s[8:9], v39, s49, v[1:2]
	v_cmp_lt_u32_e64 s[8:9], 31, v40
	v_cndmask_b32_e64 v1, 0, v28, s[8:9]
	v_add_u32_e32 v40, v1, v40
	v_mov_b32_e32 v1, v38
	v_mad_u64_u32 v[38:39], s[10:11], v39, s50, v[1:2]
	v_cmp_lt_u32_e64 s[10:11], 31, v40
	v_cndmask_b32_e64 v1, 0, v28, s[10:11]
	v_add_u32_e32 v1, v1, v40
	v_cndmask_b32_e32 v40, v37, v35, vcc
	v_cndmask_b32_e32 v38, v38, v36, vcc
	;; [unrolled: 1-line block ×4, first 2 shown]
	v_cndmask_b32_e64 v39, v38, v40, s[8:9]
	v_cndmask_b32_e64 v37, v37, v38, s[8:9]
	;; [unrolled: 1-line block ×3, first 2 shown]
	v_cndmask_b32_e32 v33, v35, v33, vcc
	v_cndmask_b32_e64 v37, v37, v39, s[10:11]
	v_cndmask_b32_e64 v39, v39, v38, s[10:11]
	v_sub_u32_e32 v40, 32, v1
	v_cndmask_b32_e64 v35, v36, v33, s[8:9]
	v_alignbit_b32 v41, v37, v39, v40
	v_cmp_eq_u32_e64 s[12:13], 0, v1
	v_cndmask_b32_e64 v36, v38, v35, s[10:11]
	v_cndmask_b32_e64 v1, v41, v37, s[12:13]
	v_alignbit_b32 v37, v39, v36, v40
	v_cndmask_b32_e32 v32, v34, v32, vcc
	v_cndmask_b32_e64 v37, v37, v39, s[12:13]
	v_bfe_u32 v41, v1, 29, 1
	v_cndmask_b32_e64 v32, v33, v32, s[8:9]
	v_alignbit_b32 v38, v1, v37, 30
	v_sub_u32_e32 v42, 0, v41
	v_cndmask_b32_e64 v32, v35, v32, s[10:11]
	v_xor_b32_e32 v38, v38, v42
	v_alignbit_b32 v33, v36, v32, v40
	v_cndmask_b32_e64 v33, v33, v36, s[12:13]
	v_ffbh_u32_e32 v35, v38
	v_alignbit_b32 v34, v37, v33, 30
	v_min_u32_e32 v35, 32, v35
	v_alignbit_b32 v32, v33, v32, 30
	v_xor_b32_e32 v34, v34, v42
	v_sub_u32_e32 v36, 31, v35
	v_xor_b32_e32 v32, v32, v42
	v_alignbit_b32 v37, v38, v34, v36
	v_alignbit_b32 v32, v34, v32, v36
	;; [unrolled: 1-line block ×3, first 2 shown]
	v_ffbh_u32_e32 v34, v33
	v_min_u32_e32 v34, 32, v34
	v_lshrrev_b32_e32 v39, 29, v1
	v_not_b32_e32 v36, v34
	v_alignbit_b32 v32, v33, v32, v36
	v_lshlrev_b32_e32 v33, 31, v39
	v_or_b32_e32 v36, 0x33000000, v33
	v_add_lshl_u32 v34, v34, v35, 23
	v_lshrrev_b32_e32 v32, 9, v32
	v_sub_u32_e32 v34, v36, v34
	v_or_b32_e32 v33, 0.5, v33
	v_lshlrev_b32_e32 v35, 23, v35
	v_or_b32_e32 v32, v34, v32
	v_lshrrev_b32_e32 v34, 9, v37
	v_sub_u32_e32 v33, v33, v35
	v_or_b32_e32 v33, v34, v33
	v_mul_f32_e32 v34, 0x3fc90fda, v33
	v_fma_f32 v35, v33, s51, -v34
	v_fmac_f32_e32 v35, 0x33a22168, v33
	v_fmac_f32_e32 v35, 0x3fc90fda, v32
	v_lshrrev_b32_e32 v1, 30, v1
	v_add_f32_e32 v33, v34, v35
	v_add_u32_e32 v32, v41, v1
	s_andn2_saveexec_b64 s[8:9], s[34:35]
	s_branch .LBB156_219
.LBB156_218:                            ;   in Loop: Header=BB156_161 Depth=1
	s_andn2_saveexec_b64 s[8:9], s[34:35]
.LBB156_219:                            ;   in Loop: Header=BB156_161 Depth=1
	v_mul_f32_e64 v1, |v16|, s52
	v_rndne_f32_e32 v1, v1
	v_cvt_i32_f32_e32 v32, v1
	v_fma_f32 v33, v1, s53, |v16|
	v_fmac_f32_e32 v33, 0xb3a22168, v1
	v_fmac_f32_e32 v33, 0xa7c234c4, v1
; %bb.220:                              ;   in Loop: Header=BB156_161 Depth=1
	s_or_b64 exec, exec, s[8:9]
                                        ; implicit-def: $vgpr1
                                        ; implicit-def: $vgpr34
	s_and_saveexec_b64 s[8:9], s[30:31]
	s_xor_b64 s[30:31], exec, s[8:9]
	s_cbranch_execz .LBB156_222
; %bb.221:                              ;   in Loop: Header=BB156_161 Depth=1
	v_and_b32_e32 v1, 0x7fffff, v31
	v_or_b32_e32 v41, 0x800000, v1
	v_mad_u64_u32 v[34:35], s[8:9], v41, s44, 0
	v_mov_b32_e32 v1, v35
	v_mad_u64_u32 v[35:36], s[8:9], v41, s45, v[1:2]
	v_mov_b32_e32 v1, v36
	;; [unrolled: 2-line block ×3, first 2 shown]
	v_mad_u64_u32 v[37:38], s[8:9], v41, s47, v[1:2]
	v_lshrrev_b32_e32 v1, 23, v31
	v_add_u32_e32 v40, 0xffffff88, v1
	v_mov_b32_e32 v1, v38
	v_mad_u64_u32 v[38:39], s[8:9], v41, s48, v[1:2]
	v_cmp_lt_u32_e32 vcc, 63, v40
	v_cndmask_b32_e32 v1, 0, v27, vcc
	v_add_u32_e32 v42, v1, v40
	v_mov_b32_e32 v1, v39
	v_mad_u64_u32 v[39:40], s[8:9], v41, s49, v[1:2]
	v_cmp_lt_u32_e64 s[8:9], 31, v42
	v_cndmask_b32_e64 v1, 0, v28, s[8:9]
	v_add_u32_e32 v42, v1, v42
	v_mov_b32_e32 v1, v40
	v_mad_u64_u32 v[40:41], s[10:11], v41, s50, v[1:2]
	v_cmp_lt_u32_e64 s[10:11], 31, v42
	v_cndmask_b32_e64 v1, 0, v28, s[10:11]
	v_add_u32_e32 v1, v1, v42
	v_cndmask_b32_e32 v42, v39, v37, vcc
	v_cndmask_b32_e32 v40, v40, v38, vcc
	;; [unrolled: 1-line block ×4, first 2 shown]
	v_cndmask_b32_e64 v41, v40, v42, s[8:9]
	v_cndmask_b32_e64 v39, v39, v40, s[8:9]
	;; [unrolled: 1-line block ×3, first 2 shown]
	v_cndmask_b32_e32 v35, v37, v35, vcc
	v_cndmask_b32_e64 v39, v39, v41, s[10:11]
	v_cndmask_b32_e64 v41, v41, v40, s[10:11]
	v_sub_u32_e32 v42, 32, v1
	v_cndmask_b32_e64 v37, v38, v35, s[8:9]
	v_alignbit_b32 v43, v39, v41, v42
	v_cmp_eq_u32_e64 s[12:13], 0, v1
	v_cndmask_b32_e64 v38, v40, v37, s[10:11]
	v_cndmask_b32_e64 v1, v43, v39, s[12:13]
	v_alignbit_b32 v39, v41, v38, v42
	v_cndmask_b32_e32 v34, v36, v34, vcc
	v_cndmask_b32_e64 v39, v39, v41, s[12:13]
	v_bfe_u32 v43, v1, 29, 1
	v_cndmask_b32_e64 v34, v35, v34, s[8:9]
	v_alignbit_b32 v40, v1, v39, 30
	v_sub_u32_e32 v44, 0, v43
	v_cndmask_b32_e64 v34, v37, v34, s[10:11]
	v_xor_b32_e32 v40, v40, v44
	v_alignbit_b32 v35, v38, v34, v42
	v_cndmask_b32_e64 v35, v35, v38, s[12:13]
	v_ffbh_u32_e32 v37, v40
	v_alignbit_b32 v36, v39, v35, 30
	v_min_u32_e32 v37, 32, v37
	v_alignbit_b32 v34, v35, v34, 30
	v_xor_b32_e32 v36, v36, v44
	v_sub_u32_e32 v38, 31, v37
	v_xor_b32_e32 v34, v34, v44
	v_alignbit_b32 v39, v40, v36, v38
	v_alignbit_b32 v34, v36, v34, v38
	;; [unrolled: 1-line block ×3, first 2 shown]
	v_ffbh_u32_e32 v36, v35
	v_min_u32_e32 v36, 32, v36
	v_lshrrev_b32_e32 v41, 29, v1
	v_not_b32_e32 v38, v36
	v_alignbit_b32 v34, v35, v34, v38
	v_lshlrev_b32_e32 v35, 31, v41
	v_or_b32_e32 v38, 0x33000000, v35
	v_add_lshl_u32 v36, v36, v37, 23
	v_lshrrev_b32_e32 v34, 9, v34
	v_sub_u32_e32 v36, v38, v36
	v_or_b32_e32 v35, 0.5, v35
	v_lshlrev_b32_e32 v37, 23, v37
	v_or_b32_e32 v34, v36, v34
	v_lshrrev_b32_e32 v36, 9, v39
	v_sub_u32_e32 v35, v35, v37
	v_or_b32_e32 v35, v36, v35
	v_mul_f32_e32 v36, 0x3fc90fda, v35
	v_fma_f32 v37, v35, s51, -v36
	v_fmac_f32_e32 v37, 0x33a22168, v35
	v_fmac_f32_e32 v37, 0x3fc90fda, v34
	v_lshrrev_b32_e32 v1, 30, v1
	v_add_f32_e32 v34, v36, v37
	v_add_u32_e32 v1, v43, v1
	s_andn2_saveexec_b64 s[8:9], s[30:31]
	s_cbranch_execnz .LBB156_223
	s_branch .LBB156_224
.LBB156_222:                            ;   in Loop: Header=BB156_161 Depth=1
	s_andn2_saveexec_b64 s[8:9], s[30:31]
.LBB156_223:                            ;   in Loop: Header=BB156_161 Depth=1
	v_mul_f32_e64 v1, |v16|, s52
	v_rndne_f32_e32 v35, v1
	v_cvt_i32_f32_e32 v1, v35
	v_fma_f32 v34, v35, s53, |v16|
	v_fmac_f32_e32 v34, 0xb3a22168, v35
	v_fmac_f32_e32 v34, 0xa7c234c4, v35
.LBB156_224:                            ;   in Loop: Header=BB156_161 Depth=1
	s_or_b64 exec, exec, s[8:9]
	v_mul_f32_e32 v35, v33, v33
	v_mov_b32_e32 v36, 0x3c0881c4
	v_fmac_f32_e32 v36, 0xb94c1982, v35
	v_fma_f32 v36, v35, v36, v24
	v_mul_f32_e32 v36, v35, v36
	v_fmac_f32_e32 v33, v33, v36
	v_mov_b32_e32 v36, 0xbab64f3b
	v_fmac_f32_e32 v36, 0x37d75334, v35
	v_fma_f32 v36, v35, v36, v25
	v_fma_f32 v36, v35, v36, v26
	v_fma_f32 v35, v35, v36, 1.0
	v_and_b32_e32 v36, 1, v32
	v_lshlrev_b32_e32 v32, 30, v32
	v_and_b32_e32 v32, 0x80000000, v32
	v_cmp_eq_u32_e32 vcc, 0, v36
	v_xor_b32_e32 v31, v31, v32
	v_mul_f32_e64 v32, |v15|, s58
	v_cndmask_b32_e32 v33, v35, v33, vcc
	v_rndne_f32_e32 v35, v32
	v_sub_f32_e32 v36, v32, v35
	v_fma_f32 v32, |v15|, s58, -v32
	v_fma_f32 v32, |v15|, s59, v32
	v_add_f32_e32 v32, v36, v32
	v_exp_f32_e32 v32, v32
	v_cvt_i32_f32_e32 v35, v35
	v_xor_b32_e32 v31, v31, v33
	v_xor_b32_e32 v16, v31, v16
	v_mov_b32_e32 v33, 0x3c0881c4
	v_ldexp_f32 v31, v32, v35
	v_mul_f32_e32 v32, v34, v34
	v_fmac_f32_e32 v33, 0xb94c1982, v32
	v_fma_f32 v33, v32, v33, v24
	v_mul_f32_e32 v33, v32, v33
	v_fmac_f32_e32 v34, v34, v33
	v_mov_b32_e32 v33, 0xbab64f3b
	v_fmac_f32_e32 v33, 0x37d75334, v32
	v_fma_f32 v33, v32, v33, v25
	v_cmp_ngt_f32_e64 vcc, |v15|, s60
	v_fma_f32 v33, v32, v33, v26
	v_cndmask_b32_e32 v31, 0, v31, vcc
	v_cmp_nlt_f32_e64 vcc, |v15|, s61
	v_fma_f32 v32, v32, v33, 1.0
	v_and_b32_e32 v33, 1, v1
	v_cndmask_b32_e32 v31, v29, v31, vcc
	v_cmp_eq_u32_e32 vcc, 0, v33
	v_lshlrev_b32_e32 v1, 30, v1
	v_cndmask_b32_e64 v32, -v34, v32, vcc
	v_and_b32_e32 v1, 0x80000000, v1
	v_mul_f32_e32 v16, 4.0, v16
	v_xor_b32_e32 v1, v1, v32
	v_mul_f32_e32 v1, v16, v1
	v_mul_f32_e32 v1, v31, v1
	v_bfi_b32 v15, s39, 1.0, v15
	v_mul_f32_e32 v16, v31, v1
.LBB156_225:                            ;   in Loop: Header=BB156_161 Depth=1
	s_or_b64 exec, exec, s[28:29]
.LBB156_226:                            ;   in Loop: Header=BB156_161 Depth=1
	s_andn2_saveexec_b64 s[8:9], s[26:27]
; %bb.227:                              ;   in Loop: Header=BB156_161 Depth=1
	v_sub_f32_e32 v16, v16, v16
	v_mov_b32_e32 v15, v16
; %bb.228:                              ;   in Loop: Header=BB156_161 Depth=1
	s_or_b64 exec, exec, s[8:9]
.LBB156_229:                            ;   in Loop: Header=BB156_161 Depth=1
	s_andn2_saveexec_b64 s[24:25], s[24:25]
	s_cbranch_execz .LBB156_245
; %bb.230:                              ;   in Loop: Header=BB156_161 Depth=1
	v_and_b32_e32 v1, 0x7fffff, v15
	v_cmp_ne_u32_e32 vcc, 0, v1
	s_and_saveexec_b64 s[8:9], vcc
	s_xor_b64 s[8:9], exec, s[8:9]
; %bb.231:                              ;   in Loop: Header=BB156_161 Depth=1
	v_mul_f32_e32 v1, v16, v15
	v_cmp_eq_f32_e32 vcc, 0, v16
	v_cndmask_b32_e32 v16, v1, v16, vcc
; %bb.232:                              ;   in Loop: Header=BB156_161 Depth=1
	s_andn2_saveexec_b64 s[26:27], s[8:9]
	s_cbranch_execz .LBB156_244
; %bb.233:                              ;   in Loop: Header=BB156_161 Depth=1
	v_cmp_neq_f32_e64 s[8:9], |v16|, s40
	s_and_saveexec_b64 s[28:29], s[8:9]
	s_cbranch_execz .LBB156_243
; %bb.234:                              ;   in Loop: Header=BB156_161 Depth=1
	v_and_b32_e32 v31, 0x7fffffff, v16
	v_cmp_nlt_f32_e64 s[30:31], |v16|, s43
                                        ; implicit-def: $vgpr32
                                        ; implicit-def: $vgpr33
	s_and_saveexec_b64 s[8:9], s[30:31]
	s_xor_b64 s[34:35], exec, s[8:9]
	s_cbranch_execz .LBB156_236
; %bb.235:                              ;   in Loop: Header=BB156_161 Depth=1
	v_and_b32_e32 v1, 0x7fffff, v31
	v_or_b32_e32 v39, 0x800000, v1
	v_mad_u64_u32 v[32:33], s[8:9], v39, s44, 0
	v_mov_b32_e32 v1, v33
	v_mad_u64_u32 v[33:34], s[8:9], v39, s45, v[1:2]
	v_mov_b32_e32 v1, v34
	;; [unrolled: 2-line block ×3, first 2 shown]
	v_mad_u64_u32 v[35:36], s[8:9], v39, s47, v[1:2]
	v_lshrrev_b32_e32 v1, 23, v31
	v_add_u32_e32 v38, 0xffffff88, v1
	v_mov_b32_e32 v1, v36
	v_mad_u64_u32 v[36:37], s[8:9], v39, s48, v[1:2]
	v_cmp_lt_u32_e32 vcc, 63, v38
	v_cndmask_b32_e32 v1, 0, v27, vcc
	v_add_u32_e32 v40, v1, v38
	v_mov_b32_e32 v1, v37
	v_mad_u64_u32 v[37:38], s[8:9], v39, s49, v[1:2]
	v_cmp_lt_u32_e64 s[8:9], 31, v40
	v_cndmask_b32_e64 v1, 0, v28, s[8:9]
	v_add_u32_e32 v40, v1, v40
	v_mov_b32_e32 v1, v38
	v_mad_u64_u32 v[38:39], s[10:11], v39, s50, v[1:2]
	v_cmp_lt_u32_e64 s[10:11], 31, v40
	v_cndmask_b32_e64 v1, 0, v28, s[10:11]
	v_add_u32_e32 v1, v1, v40
	v_cndmask_b32_e32 v40, v37, v35, vcc
	v_cndmask_b32_e32 v38, v38, v36, vcc
	;; [unrolled: 1-line block ×4, first 2 shown]
	v_cndmask_b32_e64 v39, v38, v40, s[8:9]
	v_cndmask_b32_e64 v37, v37, v38, s[8:9]
	;; [unrolled: 1-line block ×3, first 2 shown]
	v_cndmask_b32_e32 v33, v35, v33, vcc
	v_cndmask_b32_e64 v37, v37, v39, s[10:11]
	v_cndmask_b32_e64 v39, v39, v38, s[10:11]
	v_sub_u32_e32 v40, 32, v1
	v_cndmask_b32_e64 v35, v36, v33, s[8:9]
	v_alignbit_b32 v41, v37, v39, v40
	v_cmp_eq_u32_e64 s[12:13], 0, v1
	v_cndmask_b32_e64 v36, v38, v35, s[10:11]
	v_cndmask_b32_e64 v1, v41, v37, s[12:13]
	v_alignbit_b32 v37, v39, v36, v40
	v_cndmask_b32_e32 v32, v34, v32, vcc
	v_cndmask_b32_e64 v37, v37, v39, s[12:13]
	v_bfe_u32 v41, v1, 29, 1
	v_cndmask_b32_e64 v32, v33, v32, s[8:9]
	v_alignbit_b32 v38, v1, v37, 30
	v_sub_u32_e32 v42, 0, v41
	v_cndmask_b32_e64 v32, v35, v32, s[10:11]
	v_xor_b32_e32 v38, v38, v42
	v_alignbit_b32 v33, v36, v32, v40
	v_cndmask_b32_e64 v33, v33, v36, s[12:13]
	v_ffbh_u32_e32 v35, v38
	v_alignbit_b32 v34, v37, v33, 30
	v_min_u32_e32 v35, 32, v35
	v_alignbit_b32 v32, v33, v32, 30
	v_xor_b32_e32 v34, v34, v42
	v_sub_u32_e32 v36, 31, v35
	v_xor_b32_e32 v32, v32, v42
	v_alignbit_b32 v37, v38, v34, v36
	v_alignbit_b32 v32, v34, v32, v36
	;; [unrolled: 1-line block ×3, first 2 shown]
	v_ffbh_u32_e32 v34, v33
	v_min_u32_e32 v34, 32, v34
	v_lshrrev_b32_e32 v39, 29, v1
	v_not_b32_e32 v36, v34
	v_alignbit_b32 v32, v33, v32, v36
	v_lshlrev_b32_e32 v33, 31, v39
	v_or_b32_e32 v36, 0x33000000, v33
	v_add_lshl_u32 v34, v34, v35, 23
	v_lshrrev_b32_e32 v32, 9, v32
	v_sub_u32_e32 v34, v36, v34
	v_or_b32_e32 v33, 0.5, v33
	v_lshlrev_b32_e32 v35, 23, v35
	v_or_b32_e32 v32, v34, v32
	v_lshrrev_b32_e32 v34, 9, v37
	v_sub_u32_e32 v33, v33, v35
	v_or_b32_e32 v33, v34, v33
	v_mul_f32_e32 v34, 0x3fc90fda, v33
	v_fma_f32 v35, v33, s51, -v34
	v_fmac_f32_e32 v35, 0x33a22168, v33
	v_fmac_f32_e32 v35, 0x3fc90fda, v32
	v_lshrrev_b32_e32 v1, 30, v1
	v_add_f32_e32 v33, v34, v35
	v_add_u32_e32 v32, v41, v1
	s_andn2_saveexec_b64 s[8:9], s[34:35]
	s_branch .LBB156_237
.LBB156_236:                            ;   in Loop: Header=BB156_161 Depth=1
	s_andn2_saveexec_b64 s[8:9], s[34:35]
.LBB156_237:                            ;   in Loop: Header=BB156_161 Depth=1
	v_mul_f32_e64 v1, |v16|, s52
	v_rndne_f32_e32 v1, v1
	v_cvt_i32_f32_e32 v32, v1
	v_fma_f32 v33, v1, s53, |v16|
	v_fmac_f32_e32 v33, 0xb3a22168, v1
	v_fmac_f32_e32 v33, 0xa7c234c4, v1
; %bb.238:                              ;   in Loop: Header=BB156_161 Depth=1
	s_or_b64 exec, exec, s[8:9]
                                        ; implicit-def: $vgpr1
                                        ; implicit-def: $vgpr34
	s_and_saveexec_b64 s[8:9], s[30:31]
	s_xor_b64 s[30:31], exec, s[8:9]
	s_cbranch_execz .LBB156_240
; %bb.239:                              ;   in Loop: Header=BB156_161 Depth=1
	v_and_b32_e32 v1, 0x7fffff, v31
	v_or_b32_e32 v41, 0x800000, v1
	v_mad_u64_u32 v[34:35], s[8:9], v41, s44, 0
	v_mov_b32_e32 v1, v35
	v_mad_u64_u32 v[35:36], s[8:9], v41, s45, v[1:2]
	v_mov_b32_e32 v1, v36
	;; [unrolled: 2-line block ×3, first 2 shown]
	v_mad_u64_u32 v[37:38], s[8:9], v41, s47, v[1:2]
	v_lshrrev_b32_e32 v1, 23, v31
	v_add_u32_e32 v40, 0xffffff88, v1
	v_mov_b32_e32 v1, v38
	v_mad_u64_u32 v[38:39], s[8:9], v41, s48, v[1:2]
	v_cmp_lt_u32_e32 vcc, 63, v40
	v_cndmask_b32_e32 v1, 0, v27, vcc
	v_add_u32_e32 v42, v1, v40
	v_mov_b32_e32 v1, v39
	v_mad_u64_u32 v[39:40], s[8:9], v41, s49, v[1:2]
	v_cmp_lt_u32_e64 s[8:9], 31, v42
	v_cndmask_b32_e64 v1, 0, v28, s[8:9]
	v_add_u32_e32 v42, v1, v42
	v_mov_b32_e32 v1, v40
	v_mad_u64_u32 v[40:41], s[10:11], v41, s50, v[1:2]
	v_cmp_lt_u32_e64 s[10:11], 31, v42
	v_cndmask_b32_e64 v1, 0, v28, s[10:11]
	v_add_u32_e32 v1, v1, v42
	v_cndmask_b32_e32 v42, v39, v37, vcc
	v_cndmask_b32_e32 v40, v40, v38, vcc
	;; [unrolled: 1-line block ×4, first 2 shown]
	v_cndmask_b32_e64 v41, v40, v42, s[8:9]
	v_cndmask_b32_e64 v39, v39, v40, s[8:9]
	;; [unrolled: 1-line block ×3, first 2 shown]
	v_cndmask_b32_e32 v35, v37, v35, vcc
	v_cndmask_b32_e64 v39, v39, v41, s[10:11]
	v_cndmask_b32_e64 v41, v41, v40, s[10:11]
	v_sub_u32_e32 v42, 32, v1
	v_cndmask_b32_e64 v37, v38, v35, s[8:9]
	v_alignbit_b32 v43, v39, v41, v42
	v_cmp_eq_u32_e64 s[12:13], 0, v1
	v_cndmask_b32_e64 v38, v40, v37, s[10:11]
	v_cndmask_b32_e64 v1, v43, v39, s[12:13]
	v_alignbit_b32 v39, v41, v38, v42
	v_cndmask_b32_e32 v34, v36, v34, vcc
	v_cndmask_b32_e64 v39, v39, v41, s[12:13]
	v_bfe_u32 v43, v1, 29, 1
	v_cndmask_b32_e64 v34, v35, v34, s[8:9]
	v_alignbit_b32 v40, v1, v39, 30
	v_sub_u32_e32 v44, 0, v43
	v_cndmask_b32_e64 v34, v37, v34, s[10:11]
	v_xor_b32_e32 v40, v40, v44
	v_alignbit_b32 v35, v38, v34, v42
	v_cndmask_b32_e64 v35, v35, v38, s[12:13]
	v_ffbh_u32_e32 v37, v40
	v_alignbit_b32 v36, v39, v35, 30
	v_min_u32_e32 v37, 32, v37
	v_alignbit_b32 v34, v35, v34, 30
	v_xor_b32_e32 v36, v36, v44
	v_sub_u32_e32 v38, 31, v37
	v_xor_b32_e32 v34, v34, v44
	v_alignbit_b32 v39, v40, v36, v38
	v_alignbit_b32 v34, v36, v34, v38
	;; [unrolled: 1-line block ×3, first 2 shown]
	v_ffbh_u32_e32 v36, v35
	v_min_u32_e32 v36, 32, v36
	v_lshrrev_b32_e32 v41, 29, v1
	v_not_b32_e32 v38, v36
	v_alignbit_b32 v34, v35, v34, v38
	v_lshlrev_b32_e32 v35, 31, v41
	v_or_b32_e32 v38, 0x33000000, v35
	v_add_lshl_u32 v36, v36, v37, 23
	v_lshrrev_b32_e32 v34, 9, v34
	v_sub_u32_e32 v36, v38, v36
	v_or_b32_e32 v35, 0.5, v35
	v_lshlrev_b32_e32 v37, 23, v37
	v_or_b32_e32 v34, v36, v34
	v_lshrrev_b32_e32 v36, 9, v39
	v_sub_u32_e32 v35, v35, v37
	v_or_b32_e32 v35, v36, v35
	v_mul_f32_e32 v36, 0x3fc90fda, v35
	v_fma_f32 v37, v35, s51, -v36
	v_fmac_f32_e32 v37, 0x33a22168, v35
	v_fmac_f32_e32 v37, 0x3fc90fda, v34
	v_lshrrev_b32_e32 v1, 30, v1
	v_add_f32_e32 v34, v36, v37
	v_add_u32_e32 v1, v43, v1
	s_andn2_saveexec_b64 s[8:9], s[30:31]
	s_cbranch_execnz .LBB156_241
	s_branch .LBB156_242
.LBB156_240:                            ;   in Loop: Header=BB156_161 Depth=1
	s_andn2_saveexec_b64 s[8:9], s[30:31]
.LBB156_241:                            ;   in Loop: Header=BB156_161 Depth=1
	v_mul_f32_e64 v1, |v16|, s52
	v_rndne_f32_e32 v35, v1
	v_cvt_i32_f32_e32 v1, v35
	v_fma_f32 v34, v35, s53, |v16|
	v_fmac_f32_e32 v34, 0xb3a22168, v35
	v_fmac_f32_e32 v34, 0xa7c234c4, v35
.LBB156_242:                            ;   in Loop: Header=BB156_161 Depth=1
	s_or_b64 exec, exec, s[8:9]
	v_mul_f32_e32 v35, v33, v33
	v_mov_b32_e32 v36, 0x3c0881c4
	v_fmac_f32_e32 v36, 0xb94c1982, v35
	v_fma_f32 v36, v35, v36, v24
	v_mul_f32_e32 v36, v35, v36
	v_fmac_f32_e32 v33, v33, v36
	v_mov_b32_e32 v36, 0xbab64f3b
	v_fmac_f32_e32 v36, 0x37d75334, v35
	v_fma_f32 v36, v35, v36, v25
	v_fma_f32 v36, v35, v36, v26
	v_fma_f32 v35, v35, v36, 1.0
	v_and_b32_e32 v36, 1, v32
	v_lshlrev_b32_e32 v32, 30, v32
	v_cmp_eq_u32_e32 vcc, 0, v36
	v_and_b32_e32 v32, 0x80000000, v32
	v_cndmask_b32_e32 v33, v35, v33, vcc
	v_xor_b32_e32 v31, v31, v32
	v_xor_b32_e32 v31, v31, v33
	v_mul_f32_e32 v32, v34, v34
	v_mov_b32_e32 v33, 0x3c0881c4
	v_fmac_f32_e32 v33, 0xb94c1982, v32
	v_fma_f32 v33, v32, v33, v24
	v_mul_f32_e32 v33, v32, v33
	v_fmac_f32_e32 v34, v34, v33
	v_mov_b32_e32 v33, 0xbab64f3b
	v_fmac_f32_e32 v33, 0x37d75334, v32
	v_fma_f32 v33, v32, v33, v25
	v_fma_f32 v33, v32, v33, v26
	v_fma_f32 v32, v32, v33, 1.0
	v_and_b32_e32 v33, 1, v1
	v_cmp_eq_u32_e32 vcc, 0, v33
	v_lshlrev_b32_e32 v1, 30, v1
	v_cndmask_b32_e64 v32, -v34, v32, vcc
	v_and_b32_e32 v1, 0x80000000, v1
	v_xor_b32_e32 v31, v31, v16
	v_xor_b32_e32 v1, v1, v32
	v_mul_f32_e32 v1, v31, v1
	v_cmp_class_f32_e64 vcc, v16, s41
	v_cndmask_b32_e32 v16, v30, v1, vcc
.LBB156_243:                            ;   in Loop: Header=BB156_161 Depth=1
	s_or_b64 exec, exec, s[28:29]
	v_add_u32_e32 v15, -2.0, v15
	v_bfi_b32 v16, s39, 0, v16
.LBB156_244:                            ;   in Loop: Header=BB156_161 Depth=1
	s_or_b64 exec, exec, s[26:27]
.LBB156_245:                            ;   in Loop: Header=BB156_161 Depth=1
	s_or_b64 exec, exec, s[24:25]
	v_and_b32_e32 v1, 0x7fffffff, v11
	v_cmp_gt_u32_e32 vcc, s40, v1
	s_and_saveexec_b64 s[8:9], vcc
	s_xor_b64 s[24:25], exec, s[8:9]
	s_cbranch_execz .LBB156_267
; %bb.246:                              ;   in Loop: Header=BB156_161 Depth=1
	v_cmp_class_f32_e64 s[8:9], v12, s41
	s_and_saveexec_b64 s[10:11], s[8:9]
	s_xor_b64 s[26:27], exec, s[10:11]
	s_cbranch_execz .LBB156_264
; %bb.247:                              ;   in Loop: Header=BB156_161 Depth=1
	v_and_b32_e32 v31, 0x7fffffff, v12
	v_cmp_gt_u32_e32 vcc, s42, v1
	s_and_saveexec_b64 s[8:9], vcc
	s_xor_b64 s[28:29], exec, s[8:9]
	s_cbranch_execz .LBB156_253
; %bb.248:                              ;   in Loop: Header=BB156_161 Depth=1
	v_cmp_nlt_f32_e64 s[8:9], |v12|, s43
                                        ; implicit-def: $vgpr32
                                        ; implicit-def: $vgpr1
	s_and_saveexec_b64 s[10:11], s[8:9]
	s_xor_b64 s[30:31], exec, s[10:11]
	s_cbranch_execz .LBB156_250
; %bb.249:                              ;   in Loop: Header=BB156_161 Depth=1
	v_and_b32_e32 v1, 0x7fffff, v31
	v_or_b32_e32 v39, 0x800000, v1
	v_mad_u64_u32 v[32:33], s[8:9], v39, s44, 0
	v_mov_b32_e32 v1, v33
	v_mad_u64_u32 v[33:34], s[8:9], v39, s45, v[1:2]
	v_mov_b32_e32 v1, v34
	;; [unrolled: 2-line block ×3, first 2 shown]
	v_mad_u64_u32 v[35:36], s[8:9], v39, s47, v[1:2]
	v_lshrrev_b32_e32 v1, 23, v31
	v_add_u32_e32 v38, 0xffffff88, v1
	v_mov_b32_e32 v1, v36
	v_mad_u64_u32 v[36:37], s[8:9], v39, s48, v[1:2]
	v_cmp_lt_u32_e32 vcc, 63, v38
	v_cndmask_b32_e32 v1, 0, v27, vcc
	v_add_u32_e32 v40, v1, v38
	v_mov_b32_e32 v1, v37
	v_mad_u64_u32 v[37:38], s[8:9], v39, s49, v[1:2]
	v_cmp_lt_u32_e64 s[8:9], 31, v40
	v_cndmask_b32_e64 v1, 0, v28, s[8:9]
	v_add_u32_e32 v40, v1, v40
	v_mov_b32_e32 v1, v38
	v_mad_u64_u32 v[38:39], s[10:11], v39, s50, v[1:2]
	v_cmp_lt_u32_e64 s[10:11], 31, v40
	v_cndmask_b32_e64 v1, 0, v28, s[10:11]
	v_add_u32_e32 v1, v1, v40
	v_cndmask_b32_e32 v40, v37, v35, vcc
	v_cndmask_b32_e32 v38, v38, v36, vcc
	;; [unrolled: 1-line block ×4, first 2 shown]
	v_cndmask_b32_e64 v39, v38, v40, s[8:9]
	v_cndmask_b32_e64 v37, v37, v38, s[8:9]
	;; [unrolled: 1-line block ×3, first 2 shown]
	v_sub_u32_e32 v40, 32, v1
	v_cmp_eq_u32_e64 s[12:13], 0, v1
	v_cndmask_b32_e32 v1, v35, v33, vcc
	v_cndmask_b32_e64 v37, v37, v39, s[10:11]
	v_cndmask_b32_e64 v39, v39, v38, s[10:11]
	;; [unrolled: 1-line block ×3, first 2 shown]
	v_alignbit_b32 v41, v37, v39, v40
	v_cndmask_b32_e64 v35, v38, v33, s[10:11]
	v_cndmask_b32_e64 v37, v41, v37, s[12:13]
	v_alignbit_b32 v36, v39, v35, v40
	v_cndmask_b32_e32 v32, v34, v32, vcc
	v_cndmask_b32_e64 v36, v36, v39, s[12:13]
	v_bfe_u32 v41, v37, 29, 1
	v_cndmask_b32_e64 v1, v1, v32, s[8:9]
	v_alignbit_b32 v38, v37, v36, 30
	v_sub_u32_e32 v42, 0, v41
	v_cndmask_b32_e64 v1, v33, v1, s[10:11]
	v_xor_b32_e32 v38, v38, v42
	v_alignbit_b32 v32, v35, v1, v40
	v_cndmask_b32_e64 v32, v32, v35, s[12:13]
	v_ffbh_u32_e32 v34, v38
	v_alignbit_b32 v33, v36, v32, 30
	v_min_u32_e32 v34, 32, v34
	v_alignbit_b32 v1, v32, v1, 30
	v_xor_b32_e32 v33, v33, v42
	v_sub_u32_e32 v35, 31, v34
	v_xor_b32_e32 v1, v1, v42
	v_alignbit_b32 v36, v38, v33, v35
	v_alignbit_b32 v1, v33, v1, v35
	v_alignbit_b32 v32, v36, v1, 9
	v_ffbh_u32_e32 v33, v32
	v_min_u32_e32 v33, 32, v33
	v_lshrrev_b32_e32 v39, 29, v37
	v_not_b32_e32 v35, v33
	v_alignbit_b32 v1, v32, v1, v35
	v_lshlrev_b32_e32 v32, 31, v39
	v_or_b32_e32 v35, 0x33000000, v32
	v_add_lshl_u32 v33, v33, v34, 23
	v_lshrrev_b32_e32 v1, 9, v1
	v_sub_u32_e32 v33, v35, v33
	v_or_b32_e32 v32, 0.5, v32
	v_lshlrev_b32_e32 v34, 23, v34
	v_or_b32_e32 v1, v33, v1
	v_lshrrev_b32_e32 v33, 9, v36
	v_sub_u32_e32 v32, v32, v34
	v_or_b32_e32 v32, v33, v32
	v_mul_f32_e32 v33, 0x3fc90fda, v32
	v_fma_f32 v34, v32, s51, -v33
	v_fmac_f32_e32 v34, 0x33a22168, v32
	v_fmac_f32_e32 v34, 0x3fc90fda, v1
	v_lshrrev_b32_e32 v32, 30, v37
	v_add_f32_e32 v1, v33, v34
	v_add_u32_e32 v32, v41, v32
.LBB156_250:                            ;   in Loop: Header=BB156_161 Depth=1
	s_andn2_saveexec_b64 s[8:9], s[30:31]
; %bb.251:                              ;   in Loop: Header=BB156_161 Depth=1
	v_mul_f32_e64 v1, |v12|, s52
	v_rndne_f32_e32 v33, v1
	v_cvt_i32_f32_e32 v32, v33
	v_fma_f32 v1, v33, s53, |v12|
	v_fmac_f32_e32 v1, 0xb3a22168, v33
	v_fmac_f32_e32 v1, 0xa7c234c4, v33
; %bb.252:                              ;   in Loop: Header=BB156_161 Depth=1
	s_or_b64 exec, exec, s[8:9]
	v_mul_f32_e32 v33, v1, v1
	v_mov_b32_e32 v34, 0xbf039337
	v_fmac_f32_e32 v34, 0x3c971480, v33
	v_fma_f32 v34, v33, v34, v19
	v_rcp_f32_e32 v34, v34
	v_mov_b32_e32 v35, 0x3ec54587
	v_fmac_f32_e32 v35, 0xbc8cedd3, v33
	v_and_b32_e32 v32, 1, v32
	v_mul_f32_e32 v34, v35, v34
	v_mul_f32_e32 v33, v33, v34
	v_fma_f32 v34, v33, v1, v1
	v_rcp_f32_e32 v35, v34
	v_sub_f32_e32 v36, v34, v1
	v_fma_f32 v1, v33, v1, -v36
	v_cmp_eq_u32_e32 vcc, 0, v32
	v_fma_f32 v33, v34, -v35, 1.0
	v_fma_f32 v1, v1, -v35, v33
	v_add_f32_e64 v32, |v11|, s54
	v_fma_f32 v1, v1, -v35, -v35
	v_sub_f32_e64 v33, v32, |v11|
	v_cndmask_b32_e32 v1, v1, v34, vcc
	v_sub_f32_e32 v34, v33, v32
	v_add_f32_e64 v34, |v11|, v34
	v_add_f32_e32 v33, 0x3f317218, v33
	v_sub_f32_e32 v33, v34, v33
	v_add_f32_e32 v33, 0x3102e308, v33
	v_add_f32_e32 v34, v32, v33
	v_sub_f32_e32 v32, v32, v34
	v_add_f32_e32 v32, v33, v32
	v_mul_f32_e32 v33, 0x3fb8aa3b, v34
	v_rndne_f32_e32 v33, v33
	v_fmac_f32_e32 v34, 0xbf317200, v33
	v_add_f32_e32 v35, v32, v34
	v_sub_f32_e32 v34, v34, v35
	v_add_f32_e32 v32, v32, v34
	v_mul_f32_e32 v34, 0x35bfbc00, v33
	v_sub_f32_e32 v36, v35, v34
	v_sub_f32_e32 v35, v35, v36
	;; [unrolled: 1-line block ×3, first 2 shown]
	v_add_f32_e32 v32, v32, v34
	v_add_f32_e32 v34, v36, v32
	v_sub_f32_e32 v35, v36, v34
	v_add_f32_e32 v32, v32, v35
	v_mul_f32_e32 v35, 0x2ea39ef3, v33
	v_sub_f32_e32 v36, v34, v35
	v_sub_f32_e32 v34, v34, v36
	;; [unrolled: 1-line block ×3, first 2 shown]
	v_add_f32_e32 v32, v32, v34
	v_add_f32_e32 v34, v36, v32
	v_sub_f32_e32 v36, v36, v34
	v_mov_b32_e32 v35, 0x3c091de6
	v_add_f32_e32 v32, v32, v36
	v_mul_f32_e32 v37, v34, v34
	v_fmac_f32_e32 v35, 0x3ab42872, v34
	v_add_f32_e32 v36, v32, v32
	v_fma_f32 v38, v34, v34, -v37
	v_fma_f32 v35, v34, v35, v20
	v_fmac_f32_e32 v38, v34, v36
	v_fma_f32 v35, v34, v35, v21
	v_add_f32_e32 v36, v37, v38
	v_fma_f32 v35, v34, v35, v22
	v_sub_f32_e32 v37, v36, v37
	v_sub_f32_e32 v37, v38, v37
	v_mul_f32_e32 v38, v35, v36
	v_fma_f32 v36, v36, v35, -v38
	v_fmac_f32_e32 v36, v37, v35
	v_add_f32_e32 v35, v38, v36
	v_sub_f32_e32 v37, v35, v38
	v_sub_f32_e32 v36, v36, v37
	v_add_f32_e32 v37, v34, v35
	v_sub_f32_e32 v34, v37, v34
	v_sub_f32_e32 v34, v35, v34
	v_add_f32_e32 v32, v32, v36
	v_add_f32_e32 v32, v32, v34
	;; [unrolled: 1-line block ×3, first 2 shown]
	v_sub_f32_e32 v35, v34, v37
	v_sub_f32_e32 v32, v32, v35
	v_add_f32_e32 v35, 1.0, v34
	v_add_f32_e32 v36, -1.0, v35
	v_cvt_i32_f32_e32 v33, v33
	v_sub_f32_e32 v34, v34, v36
	v_add_f32_e32 v32, v32, v34
	v_add_f32_e32 v34, v35, v32
	v_ldexp_f32 v36, v34, v33
	v_rcp_f32_e32 v37, v36
	v_sub_f32_e32 v34, v34, v35
	v_sub_f32_e32 v32, v32, v34
	v_ldexp_f32 v32, v32, v33
	v_mul_f32_e32 v33, v36, v37
	v_fma_f32 v34, v37, v36, -v33
	v_fmac_f32_e32 v34, v37, v32
	v_add_f32_e32 v35, v33, v34
	v_sub_f32_e32 v38, 1.0, v35
	v_sub_f32_e32 v39, 1.0, v38
	v_sub_f32_e32 v33, v35, v33
	v_sub_f32_e32 v39, v39, v35
	v_sub_f32_e32 v33, v33, v34
	v_add_f32_e32 v33, v33, v39
	v_add_f32_e32 v34, v38, v33
	v_mul_f32_e32 v35, v37, v34
	v_mul_f32_e32 v39, v36, v35
	v_fma_f32 v40, v35, v36, -v39
	v_fmac_f32_e32 v40, v35, v32
	v_sub_f32_e32 v38, v38, v34
	v_add_f32_e32 v33, v33, v38
	v_add_f32_e32 v38, v39, v40
	v_sub_f32_e32 v41, v34, v38
	v_sub_f32_e32 v34, v34, v41
	;; [unrolled: 1-line block ×4, first 2 shown]
	v_add_f32_e32 v33, v33, v34
	v_sub_f32_e32 v34, v39, v40
	v_add_f32_e32 v33, v34, v33
	v_add_f32_e32 v33, v41, v33
	;; [unrolled: 1-line block ×3, first 2 shown]
	v_mul_f32_e32 v33, v37, v33
	v_sub_f32_e32 v37, v34, v37
	v_sub_f32_e32 v35, v35, v37
	v_add_f32_e32 v33, v35, v33
	v_add_f32_e32 v35, v34, v33
	v_sub_f32_e32 v34, v35, v34
	v_sub_f32_e32 v33, v33, v34
	v_ldexp_f32 v34, v35, -2
	v_sub_f32_e32 v35, v36, v34
	v_sub_f32_e32 v36, v36, v35
	;; [unrolled: 1-line block ×3, first 2 shown]
	v_ldexp_f32 v33, v33, -2
	v_add_f32_e32 v32, v32, v34
	v_sub_f32_e32 v32, v32, v33
	v_add_f32_e32 v32, v35, v32
	v_cmp_ngt_f32_e64 vcc, |v11|, s55
	v_cndmask_b32_e32 v32, v29, v32, vcc
	v_cmp_lt_f32_e64 s[8:9], |v11|, s56
	v_cndmask_b32_e64 v32, v32, |v11|, s[8:9]
	v_bfi_b32 v11, s39, v32, v11
	v_fma_f32 v32, v11, v11, 1.0
	v_mul_f32_e32 v33, 0x4f800000, v32
	v_cmp_gt_f32_e32 vcc, s57, v32
	v_cndmask_b32_e32 v32, v32, v33, vcc
	v_sqrt_f32_e32 v33, v32
	v_xor_b32_e32 v1, v31, v1
	v_xor_b32_e32 v1, v1, v12
	v_fma_f32 v12, v1, v1, 1.0
	v_add_u32_e32 v31, -1, v33
	v_fma_f32 v34, -v31, v33, v32
	v_cmp_ge_f32_e64 s[8:9], 0, v34
	v_add_u32_e32 v34, 1, v33
	v_cndmask_b32_e64 v31, v33, v31, s[8:9]
	v_fma_f32 v33, -v34, v33, v32
	v_cmp_lt_f32_e64 s[8:9], 0, v33
	v_cndmask_b32_e64 v31, v31, v34, s[8:9]
	v_mul_f32_e32 v33, 0x37800000, v31
	v_cndmask_b32_e32 v31, v31, v33, vcc
	v_cmp_class_f32_e32 vcc, v32, v23
	v_cndmask_b32_e32 v31, v31, v32, vcc
	v_mul_f32_e32 v32, v11, v12
	v_mul_f32_e32 v12, v31, v12
	v_fma_f32 v32, v11, v32, 1.0
	v_mul_f32_e32 v11, v11, v12
	v_div_scale_f32 v12, s[8:9], v32, v32, v11
	v_div_scale_f32 v31, vcc, v11, v32, v11
	v_div_scale_f32 v33, s[8:9], v32, v32, v1
	v_div_scale_f32 v34, s[8:9], v1, v32, v1
	v_rcp_f32_e32 v35, v12
	v_fma_f32 v36, -v12, v35, 1.0
	v_fmac_f32_e32 v35, v36, v35
	v_mul_f32_e32 v36, v31, v35
	v_fma_f32 v37, -v12, v36, v31
	v_fmac_f32_e32 v36, v37, v35
	v_rcp_f32_e32 v37, v33
	v_fma_f32 v12, -v12, v36, v31
	v_div_fmas_f32 v12, v12, v35, v36
	s_mov_b64 vcc, s[8:9]
	v_fma_f32 v31, -v33, v37, 1.0
	v_fmac_f32_e32 v37, v31, v37
	v_mul_f32_e32 v31, v34, v37
	v_fma_f32 v35, -v33, v31, v34
	v_fmac_f32_e32 v31, v35, v37
	v_fma_f32 v33, -v33, v31, v34
	v_div_fmas_f32 v31, v33, v37, v31
	v_div_fixup_f32 v11, v12, v32, v11
	v_div_fixup_f32 v12, v31, v32, v1
                                        ; implicit-def: $vgpr31
.LBB156_253:                            ;   in Loop: Header=BB156_161 Depth=1
	s_andn2_saveexec_b64 s[28:29], s[28:29]
	s_cbranch_execz .LBB156_263
; %bb.254:                              ;   in Loop: Header=BB156_161 Depth=1
	v_cmp_nlt_f32_e64 s[30:31], |v12|, s43
                                        ; implicit-def: $vgpr32
                                        ; implicit-def: $vgpr33
	s_and_saveexec_b64 s[8:9], s[30:31]
	s_xor_b64 s[34:35], exec, s[8:9]
	s_cbranch_execz .LBB156_256
; %bb.255:                              ;   in Loop: Header=BB156_161 Depth=1
	v_and_b32_e32 v1, 0x7fffff, v31
	v_or_b32_e32 v39, 0x800000, v1
	v_mad_u64_u32 v[32:33], s[8:9], v39, s44, 0
	v_mov_b32_e32 v1, v33
	v_mad_u64_u32 v[33:34], s[8:9], v39, s45, v[1:2]
	v_mov_b32_e32 v1, v34
	v_mad_u64_u32 v[34:35], s[8:9], v39, s46, v[1:2]
	v_mov_b32_e32 v1, v35
	v_mad_u64_u32 v[35:36], s[8:9], v39, s47, v[1:2]
	v_lshrrev_b32_e32 v1, 23, v31
	v_add_u32_e32 v38, 0xffffff88, v1
	v_mov_b32_e32 v1, v36
	v_mad_u64_u32 v[36:37], s[8:9], v39, s48, v[1:2]
	v_cmp_lt_u32_e32 vcc, 63, v38
	v_cndmask_b32_e32 v1, 0, v27, vcc
	v_add_u32_e32 v40, v1, v38
	v_mov_b32_e32 v1, v37
	v_mad_u64_u32 v[37:38], s[8:9], v39, s49, v[1:2]
	v_cmp_lt_u32_e64 s[8:9], 31, v40
	v_cndmask_b32_e64 v1, 0, v28, s[8:9]
	v_add_u32_e32 v40, v1, v40
	v_mov_b32_e32 v1, v38
	v_mad_u64_u32 v[38:39], s[10:11], v39, s50, v[1:2]
	v_cmp_lt_u32_e64 s[10:11], 31, v40
	v_cndmask_b32_e64 v1, 0, v28, s[10:11]
	v_add_u32_e32 v1, v1, v40
	v_cndmask_b32_e32 v40, v37, v35, vcc
	v_cndmask_b32_e32 v38, v38, v36, vcc
	;; [unrolled: 1-line block ×4, first 2 shown]
	v_cndmask_b32_e64 v39, v38, v40, s[8:9]
	v_cndmask_b32_e64 v37, v37, v38, s[8:9]
	;; [unrolled: 1-line block ×3, first 2 shown]
	v_cndmask_b32_e32 v33, v35, v33, vcc
	v_cndmask_b32_e64 v37, v37, v39, s[10:11]
	v_cndmask_b32_e64 v39, v39, v38, s[10:11]
	v_sub_u32_e32 v40, 32, v1
	v_cndmask_b32_e64 v35, v36, v33, s[8:9]
	v_alignbit_b32 v41, v37, v39, v40
	v_cmp_eq_u32_e64 s[12:13], 0, v1
	v_cndmask_b32_e64 v36, v38, v35, s[10:11]
	v_cndmask_b32_e64 v1, v41, v37, s[12:13]
	v_alignbit_b32 v37, v39, v36, v40
	v_cndmask_b32_e32 v32, v34, v32, vcc
	v_cndmask_b32_e64 v37, v37, v39, s[12:13]
	v_bfe_u32 v41, v1, 29, 1
	v_cndmask_b32_e64 v32, v33, v32, s[8:9]
	v_alignbit_b32 v38, v1, v37, 30
	v_sub_u32_e32 v42, 0, v41
	v_cndmask_b32_e64 v32, v35, v32, s[10:11]
	v_xor_b32_e32 v38, v38, v42
	v_alignbit_b32 v33, v36, v32, v40
	v_cndmask_b32_e64 v33, v33, v36, s[12:13]
	v_ffbh_u32_e32 v35, v38
	v_alignbit_b32 v34, v37, v33, 30
	v_min_u32_e32 v35, 32, v35
	v_alignbit_b32 v32, v33, v32, 30
	v_xor_b32_e32 v34, v34, v42
	v_sub_u32_e32 v36, 31, v35
	v_xor_b32_e32 v32, v32, v42
	v_alignbit_b32 v37, v38, v34, v36
	v_alignbit_b32 v32, v34, v32, v36
	v_alignbit_b32 v33, v37, v32, 9
	v_ffbh_u32_e32 v34, v33
	v_min_u32_e32 v34, 32, v34
	v_lshrrev_b32_e32 v39, 29, v1
	v_not_b32_e32 v36, v34
	v_alignbit_b32 v32, v33, v32, v36
	v_lshlrev_b32_e32 v33, 31, v39
	v_or_b32_e32 v36, 0x33000000, v33
	v_add_lshl_u32 v34, v34, v35, 23
	v_lshrrev_b32_e32 v32, 9, v32
	v_sub_u32_e32 v34, v36, v34
	v_or_b32_e32 v33, 0.5, v33
	v_lshlrev_b32_e32 v35, 23, v35
	v_or_b32_e32 v32, v34, v32
	v_lshrrev_b32_e32 v34, 9, v37
	v_sub_u32_e32 v33, v33, v35
	v_or_b32_e32 v33, v34, v33
	v_mul_f32_e32 v34, 0x3fc90fda, v33
	v_fma_f32 v35, v33, s51, -v34
	v_fmac_f32_e32 v35, 0x33a22168, v33
	v_fmac_f32_e32 v35, 0x3fc90fda, v32
	v_lshrrev_b32_e32 v1, 30, v1
	v_add_f32_e32 v33, v34, v35
	v_add_u32_e32 v32, v41, v1
	s_andn2_saveexec_b64 s[8:9], s[34:35]
	s_branch .LBB156_257
.LBB156_256:                            ;   in Loop: Header=BB156_161 Depth=1
	s_andn2_saveexec_b64 s[8:9], s[34:35]
.LBB156_257:                            ;   in Loop: Header=BB156_161 Depth=1
	v_mul_f32_e64 v1, |v12|, s52
	v_rndne_f32_e32 v1, v1
	v_cvt_i32_f32_e32 v32, v1
	v_fma_f32 v33, v1, s53, |v12|
	v_fmac_f32_e32 v33, 0xb3a22168, v1
	v_fmac_f32_e32 v33, 0xa7c234c4, v1
; %bb.258:                              ;   in Loop: Header=BB156_161 Depth=1
	s_or_b64 exec, exec, s[8:9]
                                        ; implicit-def: $vgpr1
                                        ; implicit-def: $vgpr34
	s_and_saveexec_b64 s[8:9], s[30:31]
	s_xor_b64 s[30:31], exec, s[8:9]
	s_cbranch_execz .LBB156_260
; %bb.259:                              ;   in Loop: Header=BB156_161 Depth=1
	v_and_b32_e32 v1, 0x7fffff, v31
	v_or_b32_e32 v41, 0x800000, v1
	v_mad_u64_u32 v[34:35], s[8:9], v41, s44, 0
	v_mov_b32_e32 v1, v35
	v_mad_u64_u32 v[35:36], s[8:9], v41, s45, v[1:2]
	v_mov_b32_e32 v1, v36
	;; [unrolled: 2-line block ×3, first 2 shown]
	v_mad_u64_u32 v[37:38], s[8:9], v41, s47, v[1:2]
	v_lshrrev_b32_e32 v1, 23, v31
	v_add_u32_e32 v40, 0xffffff88, v1
	v_mov_b32_e32 v1, v38
	v_mad_u64_u32 v[38:39], s[8:9], v41, s48, v[1:2]
	v_cmp_lt_u32_e32 vcc, 63, v40
	v_cndmask_b32_e32 v1, 0, v27, vcc
	v_add_u32_e32 v42, v1, v40
	v_mov_b32_e32 v1, v39
	v_mad_u64_u32 v[39:40], s[8:9], v41, s49, v[1:2]
	v_cmp_lt_u32_e64 s[8:9], 31, v42
	v_cndmask_b32_e64 v1, 0, v28, s[8:9]
	v_add_u32_e32 v42, v1, v42
	v_mov_b32_e32 v1, v40
	v_mad_u64_u32 v[40:41], s[10:11], v41, s50, v[1:2]
	v_cmp_lt_u32_e64 s[10:11], 31, v42
	v_cndmask_b32_e64 v1, 0, v28, s[10:11]
	v_add_u32_e32 v1, v1, v42
	v_cndmask_b32_e32 v42, v39, v37, vcc
	v_cndmask_b32_e32 v40, v40, v38, vcc
	v_cndmask_b32_e32 v39, v41, v39, vcc
	v_cndmask_b32_e32 v38, v38, v36, vcc
	v_cndmask_b32_e64 v41, v40, v42, s[8:9]
	v_cndmask_b32_e64 v39, v39, v40, s[8:9]
	v_cndmask_b32_e64 v40, v42, v38, s[8:9]
	v_cndmask_b32_e32 v35, v37, v35, vcc
	v_cndmask_b32_e64 v39, v39, v41, s[10:11]
	v_cndmask_b32_e64 v41, v41, v40, s[10:11]
	v_sub_u32_e32 v42, 32, v1
	v_cndmask_b32_e64 v37, v38, v35, s[8:9]
	v_alignbit_b32 v43, v39, v41, v42
	v_cmp_eq_u32_e64 s[12:13], 0, v1
	v_cndmask_b32_e64 v38, v40, v37, s[10:11]
	v_cndmask_b32_e64 v1, v43, v39, s[12:13]
	v_alignbit_b32 v39, v41, v38, v42
	v_cndmask_b32_e32 v34, v36, v34, vcc
	v_cndmask_b32_e64 v39, v39, v41, s[12:13]
	v_bfe_u32 v43, v1, 29, 1
	v_cndmask_b32_e64 v34, v35, v34, s[8:9]
	v_alignbit_b32 v40, v1, v39, 30
	v_sub_u32_e32 v44, 0, v43
	v_cndmask_b32_e64 v34, v37, v34, s[10:11]
	v_xor_b32_e32 v40, v40, v44
	v_alignbit_b32 v35, v38, v34, v42
	v_cndmask_b32_e64 v35, v35, v38, s[12:13]
	v_ffbh_u32_e32 v37, v40
	v_alignbit_b32 v36, v39, v35, 30
	v_min_u32_e32 v37, 32, v37
	v_alignbit_b32 v34, v35, v34, 30
	v_xor_b32_e32 v36, v36, v44
	v_sub_u32_e32 v38, 31, v37
	v_xor_b32_e32 v34, v34, v44
	v_alignbit_b32 v39, v40, v36, v38
	v_alignbit_b32 v34, v36, v34, v38
	;; [unrolled: 1-line block ×3, first 2 shown]
	v_ffbh_u32_e32 v36, v35
	v_min_u32_e32 v36, 32, v36
	v_lshrrev_b32_e32 v41, 29, v1
	v_not_b32_e32 v38, v36
	v_alignbit_b32 v34, v35, v34, v38
	v_lshlrev_b32_e32 v35, 31, v41
	v_or_b32_e32 v38, 0x33000000, v35
	v_add_lshl_u32 v36, v36, v37, 23
	v_lshrrev_b32_e32 v34, 9, v34
	v_sub_u32_e32 v36, v38, v36
	v_or_b32_e32 v35, 0.5, v35
	v_lshlrev_b32_e32 v37, 23, v37
	v_or_b32_e32 v34, v36, v34
	v_lshrrev_b32_e32 v36, 9, v39
	v_sub_u32_e32 v35, v35, v37
	v_or_b32_e32 v35, v36, v35
	v_mul_f32_e32 v36, 0x3fc90fda, v35
	v_fma_f32 v37, v35, s51, -v36
	v_fmac_f32_e32 v37, 0x33a22168, v35
	v_fmac_f32_e32 v37, 0x3fc90fda, v34
	v_lshrrev_b32_e32 v1, 30, v1
	v_add_f32_e32 v34, v36, v37
	v_add_u32_e32 v1, v43, v1
	s_andn2_saveexec_b64 s[8:9], s[30:31]
	s_cbranch_execnz .LBB156_261
	s_branch .LBB156_262
.LBB156_260:                            ;   in Loop: Header=BB156_161 Depth=1
	s_andn2_saveexec_b64 s[8:9], s[30:31]
.LBB156_261:                            ;   in Loop: Header=BB156_161 Depth=1
	v_mul_f32_e64 v1, |v12|, s52
	v_rndne_f32_e32 v35, v1
	v_cvt_i32_f32_e32 v1, v35
	v_fma_f32 v34, v35, s53, |v12|
	v_fmac_f32_e32 v34, 0xb3a22168, v35
	v_fmac_f32_e32 v34, 0xa7c234c4, v35
.LBB156_262:                            ;   in Loop: Header=BB156_161 Depth=1
	s_or_b64 exec, exec, s[8:9]
	v_mul_f32_e32 v35, v33, v33
	v_mov_b32_e32 v36, 0x3c0881c4
	v_fmac_f32_e32 v36, 0xb94c1982, v35
	v_fma_f32 v36, v35, v36, v24
	v_mul_f32_e32 v36, v35, v36
	v_fmac_f32_e32 v33, v33, v36
	v_mov_b32_e32 v36, 0xbab64f3b
	v_fmac_f32_e32 v36, 0x37d75334, v35
	v_fma_f32 v36, v35, v36, v25
	v_fma_f32 v36, v35, v36, v26
	v_fma_f32 v35, v35, v36, 1.0
	v_and_b32_e32 v36, 1, v32
	v_lshlrev_b32_e32 v32, 30, v32
	v_and_b32_e32 v32, 0x80000000, v32
	v_cmp_eq_u32_e32 vcc, 0, v36
	v_xor_b32_e32 v31, v31, v32
	v_mul_f32_e64 v32, |v11|, s58
	v_cndmask_b32_e32 v33, v35, v33, vcc
	v_rndne_f32_e32 v35, v32
	v_sub_f32_e32 v36, v32, v35
	v_fma_f32 v32, |v11|, s58, -v32
	v_fma_f32 v32, |v11|, s59, v32
	v_add_f32_e32 v32, v36, v32
	v_exp_f32_e32 v32, v32
	v_cvt_i32_f32_e32 v35, v35
	v_xor_b32_e32 v31, v31, v33
	v_xor_b32_e32 v12, v31, v12
	v_mov_b32_e32 v33, 0x3c0881c4
	v_ldexp_f32 v31, v32, v35
	v_mul_f32_e32 v32, v34, v34
	v_fmac_f32_e32 v33, 0xb94c1982, v32
	v_fma_f32 v33, v32, v33, v24
	v_mul_f32_e32 v33, v32, v33
	v_fmac_f32_e32 v34, v34, v33
	v_mov_b32_e32 v33, 0xbab64f3b
	v_fmac_f32_e32 v33, 0x37d75334, v32
	v_fma_f32 v33, v32, v33, v25
	v_cmp_ngt_f32_e64 vcc, |v11|, s60
	v_fma_f32 v33, v32, v33, v26
	v_cndmask_b32_e32 v31, 0, v31, vcc
	v_cmp_nlt_f32_e64 vcc, |v11|, s61
	v_fma_f32 v32, v32, v33, 1.0
	v_and_b32_e32 v33, 1, v1
	v_cndmask_b32_e32 v31, v29, v31, vcc
	v_cmp_eq_u32_e32 vcc, 0, v33
	v_lshlrev_b32_e32 v1, 30, v1
	v_cndmask_b32_e64 v32, -v34, v32, vcc
	v_and_b32_e32 v1, 0x80000000, v1
	v_mul_f32_e32 v12, 4.0, v12
	v_xor_b32_e32 v1, v1, v32
	v_mul_f32_e32 v1, v12, v1
	v_mul_f32_e32 v1, v31, v1
	v_bfi_b32 v11, s39, 1.0, v11
	v_mul_f32_e32 v12, v31, v1
.LBB156_263:                            ;   in Loop: Header=BB156_161 Depth=1
	s_or_b64 exec, exec, s[28:29]
.LBB156_264:                            ;   in Loop: Header=BB156_161 Depth=1
	s_andn2_saveexec_b64 s[8:9], s[26:27]
; %bb.265:                              ;   in Loop: Header=BB156_161 Depth=1
	v_sub_f32_e32 v12, v12, v12
	v_mov_b32_e32 v11, v12
; %bb.266:                              ;   in Loop: Header=BB156_161 Depth=1
	s_or_b64 exec, exec, s[8:9]
.LBB156_267:                            ;   in Loop: Header=BB156_161 Depth=1
	s_andn2_saveexec_b64 s[24:25], s[24:25]
	s_cbranch_execz .LBB156_283
; %bb.268:                              ;   in Loop: Header=BB156_161 Depth=1
	v_and_b32_e32 v1, 0x7fffff, v11
	v_cmp_ne_u32_e32 vcc, 0, v1
	s_and_saveexec_b64 s[8:9], vcc
	s_xor_b64 s[8:9], exec, s[8:9]
; %bb.269:                              ;   in Loop: Header=BB156_161 Depth=1
	v_mul_f32_e32 v1, v12, v11
	v_cmp_eq_f32_e32 vcc, 0, v12
	v_cndmask_b32_e32 v12, v1, v12, vcc
; %bb.270:                              ;   in Loop: Header=BB156_161 Depth=1
	s_andn2_saveexec_b64 s[26:27], s[8:9]
	s_cbranch_execz .LBB156_282
; %bb.271:                              ;   in Loop: Header=BB156_161 Depth=1
	v_cmp_neq_f32_e64 s[8:9], |v12|, s40
	s_and_saveexec_b64 s[28:29], s[8:9]
	s_cbranch_execz .LBB156_281
; %bb.272:                              ;   in Loop: Header=BB156_161 Depth=1
	v_and_b32_e32 v31, 0x7fffffff, v12
	v_cmp_nlt_f32_e64 s[30:31], |v12|, s43
                                        ; implicit-def: $vgpr32
                                        ; implicit-def: $vgpr33
	s_and_saveexec_b64 s[8:9], s[30:31]
	s_xor_b64 s[34:35], exec, s[8:9]
	s_cbranch_execz .LBB156_274
; %bb.273:                              ;   in Loop: Header=BB156_161 Depth=1
	v_and_b32_e32 v1, 0x7fffff, v31
	v_or_b32_e32 v39, 0x800000, v1
	v_mad_u64_u32 v[32:33], s[8:9], v39, s44, 0
	v_mov_b32_e32 v1, v33
	v_mad_u64_u32 v[33:34], s[8:9], v39, s45, v[1:2]
	v_mov_b32_e32 v1, v34
	;; [unrolled: 2-line block ×3, first 2 shown]
	v_mad_u64_u32 v[35:36], s[8:9], v39, s47, v[1:2]
	v_lshrrev_b32_e32 v1, 23, v31
	v_add_u32_e32 v38, 0xffffff88, v1
	v_mov_b32_e32 v1, v36
	v_mad_u64_u32 v[36:37], s[8:9], v39, s48, v[1:2]
	v_cmp_lt_u32_e32 vcc, 63, v38
	v_cndmask_b32_e32 v1, 0, v27, vcc
	v_add_u32_e32 v40, v1, v38
	v_mov_b32_e32 v1, v37
	v_mad_u64_u32 v[37:38], s[8:9], v39, s49, v[1:2]
	v_cmp_lt_u32_e64 s[8:9], 31, v40
	v_cndmask_b32_e64 v1, 0, v28, s[8:9]
	v_add_u32_e32 v40, v1, v40
	v_mov_b32_e32 v1, v38
	v_mad_u64_u32 v[38:39], s[10:11], v39, s50, v[1:2]
	v_cmp_lt_u32_e64 s[10:11], 31, v40
	v_cndmask_b32_e64 v1, 0, v28, s[10:11]
	v_add_u32_e32 v1, v1, v40
	v_cndmask_b32_e32 v40, v37, v35, vcc
	v_cndmask_b32_e32 v38, v38, v36, vcc
	;; [unrolled: 1-line block ×4, first 2 shown]
	v_cndmask_b32_e64 v39, v38, v40, s[8:9]
	v_cndmask_b32_e64 v37, v37, v38, s[8:9]
	;; [unrolled: 1-line block ×3, first 2 shown]
	v_cndmask_b32_e32 v33, v35, v33, vcc
	v_cndmask_b32_e64 v37, v37, v39, s[10:11]
	v_cndmask_b32_e64 v39, v39, v38, s[10:11]
	v_sub_u32_e32 v40, 32, v1
	v_cndmask_b32_e64 v35, v36, v33, s[8:9]
	v_alignbit_b32 v41, v37, v39, v40
	v_cmp_eq_u32_e64 s[12:13], 0, v1
	v_cndmask_b32_e64 v36, v38, v35, s[10:11]
	v_cndmask_b32_e64 v1, v41, v37, s[12:13]
	v_alignbit_b32 v37, v39, v36, v40
	v_cndmask_b32_e32 v32, v34, v32, vcc
	v_cndmask_b32_e64 v37, v37, v39, s[12:13]
	v_bfe_u32 v41, v1, 29, 1
	v_cndmask_b32_e64 v32, v33, v32, s[8:9]
	v_alignbit_b32 v38, v1, v37, 30
	v_sub_u32_e32 v42, 0, v41
	v_cndmask_b32_e64 v32, v35, v32, s[10:11]
	v_xor_b32_e32 v38, v38, v42
	v_alignbit_b32 v33, v36, v32, v40
	v_cndmask_b32_e64 v33, v33, v36, s[12:13]
	v_ffbh_u32_e32 v35, v38
	v_alignbit_b32 v34, v37, v33, 30
	v_min_u32_e32 v35, 32, v35
	v_alignbit_b32 v32, v33, v32, 30
	v_xor_b32_e32 v34, v34, v42
	v_sub_u32_e32 v36, 31, v35
	v_xor_b32_e32 v32, v32, v42
	v_alignbit_b32 v37, v38, v34, v36
	v_alignbit_b32 v32, v34, v32, v36
	;; [unrolled: 1-line block ×3, first 2 shown]
	v_ffbh_u32_e32 v34, v33
	v_min_u32_e32 v34, 32, v34
	v_lshrrev_b32_e32 v39, 29, v1
	v_not_b32_e32 v36, v34
	v_alignbit_b32 v32, v33, v32, v36
	v_lshlrev_b32_e32 v33, 31, v39
	v_or_b32_e32 v36, 0x33000000, v33
	v_add_lshl_u32 v34, v34, v35, 23
	v_lshrrev_b32_e32 v32, 9, v32
	v_sub_u32_e32 v34, v36, v34
	v_or_b32_e32 v33, 0.5, v33
	v_lshlrev_b32_e32 v35, 23, v35
	v_or_b32_e32 v32, v34, v32
	v_lshrrev_b32_e32 v34, 9, v37
	v_sub_u32_e32 v33, v33, v35
	v_or_b32_e32 v33, v34, v33
	v_mul_f32_e32 v34, 0x3fc90fda, v33
	v_fma_f32 v35, v33, s51, -v34
	v_fmac_f32_e32 v35, 0x33a22168, v33
	v_fmac_f32_e32 v35, 0x3fc90fda, v32
	v_lshrrev_b32_e32 v1, 30, v1
	v_add_f32_e32 v33, v34, v35
	v_add_u32_e32 v32, v41, v1
	s_andn2_saveexec_b64 s[8:9], s[34:35]
	s_branch .LBB156_275
.LBB156_274:                            ;   in Loop: Header=BB156_161 Depth=1
	s_andn2_saveexec_b64 s[8:9], s[34:35]
.LBB156_275:                            ;   in Loop: Header=BB156_161 Depth=1
	v_mul_f32_e64 v1, |v12|, s52
	v_rndne_f32_e32 v1, v1
	v_cvt_i32_f32_e32 v32, v1
	v_fma_f32 v33, v1, s53, |v12|
	v_fmac_f32_e32 v33, 0xb3a22168, v1
	v_fmac_f32_e32 v33, 0xa7c234c4, v1
; %bb.276:                              ;   in Loop: Header=BB156_161 Depth=1
	s_or_b64 exec, exec, s[8:9]
                                        ; implicit-def: $vgpr1
                                        ; implicit-def: $vgpr34
	s_and_saveexec_b64 s[8:9], s[30:31]
	s_xor_b64 s[30:31], exec, s[8:9]
	s_cbranch_execz .LBB156_278
; %bb.277:                              ;   in Loop: Header=BB156_161 Depth=1
	v_and_b32_e32 v1, 0x7fffff, v31
	v_or_b32_e32 v41, 0x800000, v1
	v_mad_u64_u32 v[34:35], s[8:9], v41, s44, 0
	v_mov_b32_e32 v1, v35
	v_mad_u64_u32 v[35:36], s[8:9], v41, s45, v[1:2]
	v_mov_b32_e32 v1, v36
	;; [unrolled: 2-line block ×3, first 2 shown]
	v_mad_u64_u32 v[37:38], s[8:9], v41, s47, v[1:2]
	v_lshrrev_b32_e32 v1, 23, v31
	v_add_u32_e32 v40, 0xffffff88, v1
	v_mov_b32_e32 v1, v38
	v_mad_u64_u32 v[38:39], s[8:9], v41, s48, v[1:2]
	v_cmp_lt_u32_e32 vcc, 63, v40
	v_cndmask_b32_e32 v1, 0, v27, vcc
	v_add_u32_e32 v42, v1, v40
	v_mov_b32_e32 v1, v39
	v_mad_u64_u32 v[39:40], s[8:9], v41, s49, v[1:2]
	v_cmp_lt_u32_e64 s[8:9], 31, v42
	v_cndmask_b32_e64 v1, 0, v28, s[8:9]
	v_add_u32_e32 v42, v1, v42
	v_mov_b32_e32 v1, v40
	v_mad_u64_u32 v[40:41], s[10:11], v41, s50, v[1:2]
	v_cmp_lt_u32_e64 s[10:11], 31, v42
	v_cndmask_b32_e64 v1, 0, v28, s[10:11]
	v_add_u32_e32 v1, v1, v42
	v_cndmask_b32_e32 v42, v39, v37, vcc
	v_cndmask_b32_e32 v40, v40, v38, vcc
	;; [unrolled: 1-line block ×4, first 2 shown]
	v_cndmask_b32_e64 v41, v40, v42, s[8:9]
	v_cndmask_b32_e64 v39, v39, v40, s[8:9]
	;; [unrolled: 1-line block ×3, first 2 shown]
	v_cndmask_b32_e32 v35, v37, v35, vcc
	v_cndmask_b32_e64 v39, v39, v41, s[10:11]
	v_cndmask_b32_e64 v41, v41, v40, s[10:11]
	v_sub_u32_e32 v42, 32, v1
	v_cndmask_b32_e64 v37, v38, v35, s[8:9]
	v_alignbit_b32 v43, v39, v41, v42
	v_cmp_eq_u32_e64 s[12:13], 0, v1
	v_cndmask_b32_e64 v38, v40, v37, s[10:11]
	v_cndmask_b32_e64 v1, v43, v39, s[12:13]
	v_alignbit_b32 v39, v41, v38, v42
	v_cndmask_b32_e32 v34, v36, v34, vcc
	v_cndmask_b32_e64 v39, v39, v41, s[12:13]
	v_bfe_u32 v43, v1, 29, 1
	v_cndmask_b32_e64 v34, v35, v34, s[8:9]
	v_alignbit_b32 v40, v1, v39, 30
	v_sub_u32_e32 v44, 0, v43
	v_cndmask_b32_e64 v34, v37, v34, s[10:11]
	v_xor_b32_e32 v40, v40, v44
	v_alignbit_b32 v35, v38, v34, v42
	v_cndmask_b32_e64 v35, v35, v38, s[12:13]
	v_ffbh_u32_e32 v37, v40
	v_alignbit_b32 v36, v39, v35, 30
	v_min_u32_e32 v37, 32, v37
	v_alignbit_b32 v34, v35, v34, 30
	v_xor_b32_e32 v36, v36, v44
	v_sub_u32_e32 v38, 31, v37
	v_xor_b32_e32 v34, v34, v44
	v_alignbit_b32 v39, v40, v36, v38
	v_alignbit_b32 v34, v36, v34, v38
	;; [unrolled: 1-line block ×3, first 2 shown]
	v_ffbh_u32_e32 v36, v35
	v_min_u32_e32 v36, 32, v36
	v_lshrrev_b32_e32 v41, 29, v1
	v_not_b32_e32 v38, v36
	v_alignbit_b32 v34, v35, v34, v38
	v_lshlrev_b32_e32 v35, 31, v41
	v_or_b32_e32 v38, 0x33000000, v35
	v_add_lshl_u32 v36, v36, v37, 23
	v_lshrrev_b32_e32 v34, 9, v34
	v_sub_u32_e32 v36, v38, v36
	v_or_b32_e32 v35, 0.5, v35
	v_lshlrev_b32_e32 v37, 23, v37
	v_or_b32_e32 v34, v36, v34
	v_lshrrev_b32_e32 v36, 9, v39
	v_sub_u32_e32 v35, v35, v37
	v_or_b32_e32 v35, v36, v35
	v_mul_f32_e32 v36, 0x3fc90fda, v35
	v_fma_f32 v37, v35, s51, -v36
	v_fmac_f32_e32 v37, 0x33a22168, v35
	v_fmac_f32_e32 v37, 0x3fc90fda, v34
	v_lshrrev_b32_e32 v1, 30, v1
	v_add_f32_e32 v34, v36, v37
	v_add_u32_e32 v1, v43, v1
	s_andn2_saveexec_b64 s[8:9], s[30:31]
	s_cbranch_execnz .LBB156_279
	s_branch .LBB156_280
.LBB156_278:                            ;   in Loop: Header=BB156_161 Depth=1
	s_andn2_saveexec_b64 s[8:9], s[30:31]
.LBB156_279:                            ;   in Loop: Header=BB156_161 Depth=1
	v_mul_f32_e64 v1, |v12|, s52
	v_rndne_f32_e32 v35, v1
	v_cvt_i32_f32_e32 v1, v35
	v_fma_f32 v34, v35, s53, |v12|
	v_fmac_f32_e32 v34, 0xb3a22168, v35
	v_fmac_f32_e32 v34, 0xa7c234c4, v35
.LBB156_280:                            ;   in Loop: Header=BB156_161 Depth=1
	s_or_b64 exec, exec, s[8:9]
	v_mul_f32_e32 v35, v33, v33
	v_mov_b32_e32 v36, 0x3c0881c4
	v_fmac_f32_e32 v36, 0xb94c1982, v35
	v_fma_f32 v36, v35, v36, v24
	v_mul_f32_e32 v36, v35, v36
	v_fmac_f32_e32 v33, v33, v36
	v_mov_b32_e32 v36, 0xbab64f3b
	v_fmac_f32_e32 v36, 0x37d75334, v35
	v_fma_f32 v36, v35, v36, v25
	v_fma_f32 v36, v35, v36, v26
	v_fma_f32 v35, v35, v36, 1.0
	v_and_b32_e32 v36, 1, v32
	v_lshlrev_b32_e32 v32, 30, v32
	v_cmp_eq_u32_e32 vcc, 0, v36
	v_and_b32_e32 v32, 0x80000000, v32
	v_cndmask_b32_e32 v33, v35, v33, vcc
	v_xor_b32_e32 v31, v31, v32
	v_xor_b32_e32 v31, v31, v33
	v_mul_f32_e32 v32, v34, v34
	v_mov_b32_e32 v33, 0x3c0881c4
	v_fmac_f32_e32 v33, 0xb94c1982, v32
	v_fma_f32 v33, v32, v33, v24
	v_mul_f32_e32 v33, v32, v33
	v_fmac_f32_e32 v34, v34, v33
	v_mov_b32_e32 v33, 0xbab64f3b
	v_fmac_f32_e32 v33, 0x37d75334, v32
	v_fma_f32 v33, v32, v33, v25
	v_fma_f32 v33, v32, v33, v26
	v_fma_f32 v32, v32, v33, 1.0
	v_and_b32_e32 v33, 1, v1
	v_cmp_eq_u32_e32 vcc, 0, v33
	v_lshlrev_b32_e32 v1, 30, v1
	v_cndmask_b32_e64 v32, -v34, v32, vcc
	v_and_b32_e32 v1, 0x80000000, v1
	v_xor_b32_e32 v31, v31, v12
	v_xor_b32_e32 v1, v1, v32
	v_mul_f32_e32 v1, v31, v1
	v_cmp_class_f32_e64 vcc, v12, s41
	v_cndmask_b32_e32 v12, v30, v1, vcc
.LBB156_281:                            ;   in Loop: Header=BB156_161 Depth=1
	s_or_b64 exec, exec, s[28:29]
	v_add_u32_e32 v11, -2.0, v11
	v_bfi_b32 v12, s39, 0, v12
.LBB156_282:                            ;   in Loop: Header=BB156_161 Depth=1
	s_or_b64 exec, exec, s[26:27]
.LBB156_283:                            ;   in Loop: Header=BB156_161 Depth=1
	s_or_b64 exec, exec, s[24:25]
	v_and_b32_e32 v1, 0x7fffffff, v17
	v_cmp_gt_u32_e32 vcc, s40, v1
	s_and_saveexec_b64 s[8:9], vcc
	s_xor_b64 s[24:25], exec, s[8:9]
	s_cbranch_execz .LBB156_294
; %bb.284:                              ;   in Loop: Header=BB156_161 Depth=1
	v_cmp_class_f32_e64 s[8:9], v18, s41
	s_and_saveexec_b64 s[10:11], s[8:9]
	s_xor_b64 s[26:27], exec, s[10:11]
	s_cbranch_execz .LBB156_313
; %bb.285:                              ;   in Loop: Header=BB156_161 Depth=1
	v_and_b32_e32 v31, 0x7fffffff, v18
	v_cmp_gt_u32_e32 vcc, s42, v1
	s_and_saveexec_b64 s[8:9], vcc
	s_xor_b64 s[28:29], exec, s[8:9]
	s_cbranch_execz .LBB156_291
; %bb.286:                              ;   in Loop: Header=BB156_161 Depth=1
	v_cmp_nlt_f32_e64 s[8:9], |v18|, s43
                                        ; implicit-def: $vgpr32
                                        ; implicit-def: $vgpr1
	s_and_saveexec_b64 s[10:11], s[8:9]
	s_xor_b64 s[30:31], exec, s[10:11]
	s_cbranch_execz .LBB156_288
; %bb.287:                              ;   in Loop: Header=BB156_161 Depth=1
	v_and_b32_e32 v1, 0x7fffff, v31
	v_or_b32_e32 v39, 0x800000, v1
	v_mad_u64_u32 v[32:33], s[8:9], v39, s44, 0
	v_mov_b32_e32 v1, v33
	v_mad_u64_u32 v[33:34], s[8:9], v39, s45, v[1:2]
	v_mov_b32_e32 v1, v34
	;; [unrolled: 2-line block ×3, first 2 shown]
	v_mad_u64_u32 v[35:36], s[8:9], v39, s47, v[1:2]
	v_lshrrev_b32_e32 v1, 23, v31
	v_add_u32_e32 v38, 0xffffff88, v1
	v_mov_b32_e32 v1, v36
	v_mad_u64_u32 v[36:37], s[8:9], v39, s48, v[1:2]
	v_cmp_lt_u32_e32 vcc, 63, v38
	v_cndmask_b32_e32 v1, 0, v27, vcc
	v_add_u32_e32 v40, v1, v38
	v_mov_b32_e32 v1, v37
	v_mad_u64_u32 v[37:38], s[8:9], v39, s49, v[1:2]
	v_cmp_lt_u32_e64 s[8:9], 31, v40
	v_cndmask_b32_e64 v1, 0, v28, s[8:9]
	v_add_u32_e32 v40, v1, v40
	v_mov_b32_e32 v1, v38
	v_mad_u64_u32 v[38:39], s[10:11], v39, s50, v[1:2]
	v_cmp_lt_u32_e64 s[10:11], 31, v40
	v_cndmask_b32_e64 v1, 0, v28, s[10:11]
	v_add_u32_e32 v1, v1, v40
	v_cndmask_b32_e32 v40, v37, v35, vcc
	v_cndmask_b32_e32 v38, v38, v36, vcc
	;; [unrolled: 1-line block ×4, first 2 shown]
	v_cndmask_b32_e64 v39, v38, v40, s[8:9]
	v_cndmask_b32_e64 v37, v37, v38, s[8:9]
	;; [unrolled: 1-line block ×3, first 2 shown]
	v_sub_u32_e32 v40, 32, v1
	v_cmp_eq_u32_e64 s[12:13], 0, v1
	v_cndmask_b32_e32 v1, v35, v33, vcc
	v_cndmask_b32_e64 v37, v37, v39, s[10:11]
	v_cndmask_b32_e64 v39, v39, v38, s[10:11]
	;; [unrolled: 1-line block ×3, first 2 shown]
	v_alignbit_b32 v41, v37, v39, v40
	v_cndmask_b32_e64 v35, v38, v33, s[10:11]
	v_cndmask_b32_e64 v37, v41, v37, s[12:13]
	v_alignbit_b32 v36, v39, v35, v40
	v_cndmask_b32_e32 v32, v34, v32, vcc
	v_cndmask_b32_e64 v36, v36, v39, s[12:13]
	v_bfe_u32 v41, v37, 29, 1
	v_cndmask_b32_e64 v1, v1, v32, s[8:9]
	v_alignbit_b32 v38, v37, v36, 30
	v_sub_u32_e32 v42, 0, v41
	v_cndmask_b32_e64 v1, v33, v1, s[10:11]
	v_xor_b32_e32 v38, v38, v42
	v_alignbit_b32 v32, v35, v1, v40
	v_cndmask_b32_e64 v32, v32, v35, s[12:13]
	v_ffbh_u32_e32 v34, v38
	v_alignbit_b32 v33, v36, v32, 30
	v_min_u32_e32 v34, 32, v34
	v_alignbit_b32 v1, v32, v1, 30
	v_xor_b32_e32 v33, v33, v42
	v_sub_u32_e32 v35, 31, v34
	v_xor_b32_e32 v1, v1, v42
	v_alignbit_b32 v36, v38, v33, v35
	v_alignbit_b32 v1, v33, v1, v35
	;; [unrolled: 1-line block ×3, first 2 shown]
	v_ffbh_u32_e32 v33, v32
	v_min_u32_e32 v33, 32, v33
	v_lshrrev_b32_e32 v39, 29, v37
	v_not_b32_e32 v35, v33
	v_alignbit_b32 v1, v32, v1, v35
	v_lshlrev_b32_e32 v32, 31, v39
	v_or_b32_e32 v35, 0x33000000, v32
	v_add_lshl_u32 v33, v33, v34, 23
	v_lshrrev_b32_e32 v1, 9, v1
	v_sub_u32_e32 v33, v35, v33
	v_or_b32_e32 v32, 0.5, v32
	v_lshlrev_b32_e32 v34, 23, v34
	v_or_b32_e32 v1, v33, v1
	v_lshrrev_b32_e32 v33, 9, v36
	v_sub_u32_e32 v32, v32, v34
	v_or_b32_e32 v32, v33, v32
	v_mul_f32_e32 v33, 0x3fc90fda, v32
	v_fma_f32 v34, v32, s51, -v33
	v_fmac_f32_e32 v34, 0x33a22168, v32
	v_fmac_f32_e32 v34, 0x3fc90fda, v1
	v_lshrrev_b32_e32 v32, 30, v37
	v_add_f32_e32 v1, v33, v34
	v_add_u32_e32 v32, v41, v32
.LBB156_288:                            ;   in Loop: Header=BB156_161 Depth=1
	s_andn2_saveexec_b64 s[8:9], s[30:31]
; %bb.289:                              ;   in Loop: Header=BB156_161 Depth=1
	v_mul_f32_e64 v1, |v18|, s52
	v_rndne_f32_e32 v33, v1
	v_cvt_i32_f32_e32 v32, v33
	v_fma_f32 v1, v33, s53, |v18|
	v_fmac_f32_e32 v1, 0xb3a22168, v33
	v_fmac_f32_e32 v1, 0xa7c234c4, v33
; %bb.290:                              ;   in Loop: Header=BB156_161 Depth=1
	s_or_b64 exec, exec, s[8:9]
	v_mul_f32_e32 v33, v1, v1
	v_mov_b32_e32 v34, 0xbf039337
	v_fmac_f32_e32 v34, 0x3c971480, v33
	v_fma_f32 v34, v33, v34, v19
	v_rcp_f32_e32 v34, v34
	v_mov_b32_e32 v35, 0x3ec54587
	v_fmac_f32_e32 v35, 0xbc8cedd3, v33
	v_and_b32_e32 v32, 1, v32
	v_mul_f32_e32 v34, v35, v34
	v_mul_f32_e32 v33, v33, v34
	v_fma_f32 v34, v33, v1, v1
	v_rcp_f32_e32 v35, v34
	v_sub_f32_e32 v36, v34, v1
	v_fma_f32 v1, v33, v1, -v36
	v_cmp_eq_u32_e32 vcc, 0, v32
	v_fma_f32 v33, v34, -v35, 1.0
	v_fma_f32 v1, v1, -v35, v33
	v_add_f32_e64 v32, |v17|, s54
	v_fma_f32 v1, v1, -v35, -v35
	v_sub_f32_e64 v33, v32, |v17|
	v_cndmask_b32_e32 v1, v1, v34, vcc
	v_sub_f32_e32 v34, v33, v32
	v_add_f32_e64 v34, |v17|, v34
	v_add_f32_e32 v33, 0x3f317218, v33
	v_sub_f32_e32 v33, v34, v33
	v_add_f32_e32 v33, 0x3102e308, v33
	v_add_f32_e32 v34, v32, v33
	v_sub_f32_e32 v32, v32, v34
	v_add_f32_e32 v32, v33, v32
	v_mul_f32_e32 v33, 0x3fb8aa3b, v34
	v_rndne_f32_e32 v33, v33
	v_fmac_f32_e32 v34, 0xbf317200, v33
	v_add_f32_e32 v35, v32, v34
	v_sub_f32_e32 v34, v34, v35
	v_add_f32_e32 v32, v32, v34
	v_mul_f32_e32 v34, 0x35bfbc00, v33
	v_sub_f32_e32 v36, v35, v34
	v_sub_f32_e32 v35, v35, v36
	;; [unrolled: 1-line block ×3, first 2 shown]
	v_add_f32_e32 v32, v32, v34
	v_add_f32_e32 v34, v36, v32
	v_sub_f32_e32 v35, v36, v34
	v_add_f32_e32 v32, v32, v35
	v_mul_f32_e32 v35, 0x2ea39ef3, v33
	v_sub_f32_e32 v36, v34, v35
	v_sub_f32_e32 v34, v34, v36
	;; [unrolled: 1-line block ×3, first 2 shown]
	v_add_f32_e32 v32, v32, v34
	v_add_f32_e32 v34, v36, v32
	v_sub_f32_e32 v36, v36, v34
	v_mov_b32_e32 v35, 0x3c091de6
	v_add_f32_e32 v32, v32, v36
	v_mul_f32_e32 v37, v34, v34
	v_fmac_f32_e32 v35, 0x3ab42872, v34
	v_add_f32_e32 v36, v32, v32
	v_fma_f32 v38, v34, v34, -v37
	v_fma_f32 v35, v34, v35, v20
	v_fmac_f32_e32 v38, v34, v36
	v_fma_f32 v35, v34, v35, v21
	v_add_f32_e32 v36, v37, v38
	v_fma_f32 v35, v34, v35, v22
	v_sub_f32_e32 v37, v36, v37
	v_sub_f32_e32 v37, v38, v37
	v_mul_f32_e32 v38, v35, v36
	v_fma_f32 v36, v36, v35, -v38
	v_fmac_f32_e32 v36, v37, v35
	v_add_f32_e32 v35, v38, v36
	v_sub_f32_e32 v37, v35, v38
	v_sub_f32_e32 v36, v36, v37
	v_add_f32_e32 v37, v34, v35
	v_sub_f32_e32 v34, v37, v34
	v_sub_f32_e32 v34, v35, v34
	v_add_f32_e32 v32, v32, v36
	v_add_f32_e32 v32, v32, v34
	;; [unrolled: 1-line block ×3, first 2 shown]
	v_sub_f32_e32 v35, v34, v37
	v_sub_f32_e32 v32, v32, v35
	v_add_f32_e32 v35, 1.0, v34
	v_add_f32_e32 v36, -1.0, v35
	v_cvt_i32_f32_e32 v33, v33
	v_sub_f32_e32 v34, v34, v36
	v_add_f32_e32 v32, v32, v34
	v_add_f32_e32 v34, v35, v32
	v_ldexp_f32 v36, v34, v33
	v_rcp_f32_e32 v37, v36
	v_sub_f32_e32 v34, v34, v35
	v_sub_f32_e32 v32, v32, v34
	v_ldexp_f32 v32, v32, v33
	v_mul_f32_e32 v33, v36, v37
	v_fma_f32 v34, v37, v36, -v33
	v_fmac_f32_e32 v34, v37, v32
	v_add_f32_e32 v35, v33, v34
	v_sub_f32_e32 v38, 1.0, v35
	v_sub_f32_e32 v39, 1.0, v38
	v_sub_f32_e32 v33, v35, v33
	v_sub_f32_e32 v39, v39, v35
	;; [unrolled: 1-line block ×3, first 2 shown]
	v_add_f32_e32 v33, v33, v39
	v_add_f32_e32 v34, v38, v33
	v_mul_f32_e32 v35, v37, v34
	v_mul_f32_e32 v39, v36, v35
	v_fma_f32 v40, v35, v36, -v39
	v_fmac_f32_e32 v40, v35, v32
	v_sub_f32_e32 v38, v38, v34
	v_add_f32_e32 v33, v33, v38
	v_add_f32_e32 v38, v39, v40
	v_sub_f32_e32 v41, v34, v38
	v_sub_f32_e32 v34, v34, v41
	;; [unrolled: 1-line block ×4, first 2 shown]
	v_add_f32_e32 v33, v33, v34
	v_sub_f32_e32 v34, v39, v40
	v_add_f32_e32 v33, v34, v33
	v_add_f32_e32 v33, v41, v33
	;; [unrolled: 1-line block ×3, first 2 shown]
	v_mul_f32_e32 v33, v37, v33
	v_sub_f32_e32 v37, v34, v37
	v_sub_f32_e32 v35, v35, v37
	v_add_f32_e32 v33, v35, v33
	v_add_f32_e32 v35, v34, v33
	v_sub_f32_e32 v34, v35, v34
	v_sub_f32_e32 v33, v33, v34
	v_ldexp_f32 v34, v35, -2
	v_sub_f32_e32 v35, v36, v34
	v_sub_f32_e32 v36, v36, v35
	;; [unrolled: 1-line block ×3, first 2 shown]
	v_ldexp_f32 v33, v33, -2
	v_add_f32_e32 v32, v32, v34
	v_sub_f32_e32 v32, v32, v33
	v_add_f32_e32 v32, v35, v32
	v_cmp_ngt_f32_e64 vcc, |v17|, s55
	v_cndmask_b32_e32 v32, v29, v32, vcc
	v_cmp_lt_f32_e64 s[8:9], |v17|, s56
	v_cndmask_b32_e64 v32, v32, |v17|, s[8:9]
	v_bfi_b32 v17, s39, v32, v17
	v_fma_f32 v32, v17, v17, 1.0
	v_mul_f32_e32 v33, 0x4f800000, v32
	v_cmp_gt_f32_e32 vcc, s57, v32
	v_cndmask_b32_e32 v32, v32, v33, vcc
	v_sqrt_f32_e32 v33, v32
	v_xor_b32_e32 v1, v31, v1
	v_xor_b32_e32 v1, v1, v18
	v_fma_f32 v18, v1, v1, 1.0
	v_add_u32_e32 v31, -1, v33
	v_fma_f32 v34, -v31, v33, v32
	v_cmp_ge_f32_e64 s[8:9], 0, v34
	v_add_u32_e32 v34, 1, v33
	v_cndmask_b32_e64 v31, v33, v31, s[8:9]
	v_fma_f32 v33, -v34, v33, v32
	v_cmp_lt_f32_e64 s[8:9], 0, v33
	v_cndmask_b32_e64 v31, v31, v34, s[8:9]
	v_mul_f32_e32 v33, 0x37800000, v31
	v_cndmask_b32_e32 v31, v31, v33, vcc
	v_cmp_class_f32_e32 vcc, v32, v23
	v_cndmask_b32_e32 v31, v31, v32, vcc
	v_mul_f32_e32 v32, v17, v18
	v_mul_f32_e32 v18, v31, v18
	v_fma_f32 v32, v17, v32, 1.0
	v_mul_f32_e32 v17, v17, v18
	v_div_scale_f32 v18, s[8:9], v32, v32, v17
	v_div_scale_f32 v31, vcc, v17, v32, v17
	v_div_scale_f32 v33, s[8:9], v32, v32, v1
	v_div_scale_f32 v34, s[8:9], v1, v32, v1
	v_rcp_f32_e32 v35, v18
	v_fma_f32 v36, -v18, v35, 1.0
	v_fmac_f32_e32 v35, v36, v35
	v_mul_f32_e32 v36, v31, v35
	v_fma_f32 v37, -v18, v36, v31
	v_fmac_f32_e32 v36, v37, v35
	v_rcp_f32_e32 v37, v33
	v_fma_f32 v18, -v18, v36, v31
	v_div_fmas_f32 v18, v18, v35, v36
	s_mov_b64 vcc, s[8:9]
	v_fma_f32 v31, -v33, v37, 1.0
	v_fmac_f32_e32 v37, v31, v37
	v_mul_f32_e32 v31, v34, v37
	v_fma_f32 v35, -v33, v31, v34
	v_fmac_f32_e32 v31, v35, v37
	v_fma_f32 v33, -v33, v31, v34
	v_div_fmas_f32 v31, v33, v37, v31
	v_div_fixup_f32 v17, v18, v32, v17
	v_div_fixup_f32 v18, v31, v32, v1
                                        ; implicit-def: $vgpr31
.LBB156_291:                            ;   in Loop: Header=BB156_161 Depth=1
	s_andn2_saveexec_b64 s[28:29], s[28:29]
	s_cbranch_execz .LBB156_312
; %bb.292:                              ;   in Loop: Header=BB156_161 Depth=1
	v_cmp_nlt_f32_e64 s[30:31], |v18|, s43
                                        ; implicit-def: $vgpr32
                                        ; implicit-def: $vgpr33
	s_and_saveexec_b64 s[8:9], s[30:31]
	s_xor_b64 s[34:35], exec, s[8:9]
	s_cbranch_execz .LBB156_301
; %bb.293:                              ;   in Loop: Header=BB156_161 Depth=1
	v_and_b32_e32 v1, 0x7fffff, v31
	v_or_b32_e32 v39, 0x800000, v1
	v_mad_u64_u32 v[32:33], s[8:9], v39, s44, 0
	v_mov_b32_e32 v1, v33
	v_mad_u64_u32 v[33:34], s[8:9], v39, s45, v[1:2]
	v_mov_b32_e32 v1, v34
	;; [unrolled: 2-line block ×3, first 2 shown]
	v_mad_u64_u32 v[35:36], s[8:9], v39, s47, v[1:2]
	v_lshrrev_b32_e32 v1, 23, v31
	v_add_u32_e32 v38, 0xffffff88, v1
	v_mov_b32_e32 v1, v36
	v_mad_u64_u32 v[36:37], s[8:9], v39, s48, v[1:2]
	v_cmp_lt_u32_e32 vcc, 63, v38
	v_cndmask_b32_e32 v1, 0, v27, vcc
	v_add_u32_e32 v40, v1, v38
	v_mov_b32_e32 v1, v37
	v_mad_u64_u32 v[37:38], s[8:9], v39, s49, v[1:2]
	v_cmp_lt_u32_e64 s[8:9], 31, v40
	v_cndmask_b32_e64 v1, 0, v28, s[8:9]
	v_add_u32_e32 v40, v1, v40
	v_mov_b32_e32 v1, v38
	v_mad_u64_u32 v[38:39], s[10:11], v39, s50, v[1:2]
	v_cmp_lt_u32_e64 s[10:11], 31, v40
	v_cndmask_b32_e64 v1, 0, v28, s[10:11]
	v_add_u32_e32 v1, v1, v40
	v_cndmask_b32_e32 v40, v37, v35, vcc
	v_cndmask_b32_e32 v38, v38, v36, vcc
	;; [unrolled: 1-line block ×4, first 2 shown]
	v_cndmask_b32_e64 v39, v38, v40, s[8:9]
	v_cndmask_b32_e64 v37, v37, v38, s[8:9]
	;; [unrolled: 1-line block ×3, first 2 shown]
	v_cndmask_b32_e32 v33, v35, v33, vcc
	v_cndmask_b32_e64 v37, v37, v39, s[10:11]
	v_cndmask_b32_e64 v39, v39, v38, s[10:11]
	v_sub_u32_e32 v40, 32, v1
	v_cndmask_b32_e64 v35, v36, v33, s[8:9]
	v_alignbit_b32 v41, v37, v39, v40
	v_cmp_eq_u32_e64 s[12:13], 0, v1
	v_cndmask_b32_e64 v36, v38, v35, s[10:11]
	v_cndmask_b32_e64 v1, v41, v37, s[12:13]
	v_alignbit_b32 v37, v39, v36, v40
	v_cndmask_b32_e32 v32, v34, v32, vcc
	v_cndmask_b32_e64 v37, v37, v39, s[12:13]
	v_bfe_u32 v41, v1, 29, 1
	v_cndmask_b32_e64 v32, v33, v32, s[8:9]
	v_alignbit_b32 v38, v1, v37, 30
	v_sub_u32_e32 v42, 0, v41
	v_cndmask_b32_e64 v32, v35, v32, s[10:11]
	v_xor_b32_e32 v38, v38, v42
	v_alignbit_b32 v33, v36, v32, v40
	v_cndmask_b32_e64 v33, v33, v36, s[12:13]
	v_ffbh_u32_e32 v35, v38
	v_alignbit_b32 v34, v37, v33, 30
	v_min_u32_e32 v35, 32, v35
	v_alignbit_b32 v32, v33, v32, 30
	v_xor_b32_e32 v34, v34, v42
	v_sub_u32_e32 v36, 31, v35
	v_xor_b32_e32 v32, v32, v42
	v_alignbit_b32 v37, v38, v34, v36
	v_alignbit_b32 v32, v34, v32, v36
	;; [unrolled: 1-line block ×3, first 2 shown]
	v_ffbh_u32_e32 v34, v33
	v_min_u32_e32 v34, 32, v34
	v_lshrrev_b32_e32 v39, 29, v1
	v_not_b32_e32 v36, v34
	v_alignbit_b32 v32, v33, v32, v36
	v_lshlrev_b32_e32 v33, 31, v39
	v_or_b32_e32 v36, 0x33000000, v33
	v_add_lshl_u32 v34, v34, v35, 23
	v_lshrrev_b32_e32 v32, 9, v32
	v_sub_u32_e32 v34, v36, v34
	v_or_b32_e32 v33, 0.5, v33
	v_lshlrev_b32_e32 v35, 23, v35
	v_or_b32_e32 v32, v34, v32
	v_lshrrev_b32_e32 v34, 9, v37
	v_sub_u32_e32 v33, v33, v35
	v_or_b32_e32 v33, v34, v33
	v_mul_f32_e32 v34, 0x3fc90fda, v33
	v_fma_f32 v35, v33, s51, -v34
	v_fmac_f32_e32 v35, 0x33a22168, v33
	v_fmac_f32_e32 v35, 0x3fc90fda, v32
	v_lshrrev_b32_e32 v1, 30, v1
	v_add_f32_e32 v33, v34, v35
	v_add_u32_e32 v32, v41, v1
	s_andn2_saveexec_b64 s[8:9], s[34:35]
	s_branch .LBB156_302
.LBB156_294:                            ;   in Loop: Header=BB156_161 Depth=1
	s_andn2_saveexec_b64 s[24:25], s[24:25]
	s_cbranch_execz .LBB156_316
.LBB156_295:                            ;   in Loop: Header=BB156_161 Depth=1
	v_and_b32_e32 v1, 0x7fffff, v17
	v_cmp_ne_u32_e32 vcc, 0, v1
	s_and_saveexec_b64 s[8:9], vcc
	s_xor_b64 s[8:9], exec, s[8:9]
; %bb.296:                              ;   in Loop: Header=BB156_161 Depth=1
	v_mul_f32_e32 v1, v18, v17
	v_cmp_eq_f32_e32 vcc, 0, v18
	v_cndmask_b32_e32 v18, v1, v18, vcc
; %bb.297:                              ;   in Loop: Header=BB156_161 Depth=1
	s_andn2_saveexec_b64 s[26:27], s[8:9]
	s_cbranch_execz .LBB156_324
; %bb.298:                              ;   in Loop: Header=BB156_161 Depth=1
	v_cmp_neq_f32_e64 s[8:9], |v18|, s40
	s_and_saveexec_b64 s[28:29], s[8:9]
	s_cbranch_execz .LBB156_323
; %bb.299:                              ;   in Loop: Header=BB156_161 Depth=1
	v_and_b32_e32 v31, 0x7fffffff, v18
	v_cmp_nlt_f32_e64 s[30:31], |v18|, s43
                                        ; implicit-def: $vgpr32
                                        ; implicit-def: $vgpr33
	s_and_saveexec_b64 s[8:9], s[30:31]
	s_xor_b64 s[34:35], exec, s[8:9]
	s_cbranch_execz .LBB156_305
; %bb.300:                              ;   in Loop: Header=BB156_161 Depth=1
	v_and_b32_e32 v1, 0x7fffff, v31
	v_or_b32_e32 v39, 0x800000, v1
	v_mad_u64_u32 v[32:33], s[8:9], v39, s44, 0
	v_mov_b32_e32 v1, v33
	v_mad_u64_u32 v[33:34], s[8:9], v39, s45, v[1:2]
	v_mov_b32_e32 v1, v34
	;; [unrolled: 2-line block ×3, first 2 shown]
	v_mad_u64_u32 v[35:36], s[8:9], v39, s47, v[1:2]
	v_lshrrev_b32_e32 v1, 23, v31
	v_add_u32_e32 v38, 0xffffff88, v1
	v_mov_b32_e32 v1, v36
	v_mad_u64_u32 v[36:37], s[8:9], v39, s48, v[1:2]
	v_cmp_lt_u32_e32 vcc, 63, v38
	v_cndmask_b32_e32 v1, 0, v27, vcc
	v_add_u32_e32 v40, v1, v38
	v_mov_b32_e32 v1, v37
	v_mad_u64_u32 v[37:38], s[8:9], v39, s49, v[1:2]
	v_cmp_lt_u32_e64 s[8:9], 31, v40
	v_cndmask_b32_e64 v1, 0, v28, s[8:9]
	v_add_u32_e32 v40, v1, v40
	v_mov_b32_e32 v1, v38
	v_mad_u64_u32 v[38:39], s[10:11], v39, s50, v[1:2]
	v_cmp_lt_u32_e64 s[10:11], 31, v40
	v_cndmask_b32_e64 v1, 0, v28, s[10:11]
	v_add_u32_e32 v1, v1, v40
	v_cndmask_b32_e32 v40, v37, v35, vcc
	v_cndmask_b32_e32 v38, v38, v36, vcc
	;; [unrolled: 1-line block ×4, first 2 shown]
	v_cndmask_b32_e64 v39, v38, v40, s[8:9]
	v_cndmask_b32_e64 v37, v37, v38, s[8:9]
	;; [unrolled: 1-line block ×3, first 2 shown]
	v_cndmask_b32_e32 v33, v35, v33, vcc
	v_cndmask_b32_e64 v37, v37, v39, s[10:11]
	v_cndmask_b32_e64 v39, v39, v38, s[10:11]
	v_sub_u32_e32 v40, 32, v1
	v_cndmask_b32_e64 v35, v36, v33, s[8:9]
	v_alignbit_b32 v41, v37, v39, v40
	v_cmp_eq_u32_e64 s[12:13], 0, v1
	v_cndmask_b32_e64 v36, v38, v35, s[10:11]
	v_cndmask_b32_e64 v1, v41, v37, s[12:13]
	v_alignbit_b32 v37, v39, v36, v40
	v_cndmask_b32_e32 v32, v34, v32, vcc
	v_cndmask_b32_e64 v37, v37, v39, s[12:13]
	v_bfe_u32 v41, v1, 29, 1
	v_cndmask_b32_e64 v32, v33, v32, s[8:9]
	v_alignbit_b32 v38, v1, v37, 30
	v_sub_u32_e32 v42, 0, v41
	v_cndmask_b32_e64 v32, v35, v32, s[10:11]
	v_xor_b32_e32 v38, v38, v42
	v_alignbit_b32 v33, v36, v32, v40
	v_cndmask_b32_e64 v33, v33, v36, s[12:13]
	v_ffbh_u32_e32 v35, v38
	v_alignbit_b32 v34, v37, v33, 30
	v_min_u32_e32 v35, 32, v35
	v_alignbit_b32 v32, v33, v32, 30
	v_xor_b32_e32 v34, v34, v42
	v_sub_u32_e32 v36, 31, v35
	v_xor_b32_e32 v32, v32, v42
	v_alignbit_b32 v37, v38, v34, v36
	v_alignbit_b32 v32, v34, v32, v36
	;; [unrolled: 1-line block ×3, first 2 shown]
	v_ffbh_u32_e32 v34, v33
	v_min_u32_e32 v34, 32, v34
	v_lshrrev_b32_e32 v39, 29, v1
	v_not_b32_e32 v36, v34
	v_alignbit_b32 v32, v33, v32, v36
	v_lshlrev_b32_e32 v33, 31, v39
	v_or_b32_e32 v36, 0x33000000, v33
	v_add_lshl_u32 v34, v34, v35, 23
	v_lshrrev_b32_e32 v32, 9, v32
	v_sub_u32_e32 v34, v36, v34
	v_or_b32_e32 v33, 0.5, v33
	v_lshlrev_b32_e32 v35, 23, v35
	v_or_b32_e32 v32, v34, v32
	v_lshrrev_b32_e32 v34, 9, v37
	v_sub_u32_e32 v33, v33, v35
	v_or_b32_e32 v33, v34, v33
	v_mul_f32_e32 v34, 0x3fc90fda, v33
	v_fma_f32 v35, v33, s51, -v34
	v_fmac_f32_e32 v35, 0x33a22168, v33
	v_fmac_f32_e32 v35, 0x3fc90fda, v32
	v_lshrrev_b32_e32 v1, 30, v1
	v_add_f32_e32 v33, v34, v35
	v_add_u32_e32 v32, v41, v1
	s_andn2_saveexec_b64 s[8:9], s[34:35]
	s_branch .LBB156_306
.LBB156_301:                            ;   in Loop: Header=BB156_161 Depth=1
	s_andn2_saveexec_b64 s[8:9], s[34:35]
.LBB156_302:                            ;   in Loop: Header=BB156_161 Depth=1
	v_mul_f32_e64 v1, |v18|, s52
	v_rndne_f32_e32 v1, v1
	v_cvt_i32_f32_e32 v32, v1
	v_fma_f32 v33, v1, s53, |v18|
	v_fmac_f32_e32 v33, 0xb3a22168, v1
	v_fmac_f32_e32 v33, 0xa7c234c4, v1
; %bb.303:                              ;   in Loop: Header=BB156_161 Depth=1
	s_or_b64 exec, exec, s[8:9]
                                        ; implicit-def: $vgpr1
                                        ; implicit-def: $vgpr34
	s_and_saveexec_b64 s[8:9], s[30:31]
	s_xor_b64 s[30:31], exec, s[8:9]
	s_cbranch_execz .LBB156_309
; %bb.304:                              ;   in Loop: Header=BB156_161 Depth=1
	v_and_b32_e32 v1, 0x7fffff, v31
	v_or_b32_e32 v41, 0x800000, v1
	v_mad_u64_u32 v[34:35], s[8:9], v41, s44, 0
	v_mov_b32_e32 v1, v35
	v_mad_u64_u32 v[35:36], s[8:9], v41, s45, v[1:2]
	v_mov_b32_e32 v1, v36
	;; [unrolled: 2-line block ×3, first 2 shown]
	v_mad_u64_u32 v[37:38], s[8:9], v41, s47, v[1:2]
	v_lshrrev_b32_e32 v1, 23, v31
	v_add_u32_e32 v40, 0xffffff88, v1
	v_mov_b32_e32 v1, v38
	v_mad_u64_u32 v[38:39], s[8:9], v41, s48, v[1:2]
	v_cmp_lt_u32_e32 vcc, 63, v40
	v_cndmask_b32_e32 v1, 0, v27, vcc
	v_add_u32_e32 v42, v1, v40
	v_mov_b32_e32 v1, v39
	v_mad_u64_u32 v[39:40], s[8:9], v41, s49, v[1:2]
	v_cmp_lt_u32_e64 s[8:9], 31, v42
	v_cndmask_b32_e64 v1, 0, v28, s[8:9]
	v_add_u32_e32 v42, v1, v42
	v_mov_b32_e32 v1, v40
	v_mad_u64_u32 v[40:41], s[10:11], v41, s50, v[1:2]
	v_cmp_lt_u32_e64 s[10:11], 31, v42
	v_cndmask_b32_e64 v1, 0, v28, s[10:11]
	v_add_u32_e32 v1, v1, v42
	v_cndmask_b32_e32 v42, v39, v37, vcc
	v_cndmask_b32_e32 v40, v40, v38, vcc
	v_cndmask_b32_e32 v39, v41, v39, vcc
	v_cndmask_b32_e32 v38, v38, v36, vcc
	v_cndmask_b32_e64 v41, v40, v42, s[8:9]
	v_cndmask_b32_e64 v39, v39, v40, s[8:9]
	;; [unrolled: 1-line block ×3, first 2 shown]
	v_cndmask_b32_e32 v35, v37, v35, vcc
	v_cndmask_b32_e64 v39, v39, v41, s[10:11]
	v_cndmask_b32_e64 v41, v41, v40, s[10:11]
	v_sub_u32_e32 v42, 32, v1
	v_cndmask_b32_e64 v37, v38, v35, s[8:9]
	v_alignbit_b32 v43, v39, v41, v42
	v_cmp_eq_u32_e64 s[12:13], 0, v1
	v_cndmask_b32_e64 v38, v40, v37, s[10:11]
	v_cndmask_b32_e64 v1, v43, v39, s[12:13]
	v_alignbit_b32 v39, v41, v38, v42
	v_cndmask_b32_e32 v34, v36, v34, vcc
	v_cndmask_b32_e64 v39, v39, v41, s[12:13]
	v_bfe_u32 v43, v1, 29, 1
	v_cndmask_b32_e64 v34, v35, v34, s[8:9]
	v_alignbit_b32 v40, v1, v39, 30
	v_sub_u32_e32 v44, 0, v43
	v_cndmask_b32_e64 v34, v37, v34, s[10:11]
	v_xor_b32_e32 v40, v40, v44
	v_alignbit_b32 v35, v38, v34, v42
	v_cndmask_b32_e64 v35, v35, v38, s[12:13]
	v_ffbh_u32_e32 v37, v40
	v_alignbit_b32 v36, v39, v35, 30
	v_min_u32_e32 v37, 32, v37
	v_alignbit_b32 v34, v35, v34, 30
	v_xor_b32_e32 v36, v36, v44
	v_sub_u32_e32 v38, 31, v37
	v_xor_b32_e32 v34, v34, v44
	v_alignbit_b32 v39, v40, v36, v38
	v_alignbit_b32 v34, v36, v34, v38
	;; [unrolled: 1-line block ×3, first 2 shown]
	v_ffbh_u32_e32 v36, v35
	v_min_u32_e32 v36, 32, v36
	v_lshrrev_b32_e32 v41, 29, v1
	v_not_b32_e32 v38, v36
	v_alignbit_b32 v34, v35, v34, v38
	v_lshlrev_b32_e32 v35, 31, v41
	v_or_b32_e32 v38, 0x33000000, v35
	v_add_lshl_u32 v36, v36, v37, 23
	v_lshrrev_b32_e32 v34, 9, v34
	v_sub_u32_e32 v36, v38, v36
	v_or_b32_e32 v35, 0.5, v35
	v_lshlrev_b32_e32 v37, 23, v37
	v_or_b32_e32 v34, v36, v34
	v_lshrrev_b32_e32 v36, 9, v39
	v_sub_u32_e32 v35, v35, v37
	v_or_b32_e32 v35, v36, v35
	v_mul_f32_e32 v36, 0x3fc90fda, v35
	v_fma_f32 v37, v35, s51, -v36
	v_fmac_f32_e32 v37, 0x33a22168, v35
	v_fmac_f32_e32 v37, 0x3fc90fda, v34
	v_lshrrev_b32_e32 v1, 30, v1
	v_add_f32_e32 v34, v36, v37
	v_add_u32_e32 v1, v43, v1
	s_andn2_saveexec_b64 s[8:9], s[30:31]
	s_cbranch_execnz .LBB156_310
	s_branch .LBB156_311
.LBB156_305:                            ;   in Loop: Header=BB156_161 Depth=1
	s_andn2_saveexec_b64 s[8:9], s[34:35]
.LBB156_306:                            ;   in Loop: Header=BB156_161 Depth=1
	v_mul_f32_e64 v1, |v18|, s52
	v_rndne_f32_e32 v1, v1
	v_cvt_i32_f32_e32 v32, v1
	v_fma_f32 v33, v1, s53, |v18|
	v_fmac_f32_e32 v33, 0xb3a22168, v1
	v_fmac_f32_e32 v33, 0xa7c234c4, v1
; %bb.307:                              ;   in Loop: Header=BB156_161 Depth=1
	s_or_b64 exec, exec, s[8:9]
                                        ; implicit-def: $vgpr1
                                        ; implicit-def: $vgpr34
	s_and_saveexec_b64 s[8:9], s[30:31]
	s_xor_b64 s[30:31], exec, s[8:9]
	s_cbranch_execz .LBB156_320
; %bb.308:                              ;   in Loop: Header=BB156_161 Depth=1
	v_and_b32_e32 v1, 0x7fffff, v31
	v_or_b32_e32 v41, 0x800000, v1
	v_mad_u64_u32 v[34:35], s[8:9], v41, s44, 0
	v_mov_b32_e32 v1, v35
	v_mad_u64_u32 v[35:36], s[8:9], v41, s45, v[1:2]
	v_mov_b32_e32 v1, v36
	v_mad_u64_u32 v[36:37], s[8:9], v41, s46, v[1:2]
	v_mov_b32_e32 v1, v37
	v_mad_u64_u32 v[37:38], s[8:9], v41, s47, v[1:2]
	v_lshrrev_b32_e32 v1, 23, v31
	v_add_u32_e32 v40, 0xffffff88, v1
	v_mov_b32_e32 v1, v38
	v_mad_u64_u32 v[38:39], s[8:9], v41, s48, v[1:2]
	v_cmp_lt_u32_e32 vcc, 63, v40
	v_cndmask_b32_e32 v1, 0, v27, vcc
	v_add_u32_e32 v42, v1, v40
	v_mov_b32_e32 v1, v39
	v_mad_u64_u32 v[39:40], s[8:9], v41, s49, v[1:2]
	v_cmp_lt_u32_e64 s[8:9], 31, v42
	v_cndmask_b32_e64 v1, 0, v28, s[8:9]
	v_add_u32_e32 v42, v1, v42
	v_mov_b32_e32 v1, v40
	v_mad_u64_u32 v[40:41], s[10:11], v41, s50, v[1:2]
	v_cmp_lt_u32_e64 s[10:11], 31, v42
	v_cndmask_b32_e64 v1, 0, v28, s[10:11]
	v_add_u32_e32 v1, v1, v42
	v_cndmask_b32_e32 v42, v39, v37, vcc
	v_cndmask_b32_e32 v40, v40, v38, vcc
	;; [unrolled: 1-line block ×4, first 2 shown]
	v_cndmask_b32_e64 v41, v40, v42, s[8:9]
	v_cndmask_b32_e64 v39, v39, v40, s[8:9]
	;; [unrolled: 1-line block ×3, first 2 shown]
	v_cndmask_b32_e32 v35, v37, v35, vcc
	v_cndmask_b32_e64 v39, v39, v41, s[10:11]
	v_cndmask_b32_e64 v41, v41, v40, s[10:11]
	v_sub_u32_e32 v42, 32, v1
	v_cndmask_b32_e64 v37, v38, v35, s[8:9]
	v_alignbit_b32 v43, v39, v41, v42
	v_cmp_eq_u32_e64 s[12:13], 0, v1
	v_cndmask_b32_e64 v38, v40, v37, s[10:11]
	v_cndmask_b32_e64 v1, v43, v39, s[12:13]
	v_alignbit_b32 v39, v41, v38, v42
	v_cndmask_b32_e32 v34, v36, v34, vcc
	v_cndmask_b32_e64 v39, v39, v41, s[12:13]
	v_bfe_u32 v43, v1, 29, 1
	v_cndmask_b32_e64 v34, v35, v34, s[8:9]
	v_alignbit_b32 v40, v1, v39, 30
	v_sub_u32_e32 v44, 0, v43
	v_cndmask_b32_e64 v34, v37, v34, s[10:11]
	v_xor_b32_e32 v40, v40, v44
	v_alignbit_b32 v35, v38, v34, v42
	v_cndmask_b32_e64 v35, v35, v38, s[12:13]
	v_ffbh_u32_e32 v37, v40
	v_alignbit_b32 v36, v39, v35, 30
	v_min_u32_e32 v37, 32, v37
	v_alignbit_b32 v34, v35, v34, 30
	v_xor_b32_e32 v36, v36, v44
	v_sub_u32_e32 v38, 31, v37
	v_xor_b32_e32 v34, v34, v44
	v_alignbit_b32 v39, v40, v36, v38
	v_alignbit_b32 v34, v36, v34, v38
	;; [unrolled: 1-line block ×3, first 2 shown]
	v_ffbh_u32_e32 v36, v35
	v_min_u32_e32 v36, 32, v36
	v_lshrrev_b32_e32 v41, 29, v1
	v_not_b32_e32 v38, v36
	v_alignbit_b32 v34, v35, v34, v38
	v_lshlrev_b32_e32 v35, 31, v41
	v_or_b32_e32 v38, 0x33000000, v35
	v_add_lshl_u32 v36, v36, v37, 23
	v_lshrrev_b32_e32 v34, 9, v34
	v_sub_u32_e32 v36, v38, v36
	v_or_b32_e32 v35, 0.5, v35
	v_lshlrev_b32_e32 v37, 23, v37
	v_or_b32_e32 v34, v36, v34
	v_lshrrev_b32_e32 v36, 9, v39
	v_sub_u32_e32 v35, v35, v37
	v_or_b32_e32 v35, v36, v35
	v_mul_f32_e32 v36, 0x3fc90fda, v35
	v_fma_f32 v37, v35, s51, -v36
	v_fmac_f32_e32 v37, 0x33a22168, v35
	v_fmac_f32_e32 v37, 0x3fc90fda, v34
	v_lshrrev_b32_e32 v1, 30, v1
	v_add_f32_e32 v34, v36, v37
	v_add_u32_e32 v1, v43, v1
	s_andn2_saveexec_b64 s[8:9], s[30:31]
	s_cbranch_execnz .LBB156_321
	s_branch .LBB156_322
.LBB156_309:                            ;   in Loop: Header=BB156_161 Depth=1
	s_andn2_saveexec_b64 s[8:9], s[30:31]
.LBB156_310:                            ;   in Loop: Header=BB156_161 Depth=1
	v_mul_f32_e64 v1, |v18|, s52
	v_rndne_f32_e32 v35, v1
	v_cvt_i32_f32_e32 v1, v35
	v_fma_f32 v34, v35, s53, |v18|
	v_fmac_f32_e32 v34, 0xb3a22168, v35
	v_fmac_f32_e32 v34, 0xa7c234c4, v35
.LBB156_311:                            ;   in Loop: Header=BB156_161 Depth=1
	s_or_b64 exec, exec, s[8:9]
	v_mul_f32_e32 v35, v33, v33
	v_mov_b32_e32 v36, 0x3c0881c4
	v_fmac_f32_e32 v36, 0xb94c1982, v35
	v_fma_f32 v36, v35, v36, v24
	v_mul_f32_e32 v36, v35, v36
	v_fmac_f32_e32 v33, v33, v36
	v_mov_b32_e32 v36, 0xbab64f3b
	v_fmac_f32_e32 v36, 0x37d75334, v35
	v_fma_f32 v36, v35, v36, v25
	v_fma_f32 v36, v35, v36, v26
	v_fma_f32 v35, v35, v36, 1.0
	v_and_b32_e32 v36, 1, v32
	v_lshlrev_b32_e32 v32, 30, v32
	v_and_b32_e32 v32, 0x80000000, v32
	v_cmp_eq_u32_e32 vcc, 0, v36
	v_xor_b32_e32 v31, v31, v32
	v_mul_f32_e64 v32, |v17|, s58
	v_cndmask_b32_e32 v33, v35, v33, vcc
	v_rndne_f32_e32 v35, v32
	v_sub_f32_e32 v36, v32, v35
	v_fma_f32 v32, |v17|, s58, -v32
	v_fma_f32 v32, |v17|, s59, v32
	v_add_f32_e32 v32, v36, v32
	v_exp_f32_e32 v32, v32
	v_cvt_i32_f32_e32 v35, v35
	v_xor_b32_e32 v31, v31, v33
	v_xor_b32_e32 v18, v31, v18
	v_mov_b32_e32 v33, 0x3c0881c4
	v_ldexp_f32 v31, v32, v35
	v_mul_f32_e32 v32, v34, v34
	v_fmac_f32_e32 v33, 0xb94c1982, v32
	v_fma_f32 v33, v32, v33, v24
	v_mul_f32_e32 v33, v32, v33
	v_fmac_f32_e32 v34, v34, v33
	v_mov_b32_e32 v33, 0xbab64f3b
	v_fmac_f32_e32 v33, 0x37d75334, v32
	v_fma_f32 v33, v32, v33, v25
	v_cmp_ngt_f32_e64 vcc, |v17|, s60
	v_fma_f32 v33, v32, v33, v26
	v_cndmask_b32_e32 v31, 0, v31, vcc
	v_cmp_nlt_f32_e64 vcc, |v17|, s61
	v_fma_f32 v32, v32, v33, 1.0
	v_and_b32_e32 v33, 1, v1
	v_cndmask_b32_e32 v31, v29, v31, vcc
	v_cmp_eq_u32_e32 vcc, 0, v33
	v_lshlrev_b32_e32 v1, 30, v1
	v_cndmask_b32_e64 v32, -v34, v32, vcc
	v_and_b32_e32 v1, 0x80000000, v1
	v_mul_f32_e32 v18, 4.0, v18
	v_xor_b32_e32 v1, v1, v32
	v_mul_f32_e32 v1, v18, v1
	v_mul_f32_e32 v1, v31, v1
	v_bfi_b32 v17, s39, 1.0, v17
	v_mul_f32_e32 v18, v31, v1
.LBB156_312:                            ;   in Loop: Header=BB156_161 Depth=1
	s_or_b64 exec, exec, s[28:29]
.LBB156_313:                            ;   in Loop: Header=BB156_161 Depth=1
	s_andn2_saveexec_b64 s[8:9], s[26:27]
; %bb.314:                              ;   in Loop: Header=BB156_161 Depth=1
	v_sub_f32_e32 v18, v18, v18
	v_mov_b32_e32 v17, v18
; %bb.315:                              ;   in Loop: Header=BB156_161 Depth=1
	s_or_b64 exec, exec, s[8:9]
	s_andn2_saveexec_b64 s[24:25], s[24:25]
	s_cbranch_execnz .LBB156_295
.LBB156_316:                            ;   in Loop: Header=BB156_161 Depth=1
	s_or_b64 exec, exec, s[24:25]
	s_and_saveexec_b64 s[8:9], s[0:1]
	s_xor_b64 s[0:1], exec, s[8:9]
	s_cbranch_execz .LBB156_325
.LBB156_317:                            ;   in Loop: Header=BB156_161 Depth=1
	v_lshlrev_b64 v[3:4], 3, v[3:4]
	v_mov_b32_e32 v1, s17
	v_add_co_u32_e32 v3, vcc, s16, v3
	v_addc_co_u32_e32 v4, vcc, v1, v4, vcc
	global_store_dwordx2 v[3:4], v[13:14], off
	s_or_b64 exec, exec, s[0:1]
	s_and_saveexec_b64 s[0:1], s[2:3]
	s_cbranch_execnz .LBB156_326
.LBB156_318:                            ;   in Loop: Header=BB156_161 Depth=1
	s_or_b64 exec, exec, s[0:1]
	s_and_saveexec_b64 s[0:1], s[4:5]
	s_cbranch_execz .LBB156_327
.LBB156_319:                            ;   in Loop: Header=BB156_161 Depth=1
	v_lshlrev_b64 v[3:4], 3, v[7:8]
	v_mov_b32_e32 v1, s17
	v_add_co_u32_e32 v3, vcc, s16, v3
	v_addc_co_u32_e32 v4, vcc, v1, v4, vcc
	global_store_dwordx2 v[3:4], v[11:12], off
	s_or_b64 exec, exec, s[0:1]
	s_and_saveexec_b64 s[0:1], s[6:7]
	s_cbranch_execz .LBB156_160
	s_branch .LBB156_328
.LBB156_320:                            ;   in Loop: Header=BB156_161 Depth=1
	s_andn2_saveexec_b64 s[8:9], s[30:31]
.LBB156_321:                            ;   in Loop: Header=BB156_161 Depth=1
	v_mul_f32_e64 v1, |v18|, s52
	v_rndne_f32_e32 v35, v1
	v_cvt_i32_f32_e32 v1, v35
	v_fma_f32 v34, v35, s53, |v18|
	v_fmac_f32_e32 v34, 0xb3a22168, v35
	v_fmac_f32_e32 v34, 0xa7c234c4, v35
.LBB156_322:                            ;   in Loop: Header=BB156_161 Depth=1
	s_or_b64 exec, exec, s[8:9]
	v_mul_f32_e32 v35, v33, v33
	v_mov_b32_e32 v36, 0x3c0881c4
	v_fmac_f32_e32 v36, 0xb94c1982, v35
	v_fma_f32 v36, v35, v36, v24
	v_mul_f32_e32 v36, v35, v36
	v_fmac_f32_e32 v33, v33, v36
	v_mov_b32_e32 v36, 0xbab64f3b
	v_fmac_f32_e32 v36, 0x37d75334, v35
	v_fma_f32 v36, v35, v36, v25
	v_fma_f32 v36, v35, v36, v26
	v_fma_f32 v35, v35, v36, 1.0
	v_and_b32_e32 v36, 1, v32
	v_lshlrev_b32_e32 v32, 30, v32
	v_cmp_eq_u32_e32 vcc, 0, v36
	v_and_b32_e32 v32, 0x80000000, v32
	v_cndmask_b32_e32 v33, v35, v33, vcc
	v_xor_b32_e32 v31, v31, v32
	v_xor_b32_e32 v31, v31, v33
	v_mul_f32_e32 v32, v34, v34
	v_mov_b32_e32 v33, 0x3c0881c4
	v_fmac_f32_e32 v33, 0xb94c1982, v32
	v_fma_f32 v33, v32, v33, v24
	v_mul_f32_e32 v33, v32, v33
	v_fmac_f32_e32 v34, v34, v33
	v_mov_b32_e32 v33, 0xbab64f3b
	v_fmac_f32_e32 v33, 0x37d75334, v32
	v_fma_f32 v33, v32, v33, v25
	v_fma_f32 v33, v32, v33, v26
	v_fma_f32 v32, v32, v33, 1.0
	v_and_b32_e32 v33, 1, v1
	v_cmp_eq_u32_e32 vcc, 0, v33
	v_lshlrev_b32_e32 v1, 30, v1
	v_cndmask_b32_e64 v32, -v34, v32, vcc
	v_and_b32_e32 v1, 0x80000000, v1
	v_xor_b32_e32 v31, v31, v18
	v_xor_b32_e32 v1, v1, v32
	v_mul_f32_e32 v1, v31, v1
	v_cmp_class_f32_e64 vcc, v18, s41
	v_cndmask_b32_e32 v18, v30, v1, vcc
.LBB156_323:                            ;   in Loop: Header=BB156_161 Depth=1
	s_or_b64 exec, exec, s[28:29]
	v_add_u32_e32 v17, -2.0, v17
	v_bfi_b32 v18, s39, 0, v18
.LBB156_324:                            ;   in Loop: Header=BB156_161 Depth=1
	s_or_b64 exec, exec, s[26:27]
	s_or_b64 exec, exec, s[24:25]
	s_and_saveexec_b64 s[8:9], s[0:1]
	s_xor_b64 s[0:1], exec, s[8:9]
	s_cbranch_execnz .LBB156_317
.LBB156_325:                            ;   in Loop: Header=BB156_161 Depth=1
	s_or_b64 exec, exec, s[0:1]
	s_and_saveexec_b64 s[0:1], s[2:3]
	s_cbranch_execz .LBB156_318
.LBB156_326:                            ;   in Loop: Header=BB156_161 Depth=1
	v_lshlrev_b64 v[3:4], 3, v[5:6]
	v_mov_b32_e32 v1, s17
	v_add_co_u32_e32 v3, vcc, s16, v3
	v_addc_co_u32_e32 v4, vcc, v1, v4, vcc
	global_store_dwordx2 v[3:4], v[15:16], off
	s_or_b64 exec, exec, s[0:1]
	s_and_saveexec_b64 s[0:1], s[4:5]
	s_cbranch_execnz .LBB156_319
.LBB156_327:                            ;   in Loop: Header=BB156_161 Depth=1
	s_or_b64 exec, exec, s[0:1]
	s_and_saveexec_b64 s[0:1], s[6:7]
	s_cbranch_execz .LBB156_160
.LBB156_328:                            ;   in Loop: Header=BB156_161 Depth=1
	v_lshlrev_b64 v[3:4], 3, v[9:10]
	v_mov_b32_e32 v1, s17
	v_add_co_u32_e32 v3, vcc, s16, v3
	v_addc_co_u32_e32 v4, vcc, v1, v4, vcc
	global_store_dwordx2 v[3:4], v[17:18], off
	s_branch .LBB156_160
.LBB156_329:
	s_endpgm
	.section	.rodata,"a",@progbits
	.p2align	6, 0x0
	.amdhsa_kernel _ZN2at6native12_GLOBAL__N_125multi_tensor_apply_kernelINS1_18TensorListMetadataILi2EEENS1_14UnaryOpFunctorIN3c107complexIfEELi2ELi1ELi1EEEJNS0_4TanhIS8_EEEEEvT_T0_DpT1_
		.amdhsa_group_segment_fixed_size 0
		.amdhsa_private_segment_fixed_size 0
		.amdhsa_kernarg_size 3408
		.amdhsa_user_sgpr_count 6
		.amdhsa_user_sgpr_private_segment_buffer 1
		.amdhsa_user_sgpr_dispatch_ptr 0
		.amdhsa_user_sgpr_queue_ptr 0
		.amdhsa_user_sgpr_kernarg_segment_ptr 1
		.amdhsa_user_sgpr_dispatch_id 0
		.amdhsa_user_sgpr_flat_scratch_init 0
		.amdhsa_user_sgpr_private_segment_size 0
		.amdhsa_uses_dynamic_stack 0
		.amdhsa_system_sgpr_private_segment_wavefront_offset 0
		.amdhsa_system_sgpr_workgroup_id_x 1
		.amdhsa_system_sgpr_workgroup_id_y 0
		.amdhsa_system_sgpr_workgroup_id_z 0
		.amdhsa_system_sgpr_workgroup_info 0
		.amdhsa_system_vgpr_workitem_id 0
		.amdhsa_next_free_vgpr 45
		.amdhsa_next_free_sgpr 62
		.amdhsa_reserve_vcc 1
		.amdhsa_reserve_flat_scratch 0
		.amdhsa_float_round_mode_32 0
		.amdhsa_float_round_mode_16_64 0
		.amdhsa_float_denorm_mode_32 3
		.amdhsa_float_denorm_mode_16_64 3
		.amdhsa_dx10_clamp 1
		.amdhsa_ieee_mode 1
		.amdhsa_fp16_overflow 0
		.amdhsa_exception_fp_ieee_invalid_op 0
		.amdhsa_exception_fp_denorm_src 0
		.amdhsa_exception_fp_ieee_div_zero 0
		.amdhsa_exception_fp_ieee_overflow 0
		.amdhsa_exception_fp_ieee_underflow 0
		.amdhsa_exception_fp_ieee_inexact 0
		.amdhsa_exception_int_div_zero 0
	.end_amdhsa_kernel
	.section	.text._ZN2at6native12_GLOBAL__N_125multi_tensor_apply_kernelINS1_18TensorListMetadataILi2EEENS1_14UnaryOpFunctorIN3c107complexIfEELi2ELi1ELi1EEEJNS0_4TanhIS8_EEEEEvT_T0_DpT1_,"axG",@progbits,_ZN2at6native12_GLOBAL__N_125multi_tensor_apply_kernelINS1_18TensorListMetadataILi2EEENS1_14UnaryOpFunctorIN3c107complexIfEELi2ELi1ELi1EEEJNS0_4TanhIS8_EEEEEvT_T0_DpT1_,comdat
.Lfunc_end156:
	.size	_ZN2at6native12_GLOBAL__N_125multi_tensor_apply_kernelINS1_18TensorListMetadataILi2EEENS1_14UnaryOpFunctorIN3c107complexIfEELi2ELi1ELi1EEEJNS0_4TanhIS8_EEEEEvT_T0_DpT1_, .Lfunc_end156-_ZN2at6native12_GLOBAL__N_125multi_tensor_apply_kernelINS1_18TensorListMetadataILi2EEENS1_14UnaryOpFunctorIN3c107complexIfEELi2ELi1ELi1EEEJNS0_4TanhIS8_EEEEEvT_T0_DpT1_
                                        ; -- End function
	.set _ZN2at6native12_GLOBAL__N_125multi_tensor_apply_kernelINS1_18TensorListMetadataILi2EEENS1_14UnaryOpFunctorIN3c107complexIfEELi2ELi1ELi1EEEJNS0_4TanhIS8_EEEEEvT_T0_DpT1_.num_vgpr, 45
	.set _ZN2at6native12_GLOBAL__N_125multi_tensor_apply_kernelINS1_18TensorListMetadataILi2EEENS1_14UnaryOpFunctorIN3c107complexIfEELi2ELi1ELi1EEEJNS0_4TanhIS8_EEEEEvT_T0_DpT1_.num_agpr, 0
	.set _ZN2at6native12_GLOBAL__N_125multi_tensor_apply_kernelINS1_18TensorListMetadataILi2EEENS1_14UnaryOpFunctorIN3c107complexIfEELi2ELi1ELi1EEEJNS0_4TanhIS8_EEEEEvT_T0_DpT1_.numbered_sgpr, 62
	.set _ZN2at6native12_GLOBAL__N_125multi_tensor_apply_kernelINS1_18TensorListMetadataILi2EEENS1_14UnaryOpFunctorIN3c107complexIfEELi2ELi1ELi1EEEJNS0_4TanhIS8_EEEEEvT_T0_DpT1_.num_named_barrier, 0
	.set _ZN2at6native12_GLOBAL__N_125multi_tensor_apply_kernelINS1_18TensorListMetadataILi2EEENS1_14UnaryOpFunctorIN3c107complexIfEELi2ELi1ELi1EEEJNS0_4TanhIS8_EEEEEvT_T0_DpT1_.private_seg_size, 0
	.set _ZN2at6native12_GLOBAL__N_125multi_tensor_apply_kernelINS1_18TensorListMetadataILi2EEENS1_14UnaryOpFunctorIN3c107complexIfEELi2ELi1ELi1EEEJNS0_4TanhIS8_EEEEEvT_T0_DpT1_.uses_vcc, 1
	.set _ZN2at6native12_GLOBAL__N_125multi_tensor_apply_kernelINS1_18TensorListMetadataILi2EEENS1_14UnaryOpFunctorIN3c107complexIfEELi2ELi1ELi1EEEJNS0_4TanhIS8_EEEEEvT_T0_DpT1_.uses_flat_scratch, 0
	.set _ZN2at6native12_GLOBAL__N_125multi_tensor_apply_kernelINS1_18TensorListMetadataILi2EEENS1_14UnaryOpFunctorIN3c107complexIfEELi2ELi1ELi1EEEJNS0_4TanhIS8_EEEEEvT_T0_DpT1_.has_dyn_sized_stack, 0
	.set _ZN2at6native12_GLOBAL__N_125multi_tensor_apply_kernelINS1_18TensorListMetadataILi2EEENS1_14UnaryOpFunctorIN3c107complexIfEELi2ELi1ELi1EEEJNS0_4TanhIS8_EEEEEvT_T0_DpT1_.has_recursion, 0
	.set _ZN2at6native12_GLOBAL__N_125multi_tensor_apply_kernelINS1_18TensorListMetadataILi2EEENS1_14UnaryOpFunctorIN3c107complexIfEELi2ELi1ELi1EEEJNS0_4TanhIS8_EEEEEvT_T0_DpT1_.has_indirect_call, 0
	.section	.AMDGPU.csdata,"",@progbits
; Kernel info:
; codeLenInByte = 38776
; TotalNumSgprs: 66
; NumVgprs: 45
; ScratchSize: 0
; MemoryBound: 0
; FloatMode: 240
; IeeeMode: 1
; LDSByteSize: 0 bytes/workgroup (compile time only)
; SGPRBlocks: 8
; VGPRBlocks: 11
; NumSGPRsForWavesPerEU: 66
; NumVGPRsForWavesPerEU: 45
; Occupancy: 5
; WaveLimiterHint : 0
; COMPUTE_PGM_RSRC2:SCRATCH_EN: 0
; COMPUTE_PGM_RSRC2:USER_SGPR: 6
; COMPUTE_PGM_RSRC2:TRAP_HANDLER: 0
; COMPUTE_PGM_RSRC2:TGID_X_EN: 1
; COMPUTE_PGM_RSRC2:TGID_Y_EN: 0
; COMPUTE_PGM_RSRC2:TGID_Z_EN: 0
; COMPUTE_PGM_RSRC2:TIDIG_COMP_CNT: 0
	.section	.text._ZN2at6native12_GLOBAL__N_125multi_tensor_apply_kernelINS1_18TensorListMetadataILi2EEENS1_14UnaryOpFunctorIN3c104HalfELi2ELi1ELi1EEEJNS0_4TanhIfEEEEEvT_T0_DpT1_,"axG",@progbits,_ZN2at6native12_GLOBAL__N_125multi_tensor_apply_kernelINS1_18TensorListMetadataILi2EEENS1_14UnaryOpFunctorIN3c104HalfELi2ELi1ELi1EEEJNS0_4TanhIfEEEEEvT_T0_DpT1_,comdat
	.globl	_ZN2at6native12_GLOBAL__N_125multi_tensor_apply_kernelINS1_18TensorListMetadataILi2EEENS1_14UnaryOpFunctorIN3c104HalfELi2ELi1ELi1EEEJNS0_4TanhIfEEEEEvT_T0_DpT1_ ; -- Begin function _ZN2at6native12_GLOBAL__N_125multi_tensor_apply_kernelINS1_18TensorListMetadataILi2EEENS1_14UnaryOpFunctorIN3c104HalfELi2ELi1ELi1EEEJNS0_4TanhIfEEEEEvT_T0_DpT1_
	.p2align	8
	.type	_ZN2at6native12_GLOBAL__N_125multi_tensor_apply_kernelINS1_18TensorListMetadataILi2EEENS1_14UnaryOpFunctorIN3c104HalfELi2ELi1ELi1EEEJNS0_4TanhIfEEEEEvT_T0_DpT1_,@function
_ZN2at6native12_GLOBAL__N_125multi_tensor_apply_kernelINS1_18TensorListMetadataILi2EEENS1_14UnaryOpFunctorIN3c104HalfELi2ELi1ELi1EEEJNS0_4TanhIfEEEEEvT_T0_DpT1_: ; @_ZN2at6native12_GLOBAL__N_125multi_tensor_apply_kernelINS1_18TensorListMetadataILi2EEENS1_14UnaryOpFunctorIN3c104HalfELi2ELi1ELi1EEEJNS0_4TanhIfEEEEEvT_T0_DpT1_
; %bb.0:
	v_mov_b32_e32 v1, s6
	global_load_ubyte v1, v1, s[4:5] offset:1536
	s_add_u32 s0, s4, s6
	s_mul_hi_u32 s1, s6, 3
	s_mul_i32 s6, s6, 3
	s_addc_u32 s2, s5, 0
	s_add_u32 s0, s0, s6
	s_addc_u32 s1, s2, s1
	s_load_dword s6, s[0:1], 0x740
	s_mov_b32 s11, 0
	s_mov_b32 s13, s11
	s_waitcnt vmcnt(0)
	v_readfirstlane_b32 s0, v1
	s_lshl_b32 s7, s0, 3
	s_load_dwordx2 s[14:15], s[4:5], s7 offset:0x400
	s_load_dwordx2 s[2:3], s[4:5], s7 offset:0x0
	;; [unrolled: 1-line block ×3, first 2 shown]
	s_waitcnt lgkmcnt(0)
	s_ashr_i32 s7, s6, 31
	s_lshl_b64 s[8:9], s[6:7], 17
	s_lshl_b64 s[6:7], s[6:7], 16
	s_add_u32 s10, s2, s8
	s_and_b32 s12, s0, 7
	s_and_b32 s10, s10, 7
	s_sub_u32 s6, s14, s6
	s_subb_u32 s7, s15, s7
	s_and_b32 s14, s14, 3
	s_mov_b32 s15, s11
	s_or_b64 s[12:13], s[12:13], s[14:15]
	s_or_b64 s[10:11], s[12:13], s[10:11]
	s_cmp_eq_u64 s[10:11], 0
	s_mov_b64 s[10:11], -1
	s_cbranch_scc0 .LBB157_21
; %bb.1:
	v_mov_b32_e32 v1, 0x10000
	v_mov_b32_e32 v2, 0
	v_cmp_lt_i64_e32 vcc, s[6:7], v[1:2]
	v_mov_b32_e32 v2, 0
	s_and_b64 s[10:11], vcc, exec
	s_cselect_b32 s11, s7, 0
	s_cselect_b32 s10, s6, 0x10000
	v_lshlrev_b32_e32 v1, 2, v0
	v_cmp_gt_i64_e32 vcc, s[10:11], v[1:2]
	s_and_saveexec_b64 s[12:13], vcc
	s_cbranch_execz .LBB157_20
; %bb.2:
	s_load_dword s14, s[4:5], 0xc5c
	v_mov_b32_e32 v1, v2
	v_lshlrev_b32_e32 v2, 3, v0
	v_mov_b32_e32 v3, s9
	v_add_co_u32_e32 v5, vcc, s8, v2
	s_waitcnt lgkmcnt(0)
	s_and_b32 s18, s14, 0xffff
	v_mov_b32_e32 v2, v1
	v_addc_co_u32_e32 v6, vcc, 0, v3, vcc
	s_lshl_b32 s19, s18, 3
	s_mov_b64 s[14:15], 0
	v_mov_b32_e32 v7, s3
	s_mov_b32 s20, 0x3f200000
	s_mov_b32 s21, 0x3fb8aa3b
	;; [unrolled: 1-line block ×4, first 2 shown]
	v_mov_b32_e32 v8, 0xbd5c1c4e
	v_mov_b32_e32 v9, 0x3e088382
	;; [unrolled: 1-line block ×3, first 2 shown]
	s_movk_i32 s24, 0x7fff
	v_mov_b32_e32 v11, 0x7f800000
	v_mov_b32_e32 v1, v0
	s_branch .LBB157_4
.LBB157_3:                              ;   in Loop: Header=BB157_4 Depth=1
	s_or_b64 exec, exec, s[16:17]
	v_cvt_f16_f32_e32 v16, v16
	v_cvt_f16_f32_e32 v14, v14
	v_lshrrev_b32_e32 v15, 16, v15
	v_lshrrev_b32_e32 v3, 16, v3
	v_bfi_b32 v15, s24, v16, v15
	v_cvt_f16_f32_e32 v13, v13
	v_bfi_b32 v16, s24, v14, v3
	v_cvt_f16_f32_e32 v3, v17
	v_lshrrev_b32_e32 v12, 16, v12
	v_lshrrev_b32_e32 v4, 16, v4
	v_bfi_b32 v12, s24, v13, v12
	v_bfi_b32 v13, s24, v3, v4
	v_mov_b32_e32 v4, s1
	v_add_co_u32_e32 v3, vcc, s0, v5
	v_addc_co_u32_e32 v4, vcc, v4, v6, vcc
	v_add_co_u32_e32 v1, vcc, s18, v1
	v_addc_co_u32_e32 v2, vcc, 0, v2, vcc
	v_pack_b32_f16 v13, v15, v13
	v_lshlrev_b64 v[14:15], 2, v[1:2]
	v_pack_b32_f16 v12, v12, v16
	v_cmp_le_i64_e32 vcc, s[10:11], v[14:15]
	global_store_dwordx2 v[3:4], v[12:13], off
	s_or_b64 s[14:15], vcc, s[14:15]
	v_add_co_u32_e32 v5, vcc, s19, v5
	v_addc_co_u32_e32 v6, vcc, 0, v6, vcc
	s_andn2_b64 exec, exec, s[14:15]
	s_cbranch_execz .LBB157_20
.LBB157_4:                              ; =>This Inner Loop Header: Depth=1
	v_add_co_u32_e32 v3, vcc, s2, v5
	v_addc_co_u32_e32 v4, vcc, v7, v6, vcc
	global_load_dwordx2 v[3:4], v[3:4], off
                                        ; implicit-def: $vgpr13
	s_waitcnt vmcnt(0)
	v_cvt_f32_f16_e32 v12, v3
	v_cmp_nlt_f32_e64 s[16:17], |v12|, s20
	s_and_saveexec_b64 s[26:27], s[16:17]
	s_xor_b64 s[16:17], exec, s[26:27]
	s_cbranch_execz .LBB157_6
; %bb.5:                                ;   in Loop: Header=BB157_4 Depth=1
	v_add_f32_e64 v13, |v12|, |v12|
	v_mul_f32_e32 v14, 0x3fb8aa3b, v13
	v_rndne_f32_e32 v15, v14
	v_sub_f32_e32 v16, v14, v15
	v_fma_f32 v14, v13, s21, -v14
	v_fmac_f32_e32 v14, 0x32a5705f, v13
	v_add_f32_e32 v14, v16, v14
	v_cvt_i32_f32_e32 v15, v15
	v_exp_f32_e32 v14, v14
	v_cmp_ngt_f32_e32 vcc, s22, v13
	v_ldexp_f32 v14, v14, v15
	v_cndmask_b32_e32 v14, 0, v14, vcc
	v_cmp_nlt_f32_e32 vcc, s23, v13
	v_cndmask_b32_e32 v13, v11, v14, vcc
	v_add_f32_e32 v13, 1.0, v13
	v_rcp_f32_e32 v13, v13
	v_fma_f32 v13, v13, -2.0, 1.0
.LBB157_6:                              ;   in Loop: Header=BB157_4 Depth=1
	s_andn2_saveexec_b64 s[16:17], s[16:17]
; %bb.7:                                ;   in Loop: Header=BB157_4 Depth=1
	v_mul_f32_e32 v13, v12, v12
	v_mov_b32_e32 v14, 0x3ca908c9
	v_fmac_f32_e32 v14, 0xbbbac73d, v13
	v_fma_f32 v14, v13, v14, v8
	v_fma_f32 v14, v13, v14, v9
	;; [unrolled: 1-line block ×3, first 2 shown]
	v_mul_f32_e64 v14, |v12|, v14
	v_fma_f32 v13, v13, v14, |v12|
; %bb.8:                                ;   in Loop: Header=BB157_4 Depth=1
	s_or_b64 exec, exec, s[16:17]
	v_cvt_f32_f16_sdwa v3, v3 dst_sel:DWORD dst_unused:UNUSED_PAD src0_sel:WORD_1
                                        ; implicit-def: $vgpr14
	v_cmp_nlt_f32_e64 s[16:17], |v3|, s20
	s_and_saveexec_b64 s[26:27], s[16:17]
	s_xor_b64 s[16:17], exec, s[26:27]
	s_cbranch_execz .LBB157_10
; %bb.9:                                ;   in Loop: Header=BB157_4 Depth=1
	v_add_f32_e64 v14, |v3|, |v3|
	v_mul_f32_e32 v15, 0x3fb8aa3b, v14
	v_rndne_f32_e32 v16, v15
	v_sub_f32_e32 v17, v15, v16
	v_fma_f32 v15, v14, s21, -v15
	v_fmac_f32_e32 v15, 0x32a5705f, v14
	v_add_f32_e32 v15, v17, v15
	v_cvt_i32_f32_e32 v16, v16
	v_exp_f32_e32 v15, v15
	v_cmp_ngt_f32_e32 vcc, s22, v14
	v_ldexp_f32 v15, v15, v16
	v_cndmask_b32_e32 v15, 0, v15, vcc
	v_cmp_nlt_f32_e32 vcc, s23, v14
	v_cndmask_b32_e32 v14, v11, v15, vcc
	v_add_f32_e32 v14, 1.0, v14
	v_rcp_f32_e32 v14, v14
	v_fma_f32 v14, v14, -2.0, 1.0
.LBB157_10:                             ;   in Loop: Header=BB157_4 Depth=1
	s_andn2_saveexec_b64 s[16:17], s[16:17]
; %bb.11:                               ;   in Loop: Header=BB157_4 Depth=1
	v_mul_f32_e32 v14, v3, v3
	v_mov_b32_e32 v15, 0x3ca908c9
	v_fmac_f32_e32 v15, 0xbbbac73d, v14
	v_fma_f32 v15, v14, v15, v8
	v_fma_f32 v15, v14, v15, v9
	;; [unrolled: 1-line block ×3, first 2 shown]
	v_mul_f32_e64 v15, |v3|, v15
	v_fma_f32 v14, v14, v15, |v3|
; %bb.12:                               ;   in Loop: Header=BB157_4 Depth=1
	s_or_b64 exec, exec, s[16:17]
	v_cvt_f32_f16_e32 v15, v4
                                        ; implicit-def: $vgpr16
	v_cmp_nlt_f32_e64 s[16:17], |v15|, s20
	s_and_saveexec_b64 s[26:27], s[16:17]
	s_xor_b64 s[16:17], exec, s[26:27]
	s_cbranch_execz .LBB157_14
; %bb.13:                               ;   in Loop: Header=BB157_4 Depth=1
	v_add_f32_e64 v16, |v15|, |v15|
	v_mul_f32_e32 v17, 0x3fb8aa3b, v16
	v_rndne_f32_e32 v18, v17
	v_sub_f32_e32 v19, v17, v18
	v_fma_f32 v17, v16, s21, -v17
	v_fmac_f32_e32 v17, 0x32a5705f, v16
	v_add_f32_e32 v17, v19, v17
	v_cvt_i32_f32_e32 v18, v18
	v_exp_f32_e32 v17, v17
	v_cmp_ngt_f32_e32 vcc, s22, v16
	v_ldexp_f32 v17, v17, v18
	v_cndmask_b32_e32 v17, 0, v17, vcc
	v_cmp_nlt_f32_e32 vcc, s23, v16
	v_cndmask_b32_e32 v16, v11, v17, vcc
	v_add_f32_e32 v16, 1.0, v16
	v_rcp_f32_e32 v16, v16
	v_fma_f32 v16, v16, -2.0, 1.0
.LBB157_14:                             ;   in Loop: Header=BB157_4 Depth=1
	s_andn2_saveexec_b64 s[16:17], s[16:17]
; %bb.15:                               ;   in Loop: Header=BB157_4 Depth=1
	v_mul_f32_e32 v16, v15, v15
	v_mov_b32_e32 v17, 0x3ca908c9
	v_fmac_f32_e32 v17, 0xbbbac73d, v16
	v_fma_f32 v17, v16, v17, v8
	v_fma_f32 v17, v16, v17, v9
	v_fma_f32 v17, v16, v17, v10
	v_mul_f32_e64 v17, |v15|, v17
	v_fma_f32 v16, v16, v17, |v15|
; %bb.16:                               ;   in Loop: Header=BB157_4 Depth=1
	s_or_b64 exec, exec, s[16:17]
	v_cvt_f32_f16_sdwa v4, v4 dst_sel:DWORD dst_unused:UNUSED_PAD src0_sel:WORD_1
                                        ; implicit-def: $vgpr17
	v_cmp_nlt_f32_e64 s[16:17], |v4|, s20
	s_and_saveexec_b64 s[26:27], s[16:17]
	s_xor_b64 s[16:17], exec, s[26:27]
	s_cbranch_execz .LBB157_18
; %bb.17:                               ;   in Loop: Header=BB157_4 Depth=1
	v_add_f32_e64 v17, |v4|, |v4|
	v_mul_f32_e32 v18, 0x3fb8aa3b, v17
	v_rndne_f32_e32 v19, v18
	v_sub_f32_e32 v20, v18, v19
	v_fma_f32 v18, v17, s21, -v18
	v_fmac_f32_e32 v18, 0x32a5705f, v17
	v_add_f32_e32 v18, v20, v18
	v_cvt_i32_f32_e32 v19, v19
	v_exp_f32_e32 v18, v18
	v_cmp_ngt_f32_e32 vcc, s22, v17
	v_ldexp_f32 v18, v18, v19
	v_cndmask_b32_e32 v18, 0, v18, vcc
	v_cmp_nlt_f32_e32 vcc, s23, v17
	v_cndmask_b32_e32 v17, v11, v18, vcc
	v_add_f32_e32 v17, 1.0, v17
	v_rcp_f32_e32 v17, v17
	v_fma_f32 v17, v17, -2.0, 1.0
.LBB157_18:                             ;   in Loop: Header=BB157_4 Depth=1
	s_andn2_saveexec_b64 s[16:17], s[16:17]
	s_cbranch_execz .LBB157_3
; %bb.19:                               ;   in Loop: Header=BB157_4 Depth=1
	v_mul_f32_e32 v17, v4, v4
	v_mov_b32_e32 v18, 0x3ca908c9
	v_fmac_f32_e32 v18, 0xbbbac73d, v17
	v_fma_f32 v18, v17, v18, v8
	v_fma_f32 v18, v17, v18, v9
	;; [unrolled: 1-line block ×3, first 2 shown]
	v_mul_f32_e64 v18, |v4|, v18
	v_fma_f32 v17, v17, v18, |v4|
	s_branch .LBB157_3
.LBB157_20:
	s_or_b64 exec, exec, s[12:13]
	s_mov_b64 s[10:11], 0
.LBB157_21:
	s_andn2_b64 vcc, exec, s[10:11]
	s_cbranch_vccnz .LBB157_57
; %bb.22:
	v_cmp_lt_i64_e64 s[10:11], s[6:7], 1
	s_and_b64 vcc, exec, s[10:11]
	s_cbranch_vccnz .LBB157_57
; %bb.23:
	v_mov_b32_e32 v1, 0x10000
	s_load_dword s12, s[4:5], 0xc5c
	v_mov_b32_e32 v2, 0
	v_cmp_lt_i64_e32 vcc, s[6:7], v[1:2]
	v_mov_b32_e32 v10, 0
	s_and_b64 s[4:5], vcc, exec
	v_cmp_lt_u64_e32 vcc, s[6:7], v[1:2]
	s_cselect_b32 s11, s7, 0
	s_cselect_b32 s10, s6, 0x10000
	s_waitcnt lgkmcnt(0)
	s_and_b32 s14, s12, 0xffff
	v_lshlrev_b32_e32 v9, 1, v0
	s_and_b64 s[4:5], vcc, exec
	v_mov_b32_e32 v2, s3
	v_add_co_u32_e32 v1, vcc, s2, v9
	v_mad_u64_u32 v[7:8], s[4:5], s14, 6, v[9:10]
	v_addc_co_u32_e32 v2, vcc, 0, v2, vcc
	v_mov_b32_e32 v4, s1
	v_add_co_u32_e32 v3, vcc, s0, v9
	v_addc_co_u32_e32 v4, vcc, 0, v4, vcc
	v_mov_b32_e32 v6, s3
	v_add_co_u32_e32 v5, vcc, s2, v7
	;; [unrolled: 3-line block ×3, first 2 shown]
	s_cselect_b32 s13, s7, 0
	s_cselect_b32 s12, s6, 0x10000
	s_lshl_b32 s18, s14, 2
	v_addc_co_u32_e32 v8, vcc, v10, v8, vcc
	v_add_co_u32_e32 v11, vcc, s18, v9
	v_addc_co_u32_e64 v12, s[4:5], 0, 0, vcc
	v_mov_b32_e32 v10, s3
	v_add_co_u32_e32 v9, vcc, s2, v11
	v_addc_co_u32_e32 v10, vcc, v10, v12, vcc
	v_mov_b32_e32 v13, s1
	v_add_co_u32_e32 v11, vcc, s0, v11
	v_addc_co_u32_e32 v12, vcc, v13, v12, vcc
	v_add_co_u32_e32 v13, vcc, s14, v0
	v_lshlrev_b32_e32 v17, 1, v13
	v_addc_co_u32_e64 v14, s[4:5], 0, 0, vcc
	v_mov_b32_e32 v16, s3
	v_add_co_u32_e32 v15, vcc, s2, v17
	v_addc_co_u32_e32 v16, vcc, 0, v16, vcc
	v_mov_b32_e32 v18, s1
	v_add_co_u32_e32 v17, vcc, s0, v17
	s_mul_i32 s7, s14, 3
	v_addc_co_u32_e32 v18, vcc, 0, v18, vcc
	s_lshl_b32 s6, s14, 1
	v_add_co_u32_e32 v19, vcc, s7, v0
	v_addc_co_u32_e64 v20, s[0:1], 0, 0, vcc
	v_add_co_u32_e32 v21, vcc, s6, v0
	s_lshl_b32 s19, s14, 3
	s_mov_b64 s[14:15], 0
	s_mov_b32 s20, 0x3f200000
	s_mov_b32 s21, 0x3fb8aa3b
	;; [unrolled: 1-line block ×4, first 2 shown]
	s_movk_i32 s24, 0x7fff
	v_addc_co_u32_e64 v22, s[0:1], 0, 0, vcc
	v_mov_b32_e32 v23, 0xbd5c1c4e
	v_mov_b32_e32 v24, 0x3e088382
	;; [unrolled: 1-line block ×4, first 2 shown]
	s_branch .LBB157_25
.LBB157_24:                             ;   in Loop: Header=BB157_25 Depth=1
	s_or_b64 exec, exec, s[0:1]
	v_add_co_u32_e32 v1, vcc, s19, v1
	v_addc_co_u32_e32 v2, vcc, 0, v2, vcc
	v_add_co_u32_e32 v3, vcc, s19, v3
	v_addc_co_u32_e32 v4, vcc, 0, v4, vcc
	;; [unrolled: 2-line block ×6, first 2 shown]
	s_add_u32 s14, s14, s18
	v_add_co_u32_e32 v15, vcc, s19, v15
	v_mov_b32_e32 v28, s11
	s_addc_u32 s15, s15, 0
	v_addc_co_u32_e32 v16, vcc, 0, v16, vcc
	v_mov_b32_e32 v27, s10
	v_cmp_ge_i64_e32 vcc, s[14:15], v[27:28]
	v_add_co_u32_e64 v17, s[0:1], s19, v17
	v_addc_co_u32_e64 v18, s[0:1], 0, v18, s[0:1]
	s_cbranch_vccnz .LBB157_57
.LBB157_25:                             ; =>This Inner Loop Header: Depth=1
	v_mov_b32_e32 v28, s15
	v_add_co_u32_e32 v27, vcc, s14, v0
	v_addc_co_u32_e32 v28, vcc, 0, v28, vcc
	v_cmp_gt_u64_e32 vcc, s[12:13], v[27:28]
	v_mov_b32_e32 v28, 0
	s_and_saveexec_b64 s[2:3], vcc
	s_cbranch_execz .LBB157_27
; %bb.26:                               ;   in Loop: Header=BB157_25 Depth=1
	v_mov_b32_e32 v28, s9
	v_add_co_u32_e64 v27, s[0:1], s8, v1
	v_addc_co_u32_e64 v28, s[0:1], v2, v28, s[0:1]
	global_load_ushort v27, v[27:28], off
	s_waitcnt vmcnt(0)
	v_cvt_f32_f16_e32 v28, v27
.LBB157_27:                             ;   in Loop: Header=BB157_25 Depth=1
	s_or_b64 exec, exec, s[2:3]
	v_mov_b32_e32 v27, s15
	v_add_co_u32_e64 v29, s[0:1], s14, v13
	v_addc_co_u32_e64 v30, s[0:1], v14, v27, s[0:1]
	v_cmp_gt_u64_e64 s[0:1], s[12:13], v[29:30]
	v_mov_b32_e32 v27, 0
	v_mov_b32_e32 v29, 0
	s_and_saveexec_b64 s[4:5], s[0:1]
	s_cbranch_execz .LBB157_29
; %bb.28:                               ;   in Loop: Header=BB157_25 Depth=1
	v_mov_b32_e32 v30, s9
	v_add_co_u32_e64 v29, s[2:3], s8, v15
	v_addc_co_u32_e64 v30, s[2:3], v16, v30, s[2:3]
	global_load_ushort v29, v[29:30], off
	s_waitcnt vmcnt(0)
	v_cvt_f32_f16_e32 v29, v29
.LBB157_29:                             ;   in Loop: Header=BB157_25 Depth=1
	s_or_b64 exec, exec, s[4:5]
	v_mov_b32_e32 v31, s15
	v_add_co_u32_e64 v30, s[2:3], s14, v21
	v_addc_co_u32_e64 v31, s[2:3], v22, v31, s[2:3]
	v_cmp_gt_u64_e64 s[2:3], s[12:13], v[30:31]
	s_and_saveexec_b64 s[6:7], s[2:3]
	s_cbranch_execz .LBB157_31
; %bb.30:                               ;   in Loop: Header=BB157_25 Depth=1
	v_mov_b32_e32 v27, s9
	v_add_co_u32_e64 v30, s[4:5], s8, v9
	v_addc_co_u32_e64 v31, s[4:5], v10, v27, s[4:5]
	global_load_ushort v27, v[30:31], off
	s_waitcnt vmcnt(0)
	v_cvt_f32_f16_e32 v27, v27
.LBB157_31:                             ;   in Loop: Header=BB157_25 Depth=1
	s_or_b64 exec, exec, s[6:7]
	v_mov_b32_e32 v31, s15
	v_add_co_u32_e64 v30, s[4:5], s14, v19
	v_addc_co_u32_e64 v31, s[4:5], v20, v31, s[4:5]
	v_cmp_gt_u64_e64 s[4:5], s[12:13], v[30:31]
	v_mov_b32_e32 v30, 0
	s_and_saveexec_b64 s[16:17], s[4:5]
	s_cbranch_execz .LBB157_33
; %bb.32:                               ;   in Loop: Header=BB157_25 Depth=1
	v_mov_b32_e32 v31, s9
	v_add_co_u32_e64 v30, s[6:7], s8, v5
	v_addc_co_u32_e64 v31, s[6:7], v6, v31, s[6:7]
	global_load_ushort v30, v[30:31], off
	s_waitcnt vmcnt(0)
	v_cvt_f32_f16_e32 v30, v30
.LBB157_33:                             ;   in Loop: Header=BB157_25 Depth=1
	s_or_b64 exec, exec, s[16:17]
	v_cmp_nlt_f32_e64 s[6:7], |v28|, s20
                                        ; implicit-def: $vgpr31
	s_and_saveexec_b64 s[16:17], s[6:7]
	s_xor_b64 s[16:17], exec, s[16:17]
	s_cbranch_execz .LBB157_35
; %bb.34:                               ;   in Loop: Header=BB157_25 Depth=1
	v_add_f32_e64 v31, |v28|, |v28|
	v_mul_f32_e32 v32, 0x3fb8aa3b, v31
	v_rndne_f32_e32 v33, v32
	v_sub_f32_e32 v34, v32, v33
	v_fma_f32 v32, v31, s21, -v32
	v_fmac_f32_e32 v32, 0x32a5705f, v31
	v_add_f32_e32 v32, v34, v32
	v_cvt_i32_f32_e32 v33, v33
	v_exp_f32_e32 v32, v32
	v_cmp_ngt_f32_e64 s[6:7], s22, v31
	v_ldexp_f32 v32, v32, v33
	v_cndmask_b32_e64 v32, 0, v32, s[6:7]
	v_cmp_nlt_f32_e64 s[6:7], s23, v31
	v_cndmask_b32_e64 v31, v26, v32, s[6:7]
	v_add_f32_e32 v31, 1.0, v31
	v_rcp_f32_e32 v31, v31
	v_fma_f32 v31, v31, -2.0, 1.0
.LBB157_35:                             ;   in Loop: Header=BB157_25 Depth=1
	s_andn2_saveexec_b64 s[6:7], s[16:17]
; %bb.36:                               ;   in Loop: Header=BB157_25 Depth=1
	v_mul_f32_e32 v31, v28, v28
	v_mov_b32_e32 v32, 0x3ca908c9
	v_fmac_f32_e32 v32, 0xbbbac73d, v31
	v_fma_f32 v32, v31, v32, v23
	v_fma_f32 v32, v31, v32, v24
	v_fma_f32 v32, v31, v32, v25
	v_mul_f32_e64 v32, |v28|, v32
	v_fma_f32 v31, v31, v32, |v28|
; %bb.37:                               ;   in Loop: Header=BB157_25 Depth=1
	s_or_b64 exec, exec, s[6:7]
	v_cmp_nlt_f32_e64 s[6:7], |v29|, s20
                                        ; implicit-def: $vgpr32
	s_and_saveexec_b64 s[16:17], s[6:7]
	s_xor_b64 s[16:17], exec, s[16:17]
	s_cbranch_execz .LBB157_39
; %bb.38:                               ;   in Loop: Header=BB157_25 Depth=1
	v_add_f32_e64 v32, |v29|, |v29|
	v_mul_f32_e32 v33, 0x3fb8aa3b, v32
	v_rndne_f32_e32 v34, v33
	v_sub_f32_e32 v35, v33, v34
	v_fma_f32 v33, v32, s21, -v33
	v_fmac_f32_e32 v33, 0x32a5705f, v32
	v_add_f32_e32 v33, v35, v33
	v_cvt_i32_f32_e32 v34, v34
	v_exp_f32_e32 v33, v33
	v_cmp_ngt_f32_e64 s[6:7], s22, v32
	v_ldexp_f32 v33, v33, v34
	v_cndmask_b32_e64 v33, 0, v33, s[6:7]
	v_cmp_nlt_f32_e64 s[6:7], s23, v32
	v_cndmask_b32_e64 v32, v26, v33, s[6:7]
	v_add_f32_e32 v32, 1.0, v32
	v_rcp_f32_e32 v32, v32
	v_fma_f32 v32, v32, -2.0, 1.0
.LBB157_39:                             ;   in Loop: Header=BB157_25 Depth=1
	s_andn2_saveexec_b64 s[6:7], s[16:17]
; %bb.40:                               ;   in Loop: Header=BB157_25 Depth=1
	v_mul_f32_e32 v32, v29, v29
	v_mov_b32_e32 v33, 0x3ca908c9
	v_fmac_f32_e32 v33, 0xbbbac73d, v32
	v_fma_f32 v33, v32, v33, v23
	v_fma_f32 v33, v32, v33, v24
	;; [unrolled: 1-line block ×3, first 2 shown]
	v_mul_f32_e64 v33, |v29|, v33
	v_fma_f32 v32, v32, v33, |v29|
; %bb.41:                               ;   in Loop: Header=BB157_25 Depth=1
	s_or_b64 exec, exec, s[6:7]
	v_cmp_nlt_f32_e64 s[6:7], |v27|, s20
                                        ; implicit-def: $vgpr33
	s_and_saveexec_b64 s[16:17], s[6:7]
	s_xor_b64 s[16:17], exec, s[16:17]
	s_cbranch_execz .LBB157_43
; %bb.42:                               ;   in Loop: Header=BB157_25 Depth=1
	v_add_f32_e64 v33, |v27|, |v27|
	v_mul_f32_e32 v34, 0x3fb8aa3b, v33
	v_rndne_f32_e32 v35, v34
	v_sub_f32_e32 v36, v34, v35
	v_fma_f32 v34, v33, s21, -v34
	v_fmac_f32_e32 v34, 0x32a5705f, v33
	v_add_f32_e32 v34, v36, v34
	v_cvt_i32_f32_e32 v35, v35
	v_exp_f32_e32 v34, v34
	v_cmp_ngt_f32_e64 s[6:7], s22, v33
	v_ldexp_f32 v34, v34, v35
	v_cndmask_b32_e64 v34, 0, v34, s[6:7]
	v_cmp_nlt_f32_e64 s[6:7], s23, v33
	v_cndmask_b32_e64 v33, v26, v34, s[6:7]
	v_add_f32_e32 v33, 1.0, v33
	v_rcp_f32_e32 v33, v33
	v_fma_f32 v33, v33, -2.0, 1.0
.LBB157_43:                             ;   in Loop: Header=BB157_25 Depth=1
	s_andn2_saveexec_b64 s[6:7], s[16:17]
; %bb.44:                               ;   in Loop: Header=BB157_25 Depth=1
	v_mul_f32_e32 v33, v27, v27
	v_mov_b32_e32 v34, 0x3ca908c9
	v_fmac_f32_e32 v34, 0xbbbac73d, v33
	v_fma_f32 v34, v33, v34, v23
	v_fma_f32 v34, v33, v34, v24
	;; [unrolled: 1-line block ×3, first 2 shown]
	v_mul_f32_e64 v34, |v27|, v34
	v_fma_f32 v33, v33, v34, |v27|
; %bb.45:                               ;   in Loop: Header=BB157_25 Depth=1
	s_or_b64 exec, exec, s[6:7]
	v_cmp_nlt_f32_e64 s[6:7], |v30|, s20
                                        ; implicit-def: $vgpr34
	s_and_saveexec_b64 s[16:17], s[6:7]
	s_xor_b64 s[16:17], exec, s[16:17]
	s_cbranch_execnz .LBB157_51
; %bb.46:                               ;   in Loop: Header=BB157_25 Depth=1
	s_andn2_saveexec_b64 s[6:7], s[16:17]
	s_cbranch_execnz .LBB157_52
.LBB157_47:                             ;   in Loop: Header=BB157_25 Depth=1
	s_or_b64 exec, exec, s[6:7]
	s_and_saveexec_b64 s[6:7], vcc
	s_xor_b64 s[6:7], exec, s[6:7]
	s_cbranch_execnz .LBB157_53
.LBB157_48:                             ;   in Loop: Header=BB157_25 Depth=1
	s_or_b64 exec, exec, s[6:7]
	s_and_saveexec_b64 s[6:7], s[0:1]
	s_cbranch_execnz .LBB157_54
.LBB157_49:                             ;   in Loop: Header=BB157_25 Depth=1
	s_or_b64 exec, exec, s[6:7]
	s_and_saveexec_b64 s[0:1], s[2:3]
	s_cbranch_execnz .LBB157_55
.LBB157_50:                             ;   in Loop: Header=BB157_25 Depth=1
	s_or_b64 exec, exec, s[0:1]
	s_and_saveexec_b64 s[0:1], s[4:5]
	s_cbranch_execz .LBB157_24
	s_branch .LBB157_56
.LBB157_51:                             ;   in Loop: Header=BB157_25 Depth=1
	v_add_f32_e64 v34, |v30|, |v30|
	v_mul_f32_e32 v35, 0x3fb8aa3b, v34
	v_rndne_f32_e32 v36, v35
	v_sub_f32_e32 v37, v35, v36
	v_fma_f32 v35, v34, s21, -v35
	v_fmac_f32_e32 v35, 0x32a5705f, v34
	v_add_f32_e32 v35, v37, v35
	v_cvt_i32_f32_e32 v36, v36
	v_exp_f32_e32 v35, v35
	v_cmp_ngt_f32_e64 s[6:7], s22, v34
	v_ldexp_f32 v35, v35, v36
	v_cndmask_b32_e64 v35, 0, v35, s[6:7]
	v_cmp_nlt_f32_e64 s[6:7], s23, v34
	v_cndmask_b32_e64 v34, v26, v35, s[6:7]
	v_add_f32_e32 v34, 1.0, v34
	v_rcp_f32_e32 v34, v34
	v_fma_f32 v34, v34, -2.0, 1.0
	s_andn2_saveexec_b64 s[6:7], s[16:17]
	s_cbranch_execz .LBB157_47
.LBB157_52:                             ;   in Loop: Header=BB157_25 Depth=1
	v_mul_f32_e32 v34, v30, v30
	v_mov_b32_e32 v35, 0x3ca908c9
	v_fmac_f32_e32 v35, 0xbbbac73d, v34
	v_fma_f32 v35, v34, v35, v23
	v_fma_f32 v35, v34, v35, v24
	;; [unrolled: 1-line block ×3, first 2 shown]
	v_mul_f32_e64 v35, |v30|, v35
	v_fma_f32 v34, v34, v35, |v30|
	s_or_b64 exec, exec, s[6:7]
	s_and_saveexec_b64 s[6:7], vcc
	s_xor_b64 s[6:7], exec, s[6:7]
	s_cbranch_execz .LBB157_48
.LBB157_53:                             ;   in Loop: Header=BB157_25 Depth=1
	v_cvt_f16_f32_e32 v31, v31
	v_lshrrev_b32_e32 v28, 16, v28
	v_mov_b32_e32 v36, s9
	v_add_co_u32_e32 v35, vcc, s8, v3
	v_bfi_b32 v28, s24, v31, v28
	v_addc_co_u32_e32 v36, vcc, v4, v36, vcc
	global_store_short v[35:36], v28, off
	s_or_b64 exec, exec, s[6:7]
	s_and_saveexec_b64 s[6:7], s[0:1]
	s_cbranch_execz .LBB157_49
.LBB157_54:                             ;   in Loop: Header=BB157_25 Depth=1
	v_cvt_f16_f32_e32 v28, v32
	v_lshrrev_b32_e32 v29, 16, v29
	v_mov_b32_e32 v31, s9
	v_bfi_b32 v32, s24, v28, v29
	v_add_co_u32_e32 v28, vcc, s8, v17
	v_addc_co_u32_e32 v29, vcc, v18, v31, vcc
	global_store_short v[28:29], v32, off
	s_or_b64 exec, exec, s[6:7]
	s_and_saveexec_b64 s[0:1], s[2:3]
	s_cbranch_execz .LBB157_50
.LBB157_55:                             ;   in Loop: Header=BB157_25 Depth=1
	v_cvt_f16_f32_e32 v28, v33
	v_lshrrev_b32_e32 v27, 16, v27
	v_mov_b32_e32 v29, s9
	v_bfi_b32 v31, s24, v28, v27
	v_add_co_u32_e32 v27, vcc, s8, v11
	v_addc_co_u32_e32 v28, vcc, v12, v29, vcc
	global_store_short v[27:28], v31, off
	s_or_b64 exec, exec, s[0:1]
	s_and_saveexec_b64 s[0:1], s[4:5]
	s_cbranch_execz .LBB157_24
.LBB157_56:                             ;   in Loop: Header=BB157_25 Depth=1
	v_cvt_f16_f32_e32 v27, v34
	v_lshrrev_b32_e32 v28, 16, v30
	v_mov_b32_e32 v29, s9
	v_bfi_b32 v30, s24, v27, v28
	v_add_co_u32_e32 v27, vcc, s8, v7
	v_addc_co_u32_e32 v28, vcc, v8, v29, vcc
	global_store_short v[27:28], v30, off
	s_branch .LBB157_24
.LBB157_57:
	s_endpgm
	.section	.rodata,"a",@progbits
	.p2align	6, 0x0
	.amdhsa_kernel _ZN2at6native12_GLOBAL__N_125multi_tensor_apply_kernelINS1_18TensorListMetadataILi2EEENS1_14UnaryOpFunctorIN3c104HalfELi2ELi1ELi1EEEJNS0_4TanhIfEEEEEvT_T0_DpT1_
		.amdhsa_group_segment_fixed_size 0
		.amdhsa_private_segment_fixed_size 0
		.amdhsa_kernarg_size 3408
		.amdhsa_user_sgpr_count 6
		.amdhsa_user_sgpr_private_segment_buffer 1
		.amdhsa_user_sgpr_dispatch_ptr 0
		.amdhsa_user_sgpr_queue_ptr 0
		.amdhsa_user_sgpr_kernarg_segment_ptr 1
		.amdhsa_user_sgpr_dispatch_id 0
		.amdhsa_user_sgpr_flat_scratch_init 0
		.amdhsa_user_sgpr_private_segment_size 0
		.amdhsa_uses_dynamic_stack 0
		.amdhsa_system_sgpr_private_segment_wavefront_offset 0
		.amdhsa_system_sgpr_workgroup_id_x 1
		.amdhsa_system_sgpr_workgroup_id_y 0
		.amdhsa_system_sgpr_workgroup_id_z 0
		.amdhsa_system_sgpr_workgroup_info 0
		.amdhsa_system_vgpr_workitem_id 0
		.amdhsa_next_free_vgpr 38
		.amdhsa_next_free_sgpr 28
		.amdhsa_reserve_vcc 1
		.amdhsa_reserve_flat_scratch 0
		.amdhsa_float_round_mode_32 0
		.amdhsa_float_round_mode_16_64 0
		.amdhsa_float_denorm_mode_32 3
		.amdhsa_float_denorm_mode_16_64 3
		.amdhsa_dx10_clamp 1
		.amdhsa_ieee_mode 1
		.amdhsa_fp16_overflow 0
		.amdhsa_exception_fp_ieee_invalid_op 0
		.amdhsa_exception_fp_denorm_src 0
		.amdhsa_exception_fp_ieee_div_zero 0
		.amdhsa_exception_fp_ieee_overflow 0
		.amdhsa_exception_fp_ieee_underflow 0
		.amdhsa_exception_fp_ieee_inexact 0
		.amdhsa_exception_int_div_zero 0
	.end_amdhsa_kernel
	.section	.text._ZN2at6native12_GLOBAL__N_125multi_tensor_apply_kernelINS1_18TensorListMetadataILi2EEENS1_14UnaryOpFunctorIN3c104HalfELi2ELi1ELi1EEEJNS0_4TanhIfEEEEEvT_T0_DpT1_,"axG",@progbits,_ZN2at6native12_GLOBAL__N_125multi_tensor_apply_kernelINS1_18TensorListMetadataILi2EEENS1_14UnaryOpFunctorIN3c104HalfELi2ELi1ELi1EEEJNS0_4TanhIfEEEEEvT_T0_DpT1_,comdat
.Lfunc_end157:
	.size	_ZN2at6native12_GLOBAL__N_125multi_tensor_apply_kernelINS1_18TensorListMetadataILi2EEENS1_14UnaryOpFunctorIN3c104HalfELi2ELi1ELi1EEEJNS0_4TanhIfEEEEEvT_T0_DpT1_, .Lfunc_end157-_ZN2at6native12_GLOBAL__N_125multi_tensor_apply_kernelINS1_18TensorListMetadataILi2EEENS1_14UnaryOpFunctorIN3c104HalfELi2ELi1ELi1EEEJNS0_4TanhIfEEEEEvT_T0_DpT1_
                                        ; -- End function
	.set _ZN2at6native12_GLOBAL__N_125multi_tensor_apply_kernelINS1_18TensorListMetadataILi2EEENS1_14UnaryOpFunctorIN3c104HalfELi2ELi1ELi1EEEJNS0_4TanhIfEEEEEvT_T0_DpT1_.num_vgpr, 38
	.set _ZN2at6native12_GLOBAL__N_125multi_tensor_apply_kernelINS1_18TensorListMetadataILi2EEENS1_14UnaryOpFunctorIN3c104HalfELi2ELi1ELi1EEEJNS0_4TanhIfEEEEEvT_T0_DpT1_.num_agpr, 0
	.set _ZN2at6native12_GLOBAL__N_125multi_tensor_apply_kernelINS1_18TensorListMetadataILi2EEENS1_14UnaryOpFunctorIN3c104HalfELi2ELi1ELi1EEEJNS0_4TanhIfEEEEEvT_T0_DpT1_.numbered_sgpr, 28
	.set _ZN2at6native12_GLOBAL__N_125multi_tensor_apply_kernelINS1_18TensorListMetadataILi2EEENS1_14UnaryOpFunctorIN3c104HalfELi2ELi1ELi1EEEJNS0_4TanhIfEEEEEvT_T0_DpT1_.num_named_barrier, 0
	.set _ZN2at6native12_GLOBAL__N_125multi_tensor_apply_kernelINS1_18TensorListMetadataILi2EEENS1_14UnaryOpFunctorIN3c104HalfELi2ELi1ELi1EEEJNS0_4TanhIfEEEEEvT_T0_DpT1_.private_seg_size, 0
	.set _ZN2at6native12_GLOBAL__N_125multi_tensor_apply_kernelINS1_18TensorListMetadataILi2EEENS1_14UnaryOpFunctorIN3c104HalfELi2ELi1ELi1EEEJNS0_4TanhIfEEEEEvT_T0_DpT1_.uses_vcc, 1
	.set _ZN2at6native12_GLOBAL__N_125multi_tensor_apply_kernelINS1_18TensorListMetadataILi2EEENS1_14UnaryOpFunctorIN3c104HalfELi2ELi1ELi1EEEJNS0_4TanhIfEEEEEvT_T0_DpT1_.uses_flat_scratch, 0
	.set _ZN2at6native12_GLOBAL__N_125multi_tensor_apply_kernelINS1_18TensorListMetadataILi2EEENS1_14UnaryOpFunctorIN3c104HalfELi2ELi1ELi1EEEJNS0_4TanhIfEEEEEvT_T0_DpT1_.has_dyn_sized_stack, 0
	.set _ZN2at6native12_GLOBAL__N_125multi_tensor_apply_kernelINS1_18TensorListMetadataILi2EEENS1_14UnaryOpFunctorIN3c104HalfELi2ELi1ELi1EEEJNS0_4TanhIfEEEEEvT_T0_DpT1_.has_recursion, 0
	.set _ZN2at6native12_GLOBAL__N_125multi_tensor_apply_kernelINS1_18TensorListMetadataILi2EEENS1_14UnaryOpFunctorIN3c104HalfELi2ELi1ELi1EEEJNS0_4TanhIfEEEEEvT_T0_DpT1_.has_indirect_call, 0
	.section	.AMDGPU.csdata,"",@progbits
; Kernel info:
; codeLenInByte = 3068
; TotalNumSgprs: 32
; NumVgprs: 38
; ScratchSize: 0
; MemoryBound: 0
; FloatMode: 240
; IeeeMode: 1
; LDSByteSize: 0 bytes/workgroup (compile time only)
; SGPRBlocks: 3
; VGPRBlocks: 9
; NumSGPRsForWavesPerEU: 32
; NumVGPRsForWavesPerEU: 38
; Occupancy: 6
; WaveLimiterHint : 0
; COMPUTE_PGM_RSRC2:SCRATCH_EN: 0
; COMPUTE_PGM_RSRC2:USER_SGPR: 6
; COMPUTE_PGM_RSRC2:TRAP_HANDLER: 0
; COMPUTE_PGM_RSRC2:TGID_X_EN: 1
; COMPUTE_PGM_RSRC2:TGID_Y_EN: 0
; COMPUTE_PGM_RSRC2:TGID_Z_EN: 0
; COMPUTE_PGM_RSRC2:TIDIG_COMP_CNT: 0
	.section	.text._ZN2at6native12_GLOBAL__N_125multi_tensor_apply_kernelINS1_18TensorListMetadataILi2EEENS1_14UnaryOpFunctorIN3c108BFloat16ELi2ELi1ELi1EEEJNS0_4TanhIfEEEEEvT_T0_DpT1_,"axG",@progbits,_ZN2at6native12_GLOBAL__N_125multi_tensor_apply_kernelINS1_18TensorListMetadataILi2EEENS1_14UnaryOpFunctorIN3c108BFloat16ELi2ELi1ELi1EEEJNS0_4TanhIfEEEEEvT_T0_DpT1_,comdat
	.globl	_ZN2at6native12_GLOBAL__N_125multi_tensor_apply_kernelINS1_18TensorListMetadataILi2EEENS1_14UnaryOpFunctorIN3c108BFloat16ELi2ELi1ELi1EEEJNS0_4TanhIfEEEEEvT_T0_DpT1_ ; -- Begin function _ZN2at6native12_GLOBAL__N_125multi_tensor_apply_kernelINS1_18TensorListMetadataILi2EEENS1_14UnaryOpFunctorIN3c108BFloat16ELi2ELi1ELi1EEEJNS0_4TanhIfEEEEEvT_T0_DpT1_
	.p2align	8
	.type	_ZN2at6native12_GLOBAL__N_125multi_tensor_apply_kernelINS1_18TensorListMetadataILi2EEENS1_14UnaryOpFunctorIN3c108BFloat16ELi2ELi1ELi1EEEJNS0_4TanhIfEEEEEvT_T0_DpT1_,@function
_ZN2at6native12_GLOBAL__N_125multi_tensor_apply_kernelINS1_18TensorListMetadataILi2EEENS1_14UnaryOpFunctorIN3c108BFloat16ELi2ELi1ELi1EEEJNS0_4TanhIfEEEEEvT_T0_DpT1_: ; @_ZN2at6native12_GLOBAL__N_125multi_tensor_apply_kernelINS1_18TensorListMetadataILi2EEENS1_14UnaryOpFunctorIN3c108BFloat16ELi2ELi1ELi1EEEJNS0_4TanhIfEEEEEvT_T0_DpT1_
; %bb.0:
	v_mov_b32_e32 v1, s6
	global_load_ubyte v1, v1, s[4:5] offset:1536
	s_add_u32 s0, s4, s6
	s_mul_hi_u32 s1, s6, 3
	s_mul_i32 s6, s6, 3
	s_addc_u32 s2, s5, 0
	s_add_u32 s0, s0, s6
	s_addc_u32 s1, s2, s1
	s_load_dword s6, s[0:1], 0x740
	s_mov_b32 s11, 0
	s_mov_b32 s13, s11
	s_waitcnt vmcnt(0)
	v_readfirstlane_b32 s0, v1
	s_lshl_b32 s7, s0, 3
	s_load_dwordx2 s[14:15], s[4:5], s7 offset:0x400
	s_load_dwordx2 s[2:3], s[4:5], s7 offset:0x0
	;; [unrolled: 1-line block ×3, first 2 shown]
	s_waitcnt lgkmcnt(0)
	s_ashr_i32 s7, s6, 31
	s_lshl_b64 s[8:9], s[6:7], 17
	s_lshl_b64 s[6:7], s[6:7], 16
	s_add_u32 s10, s2, s8
	s_and_b32 s12, s0, 7
	s_and_b32 s10, s10, 7
	s_sub_u32 s6, s14, s6
	s_subb_u32 s7, s15, s7
	s_and_b32 s14, s14, 3
	s_mov_b32 s15, s11
	s_or_b64 s[12:13], s[12:13], s[14:15]
	s_or_b64 s[10:11], s[12:13], s[10:11]
	s_cmp_eq_u64 s[10:11], 0
	s_mov_b64 s[10:11], -1
	s_cbranch_scc0 .LBB158_21
; %bb.1:
	v_mov_b32_e32 v1, 0x10000
	v_mov_b32_e32 v2, 0
	v_cmp_lt_i64_e32 vcc, s[6:7], v[1:2]
	v_mov_b32_e32 v2, 0
	s_and_b64 s[10:11], vcc, exec
	s_cselect_b32 s11, s7, 0
	s_cselect_b32 s10, s6, 0x10000
	v_lshlrev_b32_e32 v1, 2, v0
	v_cmp_gt_i64_e32 vcc, s[10:11], v[1:2]
	s_and_saveexec_b64 s[12:13], vcc
	s_cbranch_execz .LBB158_20
; %bb.2:
	s_load_dword s14, s[4:5], 0xc5c
	v_mov_b32_e32 v1, v2
	v_lshlrev_b32_e32 v2, 3, v0
	v_mov_b32_e32 v3, s9
	v_add_co_u32_e32 v5, vcc, s8, v2
	s_waitcnt lgkmcnt(0)
	s_and_b32 s18, s14, 0xffff
	v_mov_b32_e32 v2, v1
	v_addc_co_u32_e32 v6, vcc, 0, v3, vcc
	s_lshl_b32 s19, s18, 3
	s_mov_b64 s[14:15], 0
	v_mov_b32_e32 v7, s3
	s_mov_b32 s20, 0x3f200000
	s_mov_b32 s21, 0x3fb8aa3b
	;; [unrolled: 1-line block ×4, first 2 shown]
	v_mov_b32_e32 v8, 0xbd5c1c4e
	v_mov_b32_e32 v9, 0x3e088382
	v_mov_b32_e32 v10, 0xbeaaaa99
	s_brev_b32 s24, -2
	s_movk_i32 s25, 0x7fff
	v_mov_b32_e32 v11, 0x7f800000
	v_mov_b32_e32 v12, 0x7fc00000
	;; [unrolled: 1-line block ×4, first 2 shown]
	s_branch .LBB158_4
.LBB158_3:                              ;   in Loop: Header=BB158_4 Depth=1
	s_or_b64 exec, exec, s[16:17]
	v_bfi_b32 v18, s24, v18, v3
	v_bfe_u32 v3, v18, 16, 1
	v_add3_u32 v3, v18, v3, s25
	v_bfi_b32 v16, s24, v17, v16
	v_lshrrev_b32_e32 v20, 16, v3
	v_bfe_u32 v3, v16, 16, 1
	v_add3_u32 v3, v16, v3, s25
	v_bfi_b32 v14, s24, v15, v14
	v_and_b32_e32 v17, 0xffff0000, v3
	v_bfe_u32 v3, v14, 16, 1
	v_add3_u32 v3, v14, v3, s25
	v_bfi_b32 v19, s24, v19, v4
	v_lshrrev_b32_e32 v15, 16, v3
	v_bfe_u32 v3, v19, 16, 1
	v_add3_u32 v21, v19, v3, s25
	v_mov_b32_e32 v4, s1
	v_add_co_u32_e32 v3, vcc, s0, v5
	v_addc_co_u32_e32 v4, vcc, v4, v6, vcc
	v_and_b32_e32 v21, 0xffff0000, v21
	v_cmp_o_f32_e32 vcc, v19, v19
	v_cndmask_b32_e32 v19, v12, v21, vcc
	v_cmp_o_f32_e32 vcc, v18, v18
	v_cndmask_b32_e32 v18, v13, v20, vcc
	;; [unrolled: 2-line block ×4, first 2 shown]
	v_add_co_u32_e32 v1, vcc, s18, v1
	v_addc_co_u32_e32 v2, vcc, 0, v2, vcc
	v_or_b32_e32 v14, v16, v14
	v_lshlrev_b64 v[16:17], 2, v[1:2]
	v_or3_b32 v15, 0, v18, v19
	v_cmp_le_i64_e32 vcc, s[10:11], v[16:17]
	v_or3_b32 v14, v14, 0, 0
	s_or_b64 s[14:15], vcc, s[14:15]
	v_add_co_u32_e32 v5, vcc, s19, v5
	v_addc_co_u32_e32 v6, vcc, 0, v6, vcc
	global_store_dwordx2 v[3:4], v[14:15], off
	s_andn2_b64 exec, exec, s[14:15]
	s_cbranch_execz .LBB158_20
.LBB158_4:                              ; =>This Inner Loop Header: Depth=1
	v_add_co_u32_e32 v3, vcc, s2, v5
	v_addc_co_u32_e32 v4, vcc, v7, v6, vcc
	global_load_dwordx2 v[3:4], v[3:4], off
                                        ; implicit-def: $vgpr15
	s_waitcnt vmcnt(0)
	v_lshlrev_b32_e32 v14, 16, v3
	v_cmp_nlt_f32_e64 s[16:17], |v14|, s20
	s_and_saveexec_b64 s[26:27], s[16:17]
	s_xor_b64 s[16:17], exec, s[26:27]
	s_cbranch_execz .LBB158_6
; %bb.5:                                ;   in Loop: Header=BB158_4 Depth=1
	v_add_f32_e64 v15, |v14|, |v14|
	v_mul_f32_e32 v16, 0x3fb8aa3b, v15
	v_rndne_f32_e32 v17, v16
	v_sub_f32_e32 v18, v16, v17
	v_fma_f32 v16, v15, s21, -v16
	v_fmac_f32_e32 v16, 0x32a5705f, v15
	v_add_f32_e32 v16, v18, v16
	v_cvt_i32_f32_e32 v17, v17
	v_exp_f32_e32 v16, v16
	v_cmp_ngt_f32_e32 vcc, s22, v15
	v_ldexp_f32 v16, v16, v17
	v_cndmask_b32_e32 v16, 0, v16, vcc
	v_cmp_nlt_f32_e32 vcc, s23, v15
	v_cndmask_b32_e32 v15, v11, v16, vcc
	v_add_f32_e32 v15, 1.0, v15
	v_rcp_f32_e32 v15, v15
	v_fma_f32 v15, v15, -2.0, 1.0
.LBB158_6:                              ;   in Loop: Header=BB158_4 Depth=1
	s_andn2_saveexec_b64 s[16:17], s[16:17]
; %bb.7:                                ;   in Loop: Header=BB158_4 Depth=1
	v_mul_f32_e32 v15, v14, v14
	v_mov_b32_e32 v16, 0x3ca908c9
	v_fmac_f32_e32 v16, 0xbbbac73d, v15
	v_fma_f32 v16, v15, v16, v8
	v_fma_f32 v16, v15, v16, v9
	;; [unrolled: 1-line block ×3, first 2 shown]
	v_mul_f32_e64 v16, |v14|, v16
	v_fma_f32 v15, v15, v16, |v14|
; %bb.8:                                ;   in Loop: Header=BB158_4 Depth=1
	s_or_b64 exec, exec, s[16:17]
	v_and_b32_e32 v16, 0xffff0000, v3
	v_cmp_nlt_f32_e64 s[16:17], |v16|, s20
                                        ; implicit-def: $vgpr17
	s_and_saveexec_b64 s[26:27], s[16:17]
	s_xor_b64 s[16:17], exec, s[26:27]
	s_cbranch_execz .LBB158_10
; %bb.9:                                ;   in Loop: Header=BB158_4 Depth=1
	v_add_f32_e64 v17, |v16|, |v16|
	v_mul_f32_e32 v18, 0x3fb8aa3b, v17
	v_rndne_f32_e32 v19, v18
	v_sub_f32_e32 v20, v18, v19
	v_fma_f32 v18, v17, s21, -v18
	v_fmac_f32_e32 v18, 0x32a5705f, v17
	v_add_f32_e32 v18, v20, v18
	v_cvt_i32_f32_e32 v19, v19
	v_exp_f32_e32 v18, v18
	v_cmp_ngt_f32_e32 vcc, s22, v17
	v_ldexp_f32 v18, v18, v19
	v_cndmask_b32_e32 v18, 0, v18, vcc
	v_cmp_nlt_f32_e32 vcc, s23, v17
	v_cndmask_b32_e32 v17, v11, v18, vcc
	v_add_f32_e32 v17, 1.0, v17
	v_rcp_f32_e32 v17, v17
	v_fma_f32 v17, v17, -2.0, 1.0
.LBB158_10:                             ;   in Loop: Header=BB158_4 Depth=1
	s_andn2_saveexec_b64 s[16:17], s[16:17]
; %bb.11:                               ;   in Loop: Header=BB158_4 Depth=1
	v_mul_f32_e32 v17, v16, v16
	v_mov_b32_e32 v18, 0x3ca908c9
	v_fmac_f32_e32 v18, 0xbbbac73d, v17
	v_fma_f32 v18, v17, v18, v8
	v_fma_f32 v18, v17, v18, v9
	;; [unrolled: 1-line block ×3, first 2 shown]
	v_mul_f32_e64 v18, |v16|, v18
	v_fma_f32 v17, v17, v18, |v16|
; %bb.12:                               ;   in Loop: Header=BB158_4 Depth=1
	s_or_b64 exec, exec, s[16:17]
	v_alignbit_b32 v3, v4, v3, 16
	v_and_b32_e32 v3, 0xffff0000, v3
	v_cmp_nlt_f32_e64 s[16:17], |v3|, s20
                                        ; implicit-def: $vgpr18
	s_and_saveexec_b64 s[26:27], s[16:17]
	s_xor_b64 s[16:17], exec, s[26:27]
	s_cbranch_execz .LBB158_14
; %bb.13:                               ;   in Loop: Header=BB158_4 Depth=1
	v_add_f32_e64 v18, |v3|, |v3|
	v_mul_f32_e32 v19, 0x3fb8aa3b, v18
	v_rndne_f32_e32 v20, v19
	v_sub_f32_e32 v21, v19, v20
	v_fma_f32 v19, v18, s21, -v19
	v_fmac_f32_e32 v19, 0x32a5705f, v18
	v_add_f32_e32 v19, v21, v19
	v_cvt_i32_f32_e32 v20, v20
	v_exp_f32_e32 v19, v19
	v_cmp_ngt_f32_e32 vcc, s22, v18
	v_ldexp_f32 v19, v19, v20
	v_cndmask_b32_e32 v19, 0, v19, vcc
	v_cmp_nlt_f32_e32 vcc, s23, v18
	v_cndmask_b32_e32 v18, v11, v19, vcc
	v_add_f32_e32 v18, 1.0, v18
	v_rcp_f32_e32 v18, v18
	v_fma_f32 v18, v18, -2.0, 1.0
.LBB158_14:                             ;   in Loop: Header=BB158_4 Depth=1
	s_andn2_saveexec_b64 s[16:17], s[16:17]
; %bb.15:                               ;   in Loop: Header=BB158_4 Depth=1
	v_mul_f32_e32 v18, v3, v3
	v_mov_b32_e32 v19, 0x3ca908c9
	v_fmac_f32_e32 v19, 0xbbbac73d, v18
	v_fma_f32 v19, v18, v19, v8
	v_fma_f32 v19, v18, v19, v9
	;; [unrolled: 1-line block ×3, first 2 shown]
	v_mul_f32_e64 v19, |v3|, v19
	v_fma_f32 v18, v18, v19, |v3|
; %bb.16:                               ;   in Loop: Header=BB158_4 Depth=1
	s_or_b64 exec, exec, s[16:17]
	v_and_b32_e32 v4, 0xffff0000, v4
	v_cmp_nlt_f32_e64 s[16:17], |v4|, s20
                                        ; implicit-def: $vgpr19
	s_and_saveexec_b64 s[26:27], s[16:17]
	s_xor_b64 s[16:17], exec, s[26:27]
	s_cbranch_execz .LBB158_18
; %bb.17:                               ;   in Loop: Header=BB158_4 Depth=1
	v_add_f32_e64 v19, |v4|, |v4|
	v_mul_f32_e32 v20, 0x3fb8aa3b, v19
	v_rndne_f32_e32 v21, v20
	v_sub_f32_e32 v22, v20, v21
	v_fma_f32 v20, v19, s21, -v20
	v_fmac_f32_e32 v20, 0x32a5705f, v19
	v_add_f32_e32 v20, v22, v20
	v_cvt_i32_f32_e32 v21, v21
	v_exp_f32_e32 v20, v20
	v_cmp_ngt_f32_e32 vcc, s22, v19
	v_ldexp_f32 v20, v20, v21
	v_cndmask_b32_e32 v20, 0, v20, vcc
	v_cmp_nlt_f32_e32 vcc, s23, v19
	v_cndmask_b32_e32 v19, v11, v20, vcc
	v_add_f32_e32 v19, 1.0, v19
	v_rcp_f32_e32 v19, v19
	v_fma_f32 v19, v19, -2.0, 1.0
.LBB158_18:                             ;   in Loop: Header=BB158_4 Depth=1
	s_andn2_saveexec_b64 s[16:17], s[16:17]
	s_cbranch_execz .LBB158_3
; %bb.19:                               ;   in Loop: Header=BB158_4 Depth=1
	v_mul_f32_e32 v19, v4, v4
	v_mov_b32_e32 v20, 0x3ca908c9
	v_fmac_f32_e32 v20, 0xbbbac73d, v19
	v_fma_f32 v20, v19, v20, v8
	v_fma_f32 v20, v19, v20, v9
	;; [unrolled: 1-line block ×3, first 2 shown]
	v_mul_f32_e64 v20, |v4|, v20
	v_fma_f32 v19, v19, v20, |v4|
	s_branch .LBB158_3
.LBB158_20:
	s_or_b64 exec, exec, s[12:13]
	s_mov_b64 s[10:11], 0
.LBB158_21:
	s_andn2_b64 vcc, exec, s[10:11]
	s_cbranch_vccnz .LBB158_57
; %bb.22:
	v_cmp_lt_i64_e64 s[10:11], s[6:7], 1
	s_and_b64 vcc, exec, s[10:11]
	s_cbranch_vccnz .LBB158_57
; %bb.23:
	v_mov_b32_e32 v1, 0x10000
	s_load_dword s12, s[4:5], 0xc5c
	v_mov_b32_e32 v2, 0
	v_cmp_lt_i64_e32 vcc, s[6:7], v[1:2]
	v_mov_b32_e32 v10, 0
	s_and_b64 s[4:5], vcc, exec
	v_cmp_lt_u64_e32 vcc, s[6:7], v[1:2]
	s_cselect_b32 s11, s7, 0
	s_cselect_b32 s10, s6, 0x10000
	s_waitcnt lgkmcnt(0)
	s_and_b32 s14, s12, 0xffff
	v_lshlrev_b32_e32 v9, 1, v0
	s_and_b64 s[4:5], vcc, exec
	v_mov_b32_e32 v2, s3
	v_add_co_u32_e32 v1, vcc, s2, v9
	v_mad_u64_u32 v[7:8], s[4:5], s14, 6, v[9:10]
	v_addc_co_u32_e32 v2, vcc, 0, v2, vcc
	v_mov_b32_e32 v4, s1
	v_add_co_u32_e32 v3, vcc, s0, v9
	v_addc_co_u32_e32 v4, vcc, 0, v4, vcc
	v_mov_b32_e32 v6, s3
	v_add_co_u32_e32 v5, vcc, s2, v7
	;; [unrolled: 3-line block ×3, first 2 shown]
	s_cselect_b32 s13, s7, 0
	s_cselect_b32 s12, s6, 0x10000
	s_lshl_b32 s18, s14, 2
	v_addc_co_u32_e32 v8, vcc, v10, v8, vcc
	v_add_co_u32_e32 v11, vcc, s18, v9
	v_addc_co_u32_e64 v12, s[4:5], 0, 0, vcc
	v_mov_b32_e32 v10, s3
	v_add_co_u32_e32 v9, vcc, s2, v11
	v_addc_co_u32_e32 v10, vcc, v10, v12, vcc
	v_mov_b32_e32 v13, s1
	v_add_co_u32_e32 v11, vcc, s0, v11
	v_addc_co_u32_e32 v12, vcc, v13, v12, vcc
	v_add_co_u32_e32 v13, vcc, s14, v0
	v_lshlrev_b32_e32 v17, 1, v13
	v_addc_co_u32_e64 v14, s[4:5], 0, 0, vcc
	v_mov_b32_e32 v16, s3
	v_add_co_u32_e32 v15, vcc, s2, v17
	v_addc_co_u32_e32 v16, vcc, 0, v16, vcc
	v_mov_b32_e32 v18, s1
	v_add_co_u32_e32 v17, vcc, s0, v17
	s_mul_i32 s7, s14, 3
	v_addc_co_u32_e32 v18, vcc, 0, v18, vcc
	s_lshl_b32 s6, s14, 1
	v_add_co_u32_e32 v19, vcc, s7, v0
	v_addc_co_u32_e64 v20, s[0:1], 0, 0, vcc
	v_add_co_u32_e32 v21, vcc, s6, v0
	s_lshl_b32 s19, s14, 3
	s_mov_b64 s[14:15], 0
	s_mov_b32 s20, 0x3f200000
	s_mov_b32 s21, 0x3fb8aa3b
	;; [unrolled: 1-line block ×4, first 2 shown]
	s_brev_b32 s24, -2
	s_movk_i32 s25, 0x7fff
	v_addc_co_u32_e64 v22, s[0:1], 0, 0, vcc
	v_mov_b32_e32 v23, 0xbd5c1c4e
	v_mov_b32_e32 v24, 0x3e088382
	;; [unrolled: 1-line block ×5, first 2 shown]
	s_branch .LBB158_25
.LBB158_24:                             ;   in Loop: Header=BB158_25 Depth=1
	s_or_b64 exec, exec, s[0:1]
	v_add_co_u32_e32 v1, vcc, s19, v1
	v_addc_co_u32_e32 v2, vcc, 0, v2, vcc
	v_add_co_u32_e32 v3, vcc, s19, v3
	v_addc_co_u32_e32 v4, vcc, 0, v4, vcc
	;; [unrolled: 2-line block ×6, first 2 shown]
	s_add_u32 s14, s14, s18
	v_add_co_u32_e32 v15, vcc, s19, v15
	v_mov_b32_e32 v29, s11
	s_addc_u32 s15, s15, 0
	v_addc_co_u32_e32 v16, vcc, 0, v16, vcc
	v_mov_b32_e32 v28, s10
	v_cmp_ge_i64_e32 vcc, s[14:15], v[28:29]
	v_add_co_u32_e64 v17, s[0:1], s19, v17
	v_addc_co_u32_e64 v18, s[0:1], 0, v18, s[0:1]
	s_cbranch_vccnz .LBB158_57
.LBB158_25:                             ; =>This Inner Loop Header: Depth=1
	v_mov_b32_e32 v29, s15
	v_add_co_u32_e32 v28, vcc, s14, v0
	v_addc_co_u32_e32 v29, vcc, 0, v29, vcc
	v_cmp_gt_u64_e32 vcc, s[12:13], v[28:29]
	v_mov_b32_e32 v29, 0
	s_and_saveexec_b64 s[2:3], vcc
	s_cbranch_execz .LBB158_27
; %bb.26:                               ;   in Loop: Header=BB158_25 Depth=1
	v_mov_b32_e32 v29, s9
	v_add_co_u32_e64 v28, s[0:1], s8, v1
	v_addc_co_u32_e64 v29, s[0:1], v2, v29, s[0:1]
	global_load_ushort v28, v[28:29], off
	s_waitcnt vmcnt(0)
	v_lshlrev_b32_e32 v29, 16, v28
.LBB158_27:                             ;   in Loop: Header=BB158_25 Depth=1
	s_or_b64 exec, exec, s[2:3]
	v_mov_b32_e32 v28, s15
	v_add_co_u32_e64 v30, s[0:1], s14, v13
	v_addc_co_u32_e64 v31, s[0:1], v14, v28, s[0:1]
	v_cmp_gt_u64_e64 s[0:1], s[12:13], v[30:31]
	v_mov_b32_e32 v28, 0
	v_mov_b32_e32 v30, 0
	s_and_saveexec_b64 s[4:5], s[0:1]
	s_cbranch_execz .LBB158_29
; %bb.28:                               ;   in Loop: Header=BB158_25 Depth=1
	v_mov_b32_e32 v31, s9
	v_add_co_u32_e64 v30, s[2:3], s8, v15
	v_addc_co_u32_e64 v31, s[2:3], v16, v31, s[2:3]
	global_load_ushort v30, v[30:31], off
	s_waitcnt vmcnt(0)
	v_lshlrev_b32_e32 v30, 16, v30
.LBB158_29:                             ;   in Loop: Header=BB158_25 Depth=1
	s_or_b64 exec, exec, s[4:5]
	v_mov_b32_e32 v32, s15
	v_add_co_u32_e64 v31, s[2:3], s14, v21
	v_addc_co_u32_e64 v32, s[2:3], v22, v32, s[2:3]
	v_cmp_gt_u64_e64 s[2:3], s[12:13], v[31:32]
	s_and_saveexec_b64 s[6:7], s[2:3]
	s_cbranch_execz .LBB158_31
; %bb.30:                               ;   in Loop: Header=BB158_25 Depth=1
	v_mov_b32_e32 v28, s9
	v_add_co_u32_e64 v31, s[4:5], s8, v9
	v_addc_co_u32_e64 v32, s[4:5], v10, v28, s[4:5]
	global_load_ushort v28, v[31:32], off
	s_waitcnt vmcnt(0)
	v_lshlrev_b32_e32 v28, 16, v28
.LBB158_31:                             ;   in Loop: Header=BB158_25 Depth=1
	s_or_b64 exec, exec, s[6:7]
	v_mov_b32_e32 v32, s15
	v_add_co_u32_e64 v31, s[4:5], s14, v19
	v_addc_co_u32_e64 v32, s[4:5], v20, v32, s[4:5]
	v_cmp_gt_u64_e64 s[4:5], s[12:13], v[31:32]
	v_mov_b32_e32 v31, 0
	s_and_saveexec_b64 s[16:17], s[4:5]
	s_cbranch_execz .LBB158_33
; %bb.32:                               ;   in Loop: Header=BB158_25 Depth=1
	v_mov_b32_e32 v32, s9
	v_add_co_u32_e64 v31, s[6:7], s8, v5
	v_addc_co_u32_e64 v32, s[6:7], v6, v32, s[6:7]
	global_load_ushort v31, v[31:32], off
	s_waitcnt vmcnt(0)
	v_lshlrev_b32_e32 v31, 16, v31
.LBB158_33:                             ;   in Loop: Header=BB158_25 Depth=1
	s_or_b64 exec, exec, s[16:17]
	v_cmp_nlt_f32_e64 s[6:7], |v29|, s20
                                        ; implicit-def: $vgpr32
	s_and_saveexec_b64 s[16:17], s[6:7]
	s_xor_b64 s[16:17], exec, s[16:17]
	s_cbranch_execz .LBB158_35
; %bb.34:                               ;   in Loop: Header=BB158_25 Depth=1
	v_add_f32_e64 v32, |v29|, |v29|
	v_mul_f32_e32 v33, 0x3fb8aa3b, v32
	v_rndne_f32_e32 v34, v33
	v_sub_f32_e32 v35, v33, v34
	v_fma_f32 v33, v32, s21, -v33
	v_fmac_f32_e32 v33, 0x32a5705f, v32
	v_add_f32_e32 v33, v35, v33
	v_cvt_i32_f32_e32 v34, v34
	v_exp_f32_e32 v33, v33
	v_cmp_ngt_f32_e64 s[6:7], s22, v32
	v_ldexp_f32 v33, v33, v34
	v_cndmask_b32_e64 v33, 0, v33, s[6:7]
	v_cmp_nlt_f32_e64 s[6:7], s23, v32
	v_cndmask_b32_e64 v32, v26, v33, s[6:7]
	v_add_f32_e32 v32, 1.0, v32
	v_rcp_f32_e32 v32, v32
	v_fma_f32 v32, v32, -2.0, 1.0
.LBB158_35:                             ;   in Loop: Header=BB158_25 Depth=1
	s_andn2_saveexec_b64 s[6:7], s[16:17]
; %bb.36:                               ;   in Loop: Header=BB158_25 Depth=1
	v_mul_f32_e32 v32, v29, v29
	v_mov_b32_e32 v33, 0x3ca908c9
	v_fmac_f32_e32 v33, 0xbbbac73d, v32
	v_fma_f32 v33, v32, v33, v23
	v_fma_f32 v33, v32, v33, v24
	v_fma_f32 v33, v32, v33, v25
	v_mul_f32_e64 v33, |v29|, v33
	v_fma_f32 v32, v32, v33, |v29|
; %bb.37:                               ;   in Loop: Header=BB158_25 Depth=1
	s_or_b64 exec, exec, s[6:7]
	v_cmp_nlt_f32_e64 s[6:7], |v30|, s20
                                        ; implicit-def: $vgpr33
	s_and_saveexec_b64 s[16:17], s[6:7]
	s_xor_b64 s[16:17], exec, s[16:17]
	s_cbranch_execz .LBB158_39
; %bb.38:                               ;   in Loop: Header=BB158_25 Depth=1
	v_add_f32_e64 v33, |v30|, |v30|
	v_mul_f32_e32 v34, 0x3fb8aa3b, v33
	v_rndne_f32_e32 v35, v34
	v_sub_f32_e32 v36, v34, v35
	v_fma_f32 v34, v33, s21, -v34
	v_fmac_f32_e32 v34, 0x32a5705f, v33
	v_add_f32_e32 v34, v36, v34
	v_cvt_i32_f32_e32 v35, v35
	v_exp_f32_e32 v34, v34
	v_cmp_ngt_f32_e64 s[6:7], s22, v33
	v_ldexp_f32 v34, v34, v35
	v_cndmask_b32_e64 v34, 0, v34, s[6:7]
	v_cmp_nlt_f32_e64 s[6:7], s23, v33
	v_cndmask_b32_e64 v33, v26, v34, s[6:7]
	v_add_f32_e32 v33, 1.0, v33
	v_rcp_f32_e32 v33, v33
	v_fma_f32 v33, v33, -2.0, 1.0
.LBB158_39:                             ;   in Loop: Header=BB158_25 Depth=1
	s_andn2_saveexec_b64 s[6:7], s[16:17]
; %bb.40:                               ;   in Loop: Header=BB158_25 Depth=1
	v_mul_f32_e32 v33, v30, v30
	v_mov_b32_e32 v34, 0x3ca908c9
	v_fmac_f32_e32 v34, 0xbbbac73d, v33
	v_fma_f32 v34, v33, v34, v23
	v_fma_f32 v34, v33, v34, v24
	;; [unrolled: 1-line block ×3, first 2 shown]
	v_mul_f32_e64 v34, |v30|, v34
	v_fma_f32 v33, v33, v34, |v30|
; %bb.41:                               ;   in Loop: Header=BB158_25 Depth=1
	s_or_b64 exec, exec, s[6:7]
	v_cmp_nlt_f32_e64 s[6:7], |v28|, s20
                                        ; implicit-def: $vgpr34
	s_and_saveexec_b64 s[16:17], s[6:7]
	s_xor_b64 s[16:17], exec, s[16:17]
	s_cbranch_execz .LBB158_43
; %bb.42:                               ;   in Loop: Header=BB158_25 Depth=1
	v_add_f32_e64 v34, |v28|, |v28|
	v_mul_f32_e32 v35, 0x3fb8aa3b, v34
	v_rndne_f32_e32 v36, v35
	v_sub_f32_e32 v37, v35, v36
	v_fma_f32 v35, v34, s21, -v35
	v_fmac_f32_e32 v35, 0x32a5705f, v34
	v_add_f32_e32 v35, v37, v35
	v_cvt_i32_f32_e32 v36, v36
	v_exp_f32_e32 v35, v35
	v_cmp_ngt_f32_e64 s[6:7], s22, v34
	v_ldexp_f32 v35, v35, v36
	v_cndmask_b32_e64 v35, 0, v35, s[6:7]
	v_cmp_nlt_f32_e64 s[6:7], s23, v34
	v_cndmask_b32_e64 v34, v26, v35, s[6:7]
	v_add_f32_e32 v34, 1.0, v34
	v_rcp_f32_e32 v34, v34
	v_fma_f32 v34, v34, -2.0, 1.0
.LBB158_43:                             ;   in Loop: Header=BB158_25 Depth=1
	s_andn2_saveexec_b64 s[6:7], s[16:17]
; %bb.44:                               ;   in Loop: Header=BB158_25 Depth=1
	v_mul_f32_e32 v34, v28, v28
	v_mov_b32_e32 v35, 0x3ca908c9
	v_fmac_f32_e32 v35, 0xbbbac73d, v34
	v_fma_f32 v35, v34, v35, v23
	v_fma_f32 v35, v34, v35, v24
	;; [unrolled: 1-line block ×3, first 2 shown]
	v_mul_f32_e64 v35, |v28|, v35
	v_fma_f32 v34, v34, v35, |v28|
; %bb.45:                               ;   in Loop: Header=BB158_25 Depth=1
	s_or_b64 exec, exec, s[6:7]
	v_cmp_nlt_f32_e64 s[6:7], |v31|, s20
                                        ; implicit-def: $vgpr35
	s_and_saveexec_b64 s[16:17], s[6:7]
	s_xor_b64 s[16:17], exec, s[16:17]
	s_cbranch_execnz .LBB158_51
; %bb.46:                               ;   in Loop: Header=BB158_25 Depth=1
	s_andn2_saveexec_b64 s[6:7], s[16:17]
	s_cbranch_execnz .LBB158_52
.LBB158_47:                             ;   in Loop: Header=BB158_25 Depth=1
	s_or_b64 exec, exec, s[6:7]
	s_and_saveexec_b64 s[6:7], vcc
	s_xor_b64 s[6:7], exec, s[6:7]
	s_cbranch_execnz .LBB158_53
.LBB158_48:                             ;   in Loop: Header=BB158_25 Depth=1
	s_or_b64 exec, exec, s[6:7]
	s_and_saveexec_b64 s[6:7], s[0:1]
	s_cbranch_execnz .LBB158_54
.LBB158_49:                             ;   in Loop: Header=BB158_25 Depth=1
	s_or_b64 exec, exec, s[6:7]
	s_and_saveexec_b64 s[0:1], s[2:3]
	s_cbranch_execnz .LBB158_55
.LBB158_50:                             ;   in Loop: Header=BB158_25 Depth=1
	s_or_b64 exec, exec, s[0:1]
	s_and_saveexec_b64 s[0:1], s[4:5]
	s_cbranch_execz .LBB158_24
	s_branch .LBB158_56
.LBB158_51:                             ;   in Loop: Header=BB158_25 Depth=1
	v_add_f32_e64 v35, |v31|, |v31|
	v_mul_f32_e32 v36, 0x3fb8aa3b, v35
	v_rndne_f32_e32 v37, v36
	v_sub_f32_e32 v38, v36, v37
	v_fma_f32 v36, v35, s21, -v36
	v_fmac_f32_e32 v36, 0x32a5705f, v35
	v_add_f32_e32 v36, v38, v36
	v_cvt_i32_f32_e32 v37, v37
	v_exp_f32_e32 v36, v36
	v_cmp_ngt_f32_e64 s[6:7], s22, v35
	v_ldexp_f32 v36, v36, v37
	v_cndmask_b32_e64 v36, 0, v36, s[6:7]
	v_cmp_nlt_f32_e64 s[6:7], s23, v35
	v_cndmask_b32_e64 v35, v26, v36, s[6:7]
	v_add_f32_e32 v35, 1.0, v35
	v_rcp_f32_e32 v35, v35
	v_fma_f32 v35, v35, -2.0, 1.0
	s_andn2_saveexec_b64 s[6:7], s[16:17]
	s_cbranch_execz .LBB158_47
.LBB158_52:                             ;   in Loop: Header=BB158_25 Depth=1
	v_mul_f32_e32 v35, v31, v31
	v_mov_b32_e32 v36, 0x3ca908c9
	v_fmac_f32_e32 v36, 0xbbbac73d, v35
	v_fma_f32 v36, v35, v36, v23
	v_fma_f32 v36, v35, v36, v24
	;; [unrolled: 1-line block ×3, first 2 shown]
	v_mul_f32_e64 v36, |v31|, v36
	v_fma_f32 v35, v35, v36, |v31|
	s_or_b64 exec, exec, s[6:7]
	s_and_saveexec_b64 s[6:7], vcc
	s_xor_b64 s[6:7], exec, s[6:7]
	s_cbranch_execz .LBB158_48
.LBB158_53:                             ;   in Loop: Header=BB158_25 Depth=1
	v_bfi_b32 v29, s24, v32, v29
	v_bfe_u32 v32, v29, 16, 1
	v_add3_u32 v32, v29, v32, s25
	v_cmp_o_f32_e32 vcc, v29, v29
	v_cndmask_b32_sdwa v29, v27, v32, vcc dst_sel:DWORD dst_unused:UNUSED_PAD src0_sel:DWORD src1_sel:WORD_1
	v_mov_b32_e32 v32, s9
	v_add_co_u32_e32 v36, vcc, s8, v3
	v_addc_co_u32_e32 v37, vcc, v4, v32, vcc
	global_store_short v[36:37], v29, off
	s_or_b64 exec, exec, s[6:7]
	s_and_saveexec_b64 s[6:7], s[0:1]
	s_cbranch_execz .LBB158_49
.LBB158_54:                             ;   in Loop: Header=BB158_25 Depth=1
	v_bfi_b32 v29, s24, v33, v30
	v_bfe_u32 v30, v29, 16, 1
	v_add3_u32 v30, v29, v30, s25
	v_cmp_o_f32_e32 vcc, v29, v29
	v_cndmask_b32_sdwa v32, v27, v30, vcc dst_sel:DWORD dst_unused:UNUSED_PAD src0_sel:DWORD src1_sel:WORD_1
	v_mov_b32_e32 v30, s9
	v_add_co_u32_e32 v29, vcc, s8, v17
	v_addc_co_u32_e32 v30, vcc, v18, v30, vcc
	global_store_short v[29:30], v32, off
	s_or_b64 exec, exec, s[6:7]
	s_and_saveexec_b64 s[0:1], s[2:3]
	s_cbranch_execz .LBB158_50
.LBB158_55:                             ;   in Loop: Header=BB158_25 Depth=1
	v_bfi_b32 v28, s24, v34, v28
	v_bfe_u32 v29, v28, 16, 1
	v_add3_u32 v29, v28, v29, s25
	v_cmp_o_f32_e32 vcc, v28, v28
	v_cndmask_b32_sdwa v30, v27, v29, vcc dst_sel:DWORD dst_unused:UNUSED_PAD src0_sel:DWORD src1_sel:WORD_1
	v_mov_b32_e32 v29, s9
	v_add_co_u32_e32 v28, vcc, s8, v11
	v_addc_co_u32_e32 v29, vcc, v12, v29, vcc
	global_store_short v[28:29], v30, off
	s_or_b64 exec, exec, s[0:1]
	s_and_saveexec_b64 s[0:1], s[4:5]
	s_cbranch_execz .LBB158_24
.LBB158_56:                             ;   in Loop: Header=BB158_25 Depth=1
	v_bfi_b32 v28, s24, v35, v31
	v_bfe_u32 v29, v28, 16, 1
	v_add3_u32 v29, v28, v29, s25
	v_cmp_o_f32_e32 vcc, v28, v28
	v_cndmask_b32_sdwa v30, v27, v29, vcc dst_sel:DWORD dst_unused:UNUSED_PAD src0_sel:DWORD src1_sel:WORD_1
	v_mov_b32_e32 v29, s9
	v_add_co_u32_e32 v28, vcc, s8, v7
	v_addc_co_u32_e32 v29, vcc, v8, v29, vcc
	global_store_short v[28:29], v30, off
	s_branch .LBB158_24
.LBB158_57:
	s_endpgm
	.section	.rodata,"a",@progbits
	.p2align	6, 0x0
	.amdhsa_kernel _ZN2at6native12_GLOBAL__N_125multi_tensor_apply_kernelINS1_18TensorListMetadataILi2EEENS1_14UnaryOpFunctorIN3c108BFloat16ELi2ELi1ELi1EEEJNS0_4TanhIfEEEEEvT_T0_DpT1_
		.amdhsa_group_segment_fixed_size 0
		.amdhsa_private_segment_fixed_size 0
		.amdhsa_kernarg_size 3408
		.amdhsa_user_sgpr_count 6
		.amdhsa_user_sgpr_private_segment_buffer 1
		.amdhsa_user_sgpr_dispatch_ptr 0
		.amdhsa_user_sgpr_queue_ptr 0
		.amdhsa_user_sgpr_kernarg_segment_ptr 1
		.amdhsa_user_sgpr_dispatch_id 0
		.amdhsa_user_sgpr_flat_scratch_init 0
		.amdhsa_user_sgpr_private_segment_size 0
		.amdhsa_uses_dynamic_stack 0
		.amdhsa_system_sgpr_private_segment_wavefront_offset 0
		.amdhsa_system_sgpr_workgroup_id_x 1
		.amdhsa_system_sgpr_workgroup_id_y 0
		.amdhsa_system_sgpr_workgroup_id_z 0
		.amdhsa_system_sgpr_workgroup_info 0
		.amdhsa_system_vgpr_workitem_id 0
		.amdhsa_next_free_vgpr 39
		.amdhsa_next_free_sgpr 28
		.amdhsa_reserve_vcc 1
		.amdhsa_reserve_flat_scratch 0
		.amdhsa_float_round_mode_32 0
		.amdhsa_float_round_mode_16_64 0
		.amdhsa_float_denorm_mode_32 3
		.amdhsa_float_denorm_mode_16_64 3
		.amdhsa_dx10_clamp 1
		.amdhsa_ieee_mode 1
		.amdhsa_fp16_overflow 0
		.amdhsa_exception_fp_ieee_invalid_op 0
		.amdhsa_exception_fp_denorm_src 0
		.amdhsa_exception_fp_ieee_div_zero 0
		.amdhsa_exception_fp_ieee_overflow 0
		.amdhsa_exception_fp_ieee_underflow 0
		.amdhsa_exception_fp_ieee_inexact 0
		.amdhsa_exception_int_div_zero 0
	.end_amdhsa_kernel
	.section	.text._ZN2at6native12_GLOBAL__N_125multi_tensor_apply_kernelINS1_18TensorListMetadataILi2EEENS1_14UnaryOpFunctorIN3c108BFloat16ELi2ELi1ELi1EEEJNS0_4TanhIfEEEEEvT_T0_DpT1_,"axG",@progbits,_ZN2at6native12_GLOBAL__N_125multi_tensor_apply_kernelINS1_18TensorListMetadataILi2EEENS1_14UnaryOpFunctorIN3c108BFloat16ELi2ELi1ELi1EEEJNS0_4TanhIfEEEEEvT_T0_DpT1_,comdat
.Lfunc_end158:
	.size	_ZN2at6native12_GLOBAL__N_125multi_tensor_apply_kernelINS1_18TensorListMetadataILi2EEENS1_14UnaryOpFunctorIN3c108BFloat16ELi2ELi1ELi1EEEJNS0_4TanhIfEEEEEvT_T0_DpT1_, .Lfunc_end158-_ZN2at6native12_GLOBAL__N_125multi_tensor_apply_kernelINS1_18TensorListMetadataILi2EEENS1_14UnaryOpFunctorIN3c108BFloat16ELi2ELi1ELi1EEEJNS0_4TanhIfEEEEEvT_T0_DpT1_
                                        ; -- End function
	.set _ZN2at6native12_GLOBAL__N_125multi_tensor_apply_kernelINS1_18TensorListMetadataILi2EEENS1_14UnaryOpFunctorIN3c108BFloat16ELi2ELi1ELi1EEEJNS0_4TanhIfEEEEEvT_T0_DpT1_.num_vgpr, 39
	.set _ZN2at6native12_GLOBAL__N_125multi_tensor_apply_kernelINS1_18TensorListMetadataILi2EEENS1_14UnaryOpFunctorIN3c108BFloat16ELi2ELi1ELi1EEEJNS0_4TanhIfEEEEEvT_T0_DpT1_.num_agpr, 0
	.set _ZN2at6native12_GLOBAL__N_125multi_tensor_apply_kernelINS1_18TensorListMetadataILi2EEENS1_14UnaryOpFunctorIN3c108BFloat16ELi2ELi1ELi1EEEJNS0_4TanhIfEEEEEvT_T0_DpT1_.numbered_sgpr, 28
	.set _ZN2at6native12_GLOBAL__N_125multi_tensor_apply_kernelINS1_18TensorListMetadataILi2EEENS1_14UnaryOpFunctorIN3c108BFloat16ELi2ELi1ELi1EEEJNS0_4TanhIfEEEEEvT_T0_DpT1_.num_named_barrier, 0
	.set _ZN2at6native12_GLOBAL__N_125multi_tensor_apply_kernelINS1_18TensorListMetadataILi2EEENS1_14UnaryOpFunctorIN3c108BFloat16ELi2ELi1ELi1EEEJNS0_4TanhIfEEEEEvT_T0_DpT1_.private_seg_size, 0
	.set _ZN2at6native12_GLOBAL__N_125multi_tensor_apply_kernelINS1_18TensorListMetadataILi2EEENS1_14UnaryOpFunctorIN3c108BFloat16ELi2ELi1ELi1EEEJNS0_4TanhIfEEEEEvT_T0_DpT1_.uses_vcc, 1
	.set _ZN2at6native12_GLOBAL__N_125multi_tensor_apply_kernelINS1_18TensorListMetadataILi2EEENS1_14UnaryOpFunctorIN3c108BFloat16ELi2ELi1ELi1EEEJNS0_4TanhIfEEEEEvT_T0_DpT1_.uses_flat_scratch, 0
	.set _ZN2at6native12_GLOBAL__N_125multi_tensor_apply_kernelINS1_18TensorListMetadataILi2EEENS1_14UnaryOpFunctorIN3c108BFloat16ELi2ELi1ELi1EEEJNS0_4TanhIfEEEEEvT_T0_DpT1_.has_dyn_sized_stack, 0
	.set _ZN2at6native12_GLOBAL__N_125multi_tensor_apply_kernelINS1_18TensorListMetadataILi2EEENS1_14UnaryOpFunctorIN3c108BFloat16ELi2ELi1ELi1EEEJNS0_4TanhIfEEEEEvT_T0_DpT1_.has_recursion, 0
	.set _ZN2at6native12_GLOBAL__N_125multi_tensor_apply_kernelINS1_18TensorListMetadataILi2EEENS1_14UnaryOpFunctorIN3c108BFloat16ELi2ELi1ELi1EEEJNS0_4TanhIfEEEEEvT_T0_DpT1_.has_indirect_call, 0
	.section	.AMDGPU.csdata,"",@progbits
; Kernel info:
; codeLenInByte = 3284
; TotalNumSgprs: 32
; NumVgprs: 39
; ScratchSize: 0
; MemoryBound: 0
; FloatMode: 240
; IeeeMode: 1
; LDSByteSize: 0 bytes/workgroup (compile time only)
; SGPRBlocks: 3
; VGPRBlocks: 9
; NumSGPRsForWavesPerEU: 32
; NumVGPRsForWavesPerEU: 39
; Occupancy: 6
; WaveLimiterHint : 0
; COMPUTE_PGM_RSRC2:SCRATCH_EN: 0
; COMPUTE_PGM_RSRC2:USER_SGPR: 6
; COMPUTE_PGM_RSRC2:TRAP_HANDLER: 0
; COMPUTE_PGM_RSRC2:TGID_X_EN: 1
; COMPUTE_PGM_RSRC2:TGID_Y_EN: 0
; COMPUTE_PGM_RSRC2:TGID_Z_EN: 0
; COMPUTE_PGM_RSRC2:TIDIG_COMP_CNT: 0
	.section	.text._ZN2at6native12_GLOBAL__N_125multi_tensor_apply_kernelINS1_18TensorListMetadataILi1EEENS1_14UnaryOpFunctorIdLi1ELi1ELi0EEEJNS0_4TanhIdEEEEEvT_T0_DpT1_,"axG",@progbits,_ZN2at6native12_GLOBAL__N_125multi_tensor_apply_kernelINS1_18TensorListMetadataILi1EEENS1_14UnaryOpFunctorIdLi1ELi1ELi0EEEJNS0_4TanhIdEEEEEvT_T0_DpT1_,comdat
	.globl	_ZN2at6native12_GLOBAL__N_125multi_tensor_apply_kernelINS1_18TensorListMetadataILi1EEENS1_14UnaryOpFunctorIdLi1ELi1ELi0EEEJNS0_4TanhIdEEEEEvT_T0_DpT1_ ; -- Begin function _ZN2at6native12_GLOBAL__N_125multi_tensor_apply_kernelINS1_18TensorListMetadataILi1EEENS1_14UnaryOpFunctorIdLi1ELi1ELi0EEEJNS0_4TanhIdEEEEEvT_T0_DpT1_
	.p2align	8
	.type	_ZN2at6native12_GLOBAL__N_125multi_tensor_apply_kernelINS1_18TensorListMetadataILi1EEENS1_14UnaryOpFunctorIdLi1ELi1ELi0EEEJNS0_4TanhIdEEEEEvT_T0_DpT1_,@function
_ZN2at6native12_GLOBAL__N_125multi_tensor_apply_kernelINS1_18TensorListMetadataILi1EEENS1_14UnaryOpFunctorIdLi1ELi1ELi0EEEJNS0_4TanhIdEEEEEvT_T0_DpT1_: ; @_ZN2at6native12_GLOBAL__N_125multi_tensor_apply_kernelINS1_18TensorListMetadataILi1EEENS1_14UnaryOpFunctorIdLi1ELi1ELi0EEEJNS0_4TanhIdEEEEEvT_T0_DpT1_
; %bb.0:
	v_mov_b32_e32 v1, s6
	global_load_ubyte v1, v1, s[4:5] offset:1760
	s_add_u32 s0, s4, s6
	s_mul_hi_u32 s1, s6, 3
	s_mul_i32 s6, s6, 3
	s_addc_u32 s2, s5, 0
	s_add_u32 s0, s0, s6
	s_addc_u32 s1, s2, s1
	s_load_dword s0, s[0:1], 0x820
	s_mov_b32 s7, 0
	s_waitcnt vmcnt(0)
	v_readfirstlane_b32 s1, v1
	s_lshl_b32 s1, s1, 3
	s_load_dwordx2 s[2:3], s[4:5], s1 offset:0x370
	s_load_dwordx2 s[10:11], s[4:5], s1 offset:0x0
	s_waitcnt lgkmcnt(0)
	s_ashr_i32 s1, s0, 31
	s_lshl_b64 s[12:13], s[0:1], 19
	s_lshl_b64 s[0:1], s[0:1], 16
	s_and_b32 s6, s10, 31
	s_sub_u32 s14, s2, s0
	s_subb_u32 s15, s3, s1
	s_and_b32 s0, s2, 3
	s_mov_b32 s1, s7
	s_or_b64 s[0:1], s[6:7], s[0:1]
	s_cmp_eq_u64 s[0:1], 0
	s_cbranch_scc1 .LBB159_21
; %bb.1:
	v_cmp_lt_i64_e64 s[0:1], s[14:15], 1
	s_and_b64 vcc, exec, s[0:1]
	s_cbranch_vccnz .LBB159_20
; %bb.2:
	v_mov_b32_e32 v1, 0x10000
	s_load_dword s2, s[4:5], 0xd3c
	v_mov_b32_e32 v2, 0
	v_cmp_lt_i64_e32 vcc, s[14:15], v[1:2]
	s_mov_b32 s22, 0
	s_and_b64 s[0:1], vcc, exec
	v_cmp_lt_u64_e32 vcc, s[14:15], v[1:2]
	s_cselect_b32 s17, s15, 0
	s_cselect_b32 s16, s14, 0x10000
	s_waitcnt lgkmcnt(0)
	s_and_b32 s2, s2, 0xffff
	s_and_b64 s[0:1], vcc, exec
	s_cselect_b32 s19, s15, 0
	s_cselect_b32 s18, s14, 0x10000
	s_lshl_b32 s3, s2, 1
	s_lshl_b32 s33, s2, 2
	s_add_u32 s6, s10, s12
	v_lshlrev_b32_e32 v1, 3, v0
	s_addc_u32 s7, s11, s13
	v_mov_b32_e32 v2, s7
	v_add_co_u32_e32 v1, vcc, s6, v1
	s_mul_i32 s0, s2, 3
	v_addc_co_u32_e32 v2, vcc, 0, v2, vcc
	v_add_co_u32_e32 v15, vcc, s0, v0
	v_addc_co_u32_e64 v16, s[0:1], 0, 0, vcc
	v_add_co_u32_e32 v17, vcc, s3, v0
	v_addc_co_u32_e64 v18, s[0:1], 0, 0, vcc
	v_add_co_u32_e32 v19, vcc, s2, v0
	v_lshlrev_b32_e32 v3, 3, v19
	v_addc_co_u32_e64 v20, s[0:1], 0, 0, vcc
	v_mov_b32_e32 v4, s7
	v_add_co_u32_e32 v3, vcc, s6, v3
	s_mov_b32 s24, 0x652b82fe
	s_mov_b32 s26, 0xfefa3000
	;; [unrolled: 1-line block ×14, first 2 shown]
	s_lshl_b32 s56, s2, 5
	s_mul_i32 s57, s2, 24
	s_lshl_b32 s58, s2, 4
	v_addc_co_u32_e32 v4, vcc, 0, v4, vcc
	s_mov_b64 s[20:21], 0
	s_brev_b32 s59, -2
	s_mov_b32 s23, 0x3e400000
	s_mov_b32 s25, 0x3ff71547
	;; [unrolled: 1-line block ×15, first 2 shown]
	v_mov_b32_e32 v5, 0xfca7ab0c
	v_mov_b32_e32 v6, 0x3e928af3
	;; [unrolled: 1-line block ×3, first 2 shown]
	s_branch .LBB159_4
.LBB159_3:                              ;   in Loop: Header=BB159_4 Depth=1
	s_or_b64 exec, exec, s[0:1]
	s_add_u32 s20, s20, s33
	v_add_co_u32_e32 v1, vcc, s56, v1
	s_waitcnt vmcnt(0)
	v_mov_b32_e32 v7, s16
	s_addc_u32 s21, s21, 0
	v_addc_co_u32_e32 v2, vcc, 0, v2, vcc
	v_mov_b32_e32 v8, s17
	v_cmp_lt_i64_e32 vcc, s[20:21], v[7:8]
	v_add_co_u32_e64 v3, s[0:1], s56, v3
	v_addc_co_u32_e64 v4, s[0:1], 0, v4, s[0:1]
	s_cbranch_vccz .LBB159_20
.LBB159_4:                              ; =>This Inner Loop Header: Depth=1
	v_mov_b32_e32 v8, s21
	v_add_co_u32_e32 v7, vcc, s20, v0
	v_addc_co_u32_e32 v8, vcc, 0, v8, vcc
	v_cmp_gt_u64_e64 s[6:7], s[18:19], v[7:8]
	v_mov_b32_e32 v11, 0
	v_mov_b32_e32 v13, 0
	;; [unrolled: 1-line block ×4, first 2 shown]
	s_and_saveexec_b64 s[0:1], s[6:7]
	s_cbranch_execz .LBB159_6
; %bb.5:                                ;   in Loop: Header=BB159_4 Depth=1
	global_load_dwordx2 v[13:14], v[1:2], off
.LBB159_6:                              ;   in Loop: Header=BB159_4 Depth=1
	s_or_b64 exec, exec, s[0:1]
	v_mov_b32_e32 v8, s21
	v_add_co_u32_e32 v7, vcc, s20, v19
	v_addc_co_u32_e32 v8, vcc, v20, v8, vcc
	v_cmp_gt_u64_e64 s[2:3], s[18:19], v[7:8]
	s_and_saveexec_b64 s[0:1], s[2:3]
	s_cbranch_execz .LBB159_8
; %bb.7:                                ;   in Loop: Header=BB159_4 Depth=1
	global_load_dwordx2 v[11:12], v[3:4], off
.LBB159_8:                              ;   in Loop: Header=BB159_4 Depth=1
	s_or_b64 exec, exec, s[0:1]
	v_mov_b32_e32 v8, s21
	v_add_co_u32_e32 v7, vcc, s20, v17
	v_addc_co_u32_e32 v8, vcc, v18, v8, vcc
	v_cmp_gt_u64_e64 s[0:1], s[18:19], v[7:8]
	v_mov_b32_e32 v7, 0
	v_mov_b32_e32 v9, 0
	;; [unrolled: 1-line block ×4, first 2 shown]
	s_and_saveexec_b64 s[8:9], s[0:1]
	s_cbranch_execz .LBB159_10
; %bb.9:                                ;   in Loop: Header=BB159_4 Depth=1
	v_add_co_u32_e32 v9, vcc, s58, v1
	v_addc_co_u32_e32 v10, vcc, 0, v2, vcc
	global_load_dwordx2 v[9:10], v[9:10], off
.LBB159_10:                             ;   in Loop: Header=BB159_4 Depth=1
	s_or_b64 exec, exec, s[8:9]
	v_mov_b32_e32 v23, s21
	v_add_co_u32_e32 v22, vcc, s20, v15
	v_addc_co_u32_e32 v23, vcc, v16, v23, vcc
	v_cmp_gt_u64_e32 vcc, s[18:19], v[22:23]
	s_and_saveexec_b64 s[54:55], vcc
	s_cbranch_execnz .LBB159_15
; %bb.11:                               ;   in Loop: Header=BB159_4 Depth=1
	s_or_b64 exec, exec, s[54:55]
	s_and_saveexec_b64 s[8:9], s[6:7]
	s_cbranch_execnz .LBB159_16
.LBB159_12:                             ;   in Loop: Header=BB159_4 Depth=1
	s_or_b64 exec, exec, s[8:9]
	s_and_saveexec_b64 s[6:7], s[2:3]
	s_cbranch_execnz .LBB159_17
.LBB159_13:                             ;   in Loop: Header=BB159_4 Depth=1
	s_or_b64 exec, exec, s[6:7]
	s_and_saveexec_b64 s[2:3], s[0:1]
	s_cbranch_execnz .LBB159_18
.LBB159_14:                             ;   in Loop: Header=BB159_4 Depth=1
	s_or_b64 exec, exec, s[2:3]
	s_and_saveexec_b64 s[0:1], vcc
	s_cbranch_execz .LBB159_3
	s_branch .LBB159_19
.LBB159_15:                             ;   in Loop: Header=BB159_4 Depth=1
	v_add_co_u32_e64 v7, s[8:9], s57, v1
	v_addc_co_u32_e64 v8, s[8:9], 0, v2, s[8:9]
	global_load_dwordx2 v[7:8], v[7:8], off
	s_or_b64 exec, exec, s[54:55]
	s_and_saveexec_b64 s[8:9], s[6:7]
	s_cbranch_execz .LBB159_12
.LBB159_16:                             ;   in Loop: Header=BB159_4 Depth=1
	s_waitcnt vmcnt(0)
	v_mul_f64 v[22:23], |v[13:14]|, s[24:25]
	v_cmp_ngt_f64_e64 s[6:7], |v[13:14]|, s[52:53]
	v_rndne_f64_e32 v[22:23], v[22:23]
	v_fma_f64 v[24:25], v[22:23], s[26:27], |v[13:14]|
	v_mul_f64 v[26:27], v[22:23], s[28:29]
	v_add_f64 v[28:29], v[24:25], 0
	v_add_f64 v[30:31], v[28:29], v[26:27]
	v_add_f64 v[24:25], v[24:25], -v[28:29]
	v_add_f64 v[28:29], v[28:29], -v[30:31]
	v_add_f64 v[24:25], v[24:25], 0
	v_add_f64 v[26:27], v[28:29], v[26:27]
	;; [unrolled: 1-line block ×3, first 2 shown]
	v_mul_f64 v[26:27], v[22:23], s[30:31]
	v_add_f64 v[28:29], v[30:31], v[24:25]
	v_add_f64 v[32:33], v[28:29], v[26:27]
	v_add_f64 v[30:31], v[30:31], -v[28:29]
	v_add_f64 v[28:29], v[28:29], -v[32:33]
	v_add_f64 v[24:25], v[24:25], v[30:31]
	v_add_f64 v[26:27], v[28:29], v[26:27]
	;; [unrolled: 1-line block ×4, first 2 shown]
	v_fma_f64 v[28:29], v[26:27], s[34:35], v[5:6]
	v_add_f64 v[30:31], v[32:33], -v[26:27]
	v_mul_f64 v[32:33], v[26:27], v[26:27]
	v_fma_f64 v[28:29], v[26:27], v[28:29], s[36:37]
	v_add_f64 v[24:25], v[24:25], v[30:31]
	v_fma_f64 v[30:31], v[26:27], v[26:27], -v[32:33]
	v_fma_f64 v[28:29], v[26:27], v[28:29], s[38:39]
	v_add_f64 v[34:35], v[24:25], v[24:25]
	v_fma_f64 v[28:29], v[26:27], v[28:29], s[40:41]
	v_fma_f64 v[30:31], v[26:27], v[34:35], v[30:31]
	;; [unrolled: 1-line block ×3, first 2 shown]
	v_add_f64 v[34:35], v[32:33], v[30:31]
	v_fma_f64 v[28:29], v[26:27], v[28:29], s[44:45]
	v_add_f64 v[32:33], v[34:35], -v[32:33]
	v_fma_f64 v[28:29], v[26:27], v[28:29], s[46:47]
	v_add_f64 v[30:31], v[30:31], -v[32:33]
	v_fma_f64 v[28:29], v[26:27], v[28:29], s[48:49]
	v_fma_f64 v[28:29], v[26:27], v[28:29], s[50:51]
	v_mul_f64 v[36:37], v[34:35], v[28:29]
	v_fma_f64 v[32:33], v[34:35], v[28:29], -v[36:37]
	v_fma_f64 v[28:29], v[30:31], v[28:29], v[32:33]
	v_add_f64 v[30:31], v[36:37], v[28:29]
	v_add_f64 v[32:33], v[30:31], -v[36:37]
	v_add_f64 v[34:35], v[26:27], v[30:31]
	v_add_f64 v[28:29], v[28:29], -v[32:33]
	v_add_f64 v[26:27], v[34:35], -v[26:27]
	v_add_f64 v[24:25], v[24:25], v[28:29]
	v_add_f64 v[26:27], v[30:31], -v[26:27]
	v_add_f64 v[24:25], v[24:25], v[26:27]
	v_add_f64 v[26:27], v[34:35], v[24:25]
	v_add_f64 v[28:29], v[26:27], 1.0
	v_add_f64 v[30:31], v[26:27], -v[34:35]
	v_cvt_i32_f64_e32 v34, v[22:23]
	v_add_f64 v[32:33], v[28:29], -1.0
	v_add_f64 v[24:25], v[24:25], -v[30:31]
	v_add_f64 v[26:27], v[26:27], -v[32:33]
	v_add_f64 v[24:25], v[24:25], v[26:27]
	v_add_f64 v[26:27], v[28:29], v[24:25]
	v_ldexp_f64 v[22:23], v[26:27], v34
	v_add_f64 v[26:27], v[26:27], -v[28:29]
	v_rcp_f64_e32 v[30:31], v[22:23]
	v_add_f64 v[24:25], v[24:25], -v[26:27]
	v_ldexp_f64 v[24:25], v[24:25], v34
	v_fma_f64 v[32:33], -v[22:23], v[30:31], 1.0
	v_fma_f64 v[30:31], v[32:33], v[30:31], v[30:31]
	v_fma_f64 v[32:33], -v[22:23], v[30:31], 1.0
	v_fma_f64 v[28:29], v[32:33], v[30:31], v[30:31]
	v_mul_f64 v[26:27], v[22:23], v[28:29]
	v_fma_f64 v[30:31], v[28:29], v[22:23], -v[26:27]
	v_fma_f64 v[30:31], v[28:29], v[24:25], v[30:31]
	v_add_f64 v[32:33], v[26:27], v[30:31]
	v_add_f64 v[34:35], -v[32:33], 1.0
	v_add_f64 v[26:27], v[32:33], -v[26:27]
	v_add_f64 v[36:37], -v[34:35], 1.0
	v_add_f64 v[26:27], v[26:27], -v[30:31]
	v_add_f64 v[30:31], v[36:37], -v[32:33]
	v_add_f64 v[26:27], v[26:27], v[30:31]
	v_add_f64 v[30:31], v[34:35], v[26:27]
	v_mul_f64 v[32:33], v[28:29], v[30:31]
	v_add_f64 v[34:35], v[34:35], -v[30:31]
	v_mul_f64 v[36:37], v[22:23], v[32:33]
	v_add_f64 v[26:27], v[26:27], v[34:35]
	v_fma_f64 v[38:39], v[32:33], v[22:23], -v[36:37]
	v_fma_f64 v[38:39], v[32:33], v[24:25], v[38:39]
	v_add_f64 v[40:41], v[36:37], v[38:39]
	v_add_f64 v[42:43], v[30:31], -v[40:41]
	v_add_f64 v[34:35], v[40:41], -v[36:37]
	;; [unrolled: 1-line block ×5, first 2 shown]
	v_add_f64 v[26:27], v[26:27], v[30:31]
	v_add_f64 v[30:31], v[28:29], v[32:33]
	;; [unrolled: 1-line block ×3, first 2 shown]
	v_add_f64 v[34:35], v[30:31], -v[28:29]
	v_add_f64 v[26:27], v[42:43], v[26:27]
	v_add_f64 v[32:33], v[32:33], -v[34:35]
	v_mul_f64 v[26:27], v[28:29], v[26:27]
	v_add_f64 v[26:27], v[32:33], v[26:27]
	v_add_f64 v[28:29], v[30:31], v[26:27]
	v_add_f64 v[30:31], v[28:29], -v[30:31]
	v_add_f64 v[32:33], v[22:23], v[28:29]
	v_add_f64 v[36:37], v[22:23], -v[28:29]
	v_add_f64 v[26:27], v[26:27], -v[30:31]
	;; [unrolled: 1-line block ×4, first 2 shown]
	v_add_f64 v[34:35], v[24:25], v[26:27]
	v_add_f64 v[30:31], v[28:29], -v[30:31]
	v_add_f64 v[22:23], v[22:23], -v[28:29]
	v_add_f64 v[30:31], v[34:35], v[30:31]
	v_add_f64 v[22:23], v[24:25], v[22:23]
	;; [unrolled: 1-line block ×3, first 2 shown]
	v_add_f64 v[22:23], v[22:23], -v[26:27]
	v_rcp_f64_e32 v[38:39], v[34:35]
	v_add_f64 v[32:33], v[34:35], -v[32:33]
	v_add_f64 v[30:31], v[30:31], -v[32:33]
	v_fma_f64 v[28:29], -v[34:35], v[38:39], 1.0
	v_fma_f64 v[24:25], v[28:29], v[38:39], v[38:39]
	v_add_f64 v[28:29], v[36:37], v[22:23]
	v_fma_f64 v[26:27], -v[34:35], v[24:25], 1.0
	v_fma_f64 v[24:25], v[26:27], v[24:25], v[24:25]
	v_mul_f64 v[26:27], v[28:29], v[24:25]
	v_mul_f64 v[38:39], v[34:35], v[26:27]
	v_fma_f64 v[32:33], v[26:27], v[34:35], -v[38:39]
	v_fma_f64 v[30:31], v[26:27], v[30:31], v[32:33]
	v_add_f64 v[32:33], v[38:39], v[30:31]
	v_add_f64 v[34:35], v[28:29], -v[32:33]
	v_add_f64 v[38:39], v[32:33], -v[38:39]
	v_add_f64 v[40:41], v[28:29], -v[34:35]
	v_add_f64 v[28:29], v[28:29], -v[36:37]
	v_add_f64 v[30:31], v[30:31], -v[38:39]
	v_add_f64 v[32:33], v[40:41], -v[32:33]
	v_add_f64 v[22:23], v[22:23], -v[28:29]
	v_add_f64 v[28:29], v[32:33], -v[30:31]
	v_add_f64 v[22:23], v[22:23], v[28:29]
	v_add_f64 v[22:23], v[34:35], v[22:23]
	v_mul_f64 v[22:23], v[24:25], v[22:23]
	v_and_b32_e32 v24, 0x7fffffff, v14
	v_add_f64 v[22:23], v[26:27], v[22:23]
	v_cndmask_b32_e64 v23, v21, v23, s[6:7]
	v_cndmask_b32_e64 v22, 0, v22, s[6:7]
	v_cmp_lt_f64_e64 s[6:7], |v[13:14]|, s[22:23]
	v_cndmask_b32_e64 v13, v22, v13, s[6:7]
	v_cndmask_b32_e64 v22, v23, v24, s[6:7]
	v_bfi_b32 v14, s59, v22, v14
	global_store_dwordx2 v[1:2], v[13:14], off
	s_or_b64 exec, exec, s[8:9]
	s_and_saveexec_b64 s[6:7], s[2:3]
	s_cbranch_execz .LBB159_13
.LBB159_17:                             ;   in Loop: Header=BB159_4 Depth=1
	s_waitcnt vmcnt(0)
	v_mul_f64 v[13:14], |v[11:12]|, s[24:25]
	v_cmp_ngt_f64_e64 s[2:3], |v[11:12]|, s[52:53]
	v_rndne_f64_e32 v[13:14], v[13:14]
	v_fma_f64 v[22:23], v[13:14], s[26:27], |v[11:12]|
	v_mul_f64 v[24:25], v[13:14], s[28:29]
	v_add_f64 v[26:27], v[22:23], 0
	v_add_f64 v[28:29], v[26:27], v[24:25]
	v_add_f64 v[22:23], v[22:23], -v[26:27]
	v_add_f64 v[26:27], v[26:27], -v[28:29]
	v_add_f64 v[22:23], v[22:23], 0
	v_add_f64 v[24:25], v[26:27], v[24:25]
	;; [unrolled: 1-line block ×3, first 2 shown]
	v_mul_f64 v[24:25], v[13:14], s[30:31]
	v_add_f64 v[26:27], v[28:29], v[22:23]
	v_add_f64 v[30:31], v[26:27], v[24:25]
	v_add_f64 v[28:29], v[28:29], -v[26:27]
	v_add_f64 v[26:27], v[26:27], -v[30:31]
	v_add_f64 v[22:23], v[22:23], v[28:29]
	v_add_f64 v[24:25], v[26:27], v[24:25]
	;; [unrolled: 1-line block ×4, first 2 shown]
	v_fma_f64 v[26:27], v[24:25], s[34:35], v[5:6]
	v_add_f64 v[28:29], v[30:31], -v[24:25]
	v_mul_f64 v[30:31], v[24:25], v[24:25]
	v_fma_f64 v[26:27], v[24:25], v[26:27], s[36:37]
	v_add_f64 v[22:23], v[22:23], v[28:29]
	v_fma_f64 v[28:29], v[24:25], v[24:25], -v[30:31]
	v_fma_f64 v[26:27], v[24:25], v[26:27], s[38:39]
	v_add_f64 v[32:33], v[22:23], v[22:23]
	v_fma_f64 v[26:27], v[24:25], v[26:27], s[40:41]
	v_fma_f64 v[28:29], v[24:25], v[32:33], v[28:29]
	v_fma_f64 v[26:27], v[24:25], v[26:27], s[42:43]
	v_add_f64 v[32:33], v[30:31], v[28:29]
	v_fma_f64 v[26:27], v[24:25], v[26:27], s[44:45]
	v_add_f64 v[30:31], v[32:33], -v[30:31]
	v_fma_f64 v[26:27], v[24:25], v[26:27], s[46:47]
	v_add_f64 v[28:29], v[28:29], -v[30:31]
	v_fma_f64 v[26:27], v[24:25], v[26:27], s[48:49]
	v_fma_f64 v[26:27], v[24:25], v[26:27], s[50:51]
	v_mul_f64 v[34:35], v[32:33], v[26:27]
	v_fma_f64 v[30:31], v[32:33], v[26:27], -v[34:35]
	v_fma_f64 v[26:27], v[28:29], v[26:27], v[30:31]
	v_add_f64 v[28:29], v[34:35], v[26:27]
	v_add_f64 v[30:31], v[24:25], v[28:29]
	v_add_f64 v[32:33], v[28:29], -v[34:35]
	v_add_f64 v[24:25], v[30:31], -v[24:25]
	;; [unrolled: 1-line block ×3, first 2 shown]
	v_cvt_i32_f64_e32 v32, v[13:14]
	v_add_f64 v[24:25], v[28:29], -v[24:25]
	v_add_f64 v[22:23], v[22:23], v[26:27]
	v_add_f64 v[22:23], v[22:23], v[24:25]
	;; [unrolled: 1-line block ×3, first 2 shown]
	v_add_f64 v[26:27], v[24:25], 1.0
	v_add_f64 v[28:29], v[24:25], -v[30:31]
	v_add_f64 v[30:31], v[26:27], -1.0
	v_add_f64 v[22:23], v[22:23], -v[28:29]
	v_add_f64 v[24:25], v[24:25], -v[30:31]
	v_add_f64 v[22:23], v[22:23], v[24:25]
	v_add_f64 v[24:25], v[26:27], v[22:23]
	v_ldexp_f64 v[13:14], v[24:25], v32
	v_add_f64 v[24:25], v[24:25], -v[26:27]
	v_rcp_f64_e32 v[28:29], v[13:14]
	v_add_f64 v[22:23], v[22:23], -v[24:25]
	v_ldexp_f64 v[22:23], v[22:23], v32
	v_fma_f64 v[30:31], -v[13:14], v[28:29], 1.0
	v_fma_f64 v[28:29], v[30:31], v[28:29], v[28:29]
	v_fma_f64 v[30:31], -v[13:14], v[28:29], 1.0
	v_fma_f64 v[26:27], v[30:31], v[28:29], v[28:29]
	v_mul_f64 v[24:25], v[13:14], v[26:27]
	v_fma_f64 v[28:29], v[26:27], v[13:14], -v[24:25]
	v_fma_f64 v[28:29], v[26:27], v[22:23], v[28:29]
	v_add_f64 v[30:31], v[24:25], v[28:29]
	v_add_f64 v[32:33], -v[30:31], 1.0
	v_add_f64 v[24:25], v[30:31], -v[24:25]
	v_add_f64 v[34:35], -v[32:33], 1.0
	v_add_f64 v[24:25], v[24:25], -v[28:29]
	v_add_f64 v[28:29], v[34:35], -v[30:31]
	v_add_f64 v[24:25], v[24:25], v[28:29]
	v_add_f64 v[28:29], v[32:33], v[24:25]
	v_mul_f64 v[30:31], v[26:27], v[28:29]
	v_add_f64 v[32:33], v[32:33], -v[28:29]
	v_mul_f64 v[34:35], v[13:14], v[30:31]
	v_add_f64 v[24:25], v[24:25], v[32:33]
	v_fma_f64 v[36:37], v[30:31], v[13:14], -v[34:35]
	v_fma_f64 v[36:37], v[30:31], v[22:23], v[36:37]
	v_add_f64 v[38:39], v[34:35], v[36:37]
	v_add_f64 v[40:41], v[28:29], -v[38:39]
	v_add_f64 v[32:33], v[38:39], -v[34:35]
	;; [unrolled: 1-line block ×5, first 2 shown]
	v_add_f64 v[24:25], v[24:25], v[28:29]
	v_add_f64 v[28:29], v[26:27], v[30:31]
	;; [unrolled: 1-line block ×3, first 2 shown]
	v_add_f64 v[32:33], v[28:29], -v[26:27]
	v_add_f64 v[24:25], v[40:41], v[24:25]
	v_add_f64 v[30:31], v[30:31], -v[32:33]
	v_mul_f64 v[24:25], v[26:27], v[24:25]
	v_add_f64 v[24:25], v[30:31], v[24:25]
	v_add_f64 v[26:27], v[28:29], v[24:25]
	;; [unrolled: 1-line block ×3, first 2 shown]
	v_add_f64 v[28:29], v[26:27], -v[28:29]
	v_add_f64 v[34:35], v[13:14], -v[26:27]
	;; [unrolled: 1-line block ×6, first 2 shown]
	v_add_f64 v[32:33], v[22:23], v[24:25]
	v_add_f64 v[13:14], v[13:14], -v[26:27]
	v_add_f64 v[28:29], v[32:33], v[28:29]
	v_add_f64 v[13:14], v[22:23], v[13:14]
	;; [unrolled: 1-line block ×3, first 2 shown]
	v_add_f64 v[13:14], v[13:14], -v[24:25]
	v_rcp_f64_e32 v[36:37], v[32:33]
	v_add_f64 v[30:31], v[32:33], -v[30:31]
	v_add_f64 v[28:29], v[28:29], -v[30:31]
	v_fma_f64 v[26:27], -v[32:33], v[36:37], 1.0
	v_fma_f64 v[22:23], v[26:27], v[36:37], v[36:37]
	v_add_f64 v[26:27], v[34:35], v[13:14]
	v_fma_f64 v[24:25], -v[32:33], v[22:23], 1.0
	v_fma_f64 v[22:23], v[24:25], v[22:23], v[22:23]
	v_mul_f64 v[24:25], v[26:27], v[22:23]
	v_mul_f64 v[36:37], v[32:33], v[24:25]
	v_fma_f64 v[30:31], v[24:25], v[32:33], -v[36:37]
	v_fma_f64 v[28:29], v[24:25], v[28:29], v[30:31]
	v_add_f64 v[30:31], v[36:37], v[28:29]
	v_add_f64 v[32:33], v[26:27], -v[30:31]
	v_add_f64 v[36:37], v[30:31], -v[36:37]
	;; [unrolled: 1-line block ×8, first 2 shown]
	v_add_f64 v[13:14], v[13:14], v[26:27]
	v_add_f64 v[13:14], v[32:33], v[13:14]
	v_mul_f64 v[13:14], v[22:23], v[13:14]
	v_and_b32_e32 v22, 0x7fffffff, v12
	v_add_f64 v[13:14], v[24:25], v[13:14]
	v_cndmask_b32_e64 v14, v21, v14, s[2:3]
	v_cndmask_b32_e64 v13, 0, v13, s[2:3]
	v_cmp_lt_f64_e64 s[2:3], |v[11:12]|, s[22:23]
	v_cndmask_b32_e64 v11, v13, v11, s[2:3]
	v_cndmask_b32_e64 v13, v14, v22, s[2:3]
	v_bfi_b32 v12, s59, v13, v12
	global_store_dwordx2 v[3:4], v[11:12], off
	s_or_b64 exec, exec, s[6:7]
	s_and_saveexec_b64 s[2:3], s[0:1]
	s_cbranch_execz .LBB159_14
.LBB159_18:                             ;   in Loop: Header=BB159_4 Depth=1
	s_waitcnt vmcnt(0)
	v_mul_f64 v[11:12], |v[9:10]|, s[24:25]
	v_cmp_ngt_f64_e64 s[0:1], |v[9:10]|, s[52:53]
	v_rndne_f64_e32 v[11:12], v[11:12]
	v_fma_f64 v[13:14], v[11:12], s[26:27], |v[9:10]|
	v_mul_f64 v[22:23], v[11:12], s[28:29]
	v_add_f64 v[24:25], v[13:14], 0
	v_add_f64 v[26:27], v[24:25], v[22:23]
	v_add_f64 v[13:14], v[13:14], -v[24:25]
	v_add_f64 v[24:25], v[24:25], -v[26:27]
	v_add_f64 v[13:14], v[13:14], 0
	v_add_f64 v[22:23], v[24:25], v[22:23]
	;; [unrolled: 1-line block ×3, first 2 shown]
	v_mul_f64 v[22:23], v[11:12], s[30:31]
	v_add_f64 v[24:25], v[26:27], v[13:14]
	v_add_f64 v[28:29], v[24:25], v[22:23]
	v_add_f64 v[26:27], v[26:27], -v[24:25]
	v_add_f64 v[24:25], v[24:25], -v[28:29]
	v_add_f64 v[13:14], v[13:14], v[26:27]
	v_add_f64 v[22:23], v[24:25], v[22:23]
	;; [unrolled: 1-line block ×4, first 2 shown]
	v_fma_f64 v[24:25], v[22:23], s[34:35], v[5:6]
	v_add_f64 v[26:27], v[28:29], -v[22:23]
	v_mul_f64 v[28:29], v[22:23], v[22:23]
	v_fma_f64 v[24:25], v[22:23], v[24:25], s[36:37]
	v_add_f64 v[13:14], v[13:14], v[26:27]
	v_fma_f64 v[26:27], v[22:23], v[22:23], -v[28:29]
	v_fma_f64 v[24:25], v[22:23], v[24:25], s[38:39]
	v_add_f64 v[30:31], v[13:14], v[13:14]
	v_fma_f64 v[24:25], v[22:23], v[24:25], s[40:41]
	v_fma_f64 v[26:27], v[22:23], v[30:31], v[26:27]
	;; [unrolled: 1-line block ×3, first 2 shown]
	v_add_f64 v[30:31], v[28:29], v[26:27]
	v_fma_f64 v[24:25], v[22:23], v[24:25], s[44:45]
	v_add_f64 v[28:29], v[30:31], -v[28:29]
	v_fma_f64 v[24:25], v[22:23], v[24:25], s[46:47]
	v_add_f64 v[26:27], v[26:27], -v[28:29]
	v_fma_f64 v[24:25], v[22:23], v[24:25], s[48:49]
	v_fma_f64 v[24:25], v[22:23], v[24:25], s[50:51]
	v_mul_f64 v[32:33], v[30:31], v[24:25]
	v_fma_f64 v[28:29], v[30:31], v[24:25], -v[32:33]
	v_fma_f64 v[24:25], v[26:27], v[24:25], v[28:29]
	v_add_f64 v[26:27], v[32:33], v[24:25]
	v_add_f64 v[28:29], v[22:23], v[26:27]
	v_add_f64 v[30:31], v[26:27], -v[32:33]
	v_add_f64 v[22:23], v[28:29], -v[22:23]
	;; [unrolled: 1-line block ×3, first 2 shown]
	v_cvt_i32_f64_e32 v30, v[11:12]
	v_add_f64 v[22:23], v[26:27], -v[22:23]
	v_add_f64 v[13:14], v[13:14], v[24:25]
	v_add_f64 v[13:14], v[13:14], v[22:23]
	;; [unrolled: 1-line block ×3, first 2 shown]
	v_add_f64 v[24:25], v[22:23], 1.0
	v_add_f64 v[26:27], v[22:23], -v[28:29]
	v_add_f64 v[28:29], v[24:25], -1.0
	v_add_f64 v[13:14], v[13:14], -v[26:27]
	v_add_f64 v[22:23], v[22:23], -v[28:29]
	v_add_f64 v[13:14], v[13:14], v[22:23]
	v_add_f64 v[22:23], v[24:25], v[13:14]
	v_ldexp_f64 v[11:12], v[22:23], v30
	v_add_f64 v[22:23], v[22:23], -v[24:25]
	v_rcp_f64_e32 v[26:27], v[11:12]
	v_add_f64 v[13:14], v[13:14], -v[22:23]
	v_ldexp_f64 v[13:14], v[13:14], v30
	v_fma_f64 v[28:29], -v[11:12], v[26:27], 1.0
	v_fma_f64 v[26:27], v[28:29], v[26:27], v[26:27]
	v_fma_f64 v[28:29], -v[11:12], v[26:27], 1.0
	v_fma_f64 v[24:25], v[28:29], v[26:27], v[26:27]
	v_mul_f64 v[22:23], v[11:12], v[24:25]
	v_fma_f64 v[26:27], v[24:25], v[11:12], -v[22:23]
	v_fma_f64 v[26:27], v[24:25], v[13:14], v[26:27]
	v_add_f64 v[28:29], v[22:23], v[26:27]
	v_add_f64 v[30:31], -v[28:29], 1.0
	v_add_f64 v[22:23], v[28:29], -v[22:23]
	v_add_f64 v[32:33], -v[30:31], 1.0
	v_add_f64 v[22:23], v[22:23], -v[26:27]
	v_add_f64 v[26:27], v[32:33], -v[28:29]
	v_add_f64 v[22:23], v[22:23], v[26:27]
	v_add_f64 v[26:27], v[30:31], v[22:23]
	v_mul_f64 v[28:29], v[24:25], v[26:27]
	v_add_f64 v[30:31], v[30:31], -v[26:27]
	v_mul_f64 v[32:33], v[11:12], v[28:29]
	v_add_f64 v[22:23], v[22:23], v[30:31]
	v_fma_f64 v[34:35], v[28:29], v[11:12], -v[32:33]
	v_fma_f64 v[34:35], v[28:29], v[13:14], v[34:35]
	v_add_f64 v[36:37], v[32:33], v[34:35]
	v_add_f64 v[38:39], v[26:27], -v[36:37]
	v_add_f64 v[30:31], v[36:37], -v[32:33]
	;; [unrolled: 1-line block ×5, first 2 shown]
	v_add_f64 v[22:23], v[22:23], v[26:27]
	v_add_f64 v[26:27], v[24:25], v[28:29]
	;; [unrolled: 1-line block ×3, first 2 shown]
	v_add_f64 v[30:31], v[26:27], -v[24:25]
	v_add_f64 v[22:23], v[38:39], v[22:23]
	v_add_f64 v[28:29], v[28:29], -v[30:31]
	v_mul_f64 v[22:23], v[24:25], v[22:23]
	v_add_f64 v[22:23], v[28:29], v[22:23]
	v_add_f64 v[24:25], v[26:27], v[22:23]
	;; [unrolled: 1-line block ×3, first 2 shown]
	v_add_f64 v[26:27], v[24:25], -v[26:27]
	v_add_f64 v[32:33], v[11:12], -v[24:25]
	;; [unrolled: 1-line block ×6, first 2 shown]
	v_add_f64 v[30:31], v[13:14], v[22:23]
	v_add_f64 v[11:12], v[11:12], -v[24:25]
	v_add_f64 v[26:27], v[30:31], v[26:27]
	v_add_f64 v[11:12], v[13:14], v[11:12]
	;; [unrolled: 1-line block ×3, first 2 shown]
	v_add_f64 v[11:12], v[11:12], -v[22:23]
	v_rcp_f64_e32 v[34:35], v[30:31]
	v_add_f64 v[28:29], v[30:31], -v[28:29]
	v_add_f64 v[26:27], v[26:27], -v[28:29]
	v_fma_f64 v[24:25], -v[30:31], v[34:35], 1.0
	v_fma_f64 v[13:14], v[24:25], v[34:35], v[34:35]
	v_add_f64 v[24:25], v[32:33], v[11:12]
	v_fma_f64 v[22:23], -v[30:31], v[13:14], 1.0
	v_fma_f64 v[13:14], v[22:23], v[13:14], v[13:14]
	v_mul_f64 v[22:23], v[24:25], v[13:14]
	v_mul_f64 v[34:35], v[30:31], v[22:23]
	v_fma_f64 v[28:29], v[22:23], v[30:31], -v[34:35]
	v_fma_f64 v[26:27], v[22:23], v[26:27], v[28:29]
	v_add_f64 v[28:29], v[34:35], v[26:27]
	v_add_f64 v[30:31], v[24:25], -v[28:29]
	v_add_f64 v[34:35], v[28:29], -v[34:35]
	;; [unrolled: 1-line block ×8, first 2 shown]
	v_add_f64 v[11:12], v[11:12], v[24:25]
	v_add_f64 v[11:12], v[30:31], v[11:12]
	v_mul_f64 v[11:12], v[13:14], v[11:12]
	v_and_b32_e32 v13, 0x7fffffff, v10
	v_add_f64 v[11:12], v[22:23], v[11:12]
	v_cndmask_b32_e64 v12, v21, v12, s[0:1]
	v_cndmask_b32_e64 v11, 0, v11, s[0:1]
	v_cmp_lt_f64_e64 s[0:1], |v[9:10]|, s[22:23]
	v_cndmask_b32_e64 v9, v11, v9, s[0:1]
	v_cndmask_b32_e64 v11, v12, v13, s[0:1]
	v_bfi_b32 v10, s59, v11, v10
	v_add_co_u32_e64 v11, s[0:1], s58, v1
	v_addc_co_u32_e64 v12, s[0:1], 0, v2, s[0:1]
	global_store_dwordx2 v[11:12], v[9:10], off
	s_or_b64 exec, exec, s[2:3]
	s_and_saveexec_b64 s[0:1], vcc
	s_cbranch_execz .LBB159_3
.LBB159_19:                             ;   in Loop: Header=BB159_4 Depth=1
	s_waitcnt vmcnt(0)
	v_mul_f64 v[9:10], |v[7:8]|, s[24:25]
	v_cmp_ngt_f64_e64 vcc, |v[7:8]|, s[52:53]
	v_rndne_f64_e32 v[9:10], v[9:10]
	v_fma_f64 v[11:12], v[9:10], s[26:27], |v[7:8]|
	v_mul_f64 v[13:14], v[9:10], s[28:29]
	v_add_f64 v[22:23], v[11:12], 0
	v_add_f64 v[24:25], v[22:23], v[13:14]
	v_add_f64 v[11:12], v[11:12], -v[22:23]
	v_add_f64 v[22:23], v[22:23], -v[24:25]
	v_add_f64 v[11:12], v[11:12], 0
	v_add_f64 v[13:14], v[22:23], v[13:14]
	;; [unrolled: 1-line block ×3, first 2 shown]
	v_mul_f64 v[13:14], v[9:10], s[30:31]
	v_add_f64 v[22:23], v[24:25], v[11:12]
	v_add_f64 v[26:27], v[22:23], v[13:14]
	v_add_f64 v[24:25], v[24:25], -v[22:23]
	v_add_f64 v[22:23], v[22:23], -v[26:27]
	v_add_f64 v[11:12], v[11:12], v[24:25]
	v_add_f64 v[13:14], v[22:23], v[13:14]
	;; [unrolled: 1-line block ×4, first 2 shown]
	v_fma_f64 v[22:23], v[13:14], s[34:35], v[5:6]
	v_add_f64 v[24:25], v[26:27], -v[13:14]
	v_mul_f64 v[26:27], v[13:14], v[13:14]
	v_fma_f64 v[22:23], v[13:14], v[22:23], s[36:37]
	v_add_f64 v[11:12], v[11:12], v[24:25]
	v_fma_f64 v[24:25], v[13:14], v[13:14], -v[26:27]
	v_fma_f64 v[22:23], v[13:14], v[22:23], s[38:39]
	v_add_f64 v[28:29], v[11:12], v[11:12]
	v_fma_f64 v[22:23], v[13:14], v[22:23], s[40:41]
	v_fma_f64 v[24:25], v[13:14], v[28:29], v[24:25]
	;; [unrolled: 1-line block ×3, first 2 shown]
	v_add_f64 v[28:29], v[26:27], v[24:25]
	v_fma_f64 v[22:23], v[13:14], v[22:23], s[44:45]
	v_add_f64 v[26:27], v[28:29], -v[26:27]
	v_fma_f64 v[22:23], v[13:14], v[22:23], s[46:47]
	v_add_f64 v[24:25], v[24:25], -v[26:27]
	v_fma_f64 v[22:23], v[13:14], v[22:23], s[48:49]
	v_fma_f64 v[22:23], v[13:14], v[22:23], s[50:51]
	v_mul_f64 v[30:31], v[28:29], v[22:23]
	v_fma_f64 v[26:27], v[28:29], v[22:23], -v[30:31]
	v_fma_f64 v[22:23], v[24:25], v[22:23], v[26:27]
	v_add_f64 v[24:25], v[30:31], v[22:23]
	v_add_f64 v[26:27], v[13:14], v[24:25]
	v_add_f64 v[28:29], v[24:25], -v[30:31]
	v_add_f64 v[13:14], v[26:27], -v[13:14]
	;; [unrolled: 1-line block ×3, first 2 shown]
	v_cvt_i32_f64_e32 v28, v[9:10]
	v_add_f64 v[13:14], v[24:25], -v[13:14]
	v_add_f64 v[11:12], v[11:12], v[22:23]
	v_add_f64 v[11:12], v[11:12], v[13:14]
	;; [unrolled: 1-line block ×3, first 2 shown]
	v_add_f64 v[22:23], v[13:14], 1.0
	v_add_f64 v[24:25], v[13:14], -v[26:27]
	v_add_f64 v[26:27], v[22:23], -1.0
	v_add_f64 v[11:12], v[11:12], -v[24:25]
	v_add_f64 v[13:14], v[13:14], -v[26:27]
	v_add_f64 v[11:12], v[11:12], v[13:14]
	v_add_f64 v[13:14], v[22:23], v[11:12]
	v_ldexp_f64 v[9:10], v[13:14], v28
	v_add_f64 v[13:14], v[13:14], -v[22:23]
	v_rcp_f64_e32 v[24:25], v[9:10]
	v_add_f64 v[11:12], v[11:12], -v[13:14]
	v_ldexp_f64 v[11:12], v[11:12], v28
	v_fma_f64 v[26:27], -v[9:10], v[24:25], 1.0
	v_fma_f64 v[24:25], v[26:27], v[24:25], v[24:25]
	v_fma_f64 v[26:27], -v[9:10], v[24:25], 1.0
	v_fma_f64 v[22:23], v[26:27], v[24:25], v[24:25]
	v_mul_f64 v[13:14], v[9:10], v[22:23]
	v_fma_f64 v[24:25], v[22:23], v[9:10], -v[13:14]
	v_fma_f64 v[24:25], v[22:23], v[11:12], v[24:25]
	v_add_f64 v[26:27], v[13:14], v[24:25]
	v_add_f64 v[28:29], -v[26:27], 1.0
	v_add_f64 v[13:14], v[26:27], -v[13:14]
	v_add_f64 v[30:31], -v[28:29], 1.0
	v_add_f64 v[13:14], v[13:14], -v[24:25]
	v_add_f64 v[24:25], v[30:31], -v[26:27]
	v_add_f64 v[13:14], v[13:14], v[24:25]
	v_add_f64 v[24:25], v[28:29], v[13:14]
	v_mul_f64 v[26:27], v[22:23], v[24:25]
	v_add_f64 v[28:29], v[28:29], -v[24:25]
	v_mul_f64 v[30:31], v[9:10], v[26:27]
	v_add_f64 v[13:14], v[13:14], v[28:29]
	v_fma_f64 v[32:33], v[26:27], v[9:10], -v[30:31]
	v_fma_f64 v[32:33], v[26:27], v[11:12], v[32:33]
	v_add_f64 v[34:35], v[30:31], v[32:33]
	v_add_f64 v[36:37], v[24:25], -v[34:35]
	v_add_f64 v[28:29], v[34:35], -v[30:31]
	;; [unrolled: 1-line block ×5, first 2 shown]
	v_add_f64 v[13:14], v[13:14], v[24:25]
	v_add_f64 v[24:25], v[22:23], v[26:27]
	;; [unrolled: 1-line block ×3, first 2 shown]
	v_add_f64 v[28:29], v[24:25], -v[22:23]
	v_add_f64 v[13:14], v[36:37], v[13:14]
	v_add_f64 v[26:27], v[26:27], -v[28:29]
	v_mul_f64 v[13:14], v[22:23], v[13:14]
	v_add_f64 v[13:14], v[26:27], v[13:14]
	v_add_f64 v[22:23], v[24:25], v[13:14]
	;; [unrolled: 1-line block ×3, first 2 shown]
	v_add_f64 v[24:25], v[22:23], -v[24:25]
	v_add_f64 v[30:31], v[9:10], -v[22:23]
	;; [unrolled: 1-line block ×6, first 2 shown]
	v_add_f64 v[28:29], v[11:12], v[13:14]
	v_add_f64 v[9:10], v[9:10], -v[22:23]
	v_add_f64 v[24:25], v[28:29], v[24:25]
	v_add_f64 v[9:10], v[11:12], v[9:10]
	;; [unrolled: 1-line block ×3, first 2 shown]
	v_add_f64 v[9:10], v[9:10], -v[13:14]
	v_rcp_f64_e32 v[32:33], v[28:29]
	v_add_f64 v[26:27], v[28:29], -v[26:27]
	v_add_f64 v[24:25], v[24:25], -v[26:27]
	v_fma_f64 v[22:23], -v[28:29], v[32:33], 1.0
	v_fma_f64 v[11:12], v[22:23], v[32:33], v[32:33]
	v_add_f64 v[22:23], v[30:31], v[9:10]
	v_fma_f64 v[13:14], -v[28:29], v[11:12], 1.0
	v_fma_f64 v[11:12], v[13:14], v[11:12], v[11:12]
	v_mul_f64 v[13:14], v[22:23], v[11:12]
	v_mul_f64 v[32:33], v[28:29], v[13:14]
	v_fma_f64 v[26:27], v[13:14], v[28:29], -v[32:33]
	v_fma_f64 v[24:25], v[13:14], v[24:25], v[26:27]
	v_add_f64 v[26:27], v[32:33], v[24:25]
	v_add_f64 v[28:29], v[22:23], -v[26:27]
	v_add_f64 v[32:33], v[26:27], -v[32:33]
	;; [unrolled: 1-line block ×8, first 2 shown]
	v_add_f64 v[9:10], v[9:10], v[22:23]
	v_add_f64 v[9:10], v[28:29], v[9:10]
	v_mul_f64 v[9:10], v[11:12], v[9:10]
	v_and_b32_e32 v11, 0x7fffffff, v8
	v_add_f64 v[9:10], v[13:14], v[9:10]
	v_cndmask_b32_e32 v10, v21, v10, vcc
	v_cndmask_b32_e32 v9, 0, v9, vcc
	v_cmp_lt_f64_e64 vcc, |v[7:8]|, s[22:23]
	v_cndmask_b32_e32 v7, v9, v7, vcc
	v_cndmask_b32_e32 v9, v10, v11, vcc
	v_bfi_b32 v8, s59, v9, v8
	v_add_co_u32_e32 v9, vcc, s57, v1
	v_addc_co_u32_e32 v10, vcc, 0, v2, vcc
	global_store_dwordx2 v[9:10], v[7:8], off
	s_branch .LBB159_3
.LBB159_20:
	s_cbranch_execz .LBB159_22
	s_branch .LBB159_25
.LBB159_21:
.LBB159_22:
	v_mov_b32_e32 v1, 0x10000
	v_mov_b32_e32 v2, 0
	v_cmp_lt_i64_e32 vcc, s[14:15], v[1:2]
	v_mov_b32_e32 v2, 0
	s_and_b64 s[0:1], vcc, exec
	s_cselect_b32 s1, s15, 0
	s_cselect_b32 s0, s14, 0x10000
	v_lshlrev_b32_e32 v1, 2, v0
	v_cmp_gt_i64_e32 vcc, s[0:1], v[1:2]
	s_and_saveexec_b64 s[2:3], vcc
	s_cbranch_execz .LBB159_25
; %bb.23:
	s_load_dword s2, s[4:5], 0xd3c
	v_mov_b32_e32 v1, v2
	v_lshlrev_b32_e32 v2, 5, v0
	s_mov_b32 s14, 0xfca7ab0c
	s_mov_b32 s15, 0x3e928af3
	s_waitcnt lgkmcnt(0)
	s_and_b32 s33, s2, 0xffff
	s_add_u32 s2, s10, s12
	s_addc_u32 s3, s11, s13
	v_mov_b32_e32 v3, s3
	v_add_co_u32_e32 v2, vcc, s2, v2
	v_addc_co_u32_e32 v3, vcc, 0, v3, vcc
	v_mov_b32_e32 v12, s14
	v_add_co_u32_e32 v10, vcc, 16, v2
	s_mov_b32 s4, 0x652b82fe
	s_mov_b32 s6, 0xfefa3000
	;; [unrolled: 1-line block ×5, first 2 shown]
	v_mov_b32_e32 v13, s15
	s_mov_b32 s14, 0x623fde64
	s_mov_b32 s16, 0x7c89e6b0
	;; [unrolled: 1-line block ×10, first 2 shown]
	v_addc_co_u32_e32 v11, vcc, 0, v3, vcc
	s_lshl_b32 s36, s33, 5
	s_mov_b64 s[2:3], 0
	s_brev_b32 s37, -2
	s_mov_b32 s5, 0x3ff71547
	s_mov_b32 s7, 0xbfe62e42
	;; [unrolled: 1-line block ×15, first 2 shown]
	v_mov_b32_e32 v18, 0x3ff00000
.LBB159_24:                             ; =>This Inner Loop Header: Depth=1
	global_load_dwordx4 v[2:5], v[10:11], off
	global_load_dwordx4 v[6:9], v[10:11], off offset:-16
	s_waitcnt vmcnt(0)
	v_mul_f64 v[14:15], |v[6:7]|, s[4:5]
	v_cmp_ngt_f64_e64 vcc, |v[6:7]|, s[30:31]
	v_and_b32_e32 v35, 0x7fffffff, v7
	v_rndne_f64_e32 v[14:15], v[14:15]
	v_fma_f64 v[16:17], v[14:15], s[6:7], |v[6:7]|
	v_mul_f64 v[21:22], v[14:15], s[8:9]
	v_add_f64 v[19:20], v[16:17], 0
	v_add_f64 v[23:24], v[19:20], -v[21:22]
	v_add_f64 v[16:17], v[16:17], -v[19:20]
	;; [unrolled: 1-line block ×3, first 2 shown]
	v_add_f64 v[16:17], v[16:17], 0
	v_add_f64 v[19:20], v[19:20], -v[21:22]
	v_add_f64 v[16:17], v[16:17], v[19:20]
	v_add_f64 v[19:20], v[23:24], v[16:17]
	v_add_f64 v[21:22], v[23:24], -v[19:20]
	v_add_f64 v[16:17], v[16:17], v[21:22]
	v_mul_f64 v[21:22], v[14:15], s[10:11]
	v_add_f64 v[23:24], v[19:20], -v[21:22]
	v_add_f64 v[19:20], v[19:20], -v[23:24]
	;; [unrolled: 1-line block ×3, first 2 shown]
	v_add_f64 v[16:17], v[16:17], v[19:20]
	v_add_f64 v[19:20], v[23:24], v[16:17]
	v_add_f64 v[21:22], v[23:24], -v[19:20]
	v_mul_f64 v[23:24], v[19:20], v[19:20]
	v_add_f64 v[16:17], v[16:17], v[21:22]
	v_fma_f64 v[21:22], v[19:20], s[12:13], v[12:13]
	v_fma_f64 v[25:26], v[19:20], v[19:20], -v[23:24]
	v_add_f64 v[27:28], v[16:17], v[16:17]
	v_fma_f64 v[21:22], v[19:20], v[21:22], s[14:15]
	v_fma_f64 v[25:26], v[19:20], v[27:28], v[25:26]
	;; [unrolled: 1-line block ×3, first 2 shown]
	v_add_f64 v[27:28], v[23:24], v[25:26]
	v_fma_f64 v[21:22], v[19:20], v[21:22], s[18:19]
	v_add_f64 v[23:24], v[27:28], -v[23:24]
	v_fma_f64 v[21:22], v[19:20], v[21:22], s[20:21]
	v_add_f64 v[23:24], v[25:26], -v[23:24]
	v_fma_f64 v[21:22], v[19:20], v[21:22], s[22:23]
	v_fma_f64 v[21:22], v[19:20], v[21:22], s[24:25]
	;; [unrolled: 1-line block ×4, first 2 shown]
	v_mul_f64 v[25:26], v[27:28], v[21:22]
	v_fma_f64 v[27:28], v[27:28], v[21:22], -v[25:26]
	v_fma_f64 v[21:22], v[23:24], v[21:22], v[27:28]
	v_add_f64 v[23:24], v[25:26], v[21:22]
	v_add_f64 v[25:26], v[23:24], -v[25:26]
	v_add_f64 v[21:22], v[21:22], -v[25:26]
	v_add_f64 v[25:26], v[19:20], v[23:24]
	v_add_f64 v[16:17], v[16:17], v[21:22]
	v_add_f64 v[19:20], v[25:26], -v[19:20]
	v_add_f64 v[19:20], v[23:24], -v[19:20]
	v_add_f64 v[16:17], v[16:17], v[19:20]
	v_add_f64 v[19:20], v[25:26], v[16:17]
	v_add_f64 v[21:22], v[19:20], -v[25:26]
	v_add_f64 v[16:17], v[16:17], -v[21:22]
	v_add_f64 v[21:22], v[19:20], 1.0
	v_add_f64 v[23:24], v[21:22], -1.0
	v_add_f64 v[19:20], v[19:20], -v[23:24]
	v_add_f64 v[16:17], v[16:17], v[19:20]
	v_add_f64 v[19:20], v[21:22], v[16:17]
	v_add_f64 v[21:22], v[19:20], -v[21:22]
	v_add_f64 v[16:17], v[16:17], -v[21:22]
	v_cvt_i32_f64_e32 v21, v[14:15]
	v_ldexp_f64 v[14:15], v[19:20], v21
	v_ldexp_f64 v[16:17], v[16:17], v21
	v_rcp_f64_e32 v[19:20], v[14:15]
	v_fma_f64 v[21:22], -v[14:15], v[19:20], 1.0
	v_fma_f64 v[19:20], v[21:22], v[19:20], v[19:20]
	v_fma_f64 v[21:22], -v[14:15], v[19:20], 1.0
	v_fma_f64 v[19:20], v[21:22], v[19:20], v[19:20]
	v_mul_f64 v[21:22], v[14:15], v[19:20]
	v_fma_f64 v[23:24], v[19:20], v[14:15], -v[21:22]
	v_fma_f64 v[23:24], v[19:20], v[16:17], v[23:24]
	v_add_f64 v[25:26], v[21:22], v[23:24]
	v_add_f64 v[27:28], -v[25:26], 1.0
	v_add_f64 v[21:22], v[25:26], -v[21:22]
	v_add_f64 v[29:30], -v[27:28], 1.0
	v_add_f64 v[21:22], v[21:22], -v[23:24]
	v_add_f64 v[25:26], v[29:30], -v[25:26]
	v_add_f64 v[21:22], v[21:22], v[25:26]
	v_add_f64 v[23:24], v[27:28], v[21:22]
	v_add_f64 v[25:26], v[27:28], -v[23:24]
	v_add_f64 v[21:22], v[21:22], v[25:26]
	v_mul_f64 v[25:26], v[19:20], v[23:24]
	v_mul_f64 v[27:28], v[14:15], v[25:26]
	v_fma_f64 v[29:30], v[25:26], v[14:15], -v[27:28]
	v_fma_f64 v[29:30], v[25:26], v[16:17], v[29:30]
	v_add_f64 v[31:32], v[27:28], v[29:30]
	v_add_f64 v[33:34], v[23:24], -v[31:32]
	v_add_f64 v[27:28], v[31:32], -v[27:28]
	;; [unrolled: 1-line block ×4, first 2 shown]
	v_add_f64 v[21:22], v[21:22], v[23:24]
	v_add_f64 v[23:24], v[27:28], -v[29:30]
	v_add_f64 v[21:22], v[23:24], v[21:22]
	v_add_f64 v[23:24], v[19:20], v[25:26]
	;; [unrolled: 1-line block ×3, first 2 shown]
	v_mul_f64 v[21:22], v[19:20], v[21:22]
	v_add_f64 v[19:20], v[23:24], -v[19:20]
	v_add_f64 v[19:20], v[25:26], -v[19:20]
	v_add_f64 v[19:20], v[19:20], v[21:22]
	v_add_f64 v[21:22], v[23:24], v[19:20]
	v_add_f64 v[23:24], v[21:22], -v[23:24]
	v_add_f64 v[19:20], v[19:20], -v[23:24]
	;; [unrolled: 1-line block ×5, first 2 shown]
	v_add_f64 v[25:26], v[16:17], v[25:26]
	v_add_f64 v[16:17], v[16:17], v[19:20]
	v_add_f64 v[25:26], v[25:26], -v[19:20]
	v_add_f64 v[27:28], v[23:24], v[25:26]
	v_add_f64 v[23:24], v[27:28], -v[23:24]
	v_add_f64 v[23:24], v[25:26], -v[23:24]
	v_add_f64 v[25:26], v[14:15], v[21:22]
	v_add_f64 v[14:15], v[25:26], -v[14:15]
	v_add_f64 v[14:15], v[21:22], -v[14:15]
	v_add_f64 v[14:15], v[16:17], v[14:15]
	v_add_f64 v[16:17], v[25:26], v[14:15]
	v_add_f64 v[19:20], v[16:17], -v[25:26]
	v_add_f64 v[14:15], v[14:15], -v[19:20]
	v_rcp_f64_e32 v[19:20], v[16:17]
	v_fma_f64 v[21:22], -v[16:17], v[19:20], 1.0
	v_fma_f64 v[19:20], v[21:22], v[19:20], v[19:20]
	v_fma_f64 v[21:22], -v[16:17], v[19:20], 1.0
	v_fma_f64 v[19:20], v[21:22], v[19:20], v[19:20]
	v_mul_f64 v[21:22], v[27:28], v[19:20]
	v_mul_f64 v[25:26], v[16:17], v[21:22]
	v_fma_f64 v[16:17], v[21:22], v[16:17], -v[25:26]
	v_fma_f64 v[14:15], v[21:22], v[14:15], v[16:17]
	v_add_f64 v[16:17], v[25:26], v[14:15]
	v_add_f64 v[25:26], v[16:17], -v[25:26]
	v_add_f64 v[14:15], v[14:15], -v[25:26]
	;; [unrolled: 1-line block ×6, first 2 shown]
	v_add_f64 v[14:15], v[23:24], v[14:15]
	v_add_f64 v[14:15], v[25:26], v[14:15]
	v_mul_f64 v[14:15], v[19:20], v[14:15]
	v_add_f64 v[14:15], v[21:22], v[14:15]
	v_cndmask_b32_e32 v15, v18, v15, vcc
	v_cndmask_b32_e32 v14, 0, v14, vcc
	v_cmp_lt_f64_e64 vcc, |v[6:7]|, s[34:35]
	v_cndmask_b32_e32 v6, v14, v6, vcc
	v_cndmask_b32_e32 v14, v15, v35, vcc
	v_mul_f64 v[15:16], |v[8:9]|, s[4:5]
	v_cmp_ngt_f64_e64 vcc, |v[8:9]|, s[30:31]
	v_bfi_b32 v7, s37, v14, v7
	v_and_b32_e32 v14, 0x7fffffff, v9
	v_rndne_f64_e32 v[15:16], v[15:16]
	v_fma_f64 v[19:20], v[15:16], s[6:7], |v[8:9]|
	v_mul_f64 v[23:24], v[15:16], s[8:9]
	v_cvt_i32_f64_e32 v17, v[15:16]
	v_add_f64 v[21:22], v[19:20], 0
	v_add_f64 v[25:26], v[21:22], -v[23:24]
	v_add_f64 v[19:20], v[19:20], -v[21:22]
	;; [unrolled: 1-line block ×3, first 2 shown]
	v_add_f64 v[19:20], v[19:20], 0
	v_add_f64 v[21:22], v[21:22], -v[23:24]
	v_add_f64 v[19:20], v[19:20], v[21:22]
	v_add_f64 v[21:22], v[25:26], v[19:20]
	v_add_f64 v[23:24], v[25:26], -v[21:22]
	v_add_f64 v[19:20], v[19:20], v[23:24]
	v_mul_f64 v[23:24], v[15:16], s[10:11]
	v_add_f64 v[25:26], v[21:22], -v[23:24]
	v_add_f64 v[21:22], v[21:22], -v[25:26]
	;; [unrolled: 1-line block ×3, first 2 shown]
	v_add_f64 v[19:20], v[19:20], v[21:22]
	v_add_f64 v[21:22], v[25:26], v[19:20]
	v_add_f64 v[23:24], v[25:26], -v[21:22]
	v_mul_f64 v[25:26], v[21:22], v[21:22]
	v_add_f64 v[19:20], v[19:20], v[23:24]
	v_fma_f64 v[23:24], v[21:22], s[12:13], v[12:13]
	v_fma_f64 v[27:28], v[21:22], v[21:22], -v[25:26]
	v_add_f64 v[29:30], v[19:20], v[19:20]
	v_fma_f64 v[23:24], v[21:22], v[23:24], s[14:15]
	v_fma_f64 v[27:28], v[21:22], v[29:30], v[27:28]
	;; [unrolled: 1-line block ×3, first 2 shown]
	v_add_f64 v[29:30], v[25:26], v[27:28]
	v_fma_f64 v[23:24], v[21:22], v[23:24], s[18:19]
	v_add_f64 v[25:26], v[29:30], -v[25:26]
	v_fma_f64 v[23:24], v[21:22], v[23:24], s[20:21]
	v_add_f64 v[25:26], v[27:28], -v[25:26]
	v_fma_f64 v[23:24], v[21:22], v[23:24], s[22:23]
	v_fma_f64 v[23:24], v[21:22], v[23:24], s[24:25]
	;; [unrolled: 1-line block ×4, first 2 shown]
	v_mul_f64 v[27:28], v[29:30], v[23:24]
	v_fma_f64 v[29:30], v[29:30], v[23:24], -v[27:28]
	v_fma_f64 v[23:24], v[25:26], v[23:24], v[29:30]
	v_add_f64 v[25:26], v[27:28], v[23:24]
	v_add_f64 v[27:28], v[25:26], -v[27:28]
	v_add_f64 v[23:24], v[23:24], -v[27:28]
	v_add_f64 v[27:28], v[21:22], v[25:26]
	v_add_f64 v[19:20], v[19:20], v[23:24]
	v_add_f64 v[21:22], v[27:28], -v[21:22]
	v_add_f64 v[21:22], v[25:26], -v[21:22]
	v_add_f64 v[19:20], v[19:20], v[21:22]
	v_add_f64 v[21:22], v[27:28], v[19:20]
	v_add_f64 v[23:24], v[21:22], -v[27:28]
	v_add_f64 v[19:20], v[19:20], -v[23:24]
	v_add_f64 v[23:24], v[21:22], 1.0
	v_add_f64 v[25:26], v[23:24], -1.0
	v_add_f64 v[21:22], v[21:22], -v[25:26]
	v_add_f64 v[19:20], v[19:20], v[21:22]
	v_add_f64 v[21:22], v[23:24], v[19:20]
	v_ldexp_f64 v[15:16], v[21:22], v17
	v_add_f64 v[23:24], v[21:22], -v[23:24]
	v_rcp_f64_e32 v[21:22], v[15:16]
	v_add_f64 v[19:20], v[19:20], -v[23:24]
	v_ldexp_f64 v[19:20], v[19:20], v17
	v_fma_f64 v[23:24], -v[15:16], v[21:22], 1.0
	v_fma_f64 v[21:22], v[23:24], v[21:22], v[21:22]
	v_fma_f64 v[23:24], -v[15:16], v[21:22], 1.0
	v_fma_f64 v[21:22], v[23:24], v[21:22], v[21:22]
	v_mul_f64 v[23:24], v[15:16], v[21:22]
	v_fma_f64 v[25:26], v[21:22], v[15:16], -v[23:24]
	v_fma_f64 v[25:26], v[21:22], v[19:20], v[25:26]
	v_add_f64 v[27:28], v[23:24], v[25:26]
	v_add_f64 v[29:30], -v[27:28], 1.0
	v_add_f64 v[23:24], v[27:28], -v[23:24]
	v_add_f64 v[31:32], -v[29:30], 1.0
	v_add_f64 v[23:24], v[23:24], -v[25:26]
	v_add_f64 v[27:28], v[31:32], -v[27:28]
	v_add_f64 v[23:24], v[23:24], v[27:28]
	v_add_f64 v[25:26], v[29:30], v[23:24]
	v_add_f64 v[27:28], v[29:30], -v[25:26]
	v_add_f64 v[23:24], v[23:24], v[27:28]
	v_mul_f64 v[27:28], v[21:22], v[25:26]
	v_mul_f64 v[29:30], v[15:16], v[27:28]
	v_fma_f64 v[31:32], v[27:28], v[15:16], -v[29:30]
	v_fma_f64 v[31:32], v[27:28], v[19:20], v[31:32]
	v_add_f64 v[33:34], v[29:30], v[31:32]
	v_add_f64 v[35:36], v[25:26], -v[33:34]
	v_add_f64 v[29:30], v[33:34], -v[29:30]
	;; [unrolled: 1-line block ×4, first 2 shown]
	v_add_f64 v[23:24], v[23:24], v[25:26]
	v_add_f64 v[25:26], v[29:30], -v[31:32]
	v_add_f64 v[23:24], v[25:26], v[23:24]
	v_add_f64 v[25:26], v[21:22], v[27:28]
	;; [unrolled: 1-line block ×3, first 2 shown]
	v_mul_f64 v[23:24], v[21:22], v[23:24]
	v_add_f64 v[21:22], v[25:26], -v[21:22]
	v_add_f64 v[21:22], v[27:28], -v[21:22]
	v_add_f64 v[21:22], v[21:22], v[23:24]
	v_add_f64 v[23:24], v[25:26], v[21:22]
	v_add_f64 v[25:26], v[23:24], -v[25:26]
	v_add_f64 v[21:22], v[21:22], -v[25:26]
	v_add_f64 v[25:26], v[15:16], -v[23:24]
	v_add_f64 v[27:28], v[15:16], -v[25:26]
	v_add_f64 v[27:28], v[27:28], -v[23:24]
	v_add_f64 v[27:28], v[19:20], v[27:28]
	v_add_f64 v[19:20], v[19:20], v[21:22]
	v_add_f64 v[27:28], v[27:28], -v[21:22]
	v_add_f64 v[29:30], v[25:26], v[27:28]
	v_add_f64 v[25:26], v[29:30], -v[25:26]
	v_add_f64 v[25:26], v[27:28], -v[25:26]
	v_add_f64 v[27:28], v[15:16], v[23:24]
	v_add_f64 v[15:16], v[27:28], -v[15:16]
	v_add_f64 v[15:16], v[23:24], -v[15:16]
	v_add_f64 v[15:16], v[19:20], v[15:16]
	v_add_f64 v[19:20], v[27:28], v[15:16]
	v_add_f64 v[21:22], v[19:20], -v[27:28]
	v_add_f64 v[15:16], v[15:16], -v[21:22]
	v_rcp_f64_e32 v[21:22], v[19:20]
	v_fma_f64 v[23:24], -v[19:20], v[21:22], 1.0
	v_fma_f64 v[21:22], v[23:24], v[21:22], v[21:22]
	v_fma_f64 v[23:24], -v[19:20], v[21:22], 1.0
	v_fma_f64 v[21:22], v[23:24], v[21:22], v[21:22]
	v_mul_f64 v[23:24], v[29:30], v[21:22]
	v_mul_f64 v[27:28], v[19:20], v[23:24]
	v_fma_f64 v[19:20], v[23:24], v[19:20], -v[27:28]
	v_fma_f64 v[15:16], v[23:24], v[15:16], v[19:20]
	v_add_f64 v[19:20], v[27:28], v[15:16]
	v_add_f64 v[27:28], v[19:20], -v[27:28]
	v_add_f64 v[15:16], v[15:16], -v[27:28]
	;; [unrolled: 1-line block ×6, first 2 shown]
	v_add_f64 v[15:16], v[25:26], v[15:16]
	v_add_f64 v[15:16], v[27:28], v[15:16]
	v_mul_f64 v[15:16], v[21:22], v[15:16]
	v_add_f64 v[15:16], v[23:24], v[15:16]
	v_cndmask_b32_e32 v16, v18, v16, vcc
	v_cndmask_b32_e32 v15, 0, v15, vcc
	v_cmp_lt_f64_e64 vcc, |v[8:9]|, s[34:35]
	v_cndmask_b32_e32 v8, v15, v8, vcc
	v_cndmask_b32_e32 v14, v16, v14, vcc
	v_mul_f64 v[15:16], |v[2:3]|, s[4:5]
	v_cmp_ngt_f64_e64 vcc, |v[2:3]|, s[30:31]
	v_bfi_b32 v9, s37, v14, v9
	v_and_b32_e32 v14, 0x7fffffff, v3
	v_rndne_f64_e32 v[15:16], v[15:16]
	v_fma_f64 v[19:20], v[15:16], s[6:7], |v[2:3]|
	v_mul_f64 v[23:24], v[15:16], s[8:9]
	v_cvt_i32_f64_e32 v17, v[15:16]
	v_add_f64 v[21:22], v[19:20], 0
	v_add_f64 v[25:26], v[21:22], -v[23:24]
	v_add_f64 v[19:20], v[19:20], -v[21:22]
	;; [unrolled: 1-line block ×3, first 2 shown]
	v_add_f64 v[19:20], v[19:20], 0
	v_add_f64 v[21:22], v[21:22], -v[23:24]
	v_add_f64 v[19:20], v[19:20], v[21:22]
	v_add_f64 v[21:22], v[25:26], v[19:20]
	v_add_f64 v[23:24], v[25:26], -v[21:22]
	v_add_f64 v[19:20], v[19:20], v[23:24]
	v_mul_f64 v[23:24], v[15:16], s[10:11]
	v_add_f64 v[25:26], v[21:22], -v[23:24]
	v_add_f64 v[21:22], v[21:22], -v[25:26]
	;; [unrolled: 1-line block ×3, first 2 shown]
	v_add_f64 v[19:20], v[19:20], v[21:22]
	v_add_f64 v[21:22], v[25:26], v[19:20]
	v_add_f64 v[23:24], v[25:26], -v[21:22]
	v_mul_f64 v[25:26], v[21:22], v[21:22]
	v_add_f64 v[19:20], v[19:20], v[23:24]
	v_fma_f64 v[23:24], v[21:22], s[12:13], v[12:13]
	v_fma_f64 v[27:28], v[21:22], v[21:22], -v[25:26]
	v_add_f64 v[29:30], v[19:20], v[19:20]
	v_fma_f64 v[23:24], v[21:22], v[23:24], s[14:15]
	v_fma_f64 v[27:28], v[21:22], v[29:30], v[27:28]
	v_fma_f64 v[23:24], v[21:22], v[23:24], s[16:17]
	v_add_f64 v[29:30], v[25:26], v[27:28]
	v_fma_f64 v[23:24], v[21:22], v[23:24], s[18:19]
	v_add_f64 v[25:26], v[29:30], -v[25:26]
	v_fma_f64 v[23:24], v[21:22], v[23:24], s[20:21]
	v_add_f64 v[25:26], v[27:28], -v[25:26]
	v_fma_f64 v[23:24], v[21:22], v[23:24], s[22:23]
	v_fma_f64 v[23:24], v[21:22], v[23:24], s[24:25]
	;; [unrolled: 1-line block ×4, first 2 shown]
	v_mul_f64 v[27:28], v[29:30], v[23:24]
	v_fma_f64 v[29:30], v[29:30], v[23:24], -v[27:28]
	v_fma_f64 v[23:24], v[25:26], v[23:24], v[29:30]
	v_add_f64 v[25:26], v[27:28], v[23:24]
	v_add_f64 v[27:28], v[25:26], -v[27:28]
	v_add_f64 v[23:24], v[23:24], -v[27:28]
	v_add_f64 v[27:28], v[21:22], v[25:26]
	v_add_f64 v[19:20], v[19:20], v[23:24]
	v_add_f64 v[21:22], v[27:28], -v[21:22]
	v_add_f64 v[21:22], v[25:26], -v[21:22]
	v_add_f64 v[19:20], v[19:20], v[21:22]
	v_add_f64 v[21:22], v[27:28], v[19:20]
	v_add_f64 v[23:24], v[21:22], -v[27:28]
	v_add_f64 v[19:20], v[19:20], -v[23:24]
	v_add_f64 v[23:24], v[21:22], 1.0
	v_add_f64 v[25:26], v[23:24], -1.0
	v_add_f64 v[21:22], v[21:22], -v[25:26]
	v_add_f64 v[19:20], v[19:20], v[21:22]
	v_add_f64 v[21:22], v[23:24], v[19:20]
	v_ldexp_f64 v[15:16], v[21:22], v17
	v_add_f64 v[23:24], v[21:22], -v[23:24]
	v_rcp_f64_e32 v[21:22], v[15:16]
	v_add_f64 v[19:20], v[19:20], -v[23:24]
	v_ldexp_f64 v[19:20], v[19:20], v17
	v_fma_f64 v[23:24], -v[15:16], v[21:22], 1.0
	v_fma_f64 v[21:22], v[23:24], v[21:22], v[21:22]
	v_fma_f64 v[23:24], -v[15:16], v[21:22], 1.0
	v_fma_f64 v[21:22], v[23:24], v[21:22], v[21:22]
	v_mul_f64 v[23:24], v[15:16], v[21:22]
	v_fma_f64 v[25:26], v[21:22], v[15:16], -v[23:24]
	v_fma_f64 v[25:26], v[21:22], v[19:20], v[25:26]
	v_add_f64 v[27:28], v[23:24], v[25:26]
	v_add_f64 v[29:30], -v[27:28], 1.0
	v_add_f64 v[23:24], v[27:28], -v[23:24]
	v_add_f64 v[31:32], -v[29:30], 1.0
	v_add_f64 v[23:24], v[23:24], -v[25:26]
	v_add_f64 v[27:28], v[31:32], -v[27:28]
	v_add_f64 v[23:24], v[23:24], v[27:28]
	v_add_f64 v[25:26], v[29:30], v[23:24]
	v_add_f64 v[27:28], v[29:30], -v[25:26]
	v_add_f64 v[23:24], v[23:24], v[27:28]
	v_mul_f64 v[27:28], v[21:22], v[25:26]
	v_mul_f64 v[29:30], v[15:16], v[27:28]
	v_fma_f64 v[31:32], v[27:28], v[15:16], -v[29:30]
	v_fma_f64 v[31:32], v[27:28], v[19:20], v[31:32]
	v_add_f64 v[33:34], v[29:30], v[31:32]
	v_add_f64 v[35:36], v[25:26], -v[33:34]
	v_add_f64 v[29:30], v[33:34], -v[29:30]
	;; [unrolled: 1-line block ×4, first 2 shown]
	v_add_f64 v[23:24], v[23:24], v[25:26]
	v_add_f64 v[25:26], v[29:30], -v[31:32]
	v_add_f64 v[23:24], v[25:26], v[23:24]
	v_add_f64 v[25:26], v[21:22], v[27:28]
	;; [unrolled: 1-line block ×3, first 2 shown]
	v_mul_f64 v[23:24], v[21:22], v[23:24]
	v_add_f64 v[21:22], v[25:26], -v[21:22]
	v_add_f64 v[21:22], v[27:28], -v[21:22]
	v_add_f64 v[21:22], v[21:22], v[23:24]
	v_add_f64 v[23:24], v[25:26], v[21:22]
	v_add_f64 v[25:26], v[23:24], -v[25:26]
	v_add_f64 v[21:22], v[21:22], -v[25:26]
	;; [unrolled: 1-line block ×5, first 2 shown]
	v_add_f64 v[27:28], v[19:20], v[27:28]
	v_add_f64 v[19:20], v[19:20], v[21:22]
	v_add_f64 v[27:28], v[27:28], -v[21:22]
	v_add_f64 v[29:30], v[25:26], v[27:28]
	v_add_f64 v[25:26], v[29:30], -v[25:26]
	v_add_f64 v[25:26], v[27:28], -v[25:26]
	v_add_f64 v[27:28], v[15:16], v[23:24]
	v_add_f64 v[15:16], v[27:28], -v[15:16]
	v_add_f64 v[15:16], v[23:24], -v[15:16]
	v_add_f64 v[15:16], v[19:20], v[15:16]
	v_add_f64 v[19:20], v[27:28], v[15:16]
	v_add_f64 v[21:22], v[19:20], -v[27:28]
	v_add_f64 v[15:16], v[15:16], -v[21:22]
	v_rcp_f64_e32 v[21:22], v[19:20]
	v_fma_f64 v[23:24], -v[19:20], v[21:22], 1.0
	v_fma_f64 v[21:22], v[23:24], v[21:22], v[21:22]
	v_fma_f64 v[23:24], -v[19:20], v[21:22], 1.0
	v_fma_f64 v[21:22], v[23:24], v[21:22], v[21:22]
	v_mul_f64 v[23:24], v[29:30], v[21:22]
	v_mul_f64 v[27:28], v[19:20], v[23:24]
	v_fma_f64 v[19:20], v[23:24], v[19:20], -v[27:28]
	v_fma_f64 v[15:16], v[23:24], v[15:16], v[19:20]
	v_add_f64 v[19:20], v[27:28], v[15:16]
	v_add_f64 v[27:28], v[19:20], -v[27:28]
	v_add_f64 v[15:16], v[15:16], -v[27:28]
	;; [unrolled: 1-line block ×6, first 2 shown]
	v_and_b32_e32 v19, 0x7fffffff, v5
	v_add_f64 v[15:16], v[25:26], v[15:16]
	v_add_f64 v[15:16], v[27:28], v[15:16]
	v_mul_f64 v[15:16], v[21:22], v[15:16]
	v_add_f64 v[15:16], v[23:24], v[15:16]
	v_cndmask_b32_e32 v16, v18, v16, vcc
	v_cndmask_b32_e32 v15, 0, v15, vcc
	v_cmp_lt_f64_e64 vcc, |v[2:3]|, s[34:35]
	v_cndmask_b32_e32 v14, v16, v14, vcc
	v_cndmask_b32_e32 v2, v15, v2, vcc
	v_bfi_b32 v3, s37, v14, v3
	v_mul_f64 v[14:15], |v[4:5]|, s[4:5]
	v_cmp_ngt_f64_e64 vcc, |v[4:5]|, s[30:31]
	v_rndne_f64_e32 v[14:15], v[14:15]
	v_fma_f64 v[16:17], v[14:15], s[6:7], |v[4:5]|
	v_mul_f64 v[22:23], v[14:15], s[8:9]
	v_add_f64 v[20:21], v[16:17], 0
	v_add_f64 v[24:25], v[20:21], -v[22:23]
	v_add_f64 v[16:17], v[16:17], -v[20:21]
	;; [unrolled: 1-line block ×3, first 2 shown]
	v_add_f64 v[16:17], v[16:17], 0
	v_add_f64 v[20:21], v[20:21], -v[22:23]
	v_add_f64 v[16:17], v[16:17], v[20:21]
	v_add_f64 v[20:21], v[24:25], v[16:17]
	v_add_f64 v[22:23], v[24:25], -v[20:21]
	v_add_f64 v[16:17], v[16:17], v[22:23]
	v_mul_f64 v[22:23], v[14:15], s[10:11]
	v_cvt_i32_f64_e32 v14, v[14:15]
	v_add_f64 v[24:25], v[20:21], -v[22:23]
	v_add_f64 v[20:21], v[20:21], -v[24:25]
	v_add_f64 v[20:21], v[20:21], -v[22:23]
	v_add_f64 v[16:17], v[16:17], v[20:21]
	v_add_f64 v[20:21], v[24:25], v[16:17]
	v_add_f64 v[22:23], v[24:25], -v[20:21]
	v_mul_f64 v[24:25], v[20:21], v[20:21]
	v_add_f64 v[16:17], v[16:17], v[22:23]
	v_fma_f64 v[22:23], v[20:21], s[12:13], v[12:13]
	v_fma_f64 v[26:27], v[20:21], v[20:21], -v[24:25]
	v_add_f64 v[28:29], v[16:17], v[16:17]
	v_fma_f64 v[22:23], v[20:21], v[22:23], s[14:15]
	v_fma_f64 v[26:27], v[20:21], v[28:29], v[26:27]
	;; [unrolled: 1-line block ×3, first 2 shown]
	v_add_f64 v[28:29], v[24:25], v[26:27]
	v_fma_f64 v[22:23], v[20:21], v[22:23], s[18:19]
	v_add_f64 v[24:25], v[28:29], -v[24:25]
	v_fma_f64 v[22:23], v[20:21], v[22:23], s[20:21]
	v_add_f64 v[24:25], v[26:27], -v[24:25]
	v_fma_f64 v[22:23], v[20:21], v[22:23], s[22:23]
	v_fma_f64 v[22:23], v[20:21], v[22:23], s[24:25]
	;; [unrolled: 1-line block ×4, first 2 shown]
	v_mul_f64 v[26:27], v[28:29], v[22:23]
	v_fma_f64 v[28:29], v[28:29], v[22:23], -v[26:27]
	v_fma_f64 v[22:23], v[24:25], v[22:23], v[28:29]
	v_add_f64 v[24:25], v[26:27], v[22:23]
	v_add_f64 v[26:27], v[24:25], -v[26:27]
	v_add_f64 v[22:23], v[22:23], -v[26:27]
	v_add_f64 v[26:27], v[20:21], v[24:25]
	v_add_f64 v[16:17], v[16:17], v[22:23]
	v_add_f64 v[20:21], v[26:27], -v[20:21]
	v_add_f64 v[20:21], v[24:25], -v[20:21]
	v_add_f64 v[16:17], v[16:17], v[20:21]
	v_add_f64 v[20:21], v[26:27], v[16:17]
	v_add_f64 v[22:23], v[20:21], -v[26:27]
	v_add_f64 v[16:17], v[16:17], -v[22:23]
	v_add_f64 v[22:23], v[20:21], 1.0
	v_add_f64 v[24:25], v[22:23], -1.0
	v_add_f64 v[20:21], v[20:21], -v[24:25]
	v_add_f64 v[16:17], v[16:17], v[20:21]
	v_add_f64 v[20:21], v[22:23], v[16:17]
	v_add_f64 v[22:23], v[20:21], -v[22:23]
	v_add_f64 v[22:23], v[16:17], -v[22:23]
	v_ldexp_f64 v[16:17], v[20:21], v14
	v_ldexp_f64 v[14:15], v[22:23], v14
	v_rcp_f64_e32 v[20:21], v[16:17]
	v_fma_f64 v[22:23], -v[16:17], v[20:21], 1.0
	v_fma_f64 v[20:21], v[22:23], v[20:21], v[20:21]
	v_fma_f64 v[22:23], -v[16:17], v[20:21], 1.0
	v_fma_f64 v[20:21], v[22:23], v[20:21], v[20:21]
	v_mul_f64 v[22:23], v[16:17], v[20:21]
	v_fma_f64 v[24:25], v[20:21], v[16:17], -v[22:23]
	v_fma_f64 v[24:25], v[20:21], v[14:15], v[24:25]
	v_add_f64 v[26:27], v[22:23], v[24:25]
	v_add_f64 v[28:29], -v[26:27], 1.0
	v_add_f64 v[22:23], v[26:27], -v[22:23]
	v_add_f64 v[30:31], -v[28:29], 1.0
	v_add_f64 v[22:23], v[22:23], -v[24:25]
	v_add_f64 v[26:27], v[30:31], -v[26:27]
	v_add_f64 v[22:23], v[22:23], v[26:27]
	v_add_f64 v[24:25], v[28:29], v[22:23]
	v_add_f64 v[26:27], v[28:29], -v[24:25]
	v_add_f64 v[22:23], v[22:23], v[26:27]
	v_mul_f64 v[26:27], v[20:21], v[24:25]
	v_mul_f64 v[28:29], v[16:17], v[26:27]
	v_fma_f64 v[30:31], v[26:27], v[16:17], -v[28:29]
	v_fma_f64 v[30:31], v[26:27], v[14:15], v[30:31]
	v_add_f64 v[32:33], v[28:29], v[30:31]
	v_add_f64 v[34:35], v[24:25], -v[32:33]
	v_add_f64 v[28:29], v[32:33], -v[28:29]
	;; [unrolled: 1-line block ×4, first 2 shown]
	v_add_f64 v[22:23], v[22:23], v[24:25]
	v_add_f64 v[24:25], v[28:29], -v[30:31]
	v_add_f64 v[22:23], v[24:25], v[22:23]
	v_add_f64 v[24:25], v[20:21], v[26:27]
	;; [unrolled: 1-line block ×3, first 2 shown]
	v_mul_f64 v[22:23], v[20:21], v[22:23]
	v_add_f64 v[20:21], v[24:25], -v[20:21]
	v_add_f64 v[20:21], v[26:27], -v[20:21]
	v_add_f64 v[20:21], v[20:21], v[22:23]
	v_add_f64 v[22:23], v[24:25], v[20:21]
	v_add_f64 v[24:25], v[22:23], -v[24:25]
	v_add_f64 v[20:21], v[20:21], -v[24:25]
	;; [unrolled: 1-line block ×5, first 2 shown]
	v_add_f64 v[26:27], v[14:15], v[26:27]
	v_add_f64 v[14:15], v[14:15], v[20:21]
	v_add_f64 v[26:27], v[26:27], -v[20:21]
	v_add_f64 v[28:29], v[24:25], v[26:27]
	v_add_f64 v[24:25], v[28:29], -v[24:25]
	v_add_f64 v[24:25], v[26:27], -v[24:25]
	v_add_f64 v[26:27], v[16:17], v[22:23]
	v_add_f64 v[16:17], v[26:27], -v[16:17]
	v_add_f64 v[16:17], v[22:23], -v[16:17]
	v_add_f64 v[14:15], v[14:15], v[16:17]
	v_add_f64 v[16:17], v[26:27], v[14:15]
	v_add_f64 v[20:21], v[16:17], -v[26:27]
	v_add_f64 v[14:15], v[14:15], -v[20:21]
	v_rcp_f64_e32 v[20:21], v[16:17]
	v_fma_f64 v[22:23], -v[16:17], v[20:21], 1.0
	v_fma_f64 v[20:21], v[22:23], v[20:21], v[20:21]
	v_fma_f64 v[22:23], -v[16:17], v[20:21], 1.0
	v_fma_f64 v[20:21], v[22:23], v[20:21], v[20:21]
	v_mul_f64 v[22:23], v[28:29], v[20:21]
	v_mul_f64 v[26:27], v[16:17], v[22:23]
	v_fma_f64 v[16:17], v[22:23], v[16:17], -v[26:27]
	v_fma_f64 v[14:15], v[22:23], v[14:15], v[16:17]
	v_add_f64 v[16:17], v[26:27], v[14:15]
	v_add_f64 v[26:27], v[16:17], -v[26:27]
	v_add_f64 v[14:15], v[14:15], -v[26:27]
	;; [unrolled: 1-line block ×6, first 2 shown]
	v_add_f64 v[14:15], v[24:25], v[14:15]
	v_add_f64 v[14:15], v[26:27], v[14:15]
	v_mul_f64 v[14:15], v[20:21], v[14:15]
	v_add_f64 v[14:15], v[22:23], v[14:15]
	v_cndmask_b32_e32 v15, v18, v15, vcc
	v_cndmask_b32_e32 v14, 0, v14, vcc
	v_cmp_lt_f64_e64 vcc, |v[4:5]|, s[34:35]
	v_cndmask_b32_e32 v4, v14, v4, vcc
	v_cndmask_b32_e32 v14, v15, v19, vcc
	v_add_co_u32_e32 v0, vcc, s33, v0
	v_addc_co_u32_e32 v1, vcc, 0, v1, vcc
	v_bfi_b32 v5, s37, v14, v5
	global_store_dwordx4 v[10:11], v[6:9], off offset:-16
	global_store_dwordx4 v[10:11], v[2:5], off
	v_add_co_u32_e32 v10, vcc, s36, v10
	v_lshlrev_b64 v[2:3], 2, v[0:1]
	v_addc_co_u32_e32 v11, vcc, 0, v11, vcc
	v_cmp_le_i64_e32 vcc, s[0:1], v[2:3]
	s_or_b64 s[2:3], vcc, s[2:3]
	s_andn2_b64 exec, exec, s[2:3]
	s_cbranch_execnz .LBB159_24
.LBB159_25:
	s_endpgm
	.section	.rodata,"a",@progbits
	.p2align	6, 0x0
	.amdhsa_kernel _ZN2at6native12_GLOBAL__N_125multi_tensor_apply_kernelINS1_18TensorListMetadataILi1EEENS1_14UnaryOpFunctorIdLi1ELi1ELi0EEEJNS0_4TanhIdEEEEEvT_T0_DpT1_
		.amdhsa_group_segment_fixed_size 0
		.amdhsa_private_segment_fixed_size 0
		.amdhsa_kernarg_size 3632
		.amdhsa_user_sgpr_count 6
		.amdhsa_user_sgpr_private_segment_buffer 1
		.amdhsa_user_sgpr_dispatch_ptr 0
		.amdhsa_user_sgpr_queue_ptr 0
		.amdhsa_user_sgpr_kernarg_segment_ptr 1
		.amdhsa_user_sgpr_dispatch_id 0
		.amdhsa_user_sgpr_flat_scratch_init 0
		.amdhsa_user_sgpr_private_segment_size 0
		.amdhsa_uses_dynamic_stack 0
		.amdhsa_system_sgpr_private_segment_wavefront_offset 0
		.amdhsa_system_sgpr_workgroup_id_x 1
		.amdhsa_system_sgpr_workgroup_id_y 0
		.amdhsa_system_sgpr_workgroup_id_z 0
		.amdhsa_system_sgpr_workgroup_info 0
		.amdhsa_system_vgpr_workitem_id 0
		.amdhsa_next_free_vgpr 44
		.amdhsa_next_free_sgpr 60
		.amdhsa_reserve_vcc 1
		.amdhsa_reserve_flat_scratch 0
		.amdhsa_float_round_mode_32 0
		.amdhsa_float_round_mode_16_64 0
		.amdhsa_float_denorm_mode_32 3
		.amdhsa_float_denorm_mode_16_64 3
		.amdhsa_dx10_clamp 1
		.amdhsa_ieee_mode 1
		.amdhsa_fp16_overflow 0
		.amdhsa_exception_fp_ieee_invalid_op 0
		.amdhsa_exception_fp_denorm_src 0
		.amdhsa_exception_fp_ieee_div_zero 0
		.amdhsa_exception_fp_ieee_overflow 0
		.amdhsa_exception_fp_ieee_underflow 0
		.amdhsa_exception_fp_ieee_inexact 0
		.amdhsa_exception_int_div_zero 0
	.end_amdhsa_kernel
	.section	.text._ZN2at6native12_GLOBAL__N_125multi_tensor_apply_kernelINS1_18TensorListMetadataILi1EEENS1_14UnaryOpFunctorIdLi1ELi1ELi0EEEJNS0_4TanhIdEEEEEvT_T0_DpT1_,"axG",@progbits,_ZN2at6native12_GLOBAL__N_125multi_tensor_apply_kernelINS1_18TensorListMetadataILi1EEENS1_14UnaryOpFunctorIdLi1ELi1ELi0EEEJNS0_4TanhIdEEEEEvT_T0_DpT1_,comdat
.Lfunc_end159:
	.size	_ZN2at6native12_GLOBAL__N_125multi_tensor_apply_kernelINS1_18TensorListMetadataILi1EEENS1_14UnaryOpFunctorIdLi1ELi1ELi0EEEJNS0_4TanhIdEEEEEvT_T0_DpT1_, .Lfunc_end159-_ZN2at6native12_GLOBAL__N_125multi_tensor_apply_kernelINS1_18TensorListMetadataILi1EEENS1_14UnaryOpFunctorIdLi1ELi1ELi0EEEJNS0_4TanhIdEEEEEvT_T0_DpT1_
                                        ; -- End function
	.set _ZN2at6native12_GLOBAL__N_125multi_tensor_apply_kernelINS1_18TensorListMetadataILi1EEENS1_14UnaryOpFunctorIdLi1ELi1ELi0EEEJNS0_4TanhIdEEEEEvT_T0_DpT1_.num_vgpr, 44
	.set _ZN2at6native12_GLOBAL__N_125multi_tensor_apply_kernelINS1_18TensorListMetadataILi1EEENS1_14UnaryOpFunctorIdLi1ELi1ELi0EEEJNS0_4TanhIdEEEEEvT_T0_DpT1_.num_agpr, 0
	.set _ZN2at6native12_GLOBAL__N_125multi_tensor_apply_kernelINS1_18TensorListMetadataILi1EEENS1_14UnaryOpFunctorIdLi1ELi1ELi0EEEJNS0_4TanhIdEEEEEvT_T0_DpT1_.numbered_sgpr, 60
	.set _ZN2at6native12_GLOBAL__N_125multi_tensor_apply_kernelINS1_18TensorListMetadataILi1EEENS1_14UnaryOpFunctorIdLi1ELi1ELi0EEEJNS0_4TanhIdEEEEEvT_T0_DpT1_.num_named_barrier, 0
	.set _ZN2at6native12_GLOBAL__N_125multi_tensor_apply_kernelINS1_18TensorListMetadataILi1EEENS1_14UnaryOpFunctorIdLi1ELi1ELi0EEEJNS0_4TanhIdEEEEEvT_T0_DpT1_.private_seg_size, 0
	.set _ZN2at6native12_GLOBAL__N_125multi_tensor_apply_kernelINS1_18TensorListMetadataILi1EEENS1_14UnaryOpFunctorIdLi1ELi1ELi0EEEJNS0_4TanhIdEEEEEvT_T0_DpT1_.uses_vcc, 1
	.set _ZN2at6native12_GLOBAL__N_125multi_tensor_apply_kernelINS1_18TensorListMetadataILi1EEENS1_14UnaryOpFunctorIdLi1ELi1ELi0EEEJNS0_4TanhIdEEEEEvT_T0_DpT1_.uses_flat_scratch, 0
	.set _ZN2at6native12_GLOBAL__N_125multi_tensor_apply_kernelINS1_18TensorListMetadataILi1EEENS1_14UnaryOpFunctorIdLi1ELi1ELi0EEEJNS0_4TanhIdEEEEEvT_T0_DpT1_.has_dyn_sized_stack, 0
	.set _ZN2at6native12_GLOBAL__N_125multi_tensor_apply_kernelINS1_18TensorListMetadataILi1EEENS1_14UnaryOpFunctorIdLi1ELi1ELi0EEEJNS0_4TanhIdEEEEEvT_T0_DpT1_.has_recursion, 0
	.set _ZN2at6native12_GLOBAL__N_125multi_tensor_apply_kernelINS1_18TensorListMetadataILi1EEENS1_14UnaryOpFunctorIdLi1ELi1ELi0EEEJNS0_4TanhIdEEEEEvT_T0_DpT1_.has_indirect_call, 0
	.section	.AMDGPU.csdata,"",@progbits
; Kernel info:
; codeLenInByte = 10556
; TotalNumSgprs: 64
; NumVgprs: 44
; ScratchSize: 0
; MemoryBound: 0
; FloatMode: 240
; IeeeMode: 1
; LDSByteSize: 0 bytes/workgroup (compile time only)
; SGPRBlocks: 7
; VGPRBlocks: 10
; NumSGPRsForWavesPerEU: 64
; NumVGPRsForWavesPerEU: 44
; Occupancy: 5
; WaveLimiterHint : 0
; COMPUTE_PGM_RSRC2:SCRATCH_EN: 0
; COMPUTE_PGM_RSRC2:USER_SGPR: 6
; COMPUTE_PGM_RSRC2:TRAP_HANDLER: 0
; COMPUTE_PGM_RSRC2:TGID_X_EN: 1
; COMPUTE_PGM_RSRC2:TGID_Y_EN: 0
; COMPUTE_PGM_RSRC2:TGID_Z_EN: 0
; COMPUTE_PGM_RSRC2:TIDIG_COMP_CNT: 0
	.section	.text._ZN2at6native12_GLOBAL__N_125multi_tensor_apply_kernelINS1_18TensorListMetadataILi1EEENS1_14UnaryOpFunctorIfLi1ELi1ELi0EEEJNS0_4TanhIfEEEEEvT_T0_DpT1_,"axG",@progbits,_ZN2at6native12_GLOBAL__N_125multi_tensor_apply_kernelINS1_18TensorListMetadataILi1EEENS1_14UnaryOpFunctorIfLi1ELi1ELi0EEEJNS0_4TanhIfEEEEEvT_T0_DpT1_,comdat
	.globl	_ZN2at6native12_GLOBAL__N_125multi_tensor_apply_kernelINS1_18TensorListMetadataILi1EEENS1_14UnaryOpFunctorIfLi1ELi1ELi0EEEJNS0_4TanhIfEEEEEvT_T0_DpT1_ ; -- Begin function _ZN2at6native12_GLOBAL__N_125multi_tensor_apply_kernelINS1_18TensorListMetadataILi1EEENS1_14UnaryOpFunctorIfLi1ELi1ELi0EEEJNS0_4TanhIfEEEEEvT_T0_DpT1_
	.p2align	8
	.type	_ZN2at6native12_GLOBAL__N_125multi_tensor_apply_kernelINS1_18TensorListMetadataILi1EEENS1_14UnaryOpFunctorIfLi1ELi1ELi0EEEJNS0_4TanhIfEEEEEvT_T0_DpT1_,@function
_ZN2at6native12_GLOBAL__N_125multi_tensor_apply_kernelINS1_18TensorListMetadataILi1EEENS1_14UnaryOpFunctorIfLi1ELi1ELi0EEEJNS0_4TanhIfEEEEEvT_T0_DpT1_: ; @_ZN2at6native12_GLOBAL__N_125multi_tensor_apply_kernelINS1_18TensorListMetadataILi1EEENS1_14UnaryOpFunctorIfLi1ELi1ELi0EEEJNS0_4TanhIfEEEEEvT_T0_DpT1_
; %bb.0:
	v_mov_b32_e32 v1, s6
	global_load_ubyte v1, v1, s[4:5] offset:1760
	s_add_u32 s0, s4, s6
	s_mul_hi_u32 s1, s6, 3
	s_mul_i32 s6, s6, 3
	s_addc_u32 s2, s5, 0
	s_add_u32 s0, s0, s6
	s_addc_u32 s1, s2, s1
	s_load_dword s0, s[0:1], 0x820
	s_mov_b32 s7, 0
	s_waitcnt vmcnt(0)
	v_readfirstlane_b32 s1, v1
	s_lshl_b32 s1, s1, 3
	s_load_dwordx2 s[2:3], s[4:5], s1 offset:0x370
	s_load_dwordx2 s[10:11], s[4:5], s1 offset:0x0
	s_waitcnt lgkmcnt(0)
	s_ashr_i32 s1, s0, 31
	s_lshl_b64 s[12:13], s[0:1], 18
	s_lshl_b64 s[0:1], s[0:1], 16
	s_and_b32 s6, s10, 15
	s_sub_u32 s14, s2, s0
	s_subb_u32 s15, s3, s1
	s_and_b32 s0, s2, 3
	s_mov_b32 s1, s7
	s_or_b64 s[0:1], s[6:7], s[0:1]
	s_cmp_eq_u64 s[0:1], 0
	s_cbranch_scc1 .LBB160_37
; %bb.1:
	v_cmp_lt_i64_e64 s[0:1], s[14:15], 1
	s_and_b64 vcc, exec, s[0:1]
	s_cbranch_vccnz .LBB160_36
; %bb.2:
	v_mov_b32_e32 v1, 0x10000
	s_load_dword s2, s[4:5], 0xd3c
	v_mov_b32_e32 v2, 0
	v_cmp_lt_i64_e32 vcc, s[14:15], v[1:2]
	s_mov_b64 s[20:21], 0
	s_and_b64 s[0:1], vcc, exec
	v_cmp_lt_u64_e32 vcc, s[14:15], v[1:2]
	s_cselect_b32 s17, s15, 0
	s_cselect_b32 s16, s14, 0x10000
	s_waitcnt lgkmcnt(0)
	s_and_b32 s2, s2, 0xffff
	s_and_b64 s[0:1], vcc, exec
	s_cselect_b32 s19, s15, 0
	s_cselect_b32 s18, s14, 0x10000
	s_lshl_b32 s3, s2, 1
	s_lshl_b32 s24, s2, 2
	s_add_u32 s6, s10, s12
	v_lshlrev_b32_e32 v1, 2, v0
	s_addc_u32 s7, s11, s13
	v_mov_b32_e32 v2, s7
	v_add_co_u32_e32 v1, vcc, s6, v1
	s_mul_i32 s0, s2, 3
	v_addc_co_u32_e32 v2, vcc, 0, v2, vcc
	v_add_co_u32_e32 v5, vcc, s0, v0
	v_addc_co_u32_e64 v6, s[0:1], 0, 0, vcc
	v_add_co_u32_e32 v7, vcc, s3, v0
	v_addc_co_u32_e64 v8, s[0:1], 0, 0, vcc
	v_add_co_u32_e32 v9, vcc, s2, v0
	v_lshlrev_b32_e32 v3, 2, v9
	v_addc_co_u32_e64 v10, s[0:1], 0, 0, vcc
	v_mov_b32_e32 v4, s7
	v_add_co_u32_e32 v3, vcc, s6, v3
	s_lshl_b32 s25, s2, 4
	s_mul_i32 s26, s2, 12
	s_lshl_b32 s27, s2, 3
	v_addc_co_u32_e32 v4, vcc, 0, v4, vcc
	s_mov_b32 s28, 0x3f200000
	s_mov_b32 s29, 0x3fb8aa3b
	;; [unrolled: 1-line block ×4, first 2 shown]
	v_mov_b32_e32 v11, 0xbd5c1c4e
	v_mov_b32_e32 v12, 0x3e088382
	;; [unrolled: 1-line block ×3, first 2 shown]
	s_brev_b32 s33, -2
	v_mov_b32_e32 v14, 0x7f800000
	s_branch .LBB160_4
.LBB160_3:                              ;   in Loop: Header=BB160_4 Depth=1
	s_or_b64 exec, exec, s[0:1]
	s_add_u32 s20, s20, s24
	v_add_co_u32_e32 v1, vcc, s25, v1
	v_mov_b32_e32 v15, s16
	s_addc_u32 s21, s21, 0
	v_addc_co_u32_e32 v2, vcc, 0, v2, vcc
	v_mov_b32_e32 v16, s17
	v_cmp_ge_i64_e32 vcc, s[20:21], v[15:16]
	v_add_co_u32_e64 v3, s[0:1], s25, v3
	v_addc_co_u32_e64 v4, s[0:1], 0, v4, s[0:1]
	s_cbranch_vccnz .LBB160_36
.LBB160_4:                              ; =>This Inner Loop Header: Depth=1
	v_mov_b32_e32 v16, s21
	v_add_co_u32_e32 v15, vcc, s20, v0
	v_addc_co_u32_e32 v16, vcc, 0, v16, vcc
	v_cmp_gt_u64_e32 vcc, s[18:19], v[15:16]
	v_mov_b32_e32 v15, 0
	s_and_saveexec_b64 s[0:1], vcc
	s_cbranch_execz .LBB160_6
; %bb.5:                                ;   in Loop: Header=BB160_4 Depth=1
	global_load_dword v15, v[1:2], off
.LBB160_6:                              ;   in Loop: Header=BB160_4 Depth=1
	s_or_b64 exec, exec, s[0:1]
	v_mov_b32_e32 v17, s21
	v_add_co_u32_e64 v16, s[0:1], s20, v9
	v_addc_co_u32_e64 v17, s[0:1], v10, v17, s[0:1]
	v_cmp_gt_u64_e64 s[0:1], s[18:19], v[16:17]
	v_mov_b32_e32 v16, 0
	v_mov_b32_e32 v17, 0
	s_and_saveexec_b64 s[2:3], s[0:1]
	s_cbranch_execz .LBB160_8
; %bb.7:                                ;   in Loop: Header=BB160_4 Depth=1
	global_load_dword v17, v[3:4], off
.LBB160_8:                              ;   in Loop: Header=BB160_4 Depth=1
	s_or_b64 exec, exec, s[2:3]
	v_mov_b32_e32 v19, s21
	v_add_co_u32_e64 v18, s[2:3], s20, v7
	v_addc_co_u32_e64 v19, s[2:3], v8, v19, s[2:3]
	v_cmp_gt_u64_e64 s[2:3], s[18:19], v[18:19]
	s_and_saveexec_b64 s[8:9], s[2:3]
	s_cbranch_execz .LBB160_10
; %bb.9:                                ;   in Loop: Header=BB160_4 Depth=1
	v_add_co_u32_e64 v18, s[6:7], s27, v1
	v_addc_co_u32_e64 v19, s[6:7], 0, v2, s[6:7]
	global_load_dword v16, v[18:19], off
.LBB160_10:                             ;   in Loop: Header=BB160_4 Depth=1
	s_or_b64 exec, exec, s[8:9]
	v_mov_b32_e32 v19, s21
	v_add_co_u32_e64 v18, s[6:7], s20, v5
	v_addc_co_u32_e64 v19, s[6:7], v6, v19, s[6:7]
	v_cmp_gt_u64_e64 s[6:7], s[18:19], v[18:19]
	v_mov_b32_e32 v18, 0
	s_and_saveexec_b64 s[22:23], s[6:7]
	s_cbranch_execz .LBB160_12
; %bb.11:                               ;   in Loop: Header=BB160_4 Depth=1
	v_add_co_u32_e64 v18, s[8:9], s26, v1
	v_addc_co_u32_e64 v19, s[8:9], 0, v2, s[8:9]
	global_load_dword v18, v[18:19], off
.LBB160_12:                             ;   in Loop: Header=BB160_4 Depth=1
	s_or_b64 exec, exec, s[22:23]
	s_waitcnt vmcnt(0)
	v_cmp_nlt_f32_e64 s[8:9], |v15|, s28
                                        ; implicit-def: $vgpr19
	s_and_saveexec_b64 s[22:23], s[8:9]
	s_xor_b64 s[22:23], exec, s[22:23]
	s_cbranch_execz .LBB160_14
; %bb.13:                               ;   in Loop: Header=BB160_4 Depth=1
	v_add_f32_e64 v19, |v15|, |v15|
	v_mul_f32_e32 v20, 0x3fb8aa3b, v19
	v_rndne_f32_e32 v21, v20
	v_sub_f32_e32 v22, v20, v21
	v_fma_f32 v20, v19, s29, -v20
	v_fmac_f32_e32 v20, 0x32a5705f, v19
	v_add_f32_e32 v20, v22, v20
	v_cvt_i32_f32_e32 v21, v21
	v_exp_f32_e32 v20, v20
	v_cmp_ngt_f32_e64 s[8:9], s30, v19
	v_ldexp_f32 v20, v20, v21
	v_cndmask_b32_e64 v20, 0, v20, s[8:9]
	v_cmp_nlt_f32_e64 s[8:9], s31, v19
	v_cndmask_b32_e64 v19, v14, v20, s[8:9]
	v_add_f32_e32 v19, 1.0, v19
	v_rcp_f32_e32 v19, v19
	v_fma_f32 v19, v19, -2.0, 1.0
.LBB160_14:                             ;   in Loop: Header=BB160_4 Depth=1
	s_andn2_saveexec_b64 s[8:9], s[22:23]
; %bb.15:                               ;   in Loop: Header=BB160_4 Depth=1
	v_mul_f32_e32 v19, v15, v15
	v_mov_b32_e32 v20, 0x3ca908c9
	v_fmac_f32_e32 v20, 0xbbbac73d, v19
	v_fma_f32 v20, v19, v20, v11
	v_fma_f32 v20, v19, v20, v12
	v_fma_f32 v20, v19, v20, v13
	v_mul_f32_e64 v20, |v15|, v20
	v_fma_f32 v19, v19, v20, |v15|
; %bb.16:                               ;   in Loop: Header=BB160_4 Depth=1
	s_or_b64 exec, exec, s[8:9]
	v_cmp_nlt_f32_e64 s[8:9], |v17|, s28
                                        ; implicit-def: $vgpr20
	s_and_saveexec_b64 s[22:23], s[8:9]
	s_xor_b64 s[22:23], exec, s[22:23]
	s_cbranch_execz .LBB160_18
; %bb.17:                               ;   in Loop: Header=BB160_4 Depth=1
	v_add_f32_e64 v20, |v17|, |v17|
	v_mul_f32_e32 v21, 0x3fb8aa3b, v20
	v_rndne_f32_e32 v22, v21
	v_sub_f32_e32 v23, v21, v22
	v_fma_f32 v21, v20, s29, -v21
	v_fmac_f32_e32 v21, 0x32a5705f, v20
	v_add_f32_e32 v21, v23, v21
	v_cvt_i32_f32_e32 v22, v22
	v_exp_f32_e32 v21, v21
	v_cmp_ngt_f32_e64 s[8:9], s30, v20
	v_ldexp_f32 v21, v21, v22
	v_cndmask_b32_e64 v21, 0, v21, s[8:9]
	v_cmp_nlt_f32_e64 s[8:9], s31, v20
	v_cndmask_b32_e64 v20, v14, v21, s[8:9]
	v_add_f32_e32 v20, 1.0, v20
	v_rcp_f32_e32 v20, v20
	v_fma_f32 v20, v20, -2.0, 1.0
.LBB160_18:                             ;   in Loop: Header=BB160_4 Depth=1
	s_andn2_saveexec_b64 s[8:9], s[22:23]
; %bb.19:                               ;   in Loop: Header=BB160_4 Depth=1
	v_mul_f32_e32 v20, v17, v17
	v_mov_b32_e32 v21, 0x3ca908c9
	v_fmac_f32_e32 v21, 0xbbbac73d, v20
	v_fma_f32 v21, v20, v21, v11
	v_fma_f32 v21, v20, v21, v12
	;; [unrolled: 1-line block ×3, first 2 shown]
	v_mul_f32_e64 v21, |v17|, v21
	v_fma_f32 v20, v20, v21, |v17|
; %bb.20:                               ;   in Loop: Header=BB160_4 Depth=1
	s_or_b64 exec, exec, s[8:9]
	v_cmp_nlt_f32_e64 s[8:9], |v16|, s28
                                        ; implicit-def: $vgpr21
	s_and_saveexec_b64 s[22:23], s[8:9]
	s_xor_b64 s[22:23], exec, s[22:23]
	s_cbranch_execz .LBB160_22
; %bb.21:                               ;   in Loop: Header=BB160_4 Depth=1
	v_add_f32_e64 v21, |v16|, |v16|
	v_mul_f32_e32 v22, 0x3fb8aa3b, v21
	v_rndne_f32_e32 v23, v22
	v_sub_f32_e32 v24, v22, v23
	v_fma_f32 v22, v21, s29, -v22
	v_fmac_f32_e32 v22, 0x32a5705f, v21
	v_add_f32_e32 v22, v24, v22
	v_cvt_i32_f32_e32 v23, v23
	v_exp_f32_e32 v22, v22
	v_cmp_ngt_f32_e64 s[8:9], s30, v21
	v_ldexp_f32 v22, v22, v23
	v_cndmask_b32_e64 v22, 0, v22, s[8:9]
	v_cmp_nlt_f32_e64 s[8:9], s31, v21
	v_cndmask_b32_e64 v21, v14, v22, s[8:9]
	v_add_f32_e32 v21, 1.0, v21
	v_rcp_f32_e32 v21, v21
	v_fma_f32 v21, v21, -2.0, 1.0
.LBB160_22:                             ;   in Loop: Header=BB160_4 Depth=1
	s_andn2_saveexec_b64 s[8:9], s[22:23]
; %bb.23:                               ;   in Loop: Header=BB160_4 Depth=1
	v_mul_f32_e32 v21, v16, v16
	v_mov_b32_e32 v22, 0x3ca908c9
	v_fmac_f32_e32 v22, 0xbbbac73d, v21
	v_fma_f32 v22, v21, v22, v11
	v_fma_f32 v22, v21, v22, v12
	v_fma_f32 v22, v21, v22, v13
	v_mul_f32_e64 v22, |v16|, v22
	v_fma_f32 v21, v21, v22, |v16|
; %bb.24:                               ;   in Loop: Header=BB160_4 Depth=1
	s_or_b64 exec, exec, s[8:9]
	v_cmp_nlt_f32_e64 s[8:9], |v18|, s28
                                        ; implicit-def: $vgpr22
	s_and_saveexec_b64 s[22:23], s[8:9]
	s_xor_b64 s[22:23], exec, s[22:23]
	s_cbranch_execnz .LBB160_30
; %bb.25:                               ;   in Loop: Header=BB160_4 Depth=1
	s_andn2_saveexec_b64 s[8:9], s[22:23]
	s_cbranch_execnz .LBB160_31
.LBB160_26:                             ;   in Loop: Header=BB160_4 Depth=1
	s_or_b64 exec, exec, s[8:9]
	s_and_saveexec_b64 s[8:9], vcc
	s_xor_b64 s[8:9], exec, s[8:9]
	s_cbranch_execnz .LBB160_32
.LBB160_27:                             ;   in Loop: Header=BB160_4 Depth=1
	s_or_b64 exec, exec, s[8:9]
	s_and_saveexec_b64 s[8:9], s[0:1]
	s_cbranch_execnz .LBB160_33
.LBB160_28:                             ;   in Loop: Header=BB160_4 Depth=1
	s_or_b64 exec, exec, s[8:9]
	s_and_saveexec_b64 s[0:1], s[2:3]
	s_cbranch_execnz .LBB160_34
.LBB160_29:                             ;   in Loop: Header=BB160_4 Depth=1
	s_or_b64 exec, exec, s[0:1]
	s_and_saveexec_b64 s[0:1], s[6:7]
	s_cbranch_execz .LBB160_3
	s_branch .LBB160_35
.LBB160_30:                             ;   in Loop: Header=BB160_4 Depth=1
	v_add_f32_e64 v22, |v18|, |v18|
	v_mul_f32_e32 v23, 0x3fb8aa3b, v22
	v_rndne_f32_e32 v24, v23
	v_sub_f32_e32 v25, v23, v24
	v_fma_f32 v23, v22, s29, -v23
	v_fmac_f32_e32 v23, 0x32a5705f, v22
	v_add_f32_e32 v23, v25, v23
	v_cvt_i32_f32_e32 v24, v24
	v_exp_f32_e32 v23, v23
	v_cmp_ngt_f32_e64 s[8:9], s30, v22
	v_ldexp_f32 v23, v23, v24
	v_cndmask_b32_e64 v23, 0, v23, s[8:9]
	v_cmp_nlt_f32_e64 s[8:9], s31, v22
	v_cndmask_b32_e64 v22, v14, v23, s[8:9]
	v_add_f32_e32 v22, 1.0, v22
	v_rcp_f32_e32 v22, v22
	v_fma_f32 v22, v22, -2.0, 1.0
	s_andn2_saveexec_b64 s[8:9], s[22:23]
	s_cbranch_execz .LBB160_26
.LBB160_31:                             ;   in Loop: Header=BB160_4 Depth=1
	v_mul_f32_e32 v22, v18, v18
	v_mov_b32_e32 v23, 0x3ca908c9
	v_fmac_f32_e32 v23, 0xbbbac73d, v22
	v_fma_f32 v23, v22, v23, v11
	v_fma_f32 v23, v22, v23, v12
	;; [unrolled: 1-line block ×3, first 2 shown]
	v_mul_f32_e64 v23, |v18|, v23
	v_fma_f32 v22, v22, v23, |v18|
	s_or_b64 exec, exec, s[8:9]
	s_and_saveexec_b64 s[8:9], vcc
	s_xor_b64 s[8:9], exec, s[8:9]
	s_cbranch_execz .LBB160_27
.LBB160_32:                             ;   in Loop: Header=BB160_4 Depth=1
	v_bfi_b32 v15, s33, v19, v15
	global_store_dword v[1:2], v15, off
	s_or_b64 exec, exec, s[8:9]
	s_and_saveexec_b64 s[8:9], s[0:1]
	s_cbranch_execz .LBB160_28
.LBB160_33:                             ;   in Loop: Header=BB160_4 Depth=1
	v_bfi_b32 v15, s33, v20, v17
	global_store_dword v[3:4], v15, off
	s_or_b64 exec, exec, s[8:9]
	s_and_saveexec_b64 s[0:1], s[2:3]
	s_cbranch_execz .LBB160_29
.LBB160_34:                             ;   in Loop: Header=BB160_4 Depth=1
	v_add_co_u32_e32 v15, vcc, s27, v1
	v_bfi_b32 v17, s33, v21, v16
	v_addc_co_u32_e32 v16, vcc, 0, v2, vcc
	global_store_dword v[15:16], v17, off
	s_or_b64 exec, exec, s[0:1]
	s_and_saveexec_b64 s[0:1], s[6:7]
	s_cbranch_execz .LBB160_3
.LBB160_35:                             ;   in Loop: Header=BB160_4 Depth=1
	v_add_co_u32_e32 v15, vcc, s26, v1
	v_bfi_b32 v17, s33, v22, v18
	v_addc_co_u32_e32 v16, vcc, 0, v2, vcc
	global_store_dword v[15:16], v17, off
	s_branch .LBB160_3
.LBB160_36:
	s_cbranch_execz .LBB160_38
	s_branch .LBB160_57
.LBB160_37:
.LBB160_38:
	v_mov_b32_e32 v1, 0x10000
	v_mov_b32_e32 v2, 0
	v_cmp_lt_i64_e32 vcc, s[14:15], v[1:2]
	v_mov_b32_e32 v2, 0
	s_and_b64 s[0:1], vcc, exec
	s_cselect_b32 s1, s15, 0
	s_cselect_b32 s0, s14, 0x10000
	v_lshlrev_b32_e32 v1, 2, v0
	v_cmp_gt_i64_e32 vcc, s[0:1], v[1:2]
	s_and_saveexec_b64 s[2:3], vcc
	s_cbranch_execz .LBB160_57
; %bb.39:
	s_load_dword s2, s[4:5], 0xd3c
	v_mov_b32_e32 v1, v2
	v_lshlrev_b32_e32 v2, 4, v0
	s_mov_b32 s8, 0x3f200000
	s_mov_b32 s9, 0x3fb8aa3b
	s_waitcnt lgkmcnt(0)
	s_and_b32 s6, s2, 0xffff
	s_add_u32 s2, s10, s12
	s_addc_u32 s3, s11, s13
	v_mov_b32_e32 v3, s3
	v_add_co_u32_e32 v2, vcc, s2, v2
	v_addc_co_u32_e32 v3, vcc, 0, v3, vcc
	v_add_co_u32_e32 v6, vcc, 8, v2
	v_addc_co_u32_e32 v7, vcc, 0, v3, vcc
	s_lshl_b32 s7, s6, 4
	s_mov_b64 s[2:3], 0
	s_mov_b32 s10, 0xc2ce8ed0
	s_mov_b32 s11, 0x42b17218
	v_mov_b32_e32 v8, 0xbd5c1c4e
	v_mov_b32_e32 v9, 0x3e088382
	;; [unrolled: 1-line block ×3, first 2 shown]
	s_brev_b32 s12, -2
	v_mov_b32_e32 v11, 0x7f800000
	s_branch .LBB160_41
.LBB160_40:                             ;   in Loop: Header=BB160_41 Depth=1
	s_or_b64 exec, exec, s[4:5]
	v_add_co_u32_e32 v0, vcc, s6, v0
	v_addc_co_u32_e32 v1, vcc, 0, v1, vcc
	v_bfi_b32 v3, s12, v13, v3
	v_bfi_b32 v2, s12, v12, v2
	v_lshlrev_b64 v[12:13], 2, v[0:1]
	v_bfi_b32 v4, s12, v14, v4
	v_cmp_le_i64_e32 vcc, s[0:1], v[12:13]
	v_bfi_b32 v5, s12, v15, v5
	global_store_dwordx4 v[6:7], v[2:5], off offset:-8
	s_or_b64 s[2:3], vcc, s[2:3]
	v_add_co_u32_e32 v6, vcc, s7, v6
	v_addc_co_u32_e32 v7, vcc, 0, v7, vcc
	s_andn2_b64 exec, exec, s[2:3]
	s_cbranch_execz .LBB160_57
.LBB160_41:                             ; =>This Inner Loop Header: Depth=1
	global_load_dwordx4 v[2:5], v[6:7], off offset:-8
                                        ; implicit-def: $vgpr12
	s_waitcnt vmcnt(0)
	v_cmp_nlt_f32_e64 s[4:5], |v2|, s8
	s_and_saveexec_b64 s[14:15], s[4:5]
	s_xor_b64 s[4:5], exec, s[14:15]
	s_cbranch_execz .LBB160_43
; %bb.42:                               ;   in Loop: Header=BB160_41 Depth=1
	v_add_f32_e64 v12, |v2|, |v2|
	v_mul_f32_e32 v13, 0x3fb8aa3b, v12
	v_rndne_f32_e32 v14, v13
	v_sub_f32_e32 v15, v13, v14
	v_fma_f32 v13, v12, s9, -v13
	v_fmac_f32_e32 v13, 0x32a5705f, v12
	v_add_f32_e32 v13, v15, v13
	v_cvt_i32_f32_e32 v14, v14
	v_exp_f32_e32 v13, v13
	v_cmp_ngt_f32_e32 vcc, s10, v12
	v_ldexp_f32 v13, v13, v14
	v_cndmask_b32_e32 v13, 0, v13, vcc
	v_cmp_nlt_f32_e32 vcc, s11, v12
	v_cndmask_b32_e32 v12, v11, v13, vcc
	v_add_f32_e32 v12, 1.0, v12
	v_rcp_f32_e32 v12, v12
	v_fma_f32 v12, v12, -2.0, 1.0
.LBB160_43:                             ;   in Loop: Header=BB160_41 Depth=1
	s_andn2_saveexec_b64 s[4:5], s[4:5]
; %bb.44:                               ;   in Loop: Header=BB160_41 Depth=1
	v_mul_f32_e32 v12, v2, v2
	v_mov_b32_e32 v13, 0x3ca908c9
	v_fmac_f32_e32 v13, 0xbbbac73d, v12
	v_fma_f32 v13, v12, v13, v8
	v_fma_f32 v13, v12, v13, v9
	;; [unrolled: 1-line block ×3, first 2 shown]
	v_mul_f32_e64 v13, |v2|, v13
	v_fma_f32 v12, v12, v13, |v2|
; %bb.45:                               ;   in Loop: Header=BB160_41 Depth=1
	s_or_b64 exec, exec, s[4:5]
	v_cmp_nlt_f32_e64 s[4:5], |v3|, s8
                                        ; implicit-def: $vgpr13
	s_and_saveexec_b64 s[14:15], s[4:5]
	s_xor_b64 s[4:5], exec, s[14:15]
	s_cbranch_execz .LBB160_47
; %bb.46:                               ;   in Loop: Header=BB160_41 Depth=1
	v_add_f32_e64 v13, |v3|, |v3|
	v_mul_f32_e32 v14, 0x3fb8aa3b, v13
	v_rndne_f32_e32 v15, v14
	v_sub_f32_e32 v16, v14, v15
	v_fma_f32 v14, v13, s9, -v14
	v_fmac_f32_e32 v14, 0x32a5705f, v13
	v_add_f32_e32 v14, v16, v14
	v_cvt_i32_f32_e32 v15, v15
	v_exp_f32_e32 v14, v14
	v_cmp_ngt_f32_e32 vcc, s10, v13
	v_ldexp_f32 v14, v14, v15
	v_cndmask_b32_e32 v14, 0, v14, vcc
	v_cmp_nlt_f32_e32 vcc, s11, v13
	v_cndmask_b32_e32 v13, v11, v14, vcc
	v_add_f32_e32 v13, 1.0, v13
	v_rcp_f32_e32 v13, v13
	v_fma_f32 v13, v13, -2.0, 1.0
.LBB160_47:                             ;   in Loop: Header=BB160_41 Depth=1
	s_andn2_saveexec_b64 s[4:5], s[4:5]
; %bb.48:                               ;   in Loop: Header=BB160_41 Depth=1
	v_mul_f32_e32 v13, v3, v3
	v_mov_b32_e32 v14, 0x3ca908c9
	v_fmac_f32_e32 v14, 0xbbbac73d, v13
	v_fma_f32 v14, v13, v14, v8
	v_fma_f32 v14, v13, v14, v9
	;; [unrolled: 1-line block ×3, first 2 shown]
	v_mul_f32_e64 v14, |v3|, v14
	v_fma_f32 v13, v13, v14, |v3|
; %bb.49:                               ;   in Loop: Header=BB160_41 Depth=1
	s_or_b64 exec, exec, s[4:5]
	v_cmp_nlt_f32_e64 s[4:5], |v4|, s8
                                        ; implicit-def: $vgpr14
	s_and_saveexec_b64 s[14:15], s[4:5]
	s_xor_b64 s[4:5], exec, s[14:15]
	s_cbranch_execz .LBB160_51
; %bb.50:                               ;   in Loop: Header=BB160_41 Depth=1
	v_add_f32_e64 v14, |v4|, |v4|
	v_mul_f32_e32 v15, 0x3fb8aa3b, v14
	v_rndne_f32_e32 v16, v15
	v_sub_f32_e32 v17, v15, v16
	v_fma_f32 v15, v14, s9, -v15
	v_fmac_f32_e32 v15, 0x32a5705f, v14
	v_add_f32_e32 v15, v17, v15
	v_cvt_i32_f32_e32 v16, v16
	v_exp_f32_e32 v15, v15
	v_cmp_ngt_f32_e32 vcc, s10, v14
	v_ldexp_f32 v15, v15, v16
	v_cndmask_b32_e32 v15, 0, v15, vcc
	v_cmp_nlt_f32_e32 vcc, s11, v14
	v_cndmask_b32_e32 v14, v11, v15, vcc
	v_add_f32_e32 v14, 1.0, v14
	v_rcp_f32_e32 v14, v14
	v_fma_f32 v14, v14, -2.0, 1.0
.LBB160_51:                             ;   in Loop: Header=BB160_41 Depth=1
	s_andn2_saveexec_b64 s[4:5], s[4:5]
; %bb.52:                               ;   in Loop: Header=BB160_41 Depth=1
	v_mul_f32_e32 v14, v4, v4
	v_mov_b32_e32 v15, 0x3ca908c9
	v_fmac_f32_e32 v15, 0xbbbac73d, v14
	v_fma_f32 v15, v14, v15, v8
	v_fma_f32 v15, v14, v15, v9
	;; [unrolled: 1-line block ×3, first 2 shown]
	v_mul_f32_e64 v15, |v4|, v15
	v_fma_f32 v14, v14, v15, |v4|
; %bb.53:                               ;   in Loop: Header=BB160_41 Depth=1
	s_or_b64 exec, exec, s[4:5]
	v_cmp_nlt_f32_e64 s[4:5], |v5|, s8
                                        ; implicit-def: $vgpr15
	s_and_saveexec_b64 s[14:15], s[4:5]
	s_xor_b64 s[4:5], exec, s[14:15]
	s_cbranch_execz .LBB160_55
; %bb.54:                               ;   in Loop: Header=BB160_41 Depth=1
	v_add_f32_e64 v15, |v5|, |v5|
	v_mul_f32_e32 v16, 0x3fb8aa3b, v15
	v_rndne_f32_e32 v17, v16
	v_sub_f32_e32 v18, v16, v17
	v_fma_f32 v16, v15, s9, -v16
	v_fmac_f32_e32 v16, 0x32a5705f, v15
	v_add_f32_e32 v16, v18, v16
	v_cvt_i32_f32_e32 v17, v17
	v_exp_f32_e32 v16, v16
	v_cmp_ngt_f32_e32 vcc, s10, v15
	v_ldexp_f32 v16, v16, v17
	v_cndmask_b32_e32 v16, 0, v16, vcc
	v_cmp_nlt_f32_e32 vcc, s11, v15
	v_cndmask_b32_e32 v15, v11, v16, vcc
	v_add_f32_e32 v15, 1.0, v15
	v_rcp_f32_e32 v15, v15
	v_fma_f32 v15, v15, -2.0, 1.0
.LBB160_55:                             ;   in Loop: Header=BB160_41 Depth=1
	s_andn2_saveexec_b64 s[4:5], s[4:5]
	s_cbranch_execz .LBB160_40
; %bb.56:                               ;   in Loop: Header=BB160_41 Depth=1
	v_mul_f32_e32 v15, v5, v5
	v_mov_b32_e32 v16, 0x3ca908c9
	v_fmac_f32_e32 v16, 0xbbbac73d, v15
	v_fma_f32 v16, v15, v16, v8
	v_fma_f32 v16, v15, v16, v9
	;; [unrolled: 1-line block ×3, first 2 shown]
	v_mul_f32_e64 v16, |v5|, v16
	v_fma_f32 v15, v15, v16, |v5|
	s_branch .LBB160_40
.LBB160_57:
	s_endpgm
	.section	.rodata,"a",@progbits
	.p2align	6, 0x0
	.amdhsa_kernel _ZN2at6native12_GLOBAL__N_125multi_tensor_apply_kernelINS1_18TensorListMetadataILi1EEENS1_14UnaryOpFunctorIfLi1ELi1ELi0EEEJNS0_4TanhIfEEEEEvT_T0_DpT1_
		.amdhsa_group_segment_fixed_size 0
		.amdhsa_private_segment_fixed_size 0
		.amdhsa_kernarg_size 3632
		.amdhsa_user_sgpr_count 6
		.amdhsa_user_sgpr_private_segment_buffer 1
		.amdhsa_user_sgpr_dispatch_ptr 0
		.amdhsa_user_sgpr_queue_ptr 0
		.amdhsa_user_sgpr_kernarg_segment_ptr 1
		.amdhsa_user_sgpr_dispatch_id 0
		.amdhsa_user_sgpr_flat_scratch_init 0
		.amdhsa_user_sgpr_private_segment_size 0
		.amdhsa_uses_dynamic_stack 0
		.amdhsa_system_sgpr_private_segment_wavefront_offset 0
		.amdhsa_system_sgpr_workgroup_id_x 1
		.amdhsa_system_sgpr_workgroup_id_y 0
		.amdhsa_system_sgpr_workgroup_id_z 0
		.amdhsa_system_sgpr_workgroup_info 0
		.amdhsa_system_vgpr_workitem_id 0
		.amdhsa_next_free_vgpr 26
		.amdhsa_next_free_sgpr 34
		.amdhsa_reserve_vcc 1
		.amdhsa_reserve_flat_scratch 0
		.amdhsa_float_round_mode_32 0
		.amdhsa_float_round_mode_16_64 0
		.amdhsa_float_denorm_mode_32 3
		.amdhsa_float_denorm_mode_16_64 3
		.amdhsa_dx10_clamp 1
		.amdhsa_ieee_mode 1
		.amdhsa_fp16_overflow 0
		.amdhsa_exception_fp_ieee_invalid_op 0
		.amdhsa_exception_fp_denorm_src 0
		.amdhsa_exception_fp_ieee_div_zero 0
		.amdhsa_exception_fp_ieee_overflow 0
		.amdhsa_exception_fp_ieee_underflow 0
		.amdhsa_exception_fp_ieee_inexact 0
		.amdhsa_exception_int_div_zero 0
	.end_amdhsa_kernel
	.section	.text._ZN2at6native12_GLOBAL__N_125multi_tensor_apply_kernelINS1_18TensorListMetadataILi1EEENS1_14UnaryOpFunctorIfLi1ELi1ELi0EEEJNS0_4TanhIfEEEEEvT_T0_DpT1_,"axG",@progbits,_ZN2at6native12_GLOBAL__N_125multi_tensor_apply_kernelINS1_18TensorListMetadataILi1EEENS1_14UnaryOpFunctorIfLi1ELi1ELi0EEEJNS0_4TanhIfEEEEEvT_T0_DpT1_,comdat
.Lfunc_end160:
	.size	_ZN2at6native12_GLOBAL__N_125multi_tensor_apply_kernelINS1_18TensorListMetadataILi1EEENS1_14UnaryOpFunctorIfLi1ELi1ELi0EEEJNS0_4TanhIfEEEEEvT_T0_DpT1_, .Lfunc_end160-_ZN2at6native12_GLOBAL__N_125multi_tensor_apply_kernelINS1_18TensorListMetadataILi1EEENS1_14UnaryOpFunctorIfLi1ELi1ELi0EEEJNS0_4TanhIfEEEEEvT_T0_DpT1_
                                        ; -- End function
	.set _ZN2at6native12_GLOBAL__N_125multi_tensor_apply_kernelINS1_18TensorListMetadataILi1EEENS1_14UnaryOpFunctorIfLi1ELi1ELi0EEEJNS0_4TanhIfEEEEEvT_T0_DpT1_.num_vgpr, 26
	.set _ZN2at6native12_GLOBAL__N_125multi_tensor_apply_kernelINS1_18TensorListMetadataILi1EEENS1_14UnaryOpFunctorIfLi1ELi1ELi0EEEJNS0_4TanhIfEEEEEvT_T0_DpT1_.num_agpr, 0
	.set _ZN2at6native12_GLOBAL__N_125multi_tensor_apply_kernelINS1_18TensorListMetadataILi1EEENS1_14UnaryOpFunctorIfLi1ELi1ELi0EEEJNS0_4TanhIfEEEEEvT_T0_DpT1_.numbered_sgpr, 34
	.set _ZN2at6native12_GLOBAL__N_125multi_tensor_apply_kernelINS1_18TensorListMetadataILi1EEENS1_14UnaryOpFunctorIfLi1ELi1ELi0EEEJNS0_4TanhIfEEEEEvT_T0_DpT1_.num_named_barrier, 0
	.set _ZN2at6native12_GLOBAL__N_125multi_tensor_apply_kernelINS1_18TensorListMetadataILi1EEENS1_14UnaryOpFunctorIfLi1ELi1ELi0EEEJNS0_4TanhIfEEEEEvT_T0_DpT1_.private_seg_size, 0
	.set _ZN2at6native12_GLOBAL__N_125multi_tensor_apply_kernelINS1_18TensorListMetadataILi1EEENS1_14UnaryOpFunctorIfLi1ELi1ELi0EEEJNS0_4TanhIfEEEEEvT_T0_DpT1_.uses_vcc, 1
	.set _ZN2at6native12_GLOBAL__N_125multi_tensor_apply_kernelINS1_18TensorListMetadataILi1EEENS1_14UnaryOpFunctorIfLi1ELi1ELi0EEEJNS0_4TanhIfEEEEEvT_T0_DpT1_.uses_flat_scratch, 0
	.set _ZN2at6native12_GLOBAL__N_125multi_tensor_apply_kernelINS1_18TensorListMetadataILi1EEENS1_14UnaryOpFunctorIfLi1ELi1ELi0EEEJNS0_4TanhIfEEEEEvT_T0_DpT1_.has_dyn_sized_stack, 0
	.set _ZN2at6native12_GLOBAL__N_125multi_tensor_apply_kernelINS1_18TensorListMetadataILi1EEENS1_14UnaryOpFunctorIfLi1ELi1ELi0EEEJNS0_4TanhIfEEEEEvT_T0_DpT1_.has_recursion, 0
	.set _ZN2at6native12_GLOBAL__N_125multi_tensor_apply_kernelINS1_18TensorListMetadataILi1EEENS1_14UnaryOpFunctorIfLi1ELi1ELi0EEEJNS0_4TanhIfEEEEEvT_T0_DpT1_.has_indirect_call, 0
	.section	.AMDGPU.csdata,"",@progbits
; Kernel info:
; codeLenInByte = 2676
; TotalNumSgprs: 38
; NumVgprs: 26
; ScratchSize: 0
; MemoryBound: 0
; FloatMode: 240
; IeeeMode: 1
; LDSByteSize: 0 bytes/workgroup (compile time only)
; SGPRBlocks: 4
; VGPRBlocks: 6
; NumSGPRsForWavesPerEU: 38
; NumVGPRsForWavesPerEU: 26
; Occupancy: 9
; WaveLimiterHint : 0
; COMPUTE_PGM_RSRC2:SCRATCH_EN: 0
; COMPUTE_PGM_RSRC2:USER_SGPR: 6
; COMPUTE_PGM_RSRC2:TRAP_HANDLER: 0
; COMPUTE_PGM_RSRC2:TGID_X_EN: 1
; COMPUTE_PGM_RSRC2:TGID_Y_EN: 0
; COMPUTE_PGM_RSRC2:TGID_Z_EN: 0
; COMPUTE_PGM_RSRC2:TIDIG_COMP_CNT: 0
	.section	.text._ZN2at6native12_GLOBAL__N_125multi_tensor_apply_kernelINS1_18TensorListMetadataILi1EEENS1_14UnaryOpFunctorIN3c107complexIdEELi1ELi1ELi0EEEJNS0_4TanhIS8_EEEEEvT_T0_DpT1_,"axG",@progbits,_ZN2at6native12_GLOBAL__N_125multi_tensor_apply_kernelINS1_18TensorListMetadataILi1EEENS1_14UnaryOpFunctorIN3c107complexIdEELi1ELi1ELi0EEEJNS0_4TanhIS8_EEEEEvT_T0_DpT1_,comdat
	.globl	_ZN2at6native12_GLOBAL__N_125multi_tensor_apply_kernelINS1_18TensorListMetadataILi1EEENS1_14UnaryOpFunctorIN3c107complexIdEELi1ELi1ELi0EEEJNS0_4TanhIS8_EEEEEvT_T0_DpT1_ ; -- Begin function _ZN2at6native12_GLOBAL__N_125multi_tensor_apply_kernelINS1_18TensorListMetadataILi1EEENS1_14UnaryOpFunctorIN3c107complexIdEELi1ELi1ELi0EEEJNS0_4TanhIS8_EEEEEvT_T0_DpT1_
	.p2align	8
	.type	_ZN2at6native12_GLOBAL__N_125multi_tensor_apply_kernelINS1_18TensorListMetadataILi1EEENS1_14UnaryOpFunctorIN3c107complexIdEELi1ELi1ELi0EEEJNS0_4TanhIS8_EEEEEvT_T0_DpT1_,@function
_ZN2at6native12_GLOBAL__N_125multi_tensor_apply_kernelINS1_18TensorListMetadataILi1EEENS1_14UnaryOpFunctorIN3c107complexIdEELi1ELi1ELi0EEEJNS0_4TanhIS8_EEEEEvT_T0_DpT1_: ; @_ZN2at6native12_GLOBAL__N_125multi_tensor_apply_kernelINS1_18TensorListMetadataILi1EEENS1_14UnaryOpFunctorIN3c107complexIdEELi1ELi1ELi0EEEJNS0_4TanhIS8_EEEEEvT_T0_DpT1_
; %bb.0:
	v_mov_b32_e32 v1, s6
	global_load_ubyte v1, v1, s[4:5] offset:1760
	s_add_u32 s0, s4, s6
	s_mul_hi_u32 s1, s6, 3
	s_mul_i32 s6, s6, 3
	s_addc_u32 s2, s5, 0
	s_add_u32 s0, s0, s6
	s_addc_u32 s1, s2, s1
	s_load_dword s0, s[0:1], 0x820
                                        ; implicit-def: $vgpr81 : SGPR spill to VGPR lane
	s_mov_b32 s7, 0
	s_waitcnt vmcnt(0)
	v_readfirstlane_b32 s1, v1
	s_lshl_b32 s1, s1, 3
	s_load_dwordx2 s[8:9], s[4:5], s1 offset:0x0
	s_load_dwordx2 s[2:3], s[4:5], s1 offset:0x370
	s_waitcnt lgkmcnt(0)
	s_ashr_i32 s1, s0, 31
	s_lshl_b64 s[10:11], s[0:1], 20
	s_add_u32 s33, s8, s10
	v_writelane_b32 v81, s8, 0
	v_writelane_b32 v81, s9, 1
	v_writelane_b32 v81, s10, 2
	s_addc_u32 s72, s9, s11
	s_lshl_b64 s[0:1], s[0:1], 16
	s_and_b32 s6, s33, 63
	s_sub_u32 s16, s2, s0
	s_subb_u32 s17, s3, s1
	s_and_b32 s0, s2, 3
	s_mov_b32 s1, s7
	s_or_b64 s[0:1], s[6:7], s[0:1]
	s_cmp_eq_u64 s[0:1], 0
	v_writelane_b32 v81, s11, 3
	s_cbranch_scc1 .LBB161_173
; %bb.1:
	v_cmp_lt_i64_e64 s[0:1], s[16:17], 1
	s_and_b64 vcc, exec, s[0:1]
	s_cbranch_vccnz .LBB161_172
; %bb.2:
	v_mov_b32_e32 v1, 0x10000
	s_load_dword s2, s[4:5], 0xd3c
	v_mov_b32_e32 v2, 0
	v_cmp_lt_i64_e32 vcc, s[16:17], v[1:2]
	v_mov_b32_e32 v17, 0
	s_and_b64 s[0:1], vcc, exec
	v_cmp_lt_u64_e32 vcc, s[16:17], v[1:2]
	s_cselect_b32 s19, s17, 0
	s_cselect_b32 s18, s16, 0x10000
	s_waitcnt lgkmcnt(0)
	s_and_b32 s2, s2, 0xffff
	s_and_b64 s[0:1], vcc, exec
	s_mul_i32 s6, s2, 3
	v_add_co_u32_e32 v42, vcc, s2, v0
	v_lshlrev_b32_e32 v19, 4, v0
	v_mov_b32_e32 v20, v17
	v_addc_co_u32_e64 v43, s[0:1], 0, 0, vcc
	v_add_co_u32_e32 v44, vcc, s6, v0
	v_mad_u64_u32 v[20:21], s[0:1], s2, 48, v[19:20]
	v_addc_co_u32_e64 v45, s[0:1], 0, 0, vcc
	s_cselect_b32 s21, s17, 0
	s_cselect_b32 s20, s16, 0x10000
	s_lshl_b32 s0, s2, 5
	s_lshl_b32 s3, s2, 1
	v_add_co_u32_e32 v1, vcc, s0, v19
	v_addc_co_u32_e64 v47, s[0:1], 0, 0, vcc
	v_add_co_u32_e32 v49, vcc, s3, v0
	s_mov_b32 s50, 0x54442d18
	s_mov_b32 s24, 0x6dc9c883
	;; [unrolled: 1-line block ×20, first 2 shown]
	s_lshl_b32 s73, s2, 2
	s_lshl_b32 s74, s2, 6
	v_or_b32_e32 v20, 8, v20
	v_lshlrev_b32_e32 v46, 4, v42
	v_or_b32_e32 v48, 8, v1
	v_addc_co_u32_e64 v50, s[0:1], 0, 0, vcc
	s_mov_b32 s51, 0xbff921fb
	s_mov_b32 s25, 0x3fe45f30
	;; [unrolled: 1-line block ×5, first 2 shown]
	v_mov_b32_e32 v51, 0x260
	s_mov_b32 s83, 0x3e21eeb6
	s_mov_b32 s85, 0xbda907db
	;; [unrolled: 1-line block ×12, first 2 shown]
	v_mov_b32_e32 v52, 0x40100000
	v_mov_b32_e32 v53, 0x3ff00000
	v_mov_b32_e32 v22, 0xa9a29f71
	v_mov_b32_e32 v23, 0xbf078809
	v_mov_b32_e32 v24, 0xfca7ab0c
	v_mov_b32_e32 v25, 0x3e928af3
	v_mov_b32_e32 v54, 0x7ff00000
	v_mov_b32_e32 v55, 0x100
	v_mov_b32_e32 v56, 0xffffff80
	v_mov_b32_e32 v57, 0x7ff80000
	s_brev_b32 s75, -2
	s_mov_b32 s76, 0x7ff00000
	s_movk_i32 s77, 0x1f8
	s_movk_i32 s79, 0xff80
	s_mov_b32 s78, 0xfffff
	s_mov_b64 s[42:43], 0
	s_mov_b32 s45, 0x41d00000
	s_mov_b32 s47, 0x7b000000
	;; [unrolled: 1-line block ×12, first 2 shown]
	s_branch .LBB161_4
.LBB161_3:                              ;   in Loop: Header=BB161_4 Depth=1
	s_or_b64 exec, exec, s[0:1]
	s_add_u32 s42, s42, s73
	v_mov_b32_e32 v1, s18
	s_addc_u32 s43, s43, 0
	v_mov_b32_e32 v2, s19
	v_cmp_ge_i64_e32 vcc, s[42:43], v[1:2]
	s_add_u32 s33, s33, s74
	s_addc_u32 s72, s72, 0
	s_cbranch_vccnz .LBB161_172
.LBB161_4:                              ; =>This Inner Loop Header: Depth=1
	v_mov_b32_e32 v2, s43
	v_add_co_u32_e32 v1, vcc, s42, v0
	v_addc_co_u32_e32 v2, vcc, 0, v2, vcc
	v_cmp_gt_u64_e64 s[0:1], s[20:21], v[1:2]
	v_mov_b32_e32 v3, 0
	v_mov_b32_e32 v7, 0
	;; [unrolled: 1-line block ×6, first 2 shown]
	s_and_saveexec_b64 s[2:3], s[0:1]
	s_cbranch_execz .LBB161_6
; %bb.5:                                ;   in Loop: Header=BB161_4 Depth=1
	v_mov_b32_e32 v2, s72
	v_add_co_u32_e32 v1, vcc, s33, v19
	v_addc_co_u32_e32 v2, vcc, 0, v2, vcc
	global_load_dwordx4 v[5:8], v[1:2], off
.LBB161_6:                              ;   in Loop: Header=BB161_4 Depth=1
	s_or_b64 exec, exec, s[2:3]
	v_mov_b32_e32 v2, s43
	v_add_co_u32_e32 v1, vcc, s42, v42
	v_addc_co_u32_e32 v2, vcc, v43, v2, vcc
	v_cmp_gt_u64_e64 s[2:3], s[20:21], v[1:2]
	v_mov_b32_e32 v1, 0
	v_mov_b32_e32 v2, 0
	s_and_saveexec_b64 s[6:7], s[2:3]
	s_cbranch_execz .LBB161_8
; %bb.7:                                ;   in Loop: Header=BB161_4 Depth=1
	v_mov_b32_e32 v2, s72
	v_add_co_u32_e32 v1, vcc, s33, v46
	v_addc_co_u32_e32 v2, vcc, 0, v2, vcc
	global_load_dwordx4 v[1:4], v[1:2], off
.LBB161_8:                              ;   in Loop: Header=BB161_4 Depth=1
	s_or_b64 exec, exec, s[6:7]
	v_mov_b32_e32 v10, s43
	v_add_co_u32_e32 v9, vcc, s42, v49
	v_addc_co_u32_e32 v10, vcc, v50, v10, vcc
	v_cmp_gt_u64_e64 s[6:7], s[20:21], v[9:10]
	v_mov_b32_e32 v11, 0
	v_mov_b32_e32 v15, 0
	;; [unrolled: 1-line block ×6, first 2 shown]
	s_and_saveexec_b64 s[8:9], s[6:7]
	s_cbranch_execz .LBB161_10
; %bb.9:                                ;   in Loop: Header=BB161_4 Depth=1
	v_mov_b32_e32 v10, s72
	v_add_co_u32_e32 v9, vcc, s33, v48
	v_addc_co_u32_e32 v10, vcc, v10, v47, vcc
	global_load_dwordx4 v[13:16], v[9:10], off offset:-8
.LBB161_10:                             ;   in Loop: Header=BB161_4 Depth=1
	s_or_b64 exec, exec, s[8:9]
	v_mov_b32_e32 v10, s43
	v_add_co_u32_e32 v9, vcc, s42, v44
	v_addc_co_u32_e32 v10, vcc, v45, v10, vcc
	v_cmp_gt_u64_e64 s[8:9], s[20:21], v[9:10]
	v_mov_b32_e32 v9, 0
	v_mov_b32_e32 v10, 0
	s_and_saveexec_b64 s[10:11], s[8:9]
	s_cbranch_execz .LBB161_12
; %bb.11:                               ;   in Loop: Header=BB161_4 Depth=1
	v_mov_b32_e32 v10, s72
	v_add_co_u32_e32 v9, vcc, s33, v20
	v_addc_co_u32_e32 v10, vcc, v10, v21, vcc
	global_load_dwordx4 v[9:12], v[9:10], off offset:-8
.LBB161_12:                             ;   in Loop: Header=BB161_4 Depth=1
	s_or_b64 exec, exec, s[10:11]
	s_waitcnt vmcnt(0)
	v_and_b32_e32 v30, 0x7fffffff, v6
	v_cmp_gt_u32_e32 vcc, s76, v30
	s_and_saveexec_b64 s[10:11], vcc
	s_xor_b64 s[60:61], exec, s[10:11]
	s_cbranch_execz .LBB161_34
; %bb.13:                               ;   in Loop: Header=BB161_4 Depth=1
	v_cmp_class_f64_e64 s[10:11], v[7:8], s77
	s_and_saveexec_b64 s[66:67], s[10:11]
	s_xor_b64 s[66:67], exec, s[66:67]
	s_cbranch_execz .LBB161_31
; %bb.14:                               ;   in Loop: Header=BB161_4 Depth=1
	s_mov_b32 s10, 0x40360000
	v_cmp_gt_u32_e32 vcc, s10, v30
	s_and_saveexec_b64 s[10:11], vcc
	s_xor_b64 s[68:69], exec, s[10:11]
	s_cbranch_execz .LBB161_20
; %bb.15:                               ;   in Loop: Header=BB161_4 Depth=1
	v_cmp_nlt_f64_e64 s[10:11], |v[7:8]|, s[44:45]
                                        ; implicit-def: $vgpr18
                                        ; implicit-def: $vgpr26_vgpr27
                                        ; implicit-def: $vgpr28_vgpr29
	s_and_saveexec_b64 s[70:71], s[10:11]
	s_xor_b64 s[10:11], exec, s[70:71]
	s_cbranch_execz .LBB161_17
; %bb.16:                               ;   in Loop: Header=BB161_4 Depth=1
	v_trig_preop_f64 v[26:27], |v[7:8]|, 0
	v_ldexp_f64 v[28:29], |v[7:8]|, s79
	v_cmp_ge_f64_e64 vcc, |v[7:8]|, s[46:47]
	v_trig_preop_f64 v[31:32], |v[7:8]|, 1
	v_and_b32_e32 v18, 0x7fffffff, v8
	v_trig_preop_f64 v[39:40], |v[7:8]|, 2
	s_mov_b32 s22, s50
	s_mov_b32 s55, s27
	v_cndmask_b32_e32 v29, v18, v29, vcc
	v_cndmask_b32_e32 v28, v7, v28, vcc
	v_mul_f64 v[33:34], v[26:27], v[28:29]
	v_mul_f64 v[35:36], v[31:32], v[28:29]
	v_mul_f64 v[62:63], v[39:40], v[28:29]
	v_fma_f64 v[26:27], v[26:27], v[28:29], -v[33:34]
	v_fma_f64 v[31:32], v[31:32], v[28:29], -v[35:36]
	;; [unrolled: 1-line block ×3, first 2 shown]
	v_add_f64 v[37:38], v[35:36], v[26:27]
	v_add_f64 v[58:59], v[37:38], -v[35:36]
	v_add_f64 v[64:65], v[33:34], v[37:38]
	v_add_f64 v[60:61], v[37:38], -v[58:59]
	v_add_f64 v[26:27], v[26:27], -v[58:59]
	v_add_f64 v[58:59], v[62:63], v[31:32]
	v_add_f64 v[33:34], v[64:65], -v[33:34]
	v_add_f64 v[35:36], v[35:36], -v[60:61]
	v_ldexp_f64 v[60:61], v[64:65], -2
	v_add_f64 v[66:67], v[58:59], -v[62:63]
	v_add_f64 v[33:34], v[37:38], -v[33:34]
	v_add_f64 v[26:27], v[26:27], v[35:36]
	v_fract_f64_e32 v[35:36], v[60:61]
	v_cmp_neq_f64_e64 vcc, |v[60:61]|, s[48:49]
	v_add_f64 v[31:32], v[31:32], -v[66:67]
	v_add_f64 v[37:38], v[58:59], v[26:27]
	v_ldexp_f64 v[35:36], v[35:36], 2
	v_add_f64 v[60:61], v[33:34], v[37:38]
	v_cndmask_b32_e32 v36, 0, v36, vcc
	v_cndmask_b32_e32 v35, 0, v35, vcc
	v_add_f64 v[68:69], v[37:38], -v[58:59]
	v_add_f64 v[64:65], v[60:61], v[35:36]
	v_add_f64 v[33:34], v[60:61], -v[33:34]
	v_add_f64 v[70:71], v[37:38], -v[68:69]
	;; [unrolled: 1-line block ×3, first 2 shown]
	v_cmp_gt_f64_e32 vcc, 0, v[64:65]
	v_add_f64 v[64:65], v[58:59], -v[66:67]
	v_add_f64 v[33:34], v[37:38], -v[33:34]
	;; [unrolled: 1-line block ×3, first 2 shown]
	v_cndmask_b32_e32 v18, 0, v52, vcc
	v_add_f64 v[35:36], v[35:36], v[17:18]
	v_add_f64 v[64:65], v[62:63], -v[64:65]
	v_add_f64 v[26:27], v[26:27], v[58:59]
	v_add_f64 v[72:73], v[60:61], v[35:36]
	;; [unrolled: 1-line block ×3, first 2 shown]
	v_cvt_i32_f64_e32 v41, v[72:73]
	v_add_f64 v[26:27], v[31:32], v[26:27]
	v_cvt_f64_i32_e32 v[66:67], v41
	v_add_f64 v[35:36], v[35:36], -v[66:67]
	v_add_f64 v[26:27], v[28:29], v[26:27]
	v_add_f64 v[31:32], v[60:61], v[35:36]
	;; [unrolled: 1-line block ×3, first 2 shown]
	v_add_f64 v[28:29], v[31:32], -v[35:36]
	v_cmp_le_f64_e32 vcc, 0.5, v[31:32]
	v_add_f64 v[28:29], v[60:61], -v[28:29]
	v_cndmask_b32_e32 v18, 0, v53, vcc
	v_add_f64 v[26:27], v[26:27], v[28:29]
	v_add_f64 v[28:29], v[31:32], -v[17:18]
	v_addc_co_u32_e32 v18, vcc, 0, v41, vcc
	v_add_f64 v[31:32], v[28:29], v[26:27]
	v_mul_f64 v[33:34], v[31:32], s[22:23]
	v_add_f64 v[28:29], v[31:32], -v[28:29]
	v_fma_f64 v[35:36], v[31:32], s[22:23], -v[33:34]
	v_add_f64 v[26:27], v[26:27], -v[28:29]
	v_fma_f64 v[28:29], v[31:32], s[54:55], v[35:36]
	v_fma_f64 v[28:29], v[26:27], s[22:23], v[28:29]
	v_add_f64 v[26:27], v[33:34], v[28:29]
	v_add_f64 v[31:32], v[26:27], -v[33:34]
	v_add_f64 v[28:29], v[28:29], -v[31:32]
.LBB161_17:                             ;   in Loop: Header=BB161_4 Depth=1
	s_andn2_saveexec_b64 s[10:11], s[10:11]
	s_cbranch_execz .LBB161_19
; %bb.18:                               ;   in Loop: Header=BB161_4 Depth=1
	v_mul_f64 v[26:27], |v[7:8]|, s[24:25]
	s_mov_b32 s26, s52
	v_rndne_f64_e32 v[31:32], v[26:27]
	v_fma_f64 v[26:27], v[31:32], s[50:51], |v[7:8]|
	v_mul_f64 v[28:29], v[31:32], s[52:53]
	v_cvt_i32_f64_e32 v18, v[31:32]
	v_fma_f64 v[37:38], v[31:32], s[52:53], v[26:27]
	v_add_f64 v[33:34], v[26:27], v[28:29]
	v_add_f64 v[35:36], v[26:27], -v[33:34]
	v_add_f64 v[33:34], v[33:34], -v[37:38]
	v_add_f64 v[26:27], v[35:36], v[28:29]
	v_fma_f64 v[28:29], v[31:32], s[26:27], v[28:29]
	v_add_f64 v[26:27], v[33:34], v[26:27]
	v_add_f64 v[26:27], v[26:27], -v[28:29]
	v_fma_f64 v[28:29], v[31:32], s[28:29], v[26:27]
	v_add_f64 v[26:27], v[37:38], v[28:29]
	v_add_f64 v[33:34], v[26:27], -v[37:38]
	v_add_f64 v[28:29], v[28:29], -v[33:34]
.LBB161_19:                             ;   in Loop: Header=BB161_4 Depth=1
	s_or_b64 exec, exec, s[10:11]
	v_add_f64 v[31:32], |v[5:6]|, s[64:65]
	s_mov_b32 s58, s64
	s_mov_b32 s10, 0x3b39803f
	;; [unrolled: 1-line block ×7, first 2 shown]
	v_add_f64 v[33:34], v[31:32], -|v[5:6]|
	v_and_b32_e32 v18, 1, v18
	v_add_f64 v[35:36], v[33:34], -v[31:32]
	v_add_f64 v[33:34], v[33:34], s[58:59]
	v_add_f64 v[35:36], |v[5:6]|, v[35:36]
	v_add_f64 v[33:34], v[35:36], -v[33:34]
	v_add_f64 v[33:34], v[33:34], s[10:11]
	s_mov_b32 s10, 0xf278e000
	s_mov_b32 s11, 0xbd53de6a
	v_add_f64 v[35:36], v[31:32], v[33:34]
	v_mul_f64 v[37:38], v[35:36], s[40:41]
	v_add_f64 v[31:32], v[31:32], -v[35:36]
	v_rndne_f64_e32 v[37:38], v[37:38]
	v_add_f64 v[31:32], v[33:34], v[31:32]
	v_fma_f64 v[33:34], v[37:38], s[56:57], v[35:36]
	v_mul_f64 v[35:36], v[37:38], s[10:11]
	s_mov_b32 s10, 0xf97b57a0
	s_mov_b32 s11, 0xbac9cc01
	v_cvt_i32_f64_e32 v7, v[37:38]
	v_add_f64 v[39:40], v[31:32], v[33:34]
	v_add_f64 v[58:59], v[39:40], v[35:36]
	v_add_f64 v[33:34], v[33:34], -v[39:40]
	v_add_f64 v[39:40], v[39:40], -v[58:59]
	v_add_f64 v[31:32], v[31:32], v[33:34]
	v_add_f64 v[33:34], v[39:40], v[35:36]
	;; [unrolled: 1-line block ×3, first 2 shown]
	v_mul_f64 v[33:34], v[37:38], s[10:11]
	s_mov_b32 s10, 0x6a5dcb37
	s_mov_b32 s11, 0x3e5ade15
	v_add_f64 v[35:36], v[58:59], v[31:32]
	v_add_f64 v[39:40], v[35:36], v[33:34]
	v_add_f64 v[58:59], v[58:59], -v[35:36]
	v_add_f64 v[35:36], v[35:36], -v[39:40]
	v_add_f64 v[31:32], v[31:32], v[58:59]
	v_add_f64 v[33:34], v[35:36], v[33:34]
	;; [unrolled: 1-line block ×4, first 2 shown]
	v_fma_f64 v[35:36], v[33:34], s[10:11], v[24:25]
	s_mov_b32 s10, 0x623fde64
	s_mov_b32 s11, 0x3ec71dee
	v_add_f64 v[39:40], v[39:40], -v[33:34]
	v_mul_f64 v[58:59], v[33:34], v[33:34]
	v_fma_f64 v[35:36], v[33:34], v[35:36], s[10:11]
	s_mov_b32 s10, 0x7c89e6b0
	s_mov_b32 s11, 0x3efa0199
	v_add_f64 v[31:32], v[31:32], v[39:40]
	v_fma_f64 v[39:40], v[33:34], v[33:34], -v[58:59]
	v_fma_f64 v[35:36], v[33:34], v[35:36], s[10:11]
	s_mov_b32 s10, 0x14761f6e
	s_mov_b32 s11, 0x3f2a01a0
	v_add_f64 v[60:61], v[31:32], v[31:32]
	v_fma_f64 v[35:36], v[33:34], v[35:36], s[10:11]
	s_mov_b32 s10, 0x1852b7b0
	s_mov_b32 s11, 0x3f56c16c
	v_fma_f64 v[39:40], v[33:34], v[60:61], v[39:40]
	v_fma_f64 v[35:36], v[33:34], v[35:36], s[10:11]
	s_mov_b32 s10, 0x55555511
	s_mov_b32 s11, 0x3fc55555
	v_add_f64 v[60:61], v[58:59], v[39:40]
	v_fma_f64 v[35:36], v[33:34], v[35:36], s[38:39]
	v_add_f64 v[58:59], v[60:61], -v[58:59]
	v_fma_f64 v[35:36], v[33:34], v[35:36], s[92:93]
	v_add_f64 v[39:40], v[39:40], -v[58:59]
	v_fma_f64 v[35:36], v[33:34], v[35:36], s[10:11]
	s_mov_b32 s10, 11
	s_mov_b32 s11, 0x3fe00000
	v_fma_f64 v[35:36], v[33:34], v[35:36], s[10:11]
	s_mov_b32 s10, 0xc751c08c
	s_mov_b32 s11, 0x3ef5e089
	v_mul_f64 v[62:63], v[60:61], v[35:36]
	v_fma_f64 v[58:59], v[60:61], v[35:36], -v[62:63]
	v_fma_f64 v[35:36], v[39:40], v[35:36], v[58:59]
	v_add_f64 v[39:40], v[62:63], v[35:36]
	v_add_f64 v[58:59], v[33:34], v[39:40]
	v_add_f64 v[60:61], v[39:40], -v[62:63]
	v_add_f64 v[33:34], v[58:59], -v[33:34]
	;; [unrolled: 1-line block ×3, first 2 shown]
	v_add_f64 v[60:61], v[28:29], v[28:29]
	v_add_f64 v[33:34], v[39:40], -v[33:34]
	v_add_f64 v[31:32], v[31:32], v[35:36]
	v_add_f64 v[31:32], v[31:32], v[33:34]
	;; [unrolled: 1-line block ×3, first 2 shown]
	v_add_f64 v[35:36], v[33:34], 1.0
	v_add_f64 v[39:40], v[33:34], -v[58:59]
	v_add_f64 v[58:59], v[35:36], -1.0
	v_add_f64 v[31:32], v[31:32], -v[39:40]
	v_add_f64 v[33:34], v[33:34], -v[58:59]
	v_add_f64 v[31:32], v[31:32], v[33:34]
	v_add_f64 v[33:34], v[35:36], v[31:32]
	v_ldexp_f64 v[37:38], v[33:34], v7
	v_add_f64 v[33:34], v[33:34], -v[35:36]
	v_rcp_f64_e32 v[39:40], v[37:38]
	v_add_f64 v[31:32], v[31:32], -v[33:34]
	v_ldexp_f64 v[31:32], v[31:32], v7
	v_fma_f64 v[58:59], -v[37:38], v[39:40], 1.0
	v_fma_f64 v[39:40], v[58:59], v[39:40], v[39:40]
	v_fma_f64 v[58:59], -v[37:38], v[39:40], 1.0
	v_fma_f64 v[35:36], v[58:59], v[39:40], v[39:40]
	v_mul_f64 v[39:40], v[26:27], v[26:27]
	v_mul_f64 v[33:34], v[37:38], v[35:36]
	v_fma_f64 v[62:63], v[26:27], v[26:27], -v[39:40]
	v_fma_f64 v[58:59], v[35:36], v[37:38], -v[33:34]
	v_fma_f64 v[60:61], v[26:27], v[60:61], v[62:63]
	v_fma_f64 v[58:59], v[35:36], v[31:32], v[58:59]
	v_add_f64 v[39:40], v[39:40], v[60:61]
	v_add_f64 v[62:63], v[33:34], v[58:59]
	v_fma_f64 v[64:65], v[39:40], s[10:11], v[22:23]
	s_mov_b32 s10, 0x90a8aae0
	s_mov_b32 s11, 0x3f17746f
	v_add_f64 v[60:61], -v[62:63], 1.0
	v_add_f64 v[33:34], v[62:63], -v[33:34]
	v_fma_f64 v[64:65], v[39:40], v[64:65], s[10:11]
	s_mov_b32 s10, 0xa6fbf144
	s_mov_b32 s11, 0xbefbb44d
	v_add_f64 v[66:67], -v[60:61], 1.0
	v_add_f64 v[33:34], v[33:34], -v[58:59]
	v_add_f64 v[58:59], v[66:67], -v[62:63]
	v_fma_f64 v[62:63], v[39:40], v[64:65], s[10:11]
	s_mov_b32 s10, 0xa7943acf
	s_mov_b32 s11, 0x3f21e634
	v_add_f64 v[33:34], v[33:34], v[58:59]
	v_fma_f64 v[58:59], v[39:40], v[62:63], s[10:11]
	s_mov_b32 s10, 0xdeb68feb
	s_mov_b32 s11, 0x3f2d250f
	v_add_f64 v[62:63], v[60:61], v[33:34]
	v_fma_f64 v[58:59], v[39:40], v[58:59], s[10:11]
	s_mov_b32 s10, 0xb58c4d95
	s_mov_b32 s11, 0x3f437fd9
	v_mul_f64 v[64:65], v[35:36], v[62:63]
	v_fma_f64 v[58:59], v[39:40], v[58:59], s[10:11]
	s_mov_b32 s10, 0x15120e2c
	s_mov_b32 s11, 0x3f57d5af
	v_add_f64 v[60:61], v[60:61], -v[62:63]
	v_mul_f64 v[66:67], v[37:38], v[64:65]
	v_fma_f64 v[58:59], v[39:40], v[58:59], s[10:11]
	s_mov_b32 s10, 0xe09491df
	s_mov_b32 s11, 0x3f6d6d93
	v_add_f64 v[33:34], v[33:34], v[60:61]
	v_fma_f64 v[68:69], v[64:65], v[37:38], -v[66:67]
	v_fma_f64 v[58:59], v[39:40], v[58:59], s[10:11]
	s_mov_b32 s10, 0x2033784d
	s_mov_b32 s11, 0x3f8226e1
	v_fma_f64 v[68:69], v[64:65], v[31:32], v[68:69]
	v_fma_f64 v[58:59], v[39:40], v[58:59], s[10:11]
	s_mov_b32 s10, 0x9ac36ae2
	s_mov_b32 s11, 0x3f9664f4
	v_add_f64 v[70:71], v[66:67], v[68:69]
	v_fma_f64 v[58:59], v[39:40], v[58:59], s[10:11]
	s_mov_b32 s10, 0x1b451c21
	s_mov_b32 s11, 0x3faba1ba
	v_add_f64 v[72:73], v[62:63], -v[70:71]
	v_fma_f64 v[58:59], v[39:40], v[58:59], s[10:11]
	s_mov_b32 s10, 0x111185b7
	s_mov_b32 s11, 0x3fc11111
	v_add_f64 v[60:61], v[70:71], -v[66:67]
	v_add_f64 v[62:63], v[62:63], -v[72:73]
	v_fma_f64 v[58:59], v[39:40], v[58:59], s[10:11]
	s_mov_b32 s10, 0x555554ee
	s_mov_b32 s11, 0x3fd55555
	v_add_f64 v[60:61], v[60:61], -v[68:69]
	v_add_f64 v[62:63], v[62:63], -v[70:71]
	v_fma_f64 v[58:59], v[39:40], v[58:59], s[10:11]
	s_mov_b32 s10, 0x8fb9f87e
	s_mov_b32 s11, 0x408633ce
	v_cmp_nge_f64_e64 vcc, |v[5:6]|, s[10:11]
	s_mov_b32 s10, 0
	s_mov_b32 s11, 0x3e400000
	v_add_f64 v[33:34], v[33:34], v[62:63]
	v_mul_f64 v[39:40], v[39:40], v[58:59]
	v_add_f64 v[58:59], v[35:36], v[64:65]
	v_add_f64 v[33:34], v[60:61], v[33:34]
	v_mul_f64 v[60:61], v[26:27], v[39:40]
	v_add_f64 v[62:63], v[58:59], -v[35:36]
	v_add_f64 v[33:34], v[72:73], v[33:34]
	v_add_f64 v[66:67], v[26:27], v[60:61]
	v_add_f64 v[62:63], v[64:65], -v[62:63]
	v_mul_f64 v[33:34], v[35:36], v[33:34]
	v_fma_f64 v[35:36], v[26:27], v[39:40], -v[60:61]
	v_add_f64 v[26:27], v[66:67], -v[26:27]
	v_add_f64 v[33:34], v[62:63], v[33:34]
	v_add_f64 v[28:29], v[28:29], v[35:36]
	v_add_f64 v[26:27], v[60:61], -v[26:27]
	v_add_f64 v[35:36], v[58:59], v[33:34]
	v_add_f64 v[26:27], v[28:29], v[26:27]
	v_ldexp_f64 v[28:29], v[35:36], -2
	v_add_f64 v[35:36], v[35:36], -v[58:59]
	v_add_f64 v[39:40], v[66:67], v[26:27]
	v_add_f64 v[60:61], v[37:38], -v[28:29]
	v_add_f64 v[33:34], v[33:34], -v[35:36]
	v_rcp_f64_e32 v[62:63], v[39:40]
	v_add_f64 v[37:38], v[37:38], -v[60:61]
	v_ldexp_f64 v[33:34], v[33:34], -2
	v_add_f64 v[28:29], v[37:38], -v[28:29]
	v_fma_f64 v[35:36], -v[39:40], v[62:63], 1.0
	v_add_f64 v[28:29], v[31:32], v[28:29]
	v_fma_f64 v[31:32], v[35:36], v[62:63], v[62:63]
	v_add_f64 v[28:29], v[28:29], -v[33:34]
	v_fma_f64 v[33:34], -v[39:40], v[31:32], 1.0
	v_add_f64 v[28:29], v[60:61], v[28:29]
	v_fma_f64 v[31:32], v[33:34], v[31:32], v[31:32]
	v_cndmask_b32_e32 v7, v54, v29, vcc
	v_cndmask_b32_e32 v35, 0, v28, vcc
	v_cmp_lt_f64_e64 vcc, |v[5:6]|, s[10:11]
	v_add_f64 v[28:29], v[39:40], -v[66:67]
	v_mul_f64 v[33:34], v[39:40], v[31:32]
	s_mov_b32 s10, 0
	s_brev_b32 s11, 8
	v_cndmask_b32_e32 v7, v7, v30, vcc
	v_cndmask_b32_e32 v5, v35, v5, vcc
	v_bfi_b32 v6, s75, v7, v6
	v_fma_f64 v[35:36], v[5:6], v[5:6], 1.0
	v_add_f64 v[26:27], v[26:27], -v[28:29]
	v_fma_f64 v[28:29], v[31:32], v[39:40], -v[33:34]
	v_and_b32_e32 v30, 0x80000000, v8
	v_cmp_gt_f64_e32 vcc, s[10:11], v[35:36]
	v_cmp_eq_u32_e64 s[10:11], 0, v18
	v_fma_f64 v[26:27], v[31:32], v[26:27], v[28:29]
	v_cndmask_b32_e32 v7, 0, v55, vcc
	v_ldexp_f64 v[35:36], v[35:36], v7
	v_add_f64 v[37:38], v[33:34], v[26:27]
	v_rsq_f64_e32 v[28:29], v[35:36]
	v_add_f64 v[58:59], -v[37:38], 1.0
	v_add_f64 v[33:34], v[37:38], -v[33:34]
	v_add_f64 v[62:63], -v[58:59], 1.0
	v_add_f64 v[26:27], v[33:34], -v[26:27]
	v_mul_f64 v[60:61], v[35:36], v[28:29]
	v_mul_f64 v[28:29], v[28:29], 0.5
	v_add_f64 v[37:38], v[62:63], -v[37:38]
	v_fma_f64 v[33:34], -v[28:29], v[60:61], 0.5
	v_add_f64 v[26:27], v[26:27], v[37:38]
	v_fma_f64 v[60:61], v[60:61], v[33:34], v[60:61]
	v_fma_f64 v[28:29], v[28:29], v[33:34], v[28:29]
	v_add_f64 v[26:27], v[58:59], v[26:27]
	v_fma_f64 v[33:34], -v[60:61], v[60:61], v[35:36]
	v_mul_f64 v[26:27], v[31:32], v[26:27]
	v_fma_f64 v[33:34], v[33:34], v[28:29], v[60:61]
	v_add_f64 v[26:27], v[31:32], v[26:27]
	v_fma_f64 v[37:38], -v[33:34], v[33:34], v[35:36]
	v_xor_b32_e32 v27, 0x80000000, v27
	v_cndmask_b32_e64 v18, v27, v40, s[10:11]
	v_xor_b32_e32 v27, v18, v30
	v_cndmask_b32_e32 v18, 0, v56, vcc
	v_cndmask_b32_e64 v26, v26, v39, s[10:11]
	v_cmp_class_f64_e32 vcc, v[35:36], v51
	v_fma_f64 v[7:8], v[37:38], v[28:29], v[33:34]
	v_fma_f64 v[28:29], v[26:27], v[26:27], 1.0
	v_ldexp_f64 v[7:8], v[7:8], v18
	v_mul_f64 v[30:31], v[5:6], v[28:29]
	v_cndmask_b32_e32 v8, v8, v36, vcc
	v_cndmask_b32_e32 v7, v7, v35, vcc
	v_mul_f64 v[7:8], v[7:8], v[28:29]
	v_fma_f64 v[28:29], v[5:6], v[30:31], 1.0
	v_mul_f64 v[5:6], v[5:6], v[7:8]
	v_div_scale_f64 v[30:31], s[10:11], v[28:29], v[28:29], v[26:27]
	v_div_scale_f64 v[7:8], s[10:11], v[28:29], v[28:29], v[5:6]
	;; [unrolled: 1-line block ×3, first 2 shown]
	v_rcp_f64_e32 v[34:35], v[30:31]
	v_rcp_f64_e32 v[32:33], v[7:8]
	v_fma_f64 v[38:39], -v[30:31], v[34:35], 1.0
	v_fma_f64 v[36:37], -v[7:8], v[32:33], 1.0
	v_fma_f64 v[34:35], v[34:35], v[38:39], v[34:35]
	v_fma_f64 v[32:33], v[32:33], v[36:37], v[32:33]
	v_div_scale_f64 v[36:37], vcc, v[5:6], v[28:29], v[5:6]
	v_fma_f64 v[58:59], -v[30:31], v[34:35], 1.0
	v_fma_f64 v[38:39], -v[7:8], v[32:33], 1.0
	v_fma_f64 v[34:35], v[34:35], v[58:59], v[34:35]
	v_fma_f64 v[32:33], v[32:33], v[38:39], v[32:33]
	v_mul_f64 v[58:59], v[40:41], v[34:35]
	v_mul_f64 v[38:39], v[36:37], v[32:33]
	v_fma_f64 v[30:31], -v[30:31], v[58:59], v[40:41]
	v_fma_f64 v[7:8], -v[7:8], v[38:39], v[36:37]
	v_div_fmas_f64 v[7:8], v[7:8], v[32:33], v[38:39]
	s_mov_b64 vcc, s[10:11]
	v_div_fmas_f64 v[30:31], v[30:31], v[34:35], v[58:59]
	v_div_fixup_f64 v[5:6], v[7:8], v[28:29], v[5:6]
	v_div_fixup_f64 v[7:8], v[30:31], v[28:29], v[26:27]
.LBB161_20:                             ;   in Loop: Header=BB161_4 Depth=1
	s_andn2_saveexec_b64 s[10:11], s[68:69]
	s_cbranch_execz .LBB161_23
; %bb.21:                               ;   in Loop: Header=BB161_4 Depth=1
	v_cmp_nlt_f64_e64 s[68:69], |v[7:8]|, s[44:45]
                                        ; implicit-def: $vgpr39
                                        ; implicit-def: $vgpr30_vgpr31
                                        ; implicit-def: $vgpr36_vgpr37
	s_and_saveexec_b64 s[70:71], s[68:69]
	s_xor_b64 s[70:71], exec, s[70:71]
	s_cbranch_execz .LBB161_24
; %bb.22:                               ;   in Loop: Header=BB161_4 Depth=1
	v_trig_preop_f64 v[26:27], |v[7:8]|, 0
	v_ldexp_f64 v[28:29], |v[7:8]|, s79
	v_cmp_ge_f64_e64 vcc, |v[7:8]|, s[46:47]
	v_trig_preop_f64 v[30:31], |v[7:8]|, 1
	v_and_b32_e32 v18, 0x7fffffff, v8
	v_trig_preop_f64 v[38:39], |v[7:8]|, 2
	s_mov_b32 s22, s50
	s_mov_b32 s55, s27
	v_cndmask_b32_e32 v29, v18, v29, vcc
	v_cndmask_b32_e32 v28, v7, v28, vcc
	v_mul_f64 v[32:33], v[26:27], v[28:29]
	v_mul_f64 v[34:35], v[30:31], v[28:29]
	;; [unrolled: 1-line block ×3, first 2 shown]
	v_fma_f64 v[26:27], v[26:27], v[28:29], -v[32:33]
	v_fma_f64 v[30:31], v[30:31], v[28:29], -v[34:35]
	;; [unrolled: 1-line block ×3, first 2 shown]
	v_add_f64 v[36:37], v[34:35], v[26:27]
	v_add_f64 v[40:41], v[36:37], -v[34:35]
	v_add_f64 v[62:63], v[32:33], v[36:37]
	v_add_f64 v[58:59], v[36:37], -v[40:41]
	v_add_f64 v[26:27], v[26:27], -v[40:41]
	v_add_f64 v[40:41], v[60:61], v[30:31]
	v_add_f64 v[32:33], v[62:63], -v[32:33]
	v_add_f64 v[34:35], v[34:35], -v[58:59]
	v_ldexp_f64 v[58:59], v[62:63], -2
	v_add_f64 v[64:65], v[40:41], -v[60:61]
	v_add_f64 v[32:33], v[36:37], -v[32:33]
	v_add_f64 v[26:27], v[26:27], v[34:35]
	v_fract_f64_e32 v[34:35], v[58:59]
	v_cmp_neq_f64_e64 vcc, |v[58:59]|, s[48:49]
	v_add_f64 v[30:31], v[30:31], -v[64:65]
	v_add_f64 v[36:37], v[40:41], v[26:27]
	v_ldexp_f64 v[34:35], v[34:35], 2
	v_add_f64 v[58:59], v[32:33], v[36:37]
	v_cndmask_b32_e32 v35, 0, v35, vcc
	v_cndmask_b32_e32 v34, 0, v34, vcc
	v_add_f64 v[66:67], v[36:37], -v[40:41]
	v_add_f64 v[62:63], v[58:59], v[34:35]
	v_add_f64 v[32:33], v[58:59], -v[32:33]
	v_add_f64 v[68:69], v[36:37], -v[66:67]
	;; [unrolled: 1-line block ×3, first 2 shown]
	v_cmp_gt_f64_e32 vcc, 0, v[62:63]
	v_add_f64 v[62:63], v[40:41], -v[64:65]
	v_add_f64 v[32:33], v[36:37], -v[32:33]
	;; [unrolled: 1-line block ×3, first 2 shown]
	v_cndmask_b32_e32 v18, 0, v52, vcc
	v_add_f64 v[34:35], v[34:35], v[17:18]
	v_add_f64 v[62:63], v[60:61], -v[62:63]
	v_add_f64 v[26:27], v[26:27], v[40:41]
	v_add_f64 v[70:71], v[58:59], v[34:35]
	;; [unrolled: 1-line block ×3, first 2 shown]
	v_cvt_i32_f64_e32 v66, v[70:71]
	v_add_f64 v[26:27], v[30:31], v[26:27]
	v_cvt_f64_i32_e32 v[64:65], v66
	v_add_f64 v[34:35], v[34:35], -v[64:65]
	v_add_f64 v[26:27], v[28:29], v[26:27]
	v_add_f64 v[30:31], v[58:59], v[34:35]
	;; [unrolled: 1-line block ×3, first 2 shown]
	v_add_f64 v[28:29], v[30:31], -v[34:35]
	v_cmp_le_f64_e32 vcc, 0.5, v[30:31]
	v_add_f64 v[28:29], v[58:59], -v[28:29]
	v_cndmask_b32_e32 v18, 0, v53, vcc
	v_addc_co_u32_e32 v39, vcc, 0, v66, vcc
	v_add_f64 v[26:27], v[26:27], v[28:29]
	v_add_f64 v[28:29], v[30:31], -v[17:18]
	v_add_f64 v[30:31], v[28:29], v[26:27]
	v_mul_f64 v[32:33], v[30:31], s[22:23]
	v_add_f64 v[28:29], v[30:31], -v[28:29]
	v_fma_f64 v[34:35], v[30:31], s[22:23], -v[32:33]
	v_add_f64 v[26:27], v[26:27], -v[28:29]
	v_fma_f64 v[28:29], v[30:31], s[54:55], v[34:35]
	v_fma_f64 v[26:27], v[26:27], s[22:23], v[28:29]
	v_add_f64 v[30:31], v[32:33], v[26:27]
	v_add_f64 v[28:29], v[30:31], -v[32:33]
	v_add_f64 v[36:37], v[26:27], -v[28:29]
	s_andn2_saveexec_b64 s[70:71], s[70:71]
	s_cbranch_execz .LBB161_26
	s_branch .LBB161_25
.LBB161_23:                             ;   in Loop: Header=BB161_4 Depth=1
	s_or_b64 exec, exec, s[10:11]
	s_andn2_saveexec_b64 s[10:11], s[66:67]
	s_cbranch_execnz .LBB161_32
	s_branch .LBB161_33
.LBB161_24:                             ;   in Loop: Header=BB161_4 Depth=1
	s_andn2_saveexec_b64 s[70:71], s[70:71]
	s_cbranch_execz .LBB161_26
.LBB161_25:                             ;   in Loop: Header=BB161_4 Depth=1
	v_mul_f64 v[26:27], |v[7:8]|, s[24:25]
	s_mov_b32 s26, s52
	v_rndne_f64_e32 v[26:27], v[26:27]
	v_fma_f64 v[28:29], v[26:27], s[50:51], |v[7:8]|
	v_mul_f64 v[30:31], v[26:27], s[52:53]
	v_cvt_i32_f64_e32 v39, v[26:27]
	v_add_f64 v[32:33], v[28:29], v[30:31]
	v_add_f64 v[34:35], v[28:29], -v[32:33]
	v_fma_f64 v[28:29], v[26:27], s[52:53], v[28:29]
	v_add_f64 v[34:35], v[34:35], v[30:31]
	v_add_f64 v[32:33], v[32:33], -v[28:29]
	v_fma_f64 v[30:31], v[26:27], s[26:27], v[30:31]
	v_add_f64 v[32:33], v[32:33], v[34:35]
	v_add_f64 v[30:31], v[32:33], -v[30:31]
	v_fma_f64 v[32:33], v[26:27], s[28:29], v[30:31]
	v_add_f64 v[30:31], v[28:29], v[32:33]
	v_add_f64 v[28:29], v[30:31], -v[28:29]
	v_add_f64 v[36:37], v[32:33], -v[28:29]
.LBB161_26:                             ;   in Loop: Header=BB161_4 Depth=1
	s_or_b64 exec, exec, s[70:71]
                                        ; implicit-def: $vgpr38
                                        ; implicit-def: $vgpr26_vgpr27
                                        ; implicit-def: $vgpr28_vgpr29
	s_and_saveexec_b64 s[70:71], s[68:69]
	s_xor_b64 s[68:69], exec, s[70:71]
	s_cbranch_execz .LBB161_28
; %bb.27:                               ;   in Loop: Header=BB161_4 Depth=1
	v_trig_preop_f64 v[26:27], |v[7:8]|, 0
	v_ldexp_f64 v[28:29], |v[7:8]|, s79
	v_cmp_ge_f64_e64 vcc, |v[7:8]|, s[46:47]
	v_trig_preop_f64 v[32:33], |v[7:8]|, 1
	v_and_b32_e32 v18, 0x7fffffff, v8
	v_trig_preop_f64 v[60:61], |v[7:8]|, 2
	s_mov_b32 s22, s50
	s_mov_b32 s55, s27
	v_cndmask_b32_e32 v29, v18, v29, vcc
	v_cndmask_b32_e32 v28, v7, v28, vcc
	v_mul_f64 v[34:35], v[26:27], v[28:29]
	v_mul_f64 v[40:41], v[32:33], v[28:29]
	;; [unrolled: 1-line block ×3, first 2 shown]
	v_fma_f64 v[26:27], v[26:27], v[28:29], -v[34:35]
	v_fma_f64 v[32:33], v[32:33], v[28:29], -v[40:41]
	;; [unrolled: 1-line block ×3, first 2 shown]
	v_add_f64 v[58:59], v[40:41], v[26:27]
	v_add_f64 v[62:63], v[58:59], -v[40:41]
	v_add_f64 v[68:69], v[34:35], v[58:59]
	v_add_f64 v[64:65], v[58:59], -v[62:63]
	v_add_f64 v[26:27], v[26:27], -v[62:63]
	v_add_f64 v[62:63], v[66:67], v[32:33]
	v_add_f64 v[34:35], v[68:69], -v[34:35]
	v_add_f64 v[40:41], v[40:41], -v[64:65]
	v_ldexp_f64 v[64:65], v[68:69], -2
	v_add_f64 v[70:71], v[62:63], -v[66:67]
	v_add_f64 v[34:35], v[58:59], -v[34:35]
	v_add_f64 v[26:27], v[26:27], v[40:41]
	v_fract_f64_e32 v[40:41], v[64:65]
	v_cmp_neq_f64_e64 vcc, |v[64:65]|, s[48:49]
	v_add_f64 v[32:33], v[32:33], -v[70:71]
	v_add_f64 v[58:59], v[62:63], v[26:27]
	v_ldexp_f64 v[40:41], v[40:41], 2
	v_add_f64 v[64:65], v[34:35], v[58:59]
	v_cndmask_b32_e32 v41, 0, v41, vcc
	v_cndmask_b32_e32 v40, 0, v40, vcc
	v_add_f64 v[72:73], v[58:59], -v[62:63]
	v_add_f64 v[68:69], v[64:65], v[40:41]
	v_add_f64 v[34:35], v[64:65], -v[34:35]
	v_add_f64 v[74:75], v[58:59], -v[72:73]
	;; [unrolled: 1-line block ×3, first 2 shown]
	v_cmp_gt_f64_e32 vcc, 0, v[68:69]
	v_add_f64 v[68:69], v[62:63], -v[70:71]
	v_add_f64 v[34:35], v[58:59], -v[34:35]
	;; [unrolled: 1-line block ×3, first 2 shown]
	v_cndmask_b32_e32 v18, 0, v52, vcc
	v_add_f64 v[40:41], v[40:41], v[17:18]
	v_add_f64 v[68:69], v[66:67], -v[68:69]
	v_add_f64 v[26:27], v[26:27], v[62:63]
	v_add_f64 v[76:77], v[64:65], v[40:41]
	;; [unrolled: 1-line block ×3, first 2 shown]
	v_cvt_i32_f64_e32 v38, v[76:77]
	v_add_f64 v[26:27], v[32:33], v[26:27]
	v_cvt_f64_i32_e32 v[70:71], v38
	v_add_f64 v[40:41], v[40:41], -v[70:71]
	v_add_f64 v[26:27], v[28:29], v[26:27]
	v_add_f64 v[32:33], v[64:65], v[40:41]
	v_add_f64 v[26:27], v[34:35], v[26:27]
	v_add_f64 v[28:29], v[32:33], -v[40:41]
	v_cmp_le_f64_e32 vcc, 0.5, v[32:33]
	v_add_f64 v[28:29], v[64:65], -v[28:29]
	v_cndmask_b32_e32 v18, 0, v53, vcc
	v_addc_co_u32_e32 v38, vcc, 0, v38, vcc
	v_add_f64 v[26:27], v[26:27], v[28:29]
	v_add_f64 v[28:29], v[32:33], -v[17:18]
	v_add_f64 v[32:33], v[28:29], v[26:27]
	v_mul_f64 v[34:35], v[32:33], s[22:23]
	v_add_f64 v[28:29], v[32:33], -v[28:29]
	v_fma_f64 v[40:41], v[32:33], s[22:23], -v[34:35]
	v_add_f64 v[26:27], v[26:27], -v[28:29]
	v_fma_f64 v[28:29], v[32:33], s[54:55], v[40:41]
	v_fma_f64 v[28:29], v[26:27], s[22:23], v[28:29]
	v_add_f64 v[26:27], v[34:35], v[28:29]
	v_add_f64 v[32:33], v[26:27], -v[34:35]
	v_add_f64 v[28:29], v[28:29], -v[32:33]
	s_andn2_saveexec_b64 s[68:69], s[68:69]
	s_cbranch_execnz .LBB161_29
	s_branch .LBB161_30
.LBB161_28:                             ;   in Loop: Header=BB161_4 Depth=1
	s_andn2_saveexec_b64 s[68:69], s[68:69]
	s_cbranch_execz .LBB161_30
.LBB161_29:                             ;   in Loop: Header=BB161_4 Depth=1
	v_mul_f64 v[26:27], |v[7:8]|, s[24:25]
	s_mov_b32 s26, s52
	v_rndne_f64_e32 v[32:33], v[26:27]
	v_fma_f64 v[26:27], v[32:33], s[50:51], |v[7:8]|
	v_mul_f64 v[28:29], v[32:33], s[52:53]
	v_cvt_i32_f64_e32 v38, v[32:33]
	v_fma_f64 v[58:59], v[32:33], s[52:53], v[26:27]
	v_add_f64 v[34:35], v[26:27], v[28:29]
	v_add_f64 v[40:41], v[26:27], -v[34:35]
	v_add_f64 v[34:35], v[34:35], -v[58:59]
	v_add_f64 v[26:27], v[40:41], v[28:29]
	v_fma_f64 v[28:29], v[32:33], s[26:27], v[28:29]
	v_add_f64 v[26:27], v[34:35], v[26:27]
	v_add_f64 v[26:27], v[26:27], -v[28:29]
	v_fma_f64 v[28:29], v[32:33], s[28:29], v[26:27]
	v_add_f64 v[26:27], v[58:59], v[28:29]
	v_add_f64 v[34:35], v[26:27], -v[58:59]
	v_add_f64 v[28:29], v[28:29], -v[34:35]
.LBB161_30:                             ;   in Loop: Header=BB161_4 Depth=1
	s_or_b64 exec, exec, s[68:69]
	v_mul_f64 v[40:41], v[30:31], v[30:31]
	v_mul_f64 v[64:65], v[36:37], 0.5
	s_mov_b32 s12, s14
	v_and_b32_e32 v7, 1, v39
	v_cmp_eq_u32_e32 vcc, 0, v7
	s_mov_b32 s68, 0x3b39803f
	s_mov_b32 s69, 0xbc7abc9e
	;; [unrolled: 1-line block ×3, first 2 shown]
	v_mul_f64 v[32:33], v[40:41], 0.5
	v_mul_f64 v[60:61], v[40:41], v[40:41]
	s_mov_b32 s93, s15
	v_add_f64 v[58:59], -v[32:33], 1.0
	v_add_f64 v[34:35], -v[58:59], 1.0
	v_add_f64 v[32:33], v[34:35], -v[32:33]
	v_mov_b32_e32 v34, s82
	v_mov_b32_e32 v35, s83
	v_fma_f64 v[62:63], v[40:41], s[84:85], v[34:35]
	v_fma_f64 v[32:33], v[30:31], -v[36:37], v[32:33]
	v_fma_f64 v[62:63], v[40:41], v[62:63], s[86:87]
	v_fma_f64 v[62:63], v[40:41], v[62:63], s[88:89]
	;; [unrolled: 1-line block ×5, first 2 shown]
	v_mul_f64 v[62:63], v[30:31], -v[40:41]
	v_add_f64 v[58:59], v[58:59], v[32:33]
	v_mov_b32_e32 v32, s94
	v_mov_b32_e32 v33, s95
	v_fma_f64 v[60:61], v[40:41], s[30:31], v[32:33]
	v_fma_f64 v[60:61], v[40:41], v[60:61], s[34:35]
	v_fma_f64 v[60:61], v[40:41], v[60:61], s[36:37]
	v_fma_f64 v[60:61], v[40:41], v[60:61], s[80:81]
	v_fma_f64 v[60:61], v[62:63], v[60:61], v[64:65]
	v_fma_f64 v[36:37], v[40:41], v[60:61], -v[36:37]
	v_fma_f64 v[36:37], v[62:63], s[12:13], v[36:37]
	v_add_f64 v[30:31], v[30:31], -v[36:37]
	v_cndmask_b32_e32 v7, v58, v30, vcc
	v_lshlrev_b32_e32 v30, 30, v39
	v_cndmask_b32_e32 v18, v59, v31, vcc
	v_xor_b32_e32 v8, v30, v8
	v_mul_f64 v[30:31], |v[5:6]|, s[62:63]
	v_and_b32_e32 v8, 0x80000000, v8
	v_xor_b32_e32 v8, v18, v8
	v_mul_f64 v[7:8], v[7:8], 4.0
	v_rndne_f64_e32 v[30:31], v[30:31]
	v_fma_f64 v[36:37], v[30:31], s[64:65], -|v[5:6]|
	v_cvt_i32_f64_e32 v18, v[30:31]
	v_fma_f64 v[36:37], v[30:31], s[68:69], v[36:37]
	s_mov_b32 s68, 0x6a5dcb37
	s_mov_b32 s69, 0x3e5ade15
	v_fma_f64 v[39:40], v[36:37], s[68:69], v[24:25]
	s_mov_b32 s68, 0x623fde64
	s_mov_b32 s69, 0x3ec71dee
	;; [unrolled: 3-line block ×6, first 2 shown]
	v_fma_f64 v[39:40], v[36:37], v[39:40], s[38:39]
	v_fma_f64 v[39:40], v[36:37], v[39:40], s[92:93]
	;; [unrolled: 1-line block ×3, first 2 shown]
	s_mov_b32 s68, 11
	s_mov_b32 s69, 0x3fe00000
	v_fma_f64 v[39:40], v[36:37], v[39:40], s[68:69]
	s_mov_b32 s68, 0
	s_mov_b32 s69, 0x4090cc00
	v_cmp_ngt_f64_e64 vcc, |v[5:6]|, s[68:69]
	v_fma_f64 v[39:40], v[36:37], v[39:40], 1.0
	v_fma_f64 v[36:37], v[36:37], v[39:40], 1.0
	v_ldexp_f64 v[30:31], v[36:37], v18
	v_bfi_b32 v18, s75, v53, v6
	v_mul_f64 v[5:6], v[26:27], v[26:27]
	v_cndmask_b32_e32 v31, 0, v31, vcc
	v_cndmask_b32_e32 v30, 0, v30, vcc
	v_mul_f64 v[36:37], v[5:6], 0.5
	v_fma_f64 v[34:35], v[5:6], s[84:85], v[34:35]
	v_fma_f64 v[32:33], v[5:6], s[30:31], v[32:33]
	v_add_f64 v[39:40], -v[36:37], 1.0
	v_fma_f64 v[34:35], v[5:6], v[34:35], s[86:87]
	v_fma_f64 v[32:33], v[5:6], v[32:33], s[34:35]
	v_add_f64 v[58:59], -v[39:40], 1.0
	v_fma_f64 v[34:35], v[5:6], v[34:35], s[88:89]
	v_fma_f64 v[32:33], v[5:6], v[32:33], s[36:37]
	v_add_f64 v[36:37], v[58:59], -v[36:37]
	v_fma_f64 v[34:35], v[5:6], v[34:35], s[90:91]
	v_mul_f64 v[58:59], v[5:6], v[5:6]
	v_fma_f64 v[32:33], v[5:6], v[32:33], s[80:81]
	v_fma_f64 v[36:37], v[26:27], -v[28:29], v[36:37]
	v_fma_f64 v[34:35], v[5:6], v[34:35], s[14:15]
	v_fma_f64 v[34:35], v[58:59], v[34:35], v[36:37]
	v_mul_f64 v[36:37], v[26:27], -v[5:6]
	v_add_f64 v[34:35], v[39:40], v[34:35]
	v_mul_f64 v[39:40], v[28:29], 0.5
	v_fma_f64 v[32:33], v[36:37], v[32:33], v[39:40]
	v_fma_f64 v[5:6], v[5:6], v[32:33], -v[28:29]
	v_fma_f64 v[5:6], v[36:37], s[12:13], v[5:6]
	v_add_f64 v[5:6], v[26:27], -v[5:6]
	v_and_b32_e32 v26, 1, v38
	v_cmp_eq_u32_e32 vcc, 0, v26
	v_lshlrev_b32_e32 v26, 30, v38
	v_and_b32_e32 v26, 0x80000000, v26
	v_xor_b32_e32 v6, 0x80000000, v6
	v_cndmask_b32_e32 v6, v6, v35, vcc
	v_cndmask_b32_e32 v5, v5, v34, vcc
	v_xor_b32_e32 v6, v6, v26
	v_mul_f64 v[5:6], v[7:8], v[5:6]
	v_mul_f64 v[5:6], v[30:31], v[5:6]
	;; [unrolled: 1-line block ×3, first 2 shown]
	v_mov_b32_e32 v5, v17
	v_mov_b32_e32 v6, v18
	s_or_b64 exec, exec, s[10:11]
.LBB161_31:                             ;   in Loop: Header=BB161_4 Depth=1
	s_andn2_saveexec_b64 s[10:11], s[66:67]
	s_cbranch_execz .LBB161_33
.LBB161_32:                             ;   in Loop: Header=BB161_4 Depth=1
	v_add_f64 v[7:8], v[7:8], -v[7:8]
	v_mov_b32_e32 v5, v7
	v_mov_b32_e32 v6, v8
.LBB161_33:                             ;   in Loop: Header=BB161_4 Depth=1
	s_or_b64 exec, exec, s[10:11]
.LBB161_34:                             ;   in Loop: Header=BB161_4 Depth=1
	s_andn2_saveexec_b64 s[60:61], s[60:61]
	s_cbranch_execz .LBB161_50
; %bb.35:                               ;   in Loop: Header=BB161_4 Depth=1
	v_and_or_b32 v18, v6, s78, v5
	v_cmp_ne_u32_e32 vcc, 0, v18
	s_and_saveexec_b64 s[10:11], vcc
	s_xor_b64 s[10:11], exec, s[10:11]
	s_cbranch_execz .LBB161_37
; %bb.36:                               ;   in Loop: Header=BB161_4 Depth=1
	v_mul_f64 v[26:27], v[7:8], v[5:6]
	v_cmp_eq_f64_e32 vcc, 0, v[7:8]
	v_cndmask_b32_e32 v8, v27, v8, vcc
	v_cndmask_b32_e32 v7, v26, v7, vcc
.LBB161_37:                             ;   in Loop: Header=BB161_4 Depth=1
	s_andn2_saveexec_b64 s[66:67], s[10:11]
	s_cbranch_execz .LBB161_49
; %bb.38:                               ;   in Loop: Header=BB161_4 Depth=1
	v_cmp_neq_f64_e64 s[10:11], |v[7:8]|, s[48:49]
	s_and_saveexec_b64 s[68:69], s[10:11]
	s_cbranch_execz .LBB161_48
; %bb.39:                               ;   in Loop: Header=BB161_4 Depth=1
	v_trig_preop_f64 v[38:39], |v[7:8]|, 0
	v_trig_preop_f64 v[36:37], |v[7:8]|, 1
	;; [unrolled: 1-line block ×3, first 2 shown]
	v_cmp_nlt_f64_e64 s[10:11], |v[7:8]|, s[44:45]
	v_ldexp_f64 v[40:41], |v[7:8]|, s79
	v_and_b32_e32 v59, 0x7fffffff, v8
                                        ; implicit-def: $vgpr58
                                        ; implicit-def: $vgpr32_vgpr33
                                        ; implicit-def: $vgpr34_vgpr35
	s_and_saveexec_b64 s[70:71], s[10:11]
	s_xor_b64 s[70:71], exec, s[70:71]
	s_cbranch_execz .LBB161_41
; %bb.40:                               ;   in Loop: Header=BB161_4 Depth=1
	v_cmp_ge_f64_e64 vcc, |v[7:8]|, s[46:47]
	s_mov_b32 s22, s50
	s_mov_b32 s55, s27
	v_cndmask_b32_e32 v27, v59, v41, vcc
	v_cndmask_b32_e32 v26, v7, v40, vcc
	v_mul_f64 v[28:29], v[38:39], v[26:27]
	v_mul_f64 v[32:33], v[36:37], v[26:27]
	;; [unrolled: 1-line block ×3, first 2 shown]
	v_fma_f64 v[34:35], v[38:39], v[26:27], -v[28:29]
	v_fma_f64 v[68:69], v[36:37], v[26:27], -v[32:33]
	;; [unrolled: 1-line block ×3, first 2 shown]
	v_add_f64 v[60:61], v[32:33], v[34:35]
	v_add_f64 v[62:63], v[60:61], -v[32:33]
	v_add_f64 v[70:71], v[28:29], v[60:61]
	v_add_f64 v[64:65], v[60:61], -v[62:63]
	v_add_f64 v[34:35], v[34:35], -v[62:63]
	v_add_f64 v[62:63], v[66:67], v[68:69]
	v_add_f64 v[28:29], v[70:71], -v[28:29]
	v_add_f64 v[32:33], v[32:33], -v[64:65]
	v_ldexp_f64 v[64:65], v[70:71], -2
	v_add_f64 v[72:73], v[62:63], -v[66:67]
	v_add_f64 v[28:29], v[60:61], -v[28:29]
	v_add_f64 v[32:33], v[34:35], v[32:33]
	v_fract_f64_e32 v[34:35], v[64:65]
	v_cmp_neq_f64_e64 vcc, |v[64:65]|, s[48:49]
	v_add_f64 v[68:69], v[68:69], -v[72:73]
	v_add_f64 v[60:61], v[62:63], v[32:33]
	v_ldexp_f64 v[34:35], v[34:35], 2
	v_add_f64 v[64:65], v[28:29], v[60:61]
	v_cndmask_b32_e32 v35, 0, v35, vcc
	v_cndmask_b32_e32 v34, 0, v34, vcc
	v_add_f64 v[74:75], v[60:61], -v[62:63]
	v_add_f64 v[70:71], v[64:65], v[34:35]
	v_add_f64 v[28:29], v[64:65], -v[28:29]
	v_add_f64 v[76:77], v[60:61], -v[74:75]
	;; [unrolled: 1-line block ×3, first 2 shown]
	v_cmp_gt_f64_e32 vcc, 0, v[70:71]
	v_add_f64 v[70:71], v[62:63], -v[72:73]
	v_add_f64 v[28:29], v[60:61], -v[28:29]
	;; [unrolled: 1-line block ×3, first 2 shown]
	v_cndmask_b32_e32 v18, 0, v52, vcc
	v_add_f64 v[34:35], v[34:35], v[17:18]
	v_add_f64 v[70:71], v[66:67], -v[70:71]
	v_add_f64 v[32:33], v[32:33], v[62:63]
	v_add_f64 v[78:79], v[64:65], v[34:35]
	;; [unrolled: 1-line block ×3, first 2 shown]
	v_cvt_i32_f64_e32 v58, v[78:79]
	v_add_f64 v[32:33], v[68:69], v[32:33]
	v_cvt_f64_i32_e32 v[72:73], v58
	v_add_f64 v[34:35], v[34:35], -v[72:73]
	v_add_f64 v[26:27], v[26:27], v[32:33]
	v_add_f64 v[62:63], v[64:65], v[34:35]
	;; [unrolled: 1-line block ×3, first 2 shown]
	v_add_f64 v[32:33], v[62:63], -v[34:35]
	v_cmp_le_f64_e32 vcc, 0.5, v[62:63]
	v_add_f64 v[28:29], v[64:65], -v[32:33]
	v_cndmask_b32_e32 v18, 0, v53, vcc
	v_addc_co_u32_e32 v58, vcc, 0, v58, vcc
	v_add_f64 v[26:27], v[26:27], v[28:29]
	v_add_f64 v[28:29], v[62:63], -v[17:18]
	v_add_f64 v[32:33], v[28:29], v[26:27]
	v_mul_f64 v[34:35], v[32:33], s[22:23]
	v_add_f64 v[28:29], v[32:33], -v[28:29]
	v_fma_f64 v[60:61], v[32:33], s[22:23], -v[34:35]
	v_add_f64 v[26:27], v[26:27], -v[28:29]
	v_fma_f64 v[28:29], v[32:33], s[54:55], v[60:61]
	v_fma_f64 v[26:27], v[26:27], s[22:23], v[28:29]
	v_add_f64 v[32:33], v[34:35], v[26:27]
	v_add_f64 v[28:29], v[32:33], -v[34:35]
	v_add_f64 v[34:35], v[26:27], -v[28:29]
	s_andn2_saveexec_b64 s[70:71], s[70:71]
	s_cbranch_execz .LBB161_43
	s_branch .LBB161_42
.LBB161_41:                             ;   in Loop: Header=BB161_4 Depth=1
	s_andn2_saveexec_b64 s[70:71], s[70:71]
	s_cbranch_execz .LBB161_43
.LBB161_42:                             ;   in Loop: Header=BB161_4 Depth=1
	v_mul_f64 v[26:27], |v[7:8]|, s[24:25]
	s_mov_b32 s26, s52
	v_rndne_f64_e32 v[26:27], v[26:27]
	v_fma_f64 v[28:29], v[26:27], s[50:51], |v[7:8]|
	v_mul_f64 v[32:33], v[26:27], s[52:53]
	v_cvt_i32_f64_e32 v58, v[26:27]
	v_add_f64 v[34:35], v[28:29], v[32:33]
	v_add_f64 v[60:61], v[28:29], -v[34:35]
	v_fma_f64 v[28:29], v[26:27], s[52:53], v[28:29]
	v_add_f64 v[60:61], v[60:61], v[32:33]
	v_add_f64 v[34:35], v[34:35], -v[28:29]
	v_fma_f64 v[32:33], v[26:27], s[26:27], v[32:33]
	;; [unrolled: 3-line block ×3, first 2 shown]
	v_add_f64 v[32:33], v[28:29], v[34:35]
	v_add_f64 v[28:29], v[32:33], -v[28:29]
	v_add_f64 v[34:35], v[34:35], -v[28:29]
.LBB161_43:                             ;   in Loop: Header=BB161_4 Depth=1
	s_or_b64 exec, exec, s[70:71]
                                        ; implicit-def: $vgpr18
                                        ; implicit-def: $vgpr26_vgpr27
                                        ; implicit-def: $vgpr28_vgpr29
	s_and_saveexec_b64 s[70:71], s[10:11]
	s_xor_b64 s[10:11], exec, s[70:71]
	s_cbranch_execz .LBB161_45
; %bb.44:                               ;   in Loop: Header=BB161_4 Depth=1
	v_cmp_ge_f64_e64 vcc, |v[7:8]|, s[46:47]
	s_mov_b32 s22, s50
	s_mov_b32 s55, s27
	v_cndmask_b32_e32 v27, v59, v41, vcc
	v_cndmask_b32_e32 v26, v7, v40, vcc
	v_mul_f64 v[28:29], v[38:39], v[26:27]
	v_mul_f64 v[40:41], v[36:37], v[26:27]
	;; [unrolled: 1-line block ×3, first 2 shown]
	v_fma_f64 v[38:39], v[38:39], v[26:27], -v[28:29]
	v_fma_f64 v[36:37], v[36:37], v[26:27], -v[40:41]
	;; [unrolled: 1-line block ×3, first 2 shown]
	v_add_f64 v[59:60], v[40:41], v[38:39]
	v_add_f64 v[61:62], v[59:60], -v[40:41]
	v_add_f64 v[67:68], v[28:29], v[59:60]
	v_add_f64 v[63:64], v[59:60], -v[61:62]
	v_add_f64 v[38:39], v[38:39], -v[61:62]
	v_add_f64 v[61:62], v[65:66], v[36:37]
	v_add_f64 v[28:29], v[67:68], -v[28:29]
	v_add_f64 v[40:41], v[40:41], -v[63:64]
	v_ldexp_f64 v[63:64], v[67:68], -2
	v_add_f64 v[69:70], v[61:62], -v[65:66]
	v_add_f64 v[28:29], v[59:60], -v[28:29]
	v_add_f64 v[38:39], v[38:39], v[40:41]
	v_fract_f64_e32 v[40:41], v[63:64]
	v_cmp_neq_f64_e64 vcc, |v[63:64]|, s[48:49]
	v_add_f64 v[36:37], v[36:37], -v[69:70]
	v_add_f64 v[59:60], v[61:62], v[38:39]
	v_ldexp_f64 v[40:41], v[40:41], 2
	v_add_f64 v[63:64], v[28:29], v[59:60]
	v_cndmask_b32_e32 v41, 0, v41, vcc
	v_cndmask_b32_e32 v40, 0, v40, vcc
	v_add_f64 v[71:72], v[59:60], -v[61:62]
	v_add_f64 v[67:68], v[63:64], v[40:41]
	v_add_f64 v[28:29], v[63:64], -v[28:29]
	v_add_f64 v[73:74], v[59:60], -v[71:72]
	;; [unrolled: 1-line block ×3, first 2 shown]
	v_cmp_gt_f64_e32 vcc, 0, v[67:68]
	v_add_f64 v[67:68], v[61:62], -v[69:70]
	v_add_f64 v[28:29], v[59:60], -v[28:29]
	;; [unrolled: 1-line block ×3, first 2 shown]
	v_cndmask_b32_e32 v18, 0, v52, vcc
	v_add_f64 v[40:41], v[40:41], v[17:18]
	v_add_f64 v[67:68], v[65:66], -v[67:68]
	v_add_f64 v[38:39], v[38:39], v[61:62]
	v_add_f64 v[75:76], v[63:64], v[40:41]
	;; [unrolled: 1-line block ×3, first 2 shown]
	v_cvt_i32_f64_e32 v71, v[75:76]
	v_add_f64 v[30:31], v[36:37], v[38:39]
	v_cvt_f64_i32_e32 v[69:70], v71
	v_add_f64 v[40:41], v[40:41], -v[69:70]
	v_add_f64 v[26:27], v[26:27], v[30:31]
	v_add_f64 v[36:37], v[63:64], v[40:41]
	;; [unrolled: 1-line block ×3, first 2 shown]
	v_add_f64 v[30:31], v[36:37], -v[40:41]
	v_cmp_le_f64_e32 vcc, 0.5, v[36:37]
	v_add_f64 v[28:29], v[63:64], -v[30:31]
	v_cndmask_b32_e32 v18, 0, v53, vcc
	v_add_f64 v[26:27], v[26:27], v[28:29]
	v_add_f64 v[28:29], v[36:37], -v[17:18]
	v_addc_co_u32_e32 v18, vcc, 0, v71, vcc
	v_add_f64 v[30:31], v[28:29], v[26:27]
	v_mul_f64 v[36:37], v[30:31], s[22:23]
	v_add_f64 v[28:29], v[30:31], -v[28:29]
	v_fma_f64 v[38:39], v[30:31], s[22:23], -v[36:37]
	v_add_f64 v[26:27], v[26:27], -v[28:29]
	v_fma_f64 v[28:29], v[30:31], s[54:55], v[38:39]
	v_fma_f64 v[28:29], v[26:27], s[22:23], v[28:29]
	v_add_f64 v[26:27], v[36:37], v[28:29]
	v_add_f64 v[30:31], v[26:27], -v[36:37]
	v_add_f64 v[28:29], v[28:29], -v[30:31]
	s_andn2_saveexec_b64 s[10:11], s[10:11]
	s_cbranch_execnz .LBB161_46
	s_branch .LBB161_47
.LBB161_45:                             ;   in Loop: Header=BB161_4 Depth=1
	s_andn2_saveexec_b64 s[10:11], s[10:11]
	s_cbranch_execz .LBB161_47
.LBB161_46:                             ;   in Loop: Header=BB161_4 Depth=1
	v_mul_f64 v[26:27], |v[7:8]|, s[24:25]
	s_mov_b32 s26, s52
	v_rndne_f64_e32 v[30:31], v[26:27]
	v_fma_f64 v[26:27], v[30:31], s[50:51], |v[7:8]|
	v_mul_f64 v[28:29], v[30:31], s[52:53]
	v_cvt_i32_f64_e32 v18, v[30:31]
	v_fma_f64 v[40:41], v[30:31], s[52:53], v[26:27]
	v_add_f64 v[36:37], v[26:27], v[28:29]
	v_add_f64 v[38:39], v[26:27], -v[36:37]
	v_add_f64 v[36:37], v[36:37], -v[40:41]
	v_add_f64 v[26:27], v[38:39], v[28:29]
	v_fma_f64 v[28:29], v[30:31], s[26:27], v[28:29]
	v_add_f64 v[26:27], v[36:37], v[26:27]
	v_add_f64 v[26:27], v[26:27], -v[28:29]
	v_fma_f64 v[28:29], v[30:31], s[28:29], v[26:27]
	v_add_f64 v[26:27], v[40:41], v[28:29]
	v_add_f64 v[36:37], v[26:27], -v[40:41]
	v_add_f64 v[28:29], v[28:29], -v[36:37]
.LBB161_47:                             ;   in Loop: Header=BB161_4 Depth=1
	s_or_b64 exec, exec, s[10:11]
	v_mul_f64 v[30:31], v[32:33], v[32:33]
	v_mov_b32_e32 v59, s82
	v_mov_b32_e32 v60, s83
	v_mul_f64 v[63:64], v[34:35], 0.5
	s_mov_b32 s12, s14
	v_mul_f64 v[36:37], v[30:31], 0.5
	v_fma_f64 v[61:62], v[30:31], s[84:85], v[59:60]
	v_add_f64 v[38:39], -v[36:37], 1.0
	v_fma_f64 v[61:62], v[30:31], v[61:62], s[86:87]
	v_add_f64 v[40:41], -v[38:39], 1.0
	v_fma_f64 v[61:62], v[30:31], v[61:62], s[88:89]
	v_add_f64 v[36:37], v[40:41], -v[36:37]
	v_fma_f64 v[61:62], v[30:31], v[61:62], s[90:91]
	v_mul_f64 v[40:41], v[30:31], v[30:31]
	v_fma_f64 v[36:37], v[32:33], -v[34:35], v[36:37]
	v_fma_f64 v[61:62], v[30:31], v[61:62], s[14:15]
	v_fma_f64 v[36:37], v[40:41], v[61:62], v[36:37]
	v_mul_f64 v[61:62], v[32:33], -v[30:31]
	v_add_f64 v[36:37], v[38:39], v[36:37]
	v_mov_b32_e32 v38, s94
	v_mov_b32_e32 v39, s95
	v_fma_f64 v[40:41], v[30:31], s[30:31], v[38:39]
	v_fma_f64 v[40:41], v[30:31], v[40:41], s[34:35]
	;; [unrolled: 1-line block ×5, first 2 shown]
	v_fma_f64 v[30:31], v[30:31], v[40:41], -v[34:35]
	v_fma_f64 v[30:31], v[61:62], s[12:13], v[30:31]
	v_add_f64 v[30:31], v[32:33], -v[30:31]
	v_and_b32_e32 v32, 1, v58
	v_cmp_eq_u32_e32 vcc, 0, v32
	v_lshlrev_b32_e32 v32, 30, v58
	v_xor_b32_e32 v32, v32, v8
	v_and_b32_e32 v32, 0x80000000, v32
	v_cndmask_b32_e32 v30, v36, v30, vcc
	v_cndmask_b32_e32 v31, v37, v31, vcc
	v_cmp_class_f64_e64 vcc, v[7:8], s77
	v_xor_b32_e32 v31, v31, v32
	v_cndmask_b32_e32 v7, 0, v30, vcc
	v_cndmask_b32_e32 v8, v57, v31, vcc
	v_mul_f64 v[30:31], v[26:27], v[26:27]
	v_mul_f64 v[32:33], v[30:31], 0.5
	v_fma_f64 v[40:41], v[30:31], s[84:85], v[59:60]
	v_add_f64 v[34:35], -v[32:33], 1.0
	v_fma_f64 v[40:41], v[30:31], v[40:41], s[86:87]
	v_add_f64 v[36:37], -v[34:35], 1.0
	v_fma_f64 v[40:41], v[30:31], v[40:41], s[88:89]
	v_add_f64 v[32:33], v[36:37], -v[32:33]
	v_fma_f64 v[40:41], v[30:31], v[40:41], s[90:91]
	v_mul_f64 v[36:37], v[30:31], v[30:31]
	v_fma_f64 v[32:33], v[26:27], -v[28:29], v[32:33]
	v_fma_f64 v[40:41], v[30:31], v[40:41], s[14:15]
	v_fma_f64 v[32:33], v[36:37], v[40:41], v[32:33]
	v_mul_f64 v[36:37], v[26:27], -v[30:31]
	v_add_f64 v[32:33], v[34:35], v[32:33]
	v_fma_f64 v[34:35], v[30:31], s[30:31], v[38:39]
	v_mul_f64 v[38:39], v[28:29], 0.5
	v_fma_f64 v[34:35], v[30:31], v[34:35], s[34:35]
	v_fma_f64 v[34:35], v[30:31], v[34:35], s[36:37]
	;; [unrolled: 1-line block ×4, first 2 shown]
	v_fma_f64 v[28:29], v[30:31], v[34:35], -v[28:29]
	v_fma_f64 v[28:29], v[36:37], s[12:13], v[28:29]
	v_add_f64 v[26:27], v[26:27], -v[28:29]
	v_and_b32_e32 v28, 1, v18
	v_cmp_eq_u32_e64 s[10:11], 0, v28
	v_lshlrev_b32_e32 v18, 30, v18
	v_and_b32_e32 v18, 0x80000000, v18
	v_xor_b32_e32 v27, 0x80000000, v27
	v_cndmask_b32_e64 v27, v27, v33, s[10:11]
	v_cndmask_b32_e64 v26, v26, v32, s[10:11]
	v_xor_b32_e32 v18, v27, v18
	v_cndmask_b32_e32 v26, 0, v26, vcc
	v_cndmask_b32_e32 v27, v57, v18, vcc
	v_mul_f64 v[7:8], v[7:8], v[26:27]
.LBB161_48:                             ;   in Loop: Header=BB161_4 Depth=1
	s_or_b64 exec, exec, s[68:69]
	v_bfi_b32 v18, s75, 0, v8
	v_mov_b32_e32 v7, v17
	v_add_u32_e32 v6, -2.0, v6
	v_mov_b32_e32 v8, v18
.LBB161_49:                             ;   in Loop: Header=BB161_4 Depth=1
	s_or_b64 exec, exec, s[66:67]
.LBB161_50:                             ;   in Loop: Header=BB161_4 Depth=1
	s_or_b64 exec, exec, s[60:61]
	v_and_b32_e32 v30, 0x7fffffff, v2
	v_cmp_gt_u32_e32 vcc, s76, v30
	s_and_saveexec_b64 s[10:11], vcc
	s_xor_b64 s[60:61], exec, s[10:11]
	s_cbranch_execz .LBB161_72
; %bb.51:                               ;   in Loop: Header=BB161_4 Depth=1
	v_cmp_class_f64_e64 s[10:11], v[3:4], s77
	s_and_saveexec_b64 s[66:67], s[10:11]
	s_xor_b64 s[66:67], exec, s[66:67]
	s_cbranch_execz .LBB161_69
; %bb.52:                               ;   in Loop: Header=BB161_4 Depth=1
	s_mov_b32 s10, 0x40360000
	v_cmp_gt_u32_e32 vcc, s10, v30
	s_and_saveexec_b64 s[10:11], vcc
	s_xor_b64 s[68:69], exec, s[10:11]
	s_cbranch_execz .LBB161_58
; %bb.53:                               ;   in Loop: Header=BB161_4 Depth=1
	v_cmp_nlt_f64_e64 s[10:11], |v[3:4]|, s[44:45]
                                        ; implicit-def: $vgpr18
                                        ; implicit-def: $vgpr26_vgpr27
                                        ; implicit-def: $vgpr28_vgpr29
	s_and_saveexec_b64 s[70:71], s[10:11]
	s_xor_b64 s[10:11], exec, s[70:71]
	s_cbranch_execz .LBB161_55
; %bb.54:                               ;   in Loop: Header=BB161_4 Depth=1
	v_trig_preop_f64 v[26:27], |v[3:4]|, 0
	v_ldexp_f64 v[28:29], |v[3:4]|, s79
	v_cmp_ge_f64_e64 vcc, |v[3:4]|, s[46:47]
	v_trig_preop_f64 v[31:32], |v[3:4]|, 1
	v_and_b32_e32 v18, 0x7fffffff, v4
	v_trig_preop_f64 v[39:40], |v[3:4]|, 2
	s_mov_b32 s22, s50
	s_mov_b32 s55, s27
	v_cndmask_b32_e32 v29, v18, v29, vcc
	v_cndmask_b32_e32 v28, v3, v28, vcc
	v_mul_f64 v[33:34], v[26:27], v[28:29]
	v_mul_f64 v[35:36], v[31:32], v[28:29]
	;; [unrolled: 1-line block ×3, first 2 shown]
	v_fma_f64 v[26:27], v[26:27], v[28:29], -v[33:34]
	v_fma_f64 v[31:32], v[31:32], v[28:29], -v[35:36]
	;; [unrolled: 1-line block ×3, first 2 shown]
	v_add_f64 v[37:38], v[35:36], v[26:27]
	v_add_f64 v[58:59], v[37:38], -v[35:36]
	v_add_f64 v[64:65], v[33:34], v[37:38]
	v_add_f64 v[60:61], v[37:38], -v[58:59]
	v_add_f64 v[26:27], v[26:27], -v[58:59]
	v_add_f64 v[58:59], v[62:63], v[31:32]
	v_add_f64 v[33:34], v[64:65], -v[33:34]
	v_add_f64 v[35:36], v[35:36], -v[60:61]
	v_ldexp_f64 v[60:61], v[64:65], -2
	v_add_f64 v[66:67], v[58:59], -v[62:63]
	v_add_f64 v[33:34], v[37:38], -v[33:34]
	v_add_f64 v[26:27], v[26:27], v[35:36]
	v_fract_f64_e32 v[35:36], v[60:61]
	v_cmp_neq_f64_e64 vcc, |v[60:61]|, s[48:49]
	v_add_f64 v[31:32], v[31:32], -v[66:67]
	v_add_f64 v[37:38], v[58:59], v[26:27]
	v_ldexp_f64 v[35:36], v[35:36], 2
	v_add_f64 v[60:61], v[33:34], v[37:38]
	v_cndmask_b32_e32 v36, 0, v36, vcc
	v_cndmask_b32_e32 v35, 0, v35, vcc
	v_add_f64 v[68:69], v[37:38], -v[58:59]
	v_add_f64 v[64:65], v[60:61], v[35:36]
	v_add_f64 v[33:34], v[60:61], -v[33:34]
	v_add_f64 v[70:71], v[37:38], -v[68:69]
	;; [unrolled: 1-line block ×3, first 2 shown]
	v_cmp_gt_f64_e32 vcc, 0, v[64:65]
	v_add_f64 v[64:65], v[58:59], -v[66:67]
	v_add_f64 v[33:34], v[37:38], -v[33:34]
	;; [unrolled: 1-line block ×3, first 2 shown]
	v_cndmask_b32_e32 v18, 0, v52, vcc
	v_add_f64 v[35:36], v[35:36], v[17:18]
	v_add_f64 v[64:65], v[62:63], -v[64:65]
	v_add_f64 v[26:27], v[26:27], v[58:59]
	v_add_f64 v[72:73], v[60:61], v[35:36]
	;; [unrolled: 1-line block ×3, first 2 shown]
	v_cvt_i32_f64_e32 v41, v[72:73]
	v_add_f64 v[26:27], v[31:32], v[26:27]
	v_cvt_f64_i32_e32 v[66:67], v41
	v_add_f64 v[35:36], v[35:36], -v[66:67]
	v_add_f64 v[26:27], v[28:29], v[26:27]
	v_add_f64 v[31:32], v[60:61], v[35:36]
	;; [unrolled: 1-line block ×3, first 2 shown]
	v_add_f64 v[28:29], v[31:32], -v[35:36]
	v_cmp_le_f64_e32 vcc, 0.5, v[31:32]
	v_add_f64 v[28:29], v[60:61], -v[28:29]
	v_cndmask_b32_e32 v18, 0, v53, vcc
	v_add_f64 v[26:27], v[26:27], v[28:29]
	v_add_f64 v[28:29], v[31:32], -v[17:18]
	v_addc_co_u32_e32 v18, vcc, 0, v41, vcc
	v_add_f64 v[31:32], v[28:29], v[26:27]
	v_mul_f64 v[33:34], v[31:32], s[22:23]
	v_add_f64 v[28:29], v[31:32], -v[28:29]
	v_fma_f64 v[35:36], v[31:32], s[22:23], -v[33:34]
	v_add_f64 v[26:27], v[26:27], -v[28:29]
	v_fma_f64 v[28:29], v[31:32], s[54:55], v[35:36]
	v_fma_f64 v[28:29], v[26:27], s[22:23], v[28:29]
	v_add_f64 v[26:27], v[33:34], v[28:29]
	v_add_f64 v[31:32], v[26:27], -v[33:34]
	v_add_f64 v[28:29], v[28:29], -v[31:32]
.LBB161_55:                             ;   in Loop: Header=BB161_4 Depth=1
	s_andn2_saveexec_b64 s[10:11], s[10:11]
	s_cbranch_execz .LBB161_57
; %bb.56:                               ;   in Loop: Header=BB161_4 Depth=1
	v_mul_f64 v[26:27], |v[3:4]|, s[24:25]
	s_mov_b32 s26, s52
	v_rndne_f64_e32 v[31:32], v[26:27]
	v_fma_f64 v[26:27], v[31:32], s[50:51], |v[3:4]|
	v_mul_f64 v[28:29], v[31:32], s[52:53]
	v_cvt_i32_f64_e32 v18, v[31:32]
	v_fma_f64 v[37:38], v[31:32], s[52:53], v[26:27]
	v_add_f64 v[33:34], v[26:27], v[28:29]
	v_add_f64 v[35:36], v[26:27], -v[33:34]
	v_add_f64 v[33:34], v[33:34], -v[37:38]
	v_add_f64 v[26:27], v[35:36], v[28:29]
	v_fma_f64 v[28:29], v[31:32], s[26:27], v[28:29]
	v_add_f64 v[26:27], v[33:34], v[26:27]
	v_add_f64 v[26:27], v[26:27], -v[28:29]
	v_fma_f64 v[28:29], v[31:32], s[28:29], v[26:27]
	v_add_f64 v[26:27], v[37:38], v[28:29]
	v_add_f64 v[33:34], v[26:27], -v[37:38]
	v_add_f64 v[28:29], v[28:29], -v[33:34]
.LBB161_57:                             ;   in Loop: Header=BB161_4 Depth=1
	s_or_b64 exec, exec, s[10:11]
	v_add_f64 v[31:32], |v[1:2]|, s[64:65]
	s_mov_b32 s58, s64
	s_mov_b32 s10, 0x3b39803f
	;; [unrolled: 1-line block ×7, first 2 shown]
	v_add_f64 v[33:34], v[31:32], -|v[1:2]|
	v_and_b32_e32 v18, 1, v18
	v_add_f64 v[35:36], v[33:34], -v[31:32]
	v_add_f64 v[33:34], v[33:34], s[58:59]
	v_add_f64 v[35:36], |v[1:2]|, v[35:36]
	v_add_f64 v[33:34], v[35:36], -v[33:34]
	v_add_f64 v[33:34], v[33:34], s[10:11]
	s_mov_b32 s10, 0xf278e000
	s_mov_b32 s11, 0xbd53de6a
	v_add_f64 v[35:36], v[31:32], v[33:34]
	v_mul_f64 v[37:38], v[35:36], s[40:41]
	v_add_f64 v[31:32], v[31:32], -v[35:36]
	v_rndne_f64_e32 v[37:38], v[37:38]
	v_add_f64 v[31:32], v[33:34], v[31:32]
	v_fma_f64 v[33:34], v[37:38], s[56:57], v[35:36]
	v_mul_f64 v[35:36], v[37:38], s[10:11]
	s_mov_b32 s10, 0xf97b57a0
	s_mov_b32 s11, 0xbac9cc01
	v_cvt_i32_f64_e32 v3, v[37:38]
	v_add_f64 v[39:40], v[31:32], v[33:34]
	v_add_f64 v[58:59], v[39:40], v[35:36]
	v_add_f64 v[33:34], v[33:34], -v[39:40]
	v_add_f64 v[39:40], v[39:40], -v[58:59]
	v_add_f64 v[31:32], v[31:32], v[33:34]
	v_add_f64 v[33:34], v[39:40], v[35:36]
	;; [unrolled: 1-line block ×3, first 2 shown]
	v_mul_f64 v[33:34], v[37:38], s[10:11]
	s_mov_b32 s10, 0x6a5dcb37
	s_mov_b32 s11, 0x3e5ade15
	v_add_f64 v[35:36], v[58:59], v[31:32]
	v_add_f64 v[39:40], v[35:36], v[33:34]
	v_add_f64 v[58:59], v[58:59], -v[35:36]
	v_add_f64 v[35:36], v[35:36], -v[39:40]
	v_add_f64 v[31:32], v[31:32], v[58:59]
	v_add_f64 v[33:34], v[35:36], v[33:34]
	;; [unrolled: 1-line block ×4, first 2 shown]
	v_fma_f64 v[35:36], v[33:34], s[10:11], v[24:25]
	s_mov_b32 s10, 0x623fde64
	s_mov_b32 s11, 0x3ec71dee
	v_add_f64 v[39:40], v[39:40], -v[33:34]
	v_mul_f64 v[58:59], v[33:34], v[33:34]
	v_fma_f64 v[35:36], v[33:34], v[35:36], s[10:11]
	s_mov_b32 s10, 0x7c89e6b0
	s_mov_b32 s11, 0x3efa0199
	v_add_f64 v[31:32], v[31:32], v[39:40]
	v_fma_f64 v[39:40], v[33:34], v[33:34], -v[58:59]
	v_fma_f64 v[35:36], v[33:34], v[35:36], s[10:11]
	s_mov_b32 s10, 0x14761f6e
	s_mov_b32 s11, 0x3f2a01a0
	v_add_f64 v[60:61], v[31:32], v[31:32]
	v_fma_f64 v[35:36], v[33:34], v[35:36], s[10:11]
	s_mov_b32 s10, 0x1852b7b0
	s_mov_b32 s11, 0x3f56c16c
	v_fma_f64 v[39:40], v[33:34], v[60:61], v[39:40]
	v_fma_f64 v[35:36], v[33:34], v[35:36], s[10:11]
	s_mov_b32 s10, 0x55555511
	s_mov_b32 s11, 0x3fc55555
	v_add_f64 v[60:61], v[58:59], v[39:40]
	v_fma_f64 v[35:36], v[33:34], v[35:36], s[38:39]
	v_add_f64 v[58:59], v[60:61], -v[58:59]
	v_fma_f64 v[35:36], v[33:34], v[35:36], s[92:93]
	v_add_f64 v[39:40], v[39:40], -v[58:59]
	v_fma_f64 v[35:36], v[33:34], v[35:36], s[10:11]
	s_mov_b32 s10, 11
	s_mov_b32 s11, 0x3fe00000
	v_fma_f64 v[35:36], v[33:34], v[35:36], s[10:11]
	s_mov_b32 s10, 0xc751c08c
	s_mov_b32 s11, 0x3ef5e089
	v_mul_f64 v[62:63], v[60:61], v[35:36]
	v_fma_f64 v[58:59], v[60:61], v[35:36], -v[62:63]
	v_fma_f64 v[35:36], v[39:40], v[35:36], v[58:59]
	v_add_f64 v[39:40], v[62:63], v[35:36]
	v_add_f64 v[58:59], v[33:34], v[39:40]
	v_add_f64 v[60:61], v[39:40], -v[62:63]
	v_add_f64 v[33:34], v[58:59], -v[33:34]
	;; [unrolled: 1-line block ×3, first 2 shown]
	v_add_f64 v[60:61], v[28:29], v[28:29]
	v_add_f64 v[33:34], v[39:40], -v[33:34]
	v_add_f64 v[31:32], v[31:32], v[35:36]
	v_add_f64 v[31:32], v[31:32], v[33:34]
	v_add_f64 v[33:34], v[58:59], v[31:32]
	v_add_f64 v[35:36], v[33:34], 1.0
	v_add_f64 v[39:40], v[33:34], -v[58:59]
	v_add_f64 v[58:59], v[35:36], -1.0
	v_add_f64 v[31:32], v[31:32], -v[39:40]
	v_add_f64 v[33:34], v[33:34], -v[58:59]
	v_add_f64 v[31:32], v[31:32], v[33:34]
	v_add_f64 v[33:34], v[35:36], v[31:32]
	v_ldexp_f64 v[37:38], v[33:34], v3
	v_add_f64 v[33:34], v[33:34], -v[35:36]
	v_rcp_f64_e32 v[39:40], v[37:38]
	v_add_f64 v[31:32], v[31:32], -v[33:34]
	v_ldexp_f64 v[31:32], v[31:32], v3
	v_fma_f64 v[58:59], -v[37:38], v[39:40], 1.0
	v_fma_f64 v[39:40], v[58:59], v[39:40], v[39:40]
	v_fma_f64 v[58:59], -v[37:38], v[39:40], 1.0
	v_fma_f64 v[35:36], v[58:59], v[39:40], v[39:40]
	v_mul_f64 v[39:40], v[26:27], v[26:27]
	v_mul_f64 v[33:34], v[37:38], v[35:36]
	v_fma_f64 v[62:63], v[26:27], v[26:27], -v[39:40]
	v_fma_f64 v[58:59], v[35:36], v[37:38], -v[33:34]
	v_fma_f64 v[60:61], v[26:27], v[60:61], v[62:63]
	v_fma_f64 v[58:59], v[35:36], v[31:32], v[58:59]
	v_add_f64 v[39:40], v[39:40], v[60:61]
	v_add_f64 v[62:63], v[33:34], v[58:59]
	v_fma_f64 v[64:65], v[39:40], s[10:11], v[22:23]
	s_mov_b32 s10, 0x90a8aae0
	s_mov_b32 s11, 0x3f17746f
	v_add_f64 v[60:61], -v[62:63], 1.0
	v_add_f64 v[33:34], v[62:63], -v[33:34]
	v_fma_f64 v[64:65], v[39:40], v[64:65], s[10:11]
	s_mov_b32 s10, 0xa6fbf144
	s_mov_b32 s11, 0xbefbb44d
	v_add_f64 v[66:67], -v[60:61], 1.0
	v_add_f64 v[33:34], v[33:34], -v[58:59]
	v_add_f64 v[58:59], v[66:67], -v[62:63]
	v_fma_f64 v[62:63], v[39:40], v[64:65], s[10:11]
	s_mov_b32 s10, 0xa7943acf
	s_mov_b32 s11, 0x3f21e634
	v_add_f64 v[33:34], v[33:34], v[58:59]
	v_fma_f64 v[58:59], v[39:40], v[62:63], s[10:11]
	s_mov_b32 s10, 0xdeb68feb
	s_mov_b32 s11, 0x3f2d250f
	v_add_f64 v[62:63], v[60:61], v[33:34]
	v_fma_f64 v[58:59], v[39:40], v[58:59], s[10:11]
	s_mov_b32 s10, 0xb58c4d95
	s_mov_b32 s11, 0x3f437fd9
	v_mul_f64 v[64:65], v[35:36], v[62:63]
	v_fma_f64 v[58:59], v[39:40], v[58:59], s[10:11]
	s_mov_b32 s10, 0x15120e2c
	s_mov_b32 s11, 0x3f57d5af
	v_add_f64 v[60:61], v[60:61], -v[62:63]
	v_mul_f64 v[66:67], v[37:38], v[64:65]
	v_fma_f64 v[58:59], v[39:40], v[58:59], s[10:11]
	s_mov_b32 s10, 0xe09491df
	s_mov_b32 s11, 0x3f6d6d93
	v_add_f64 v[33:34], v[33:34], v[60:61]
	v_fma_f64 v[68:69], v[64:65], v[37:38], -v[66:67]
	v_fma_f64 v[58:59], v[39:40], v[58:59], s[10:11]
	s_mov_b32 s10, 0x2033784d
	s_mov_b32 s11, 0x3f8226e1
	v_fma_f64 v[68:69], v[64:65], v[31:32], v[68:69]
	v_fma_f64 v[58:59], v[39:40], v[58:59], s[10:11]
	s_mov_b32 s10, 0x9ac36ae2
	s_mov_b32 s11, 0x3f9664f4
	v_add_f64 v[70:71], v[66:67], v[68:69]
	v_fma_f64 v[58:59], v[39:40], v[58:59], s[10:11]
	s_mov_b32 s10, 0x1b451c21
	s_mov_b32 s11, 0x3faba1ba
	v_add_f64 v[72:73], v[62:63], -v[70:71]
	v_fma_f64 v[58:59], v[39:40], v[58:59], s[10:11]
	s_mov_b32 s10, 0x111185b7
	s_mov_b32 s11, 0x3fc11111
	v_add_f64 v[60:61], v[70:71], -v[66:67]
	v_add_f64 v[62:63], v[62:63], -v[72:73]
	v_fma_f64 v[58:59], v[39:40], v[58:59], s[10:11]
	s_mov_b32 s10, 0x555554ee
	s_mov_b32 s11, 0x3fd55555
	v_add_f64 v[60:61], v[60:61], -v[68:69]
	v_add_f64 v[62:63], v[62:63], -v[70:71]
	v_fma_f64 v[58:59], v[39:40], v[58:59], s[10:11]
	s_mov_b32 s10, 0x8fb9f87e
	s_mov_b32 s11, 0x408633ce
	v_cmp_nge_f64_e64 vcc, |v[1:2]|, s[10:11]
	s_mov_b32 s10, 0
	s_mov_b32 s11, 0x3e400000
	v_add_f64 v[33:34], v[33:34], v[62:63]
	v_mul_f64 v[39:40], v[39:40], v[58:59]
	v_add_f64 v[58:59], v[35:36], v[64:65]
	v_add_f64 v[33:34], v[60:61], v[33:34]
	v_mul_f64 v[60:61], v[26:27], v[39:40]
	v_add_f64 v[62:63], v[58:59], -v[35:36]
	v_add_f64 v[33:34], v[72:73], v[33:34]
	v_add_f64 v[66:67], v[26:27], v[60:61]
	v_add_f64 v[62:63], v[64:65], -v[62:63]
	v_mul_f64 v[33:34], v[35:36], v[33:34]
	v_fma_f64 v[35:36], v[26:27], v[39:40], -v[60:61]
	v_add_f64 v[26:27], v[66:67], -v[26:27]
	v_add_f64 v[33:34], v[62:63], v[33:34]
	v_add_f64 v[28:29], v[28:29], v[35:36]
	v_add_f64 v[26:27], v[60:61], -v[26:27]
	v_add_f64 v[35:36], v[58:59], v[33:34]
	v_add_f64 v[26:27], v[28:29], v[26:27]
	v_ldexp_f64 v[28:29], v[35:36], -2
	v_add_f64 v[35:36], v[35:36], -v[58:59]
	v_add_f64 v[39:40], v[66:67], v[26:27]
	v_add_f64 v[60:61], v[37:38], -v[28:29]
	v_add_f64 v[33:34], v[33:34], -v[35:36]
	v_rcp_f64_e32 v[62:63], v[39:40]
	v_add_f64 v[37:38], v[37:38], -v[60:61]
	v_ldexp_f64 v[33:34], v[33:34], -2
	v_add_f64 v[28:29], v[37:38], -v[28:29]
	v_fma_f64 v[35:36], -v[39:40], v[62:63], 1.0
	v_add_f64 v[28:29], v[31:32], v[28:29]
	v_fma_f64 v[31:32], v[35:36], v[62:63], v[62:63]
	v_add_f64 v[28:29], v[28:29], -v[33:34]
	v_fma_f64 v[33:34], -v[39:40], v[31:32], 1.0
	v_add_f64 v[28:29], v[60:61], v[28:29]
	v_fma_f64 v[31:32], v[33:34], v[31:32], v[31:32]
	v_cndmask_b32_e32 v3, v54, v29, vcc
	v_cndmask_b32_e32 v35, 0, v28, vcc
	v_cmp_lt_f64_e64 vcc, |v[1:2]|, s[10:11]
	v_add_f64 v[28:29], v[39:40], -v[66:67]
	v_mul_f64 v[33:34], v[39:40], v[31:32]
	s_mov_b32 s10, 0
	s_brev_b32 s11, 8
	v_cndmask_b32_e32 v3, v3, v30, vcc
	v_cndmask_b32_e32 v1, v35, v1, vcc
	v_bfi_b32 v2, s75, v3, v2
	v_fma_f64 v[35:36], v[1:2], v[1:2], 1.0
	v_add_f64 v[26:27], v[26:27], -v[28:29]
	v_fma_f64 v[28:29], v[31:32], v[39:40], -v[33:34]
	v_and_b32_e32 v30, 0x80000000, v4
	v_cmp_gt_f64_e32 vcc, s[10:11], v[35:36]
	v_cmp_eq_u32_e64 s[10:11], 0, v18
	v_fma_f64 v[26:27], v[31:32], v[26:27], v[28:29]
	v_cndmask_b32_e32 v3, 0, v55, vcc
	v_ldexp_f64 v[35:36], v[35:36], v3
	v_add_f64 v[37:38], v[33:34], v[26:27]
	v_rsq_f64_e32 v[28:29], v[35:36]
	v_add_f64 v[58:59], -v[37:38], 1.0
	v_add_f64 v[33:34], v[37:38], -v[33:34]
	v_add_f64 v[62:63], -v[58:59], 1.0
	v_add_f64 v[26:27], v[33:34], -v[26:27]
	v_mul_f64 v[60:61], v[35:36], v[28:29]
	v_mul_f64 v[28:29], v[28:29], 0.5
	v_add_f64 v[37:38], v[62:63], -v[37:38]
	v_fma_f64 v[33:34], -v[28:29], v[60:61], 0.5
	v_add_f64 v[26:27], v[26:27], v[37:38]
	v_fma_f64 v[60:61], v[60:61], v[33:34], v[60:61]
	v_fma_f64 v[28:29], v[28:29], v[33:34], v[28:29]
	v_add_f64 v[26:27], v[58:59], v[26:27]
	v_fma_f64 v[33:34], -v[60:61], v[60:61], v[35:36]
	v_mul_f64 v[26:27], v[31:32], v[26:27]
	v_fma_f64 v[33:34], v[33:34], v[28:29], v[60:61]
	v_add_f64 v[26:27], v[31:32], v[26:27]
	v_fma_f64 v[37:38], -v[33:34], v[33:34], v[35:36]
	v_xor_b32_e32 v27, 0x80000000, v27
	v_cndmask_b32_e64 v18, v27, v40, s[10:11]
	v_xor_b32_e32 v27, v18, v30
	v_cndmask_b32_e32 v18, 0, v56, vcc
	v_cndmask_b32_e64 v26, v26, v39, s[10:11]
	v_cmp_class_f64_e32 vcc, v[35:36], v51
	v_fma_f64 v[3:4], v[37:38], v[28:29], v[33:34]
	v_fma_f64 v[28:29], v[26:27], v[26:27], 1.0
	v_ldexp_f64 v[3:4], v[3:4], v18
	v_mul_f64 v[30:31], v[1:2], v[28:29]
	v_cndmask_b32_e32 v4, v4, v36, vcc
	v_cndmask_b32_e32 v3, v3, v35, vcc
	v_mul_f64 v[3:4], v[3:4], v[28:29]
	v_fma_f64 v[28:29], v[1:2], v[30:31], 1.0
	v_mul_f64 v[1:2], v[1:2], v[3:4]
	v_div_scale_f64 v[30:31], s[10:11], v[28:29], v[28:29], v[26:27]
	v_div_scale_f64 v[3:4], s[10:11], v[28:29], v[28:29], v[1:2]
	v_div_scale_f64 v[40:41], s[10:11], v[26:27], v[28:29], v[26:27]
	v_rcp_f64_e32 v[34:35], v[30:31]
	v_rcp_f64_e32 v[32:33], v[3:4]
	v_fma_f64 v[38:39], -v[30:31], v[34:35], 1.0
	v_fma_f64 v[36:37], -v[3:4], v[32:33], 1.0
	v_fma_f64 v[34:35], v[34:35], v[38:39], v[34:35]
	v_fma_f64 v[32:33], v[32:33], v[36:37], v[32:33]
	v_div_scale_f64 v[36:37], vcc, v[1:2], v[28:29], v[1:2]
	v_fma_f64 v[58:59], -v[30:31], v[34:35], 1.0
	v_fma_f64 v[38:39], -v[3:4], v[32:33], 1.0
	v_fma_f64 v[34:35], v[34:35], v[58:59], v[34:35]
	v_fma_f64 v[32:33], v[32:33], v[38:39], v[32:33]
	v_mul_f64 v[58:59], v[40:41], v[34:35]
	v_mul_f64 v[38:39], v[36:37], v[32:33]
	v_fma_f64 v[30:31], -v[30:31], v[58:59], v[40:41]
	v_fma_f64 v[3:4], -v[3:4], v[38:39], v[36:37]
	v_div_fmas_f64 v[3:4], v[3:4], v[32:33], v[38:39]
	s_mov_b64 vcc, s[10:11]
	v_div_fmas_f64 v[30:31], v[30:31], v[34:35], v[58:59]
	v_div_fixup_f64 v[1:2], v[3:4], v[28:29], v[1:2]
	v_div_fixup_f64 v[3:4], v[30:31], v[28:29], v[26:27]
.LBB161_58:                             ;   in Loop: Header=BB161_4 Depth=1
	s_andn2_saveexec_b64 s[10:11], s[68:69]
	s_cbranch_execz .LBB161_68
; %bb.59:                               ;   in Loop: Header=BB161_4 Depth=1
	v_cmp_nlt_f64_e64 s[68:69], |v[3:4]|, s[44:45]
                                        ; implicit-def: $vgpr39
                                        ; implicit-def: $vgpr30_vgpr31
                                        ; implicit-def: $vgpr36_vgpr37
	s_and_saveexec_b64 s[70:71], s[68:69]
	s_xor_b64 s[70:71], exec, s[70:71]
	s_cbranch_execz .LBB161_61
; %bb.60:                               ;   in Loop: Header=BB161_4 Depth=1
	v_trig_preop_f64 v[26:27], |v[3:4]|, 0
	v_ldexp_f64 v[28:29], |v[3:4]|, s79
	v_cmp_ge_f64_e64 vcc, |v[3:4]|, s[46:47]
	v_trig_preop_f64 v[30:31], |v[3:4]|, 1
	v_and_b32_e32 v18, 0x7fffffff, v4
	v_trig_preop_f64 v[38:39], |v[3:4]|, 2
	s_mov_b32 s22, s50
	s_mov_b32 s55, s27
	v_cndmask_b32_e32 v29, v18, v29, vcc
	v_cndmask_b32_e32 v28, v3, v28, vcc
	v_mul_f64 v[32:33], v[26:27], v[28:29]
	v_mul_f64 v[34:35], v[30:31], v[28:29]
	;; [unrolled: 1-line block ×3, first 2 shown]
	v_fma_f64 v[26:27], v[26:27], v[28:29], -v[32:33]
	v_fma_f64 v[30:31], v[30:31], v[28:29], -v[34:35]
	;; [unrolled: 1-line block ×3, first 2 shown]
	v_add_f64 v[36:37], v[34:35], v[26:27]
	v_add_f64 v[40:41], v[36:37], -v[34:35]
	v_add_f64 v[62:63], v[32:33], v[36:37]
	v_add_f64 v[58:59], v[36:37], -v[40:41]
	v_add_f64 v[26:27], v[26:27], -v[40:41]
	v_add_f64 v[40:41], v[60:61], v[30:31]
	v_add_f64 v[32:33], v[62:63], -v[32:33]
	v_add_f64 v[34:35], v[34:35], -v[58:59]
	v_ldexp_f64 v[58:59], v[62:63], -2
	v_add_f64 v[64:65], v[40:41], -v[60:61]
	v_add_f64 v[32:33], v[36:37], -v[32:33]
	v_add_f64 v[26:27], v[26:27], v[34:35]
	v_fract_f64_e32 v[34:35], v[58:59]
	v_cmp_neq_f64_e64 vcc, |v[58:59]|, s[48:49]
	v_add_f64 v[30:31], v[30:31], -v[64:65]
	v_add_f64 v[36:37], v[40:41], v[26:27]
	v_ldexp_f64 v[34:35], v[34:35], 2
	v_add_f64 v[58:59], v[32:33], v[36:37]
	v_cndmask_b32_e32 v35, 0, v35, vcc
	v_cndmask_b32_e32 v34, 0, v34, vcc
	v_add_f64 v[66:67], v[36:37], -v[40:41]
	v_add_f64 v[62:63], v[58:59], v[34:35]
	v_add_f64 v[32:33], v[58:59], -v[32:33]
	v_add_f64 v[68:69], v[36:37], -v[66:67]
	;; [unrolled: 1-line block ×3, first 2 shown]
	v_cmp_gt_f64_e32 vcc, 0, v[62:63]
	v_add_f64 v[62:63], v[40:41], -v[64:65]
	v_add_f64 v[32:33], v[36:37], -v[32:33]
	;; [unrolled: 1-line block ×3, first 2 shown]
	v_cndmask_b32_e32 v18, 0, v52, vcc
	v_add_f64 v[34:35], v[34:35], v[17:18]
	v_add_f64 v[62:63], v[60:61], -v[62:63]
	v_add_f64 v[26:27], v[26:27], v[40:41]
	v_add_f64 v[70:71], v[58:59], v[34:35]
	;; [unrolled: 1-line block ×3, first 2 shown]
	v_cvt_i32_f64_e32 v66, v[70:71]
	v_add_f64 v[26:27], v[30:31], v[26:27]
	v_cvt_f64_i32_e32 v[64:65], v66
	v_add_f64 v[34:35], v[34:35], -v[64:65]
	v_add_f64 v[26:27], v[28:29], v[26:27]
	v_add_f64 v[30:31], v[58:59], v[34:35]
	;; [unrolled: 1-line block ×3, first 2 shown]
	v_add_f64 v[28:29], v[30:31], -v[34:35]
	v_cmp_le_f64_e32 vcc, 0.5, v[30:31]
	v_add_f64 v[28:29], v[58:59], -v[28:29]
	v_cndmask_b32_e32 v18, 0, v53, vcc
	v_addc_co_u32_e32 v39, vcc, 0, v66, vcc
	v_add_f64 v[26:27], v[26:27], v[28:29]
	v_add_f64 v[28:29], v[30:31], -v[17:18]
	v_add_f64 v[30:31], v[28:29], v[26:27]
	v_mul_f64 v[32:33], v[30:31], s[22:23]
	v_add_f64 v[28:29], v[30:31], -v[28:29]
	v_fma_f64 v[34:35], v[30:31], s[22:23], -v[32:33]
	v_add_f64 v[26:27], v[26:27], -v[28:29]
	v_fma_f64 v[28:29], v[30:31], s[54:55], v[34:35]
	v_fma_f64 v[26:27], v[26:27], s[22:23], v[28:29]
	v_add_f64 v[30:31], v[32:33], v[26:27]
	v_add_f64 v[28:29], v[30:31], -v[32:33]
	v_add_f64 v[36:37], v[26:27], -v[28:29]
	s_andn2_saveexec_b64 s[70:71], s[70:71]
	s_cbranch_execz .LBB161_63
	s_branch .LBB161_62
.LBB161_61:                             ;   in Loop: Header=BB161_4 Depth=1
	s_andn2_saveexec_b64 s[70:71], s[70:71]
	s_cbranch_execz .LBB161_63
.LBB161_62:                             ;   in Loop: Header=BB161_4 Depth=1
	v_mul_f64 v[26:27], |v[3:4]|, s[24:25]
	s_mov_b32 s26, s52
	v_rndne_f64_e32 v[26:27], v[26:27]
	v_fma_f64 v[28:29], v[26:27], s[50:51], |v[3:4]|
	v_mul_f64 v[30:31], v[26:27], s[52:53]
	v_cvt_i32_f64_e32 v39, v[26:27]
	v_add_f64 v[32:33], v[28:29], v[30:31]
	v_add_f64 v[34:35], v[28:29], -v[32:33]
	v_fma_f64 v[28:29], v[26:27], s[52:53], v[28:29]
	v_add_f64 v[34:35], v[34:35], v[30:31]
	v_add_f64 v[32:33], v[32:33], -v[28:29]
	v_fma_f64 v[30:31], v[26:27], s[26:27], v[30:31]
	;; [unrolled: 3-line block ×3, first 2 shown]
	v_add_f64 v[30:31], v[28:29], v[32:33]
	v_add_f64 v[28:29], v[30:31], -v[28:29]
	v_add_f64 v[36:37], v[32:33], -v[28:29]
.LBB161_63:                             ;   in Loop: Header=BB161_4 Depth=1
	s_or_b64 exec, exec, s[70:71]
                                        ; implicit-def: $vgpr38
                                        ; implicit-def: $vgpr26_vgpr27
                                        ; implicit-def: $vgpr28_vgpr29
	s_and_saveexec_b64 s[70:71], s[68:69]
	s_xor_b64 s[68:69], exec, s[70:71]
	s_cbranch_execz .LBB161_65
; %bb.64:                               ;   in Loop: Header=BB161_4 Depth=1
	v_trig_preop_f64 v[26:27], |v[3:4]|, 0
	v_ldexp_f64 v[28:29], |v[3:4]|, s79
	v_cmp_ge_f64_e64 vcc, |v[3:4]|, s[46:47]
	v_trig_preop_f64 v[32:33], |v[3:4]|, 1
	v_and_b32_e32 v18, 0x7fffffff, v4
	v_trig_preop_f64 v[60:61], |v[3:4]|, 2
	s_mov_b32 s22, s50
	s_mov_b32 s55, s27
	v_cndmask_b32_e32 v29, v18, v29, vcc
	v_cndmask_b32_e32 v28, v3, v28, vcc
	v_mul_f64 v[34:35], v[26:27], v[28:29]
	v_mul_f64 v[40:41], v[32:33], v[28:29]
	;; [unrolled: 1-line block ×3, first 2 shown]
	v_fma_f64 v[26:27], v[26:27], v[28:29], -v[34:35]
	v_fma_f64 v[32:33], v[32:33], v[28:29], -v[40:41]
	;; [unrolled: 1-line block ×3, first 2 shown]
	v_add_f64 v[58:59], v[40:41], v[26:27]
	v_add_f64 v[62:63], v[58:59], -v[40:41]
	v_add_f64 v[68:69], v[34:35], v[58:59]
	v_add_f64 v[64:65], v[58:59], -v[62:63]
	v_add_f64 v[26:27], v[26:27], -v[62:63]
	v_add_f64 v[62:63], v[66:67], v[32:33]
	v_add_f64 v[34:35], v[68:69], -v[34:35]
	v_add_f64 v[40:41], v[40:41], -v[64:65]
	v_ldexp_f64 v[64:65], v[68:69], -2
	v_add_f64 v[70:71], v[62:63], -v[66:67]
	v_add_f64 v[34:35], v[58:59], -v[34:35]
	v_add_f64 v[26:27], v[26:27], v[40:41]
	v_fract_f64_e32 v[40:41], v[64:65]
	v_cmp_neq_f64_e64 vcc, |v[64:65]|, s[48:49]
	v_add_f64 v[32:33], v[32:33], -v[70:71]
	v_add_f64 v[58:59], v[62:63], v[26:27]
	v_ldexp_f64 v[40:41], v[40:41], 2
	v_add_f64 v[64:65], v[34:35], v[58:59]
	v_cndmask_b32_e32 v41, 0, v41, vcc
	v_cndmask_b32_e32 v40, 0, v40, vcc
	v_add_f64 v[72:73], v[58:59], -v[62:63]
	v_add_f64 v[68:69], v[64:65], v[40:41]
	v_add_f64 v[34:35], v[64:65], -v[34:35]
	v_add_f64 v[74:75], v[58:59], -v[72:73]
	v_add_f64 v[26:27], v[26:27], -v[72:73]
	v_cmp_gt_f64_e32 vcc, 0, v[68:69]
	v_add_f64 v[68:69], v[62:63], -v[70:71]
	v_add_f64 v[34:35], v[58:59], -v[34:35]
	;; [unrolled: 1-line block ×3, first 2 shown]
	v_cndmask_b32_e32 v18, 0, v52, vcc
	v_add_f64 v[40:41], v[40:41], v[17:18]
	v_add_f64 v[68:69], v[66:67], -v[68:69]
	v_add_f64 v[26:27], v[26:27], v[62:63]
	v_add_f64 v[76:77], v[64:65], v[40:41]
	;; [unrolled: 1-line block ×3, first 2 shown]
	v_cvt_i32_f64_e32 v38, v[76:77]
	v_add_f64 v[26:27], v[32:33], v[26:27]
	v_cvt_f64_i32_e32 v[70:71], v38
	v_add_f64 v[40:41], v[40:41], -v[70:71]
	v_add_f64 v[26:27], v[28:29], v[26:27]
	v_add_f64 v[32:33], v[64:65], v[40:41]
	;; [unrolled: 1-line block ×3, first 2 shown]
	v_add_f64 v[28:29], v[32:33], -v[40:41]
	v_cmp_le_f64_e32 vcc, 0.5, v[32:33]
	v_add_f64 v[28:29], v[64:65], -v[28:29]
	v_cndmask_b32_e32 v18, 0, v53, vcc
	v_addc_co_u32_e32 v38, vcc, 0, v38, vcc
	v_add_f64 v[26:27], v[26:27], v[28:29]
	v_add_f64 v[28:29], v[32:33], -v[17:18]
	v_add_f64 v[32:33], v[28:29], v[26:27]
	v_mul_f64 v[34:35], v[32:33], s[22:23]
	v_add_f64 v[28:29], v[32:33], -v[28:29]
	v_fma_f64 v[40:41], v[32:33], s[22:23], -v[34:35]
	v_add_f64 v[26:27], v[26:27], -v[28:29]
	v_fma_f64 v[28:29], v[32:33], s[54:55], v[40:41]
	v_fma_f64 v[28:29], v[26:27], s[22:23], v[28:29]
	v_add_f64 v[26:27], v[34:35], v[28:29]
	v_add_f64 v[32:33], v[26:27], -v[34:35]
	v_add_f64 v[28:29], v[28:29], -v[32:33]
	s_andn2_saveexec_b64 s[68:69], s[68:69]
	s_cbranch_execnz .LBB161_66
	s_branch .LBB161_67
.LBB161_65:                             ;   in Loop: Header=BB161_4 Depth=1
	s_andn2_saveexec_b64 s[68:69], s[68:69]
	s_cbranch_execz .LBB161_67
.LBB161_66:                             ;   in Loop: Header=BB161_4 Depth=1
	v_mul_f64 v[26:27], |v[3:4]|, s[24:25]
	s_mov_b32 s26, s52
	v_rndne_f64_e32 v[32:33], v[26:27]
	v_fma_f64 v[26:27], v[32:33], s[50:51], |v[3:4]|
	v_mul_f64 v[28:29], v[32:33], s[52:53]
	v_cvt_i32_f64_e32 v38, v[32:33]
	v_fma_f64 v[58:59], v[32:33], s[52:53], v[26:27]
	v_add_f64 v[34:35], v[26:27], v[28:29]
	v_add_f64 v[40:41], v[26:27], -v[34:35]
	v_add_f64 v[34:35], v[34:35], -v[58:59]
	v_add_f64 v[26:27], v[40:41], v[28:29]
	v_fma_f64 v[28:29], v[32:33], s[26:27], v[28:29]
	v_add_f64 v[26:27], v[34:35], v[26:27]
	v_add_f64 v[26:27], v[26:27], -v[28:29]
	v_fma_f64 v[28:29], v[32:33], s[28:29], v[26:27]
	v_add_f64 v[26:27], v[58:59], v[28:29]
	v_add_f64 v[34:35], v[26:27], -v[58:59]
	v_add_f64 v[28:29], v[28:29], -v[34:35]
.LBB161_67:                             ;   in Loop: Header=BB161_4 Depth=1
	s_or_b64 exec, exec, s[68:69]
	v_mul_f64 v[40:41], v[30:31], v[30:31]
	v_mul_f64 v[64:65], v[36:37], 0.5
	s_mov_b32 s12, s14
	v_and_b32_e32 v3, 1, v39
	v_cmp_eq_u32_e32 vcc, 0, v3
	s_mov_b32 s68, 0x3b39803f
	s_mov_b32 s69, 0xbc7abc9e
	;; [unrolled: 1-line block ×3, first 2 shown]
	v_mul_f64 v[32:33], v[40:41], 0.5
	v_mul_f64 v[60:61], v[40:41], v[40:41]
	s_mov_b32 s93, s15
	v_add_f64 v[58:59], -v[32:33], 1.0
	v_add_f64 v[34:35], -v[58:59], 1.0
	v_add_f64 v[32:33], v[34:35], -v[32:33]
	v_mov_b32_e32 v34, s82
	v_mov_b32_e32 v35, s83
	v_fma_f64 v[62:63], v[40:41], s[84:85], v[34:35]
	v_fma_f64 v[32:33], v[30:31], -v[36:37], v[32:33]
	v_fma_f64 v[62:63], v[40:41], v[62:63], s[86:87]
	v_fma_f64 v[62:63], v[40:41], v[62:63], s[88:89]
	;; [unrolled: 1-line block ×5, first 2 shown]
	v_mul_f64 v[62:63], v[30:31], -v[40:41]
	v_add_f64 v[58:59], v[58:59], v[32:33]
	v_mov_b32_e32 v32, s94
	v_mov_b32_e32 v33, s95
	v_fma_f64 v[60:61], v[40:41], s[30:31], v[32:33]
	v_fma_f64 v[60:61], v[40:41], v[60:61], s[34:35]
	;; [unrolled: 1-line block ×5, first 2 shown]
	v_fma_f64 v[36:37], v[40:41], v[60:61], -v[36:37]
	v_fma_f64 v[36:37], v[62:63], s[12:13], v[36:37]
	v_add_f64 v[30:31], v[30:31], -v[36:37]
	v_cndmask_b32_e32 v3, v58, v30, vcc
	v_lshlrev_b32_e32 v30, 30, v39
	v_cndmask_b32_e32 v18, v59, v31, vcc
	v_xor_b32_e32 v4, v30, v4
	v_mul_f64 v[30:31], |v[1:2]|, s[62:63]
	v_and_b32_e32 v4, 0x80000000, v4
	v_xor_b32_e32 v4, v18, v4
	v_mul_f64 v[3:4], v[3:4], 4.0
	v_rndne_f64_e32 v[30:31], v[30:31]
	v_fma_f64 v[36:37], v[30:31], s[64:65], -|v[1:2]|
	v_cvt_i32_f64_e32 v18, v[30:31]
	v_fma_f64 v[36:37], v[30:31], s[68:69], v[36:37]
	s_mov_b32 s68, 0x6a5dcb37
	s_mov_b32 s69, 0x3e5ade15
	v_fma_f64 v[39:40], v[36:37], s[68:69], v[24:25]
	s_mov_b32 s68, 0x623fde64
	s_mov_b32 s69, 0x3ec71dee
	;; [unrolled: 3-line block ×6, first 2 shown]
	v_fma_f64 v[39:40], v[36:37], v[39:40], s[38:39]
	v_fma_f64 v[39:40], v[36:37], v[39:40], s[92:93]
	;; [unrolled: 1-line block ×3, first 2 shown]
	s_mov_b32 s68, 11
	s_mov_b32 s69, 0x3fe00000
	v_fma_f64 v[39:40], v[36:37], v[39:40], s[68:69]
	s_mov_b32 s68, 0
	s_mov_b32 s69, 0x4090cc00
	v_cmp_ngt_f64_e64 vcc, |v[1:2]|, s[68:69]
	v_fma_f64 v[39:40], v[36:37], v[39:40], 1.0
	v_fma_f64 v[36:37], v[36:37], v[39:40], 1.0
	v_ldexp_f64 v[30:31], v[36:37], v18
	v_bfi_b32 v18, s75, v53, v2
	v_mul_f64 v[1:2], v[26:27], v[26:27]
	v_cndmask_b32_e32 v31, 0, v31, vcc
	v_cndmask_b32_e32 v30, 0, v30, vcc
	v_mul_f64 v[36:37], v[1:2], 0.5
	v_fma_f64 v[34:35], v[1:2], s[84:85], v[34:35]
	v_fma_f64 v[32:33], v[1:2], s[30:31], v[32:33]
	v_add_f64 v[39:40], -v[36:37], 1.0
	v_fma_f64 v[34:35], v[1:2], v[34:35], s[86:87]
	v_fma_f64 v[32:33], v[1:2], v[32:33], s[34:35]
	v_add_f64 v[58:59], -v[39:40], 1.0
	v_fma_f64 v[34:35], v[1:2], v[34:35], s[88:89]
	v_fma_f64 v[32:33], v[1:2], v[32:33], s[36:37]
	v_add_f64 v[36:37], v[58:59], -v[36:37]
	v_fma_f64 v[34:35], v[1:2], v[34:35], s[90:91]
	v_mul_f64 v[58:59], v[1:2], v[1:2]
	v_fma_f64 v[32:33], v[1:2], v[32:33], s[80:81]
	v_fma_f64 v[36:37], v[26:27], -v[28:29], v[36:37]
	v_fma_f64 v[34:35], v[1:2], v[34:35], s[14:15]
	v_fma_f64 v[34:35], v[58:59], v[34:35], v[36:37]
	v_mul_f64 v[36:37], v[26:27], -v[1:2]
	v_add_f64 v[34:35], v[39:40], v[34:35]
	v_mul_f64 v[39:40], v[28:29], 0.5
	v_fma_f64 v[32:33], v[36:37], v[32:33], v[39:40]
	v_fma_f64 v[1:2], v[1:2], v[32:33], -v[28:29]
	v_fma_f64 v[1:2], v[36:37], s[12:13], v[1:2]
	v_add_f64 v[1:2], v[26:27], -v[1:2]
	v_and_b32_e32 v26, 1, v38
	v_cmp_eq_u32_e32 vcc, 0, v26
	v_lshlrev_b32_e32 v26, 30, v38
	v_and_b32_e32 v26, 0x80000000, v26
	v_xor_b32_e32 v2, 0x80000000, v2
	v_cndmask_b32_e32 v2, v2, v35, vcc
	v_cndmask_b32_e32 v1, v1, v34, vcc
	v_xor_b32_e32 v2, v2, v26
	v_mul_f64 v[1:2], v[3:4], v[1:2]
	v_mul_f64 v[1:2], v[30:31], v[1:2]
	;; [unrolled: 1-line block ×3, first 2 shown]
	v_mov_b32_e32 v1, v17
	v_mov_b32_e32 v2, v18
.LBB161_68:                             ;   in Loop: Header=BB161_4 Depth=1
	s_or_b64 exec, exec, s[10:11]
.LBB161_69:                             ;   in Loop: Header=BB161_4 Depth=1
	s_andn2_saveexec_b64 s[10:11], s[66:67]
	s_cbranch_execz .LBB161_71
; %bb.70:                               ;   in Loop: Header=BB161_4 Depth=1
	v_add_f64 v[3:4], v[3:4], -v[3:4]
	v_mov_b32_e32 v1, v3
	v_mov_b32_e32 v2, v4
.LBB161_71:                             ;   in Loop: Header=BB161_4 Depth=1
	s_or_b64 exec, exec, s[10:11]
.LBB161_72:                             ;   in Loop: Header=BB161_4 Depth=1
	s_andn2_saveexec_b64 s[60:61], s[60:61]
	s_cbranch_execz .LBB161_88
; %bb.73:                               ;   in Loop: Header=BB161_4 Depth=1
	v_and_or_b32 v18, v2, s78, v1
	v_cmp_ne_u32_e32 vcc, 0, v18
	s_and_saveexec_b64 s[10:11], vcc
	s_xor_b64 s[10:11], exec, s[10:11]
	s_cbranch_execz .LBB161_75
; %bb.74:                               ;   in Loop: Header=BB161_4 Depth=1
	v_mul_f64 v[26:27], v[3:4], v[1:2]
	v_cmp_eq_f64_e32 vcc, 0, v[3:4]
	v_cndmask_b32_e32 v4, v27, v4, vcc
	v_cndmask_b32_e32 v3, v26, v3, vcc
.LBB161_75:                             ;   in Loop: Header=BB161_4 Depth=1
	s_andn2_saveexec_b64 s[66:67], s[10:11]
	s_cbranch_execz .LBB161_87
; %bb.76:                               ;   in Loop: Header=BB161_4 Depth=1
	v_cmp_neq_f64_e64 s[10:11], |v[3:4]|, s[48:49]
	s_and_saveexec_b64 s[68:69], s[10:11]
	s_cbranch_execz .LBB161_86
; %bb.77:                               ;   in Loop: Header=BB161_4 Depth=1
	v_trig_preop_f64 v[38:39], |v[3:4]|, 0
	v_trig_preop_f64 v[36:37], |v[3:4]|, 1
	v_trig_preop_f64 v[30:31], |v[3:4]|, 2
	v_cmp_nlt_f64_e64 s[10:11], |v[3:4]|, s[44:45]
	v_ldexp_f64 v[40:41], |v[3:4]|, s79
	v_and_b32_e32 v59, 0x7fffffff, v4
                                        ; implicit-def: $vgpr58
                                        ; implicit-def: $vgpr32_vgpr33
                                        ; implicit-def: $vgpr34_vgpr35
	s_and_saveexec_b64 s[70:71], s[10:11]
	s_xor_b64 s[70:71], exec, s[70:71]
	s_cbranch_execz .LBB161_79
; %bb.78:                               ;   in Loop: Header=BB161_4 Depth=1
	v_cmp_ge_f64_e64 vcc, |v[3:4]|, s[46:47]
	s_mov_b32 s22, s50
	s_mov_b32 s55, s27
	v_cndmask_b32_e32 v27, v59, v41, vcc
	v_cndmask_b32_e32 v26, v3, v40, vcc
	v_mul_f64 v[28:29], v[38:39], v[26:27]
	v_mul_f64 v[32:33], v[36:37], v[26:27]
	;; [unrolled: 1-line block ×3, first 2 shown]
	v_fma_f64 v[34:35], v[38:39], v[26:27], -v[28:29]
	v_fma_f64 v[68:69], v[36:37], v[26:27], -v[32:33]
	;; [unrolled: 1-line block ×3, first 2 shown]
	v_add_f64 v[60:61], v[32:33], v[34:35]
	v_add_f64 v[62:63], v[60:61], -v[32:33]
	v_add_f64 v[70:71], v[28:29], v[60:61]
	v_add_f64 v[64:65], v[60:61], -v[62:63]
	v_add_f64 v[34:35], v[34:35], -v[62:63]
	v_add_f64 v[62:63], v[66:67], v[68:69]
	v_add_f64 v[28:29], v[70:71], -v[28:29]
	v_add_f64 v[32:33], v[32:33], -v[64:65]
	v_ldexp_f64 v[64:65], v[70:71], -2
	v_add_f64 v[72:73], v[62:63], -v[66:67]
	v_add_f64 v[28:29], v[60:61], -v[28:29]
	v_add_f64 v[32:33], v[34:35], v[32:33]
	v_fract_f64_e32 v[34:35], v[64:65]
	v_cmp_neq_f64_e64 vcc, |v[64:65]|, s[48:49]
	v_add_f64 v[68:69], v[68:69], -v[72:73]
	v_add_f64 v[60:61], v[62:63], v[32:33]
	v_ldexp_f64 v[34:35], v[34:35], 2
	v_add_f64 v[64:65], v[28:29], v[60:61]
	v_cndmask_b32_e32 v35, 0, v35, vcc
	v_cndmask_b32_e32 v34, 0, v34, vcc
	v_add_f64 v[74:75], v[60:61], -v[62:63]
	v_add_f64 v[70:71], v[64:65], v[34:35]
	v_add_f64 v[28:29], v[64:65], -v[28:29]
	v_add_f64 v[76:77], v[60:61], -v[74:75]
	;; [unrolled: 1-line block ×3, first 2 shown]
	v_cmp_gt_f64_e32 vcc, 0, v[70:71]
	v_add_f64 v[70:71], v[62:63], -v[72:73]
	v_add_f64 v[28:29], v[60:61], -v[28:29]
	;; [unrolled: 1-line block ×3, first 2 shown]
	v_cndmask_b32_e32 v18, 0, v52, vcc
	v_add_f64 v[34:35], v[34:35], v[17:18]
	v_add_f64 v[70:71], v[66:67], -v[70:71]
	v_add_f64 v[32:33], v[32:33], v[62:63]
	v_add_f64 v[78:79], v[64:65], v[34:35]
	;; [unrolled: 1-line block ×3, first 2 shown]
	v_cvt_i32_f64_e32 v58, v[78:79]
	v_add_f64 v[32:33], v[68:69], v[32:33]
	v_cvt_f64_i32_e32 v[72:73], v58
	v_add_f64 v[34:35], v[34:35], -v[72:73]
	v_add_f64 v[26:27], v[26:27], v[32:33]
	v_add_f64 v[62:63], v[64:65], v[34:35]
	;; [unrolled: 1-line block ×3, first 2 shown]
	v_add_f64 v[32:33], v[62:63], -v[34:35]
	v_cmp_le_f64_e32 vcc, 0.5, v[62:63]
	v_add_f64 v[28:29], v[64:65], -v[32:33]
	v_cndmask_b32_e32 v18, 0, v53, vcc
	v_addc_co_u32_e32 v58, vcc, 0, v58, vcc
	v_add_f64 v[26:27], v[26:27], v[28:29]
	v_add_f64 v[28:29], v[62:63], -v[17:18]
	v_add_f64 v[32:33], v[28:29], v[26:27]
	v_mul_f64 v[34:35], v[32:33], s[22:23]
	v_add_f64 v[28:29], v[32:33], -v[28:29]
	v_fma_f64 v[60:61], v[32:33], s[22:23], -v[34:35]
	v_add_f64 v[26:27], v[26:27], -v[28:29]
	v_fma_f64 v[28:29], v[32:33], s[54:55], v[60:61]
	v_fma_f64 v[26:27], v[26:27], s[22:23], v[28:29]
	v_add_f64 v[32:33], v[34:35], v[26:27]
	v_add_f64 v[28:29], v[32:33], -v[34:35]
	v_add_f64 v[34:35], v[26:27], -v[28:29]
	s_andn2_saveexec_b64 s[70:71], s[70:71]
	s_cbranch_execz .LBB161_81
	s_branch .LBB161_80
.LBB161_79:                             ;   in Loop: Header=BB161_4 Depth=1
	s_andn2_saveexec_b64 s[70:71], s[70:71]
	s_cbranch_execz .LBB161_81
.LBB161_80:                             ;   in Loop: Header=BB161_4 Depth=1
	v_mul_f64 v[26:27], |v[3:4]|, s[24:25]
	s_mov_b32 s26, s52
	v_rndne_f64_e32 v[26:27], v[26:27]
	v_fma_f64 v[28:29], v[26:27], s[50:51], |v[3:4]|
	v_mul_f64 v[32:33], v[26:27], s[52:53]
	v_cvt_i32_f64_e32 v58, v[26:27]
	v_add_f64 v[34:35], v[28:29], v[32:33]
	v_add_f64 v[60:61], v[28:29], -v[34:35]
	v_fma_f64 v[28:29], v[26:27], s[52:53], v[28:29]
	v_add_f64 v[60:61], v[60:61], v[32:33]
	v_add_f64 v[34:35], v[34:35], -v[28:29]
	v_fma_f64 v[32:33], v[26:27], s[26:27], v[32:33]
	;; [unrolled: 3-line block ×3, first 2 shown]
	v_add_f64 v[32:33], v[28:29], v[34:35]
	v_add_f64 v[28:29], v[32:33], -v[28:29]
	v_add_f64 v[34:35], v[34:35], -v[28:29]
.LBB161_81:                             ;   in Loop: Header=BB161_4 Depth=1
	s_or_b64 exec, exec, s[70:71]
                                        ; implicit-def: $vgpr18
                                        ; implicit-def: $vgpr26_vgpr27
                                        ; implicit-def: $vgpr28_vgpr29
	s_and_saveexec_b64 s[70:71], s[10:11]
	s_xor_b64 s[10:11], exec, s[70:71]
	s_cbranch_execz .LBB161_83
; %bb.82:                               ;   in Loop: Header=BB161_4 Depth=1
	v_cmp_ge_f64_e64 vcc, |v[3:4]|, s[46:47]
	s_mov_b32 s22, s50
	s_mov_b32 s55, s27
	v_cndmask_b32_e32 v27, v59, v41, vcc
	v_cndmask_b32_e32 v26, v3, v40, vcc
	v_mul_f64 v[28:29], v[38:39], v[26:27]
	v_mul_f64 v[40:41], v[36:37], v[26:27]
	;; [unrolled: 1-line block ×3, first 2 shown]
	v_fma_f64 v[38:39], v[38:39], v[26:27], -v[28:29]
	v_fma_f64 v[36:37], v[36:37], v[26:27], -v[40:41]
	;; [unrolled: 1-line block ×3, first 2 shown]
	v_add_f64 v[59:60], v[40:41], v[38:39]
	v_add_f64 v[61:62], v[59:60], -v[40:41]
	v_add_f64 v[67:68], v[28:29], v[59:60]
	v_add_f64 v[63:64], v[59:60], -v[61:62]
	v_add_f64 v[38:39], v[38:39], -v[61:62]
	v_add_f64 v[61:62], v[65:66], v[36:37]
	v_add_f64 v[28:29], v[67:68], -v[28:29]
	v_add_f64 v[40:41], v[40:41], -v[63:64]
	v_ldexp_f64 v[63:64], v[67:68], -2
	v_add_f64 v[69:70], v[61:62], -v[65:66]
	v_add_f64 v[28:29], v[59:60], -v[28:29]
	v_add_f64 v[38:39], v[38:39], v[40:41]
	v_fract_f64_e32 v[40:41], v[63:64]
	v_cmp_neq_f64_e64 vcc, |v[63:64]|, s[48:49]
	v_add_f64 v[36:37], v[36:37], -v[69:70]
	v_add_f64 v[59:60], v[61:62], v[38:39]
	v_ldexp_f64 v[40:41], v[40:41], 2
	v_add_f64 v[63:64], v[28:29], v[59:60]
	v_cndmask_b32_e32 v41, 0, v41, vcc
	v_cndmask_b32_e32 v40, 0, v40, vcc
	v_add_f64 v[71:72], v[59:60], -v[61:62]
	v_add_f64 v[67:68], v[63:64], v[40:41]
	v_add_f64 v[28:29], v[63:64], -v[28:29]
	v_add_f64 v[73:74], v[59:60], -v[71:72]
	;; [unrolled: 1-line block ×3, first 2 shown]
	v_cmp_gt_f64_e32 vcc, 0, v[67:68]
	v_add_f64 v[67:68], v[61:62], -v[69:70]
	v_add_f64 v[28:29], v[59:60], -v[28:29]
	;; [unrolled: 1-line block ×3, first 2 shown]
	v_cndmask_b32_e32 v18, 0, v52, vcc
	v_add_f64 v[40:41], v[40:41], v[17:18]
	v_add_f64 v[67:68], v[65:66], -v[67:68]
	v_add_f64 v[38:39], v[38:39], v[61:62]
	v_add_f64 v[75:76], v[63:64], v[40:41]
	;; [unrolled: 1-line block ×3, first 2 shown]
	v_cvt_i32_f64_e32 v71, v[75:76]
	v_add_f64 v[30:31], v[36:37], v[38:39]
	v_cvt_f64_i32_e32 v[69:70], v71
	v_add_f64 v[40:41], v[40:41], -v[69:70]
	v_add_f64 v[26:27], v[26:27], v[30:31]
	v_add_f64 v[36:37], v[63:64], v[40:41]
	;; [unrolled: 1-line block ×3, first 2 shown]
	v_add_f64 v[30:31], v[36:37], -v[40:41]
	v_cmp_le_f64_e32 vcc, 0.5, v[36:37]
	v_add_f64 v[28:29], v[63:64], -v[30:31]
	v_cndmask_b32_e32 v18, 0, v53, vcc
	v_add_f64 v[26:27], v[26:27], v[28:29]
	v_add_f64 v[28:29], v[36:37], -v[17:18]
	v_addc_co_u32_e32 v18, vcc, 0, v71, vcc
	v_add_f64 v[30:31], v[28:29], v[26:27]
	v_mul_f64 v[36:37], v[30:31], s[22:23]
	v_add_f64 v[28:29], v[30:31], -v[28:29]
	v_fma_f64 v[38:39], v[30:31], s[22:23], -v[36:37]
	v_add_f64 v[26:27], v[26:27], -v[28:29]
	v_fma_f64 v[28:29], v[30:31], s[54:55], v[38:39]
	v_fma_f64 v[28:29], v[26:27], s[22:23], v[28:29]
	v_add_f64 v[26:27], v[36:37], v[28:29]
	v_add_f64 v[30:31], v[26:27], -v[36:37]
	v_add_f64 v[28:29], v[28:29], -v[30:31]
	s_andn2_saveexec_b64 s[10:11], s[10:11]
	s_cbranch_execnz .LBB161_84
	s_branch .LBB161_85
.LBB161_83:                             ;   in Loop: Header=BB161_4 Depth=1
	s_andn2_saveexec_b64 s[10:11], s[10:11]
	s_cbranch_execz .LBB161_85
.LBB161_84:                             ;   in Loop: Header=BB161_4 Depth=1
	v_mul_f64 v[26:27], |v[3:4]|, s[24:25]
	s_mov_b32 s26, s52
	v_rndne_f64_e32 v[30:31], v[26:27]
	v_fma_f64 v[26:27], v[30:31], s[50:51], |v[3:4]|
	v_mul_f64 v[28:29], v[30:31], s[52:53]
	v_cvt_i32_f64_e32 v18, v[30:31]
	v_fma_f64 v[40:41], v[30:31], s[52:53], v[26:27]
	v_add_f64 v[36:37], v[26:27], v[28:29]
	v_add_f64 v[38:39], v[26:27], -v[36:37]
	v_add_f64 v[36:37], v[36:37], -v[40:41]
	v_add_f64 v[26:27], v[38:39], v[28:29]
	v_fma_f64 v[28:29], v[30:31], s[26:27], v[28:29]
	v_add_f64 v[26:27], v[36:37], v[26:27]
	v_add_f64 v[26:27], v[26:27], -v[28:29]
	v_fma_f64 v[28:29], v[30:31], s[28:29], v[26:27]
	v_add_f64 v[26:27], v[40:41], v[28:29]
	v_add_f64 v[36:37], v[26:27], -v[40:41]
	v_add_f64 v[28:29], v[28:29], -v[36:37]
.LBB161_85:                             ;   in Loop: Header=BB161_4 Depth=1
	s_or_b64 exec, exec, s[10:11]
	v_mul_f64 v[30:31], v[32:33], v[32:33]
	v_mov_b32_e32 v59, s82
	v_mov_b32_e32 v60, s83
	v_mul_f64 v[63:64], v[34:35], 0.5
	s_mov_b32 s12, s14
	v_mul_f64 v[36:37], v[30:31], 0.5
	v_fma_f64 v[61:62], v[30:31], s[84:85], v[59:60]
	v_add_f64 v[38:39], -v[36:37], 1.0
	v_fma_f64 v[61:62], v[30:31], v[61:62], s[86:87]
	v_add_f64 v[40:41], -v[38:39], 1.0
	v_fma_f64 v[61:62], v[30:31], v[61:62], s[88:89]
	v_add_f64 v[36:37], v[40:41], -v[36:37]
	v_fma_f64 v[61:62], v[30:31], v[61:62], s[90:91]
	v_mul_f64 v[40:41], v[30:31], v[30:31]
	v_fma_f64 v[36:37], v[32:33], -v[34:35], v[36:37]
	v_fma_f64 v[61:62], v[30:31], v[61:62], s[14:15]
	v_fma_f64 v[36:37], v[40:41], v[61:62], v[36:37]
	v_mul_f64 v[61:62], v[32:33], -v[30:31]
	v_add_f64 v[36:37], v[38:39], v[36:37]
	v_mov_b32_e32 v38, s94
	v_mov_b32_e32 v39, s95
	v_fma_f64 v[40:41], v[30:31], s[30:31], v[38:39]
	v_fma_f64 v[40:41], v[30:31], v[40:41], s[34:35]
	;; [unrolled: 1-line block ×5, first 2 shown]
	v_fma_f64 v[30:31], v[30:31], v[40:41], -v[34:35]
	v_fma_f64 v[30:31], v[61:62], s[12:13], v[30:31]
	v_add_f64 v[30:31], v[32:33], -v[30:31]
	v_and_b32_e32 v32, 1, v58
	v_cmp_eq_u32_e32 vcc, 0, v32
	v_lshlrev_b32_e32 v32, 30, v58
	v_xor_b32_e32 v32, v32, v4
	v_and_b32_e32 v32, 0x80000000, v32
	v_cndmask_b32_e32 v30, v36, v30, vcc
	v_cndmask_b32_e32 v31, v37, v31, vcc
	v_cmp_class_f64_e64 vcc, v[3:4], s77
	v_xor_b32_e32 v31, v31, v32
	v_cndmask_b32_e32 v3, 0, v30, vcc
	v_cndmask_b32_e32 v4, v57, v31, vcc
	v_mul_f64 v[30:31], v[26:27], v[26:27]
	v_mul_f64 v[32:33], v[30:31], 0.5
	v_fma_f64 v[40:41], v[30:31], s[84:85], v[59:60]
	v_add_f64 v[34:35], -v[32:33], 1.0
	v_fma_f64 v[40:41], v[30:31], v[40:41], s[86:87]
	v_add_f64 v[36:37], -v[34:35], 1.0
	v_fma_f64 v[40:41], v[30:31], v[40:41], s[88:89]
	v_add_f64 v[32:33], v[36:37], -v[32:33]
	v_fma_f64 v[40:41], v[30:31], v[40:41], s[90:91]
	v_mul_f64 v[36:37], v[30:31], v[30:31]
	v_fma_f64 v[32:33], v[26:27], -v[28:29], v[32:33]
	v_fma_f64 v[40:41], v[30:31], v[40:41], s[14:15]
	v_fma_f64 v[32:33], v[36:37], v[40:41], v[32:33]
	v_mul_f64 v[36:37], v[26:27], -v[30:31]
	v_add_f64 v[32:33], v[34:35], v[32:33]
	v_fma_f64 v[34:35], v[30:31], s[30:31], v[38:39]
	v_mul_f64 v[38:39], v[28:29], 0.5
	v_fma_f64 v[34:35], v[30:31], v[34:35], s[34:35]
	v_fma_f64 v[34:35], v[30:31], v[34:35], s[36:37]
	;; [unrolled: 1-line block ×4, first 2 shown]
	v_fma_f64 v[28:29], v[30:31], v[34:35], -v[28:29]
	v_fma_f64 v[28:29], v[36:37], s[12:13], v[28:29]
	v_add_f64 v[26:27], v[26:27], -v[28:29]
	v_and_b32_e32 v28, 1, v18
	v_cmp_eq_u32_e64 s[10:11], 0, v28
	v_lshlrev_b32_e32 v18, 30, v18
	v_and_b32_e32 v18, 0x80000000, v18
	v_xor_b32_e32 v27, 0x80000000, v27
	v_cndmask_b32_e64 v27, v27, v33, s[10:11]
	v_cndmask_b32_e64 v26, v26, v32, s[10:11]
	v_xor_b32_e32 v18, v27, v18
	v_cndmask_b32_e32 v26, 0, v26, vcc
	v_cndmask_b32_e32 v27, v57, v18, vcc
	v_mul_f64 v[3:4], v[3:4], v[26:27]
.LBB161_86:                             ;   in Loop: Header=BB161_4 Depth=1
	s_or_b64 exec, exec, s[68:69]
	v_bfi_b32 v18, s75, 0, v4
	v_mov_b32_e32 v3, v17
	v_add_u32_e32 v2, -2.0, v2
	v_mov_b32_e32 v4, v18
.LBB161_87:                             ;   in Loop: Header=BB161_4 Depth=1
	s_or_b64 exec, exec, s[66:67]
.LBB161_88:                             ;   in Loop: Header=BB161_4 Depth=1
	s_or_b64 exec, exec, s[60:61]
	v_and_b32_e32 v30, 0x7fffffff, v14
	v_cmp_gt_u32_e32 vcc, s76, v30
	s_and_saveexec_b64 s[10:11], vcc
	s_xor_b64 s[60:61], exec, s[10:11]
	s_cbranch_execz .LBB161_110
; %bb.89:                               ;   in Loop: Header=BB161_4 Depth=1
	v_cmp_class_f64_e64 s[10:11], v[15:16], s77
	s_and_saveexec_b64 s[66:67], s[10:11]
	s_xor_b64 s[66:67], exec, s[66:67]
	s_cbranch_execz .LBB161_107
; %bb.90:                               ;   in Loop: Header=BB161_4 Depth=1
	s_mov_b32 s10, 0x40360000
	v_cmp_gt_u32_e32 vcc, s10, v30
	s_and_saveexec_b64 s[10:11], vcc
	s_xor_b64 s[68:69], exec, s[10:11]
	s_cbranch_execz .LBB161_96
; %bb.91:                               ;   in Loop: Header=BB161_4 Depth=1
	v_cmp_nlt_f64_e64 s[10:11], |v[15:16]|, s[44:45]
                                        ; implicit-def: $vgpr18
                                        ; implicit-def: $vgpr26_vgpr27
                                        ; implicit-def: $vgpr28_vgpr29
	s_and_saveexec_b64 s[70:71], s[10:11]
	s_xor_b64 s[10:11], exec, s[70:71]
	s_cbranch_execz .LBB161_93
; %bb.92:                               ;   in Loop: Header=BB161_4 Depth=1
	v_trig_preop_f64 v[26:27], |v[15:16]|, 0
	v_ldexp_f64 v[28:29], |v[15:16]|, s79
	v_cmp_ge_f64_e64 vcc, |v[15:16]|, s[46:47]
	v_trig_preop_f64 v[31:32], |v[15:16]|, 1
	v_and_b32_e32 v18, 0x7fffffff, v16
	v_trig_preop_f64 v[39:40], |v[15:16]|, 2
	s_mov_b32 s22, s50
	s_mov_b32 s55, s27
	v_cndmask_b32_e32 v29, v18, v29, vcc
	v_cndmask_b32_e32 v28, v15, v28, vcc
	v_mul_f64 v[33:34], v[26:27], v[28:29]
	v_mul_f64 v[35:36], v[31:32], v[28:29]
	;; [unrolled: 1-line block ×3, first 2 shown]
	v_fma_f64 v[26:27], v[26:27], v[28:29], -v[33:34]
	v_fma_f64 v[31:32], v[31:32], v[28:29], -v[35:36]
	;; [unrolled: 1-line block ×3, first 2 shown]
	v_add_f64 v[37:38], v[35:36], v[26:27]
	v_add_f64 v[58:59], v[37:38], -v[35:36]
	v_add_f64 v[64:65], v[33:34], v[37:38]
	v_add_f64 v[60:61], v[37:38], -v[58:59]
	v_add_f64 v[26:27], v[26:27], -v[58:59]
	v_add_f64 v[58:59], v[62:63], v[31:32]
	v_add_f64 v[33:34], v[64:65], -v[33:34]
	v_add_f64 v[35:36], v[35:36], -v[60:61]
	v_ldexp_f64 v[60:61], v[64:65], -2
	v_add_f64 v[66:67], v[58:59], -v[62:63]
	v_add_f64 v[33:34], v[37:38], -v[33:34]
	v_add_f64 v[26:27], v[26:27], v[35:36]
	v_fract_f64_e32 v[35:36], v[60:61]
	v_cmp_neq_f64_e64 vcc, |v[60:61]|, s[48:49]
	v_add_f64 v[31:32], v[31:32], -v[66:67]
	v_add_f64 v[37:38], v[58:59], v[26:27]
	v_ldexp_f64 v[35:36], v[35:36], 2
	v_add_f64 v[60:61], v[33:34], v[37:38]
	v_cndmask_b32_e32 v36, 0, v36, vcc
	v_cndmask_b32_e32 v35, 0, v35, vcc
	v_add_f64 v[68:69], v[37:38], -v[58:59]
	v_add_f64 v[64:65], v[60:61], v[35:36]
	v_add_f64 v[33:34], v[60:61], -v[33:34]
	v_add_f64 v[70:71], v[37:38], -v[68:69]
	;; [unrolled: 1-line block ×3, first 2 shown]
	v_cmp_gt_f64_e32 vcc, 0, v[64:65]
	v_add_f64 v[64:65], v[58:59], -v[66:67]
	v_add_f64 v[33:34], v[37:38], -v[33:34]
	;; [unrolled: 1-line block ×3, first 2 shown]
	v_cndmask_b32_e32 v18, 0, v52, vcc
	v_add_f64 v[35:36], v[35:36], v[17:18]
	v_add_f64 v[64:65], v[62:63], -v[64:65]
	v_add_f64 v[26:27], v[26:27], v[58:59]
	v_add_f64 v[72:73], v[60:61], v[35:36]
	;; [unrolled: 1-line block ×3, first 2 shown]
	v_cvt_i32_f64_e32 v41, v[72:73]
	v_add_f64 v[26:27], v[31:32], v[26:27]
	v_cvt_f64_i32_e32 v[66:67], v41
	v_add_f64 v[35:36], v[35:36], -v[66:67]
	v_add_f64 v[26:27], v[28:29], v[26:27]
	v_add_f64 v[31:32], v[60:61], v[35:36]
	;; [unrolled: 1-line block ×3, first 2 shown]
	v_add_f64 v[28:29], v[31:32], -v[35:36]
	v_cmp_le_f64_e32 vcc, 0.5, v[31:32]
	v_add_f64 v[28:29], v[60:61], -v[28:29]
	v_cndmask_b32_e32 v18, 0, v53, vcc
	v_add_f64 v[26:27], v[26:27], v[28:29]
	v_add_f64 v[28:29], v[31:32], -v[17:18]
	v_addc_co_u32_e32 v18, vcc, 0, v41, vcc
	v_add_f64 v[31:32], v[28:29], v[26:27]
	v_mul_f64 v[33:34], v[31:32], s[22:23]
	v_add_f64 v[28:29], v[31:32], -v[28:29]
	v_fma_f64 v[35:36], v[31:32], s[22:23], -v[33:34]
	v_add_f64 v[26:27], v[26:27], -v[28:29]
	v_fma_f64 v[28:29], v[31:32], s[54:55], v[35:36]
	v_fma_f64 v[28:29], v[26:27], s[22:23], v[28:29]
	v_add_f64 v[26:27], v[33:34], v[28:29]
	v_add_f64 v[31:32], v[26:27], -v[33:34]
	v_add_f64 v[28:29], v[28:29], -v[31:32]
.LBB161_93:                             ;   in Loop: Header=BB161_4 Depth=1
	s_andn2_saveexec_b64 s[10:11], s[10:11]
	s_cbranch_execz .LBB161_95
; %bb.94:                               ;   in Loop: Header=BB161_4 Depth=1
	v_mul_f64 v[26:27], |v[15:16]|, s[24:25]
	s_mov_b32 s26, s52
	v_rndne_f64_e32 v[31:32], v[26:27]
	v_fma_f64 v[26:27], v[31:32], s[50:51], |v[15:16]|
	v_mul_f64 v[28:29], v[31:32], s[52:53]
	v_cvt_i32_f64_e32 v18, v[31:32]
	v_fma_f64 v[37:38], v[31:32], s[52:53], v[26:27]
	v_add_f64 v[33:34], v[26:27], v[28:29]
	v_add_f64 v[35:36], v[26:27], -v[33:34]
	v_add_f64 v[33:34], v[33:34], -v[37:38]
	v_add_f64 v[26:27], v[35:36], v[28:29]
	v_fma_f64 v[28:29], v[31:32], s[26:27], v[28:29]
	v_add_f64 v[26:27], v[33:34], v[26:27]
	v_add_f64 v[26:27], v[26:27], -v[28:29]
	v_fma_f64 v[28:29], v[31:32], s[28:29], v[26:27]
	v_add_f64 v[26:27], v[37:38], v[28:29]
	v_add_f64 v[33:34], v[26:27], -v[37:38]
	v_add_f64 v[28:29], v[28:29], -v[33:34]
.LBB161_95:                             ;   in Loop: Header=BB161_4 Depth=1
	s_or_b64 exec, exec, s[10:11]
	v_add_f64 v[31:32], |v[13:14]|, s[64:65]
	s_mov_b32 s58, s64
	s_mov_b32 s10, 0x3b39803f
	s_mov_b32 s11, 0xbc7abc9e
	s_mov_b32 s40, s62
	s_mov_b32 s57, s65
	s_mov_b32 s39, s81
	s_mov_b32 s93, s15
	v_add_f64 v[33:34], v[31:32], -|v[13:14]|
	v_and_b32_e32 v18, 1, v18
	v_add_f64 v[35:36], v[33:34], -v[31:32]
	v_add_f64 v[33:34], v[33:34], s[58:59]
	v_add_f64 v[35:36], |v[13:14]|, v[35:36]
	v_add_f64 v[33:34], v[35:36], -v[33:34]
	v_add_f64 v[33:34], v[33:34], s[10:11]
	s_mov_b32 s10, 0xf278e000
	s_mov_b32 s11, 0xbd53de6a
	v_add_f64 v[35:36], v[31:32], v[33:34]
	v_mul_f64 v[37:38], v[35:36], s[40:41]
	v_add_f64 v[31:32], v[31:32], -v[35:36]
	v_rndne_f64_e32 v[37:38], v[37:38]
	v_add_f64 v[31:32], v[33:34], v[31:32]
	v_fma_f64 v[33:34], v[37:38], s[56:57], v[35:36]
	v_mul_f64 v[35:36], v[37:38], s[10:11]
	s_mov_b32 s10, 0xf97b57a0
	s_mov_b32 s11, 0xbac9cc01
	v_cvt_i32_f64_e32 v15, v[37:38]
	v_add_f64 v[39:40], v[31:32], v[33:34]
	v_add_f64 v[58:59], v[39:40], v[35:36]
	v_add_f64 v[33:34], v[33:34], -v[39:40]
	v_add_f64 v[39:40], v[39:40], -v[58:59]
	v_add_f64 v[31:32], v[31:32], v[33:34]
	v_add_f64 v[33:34], v[39:40], v[35:36]
	;; [unrolled: 1-line block ×3, first 2 shown]
	v_mul_f64 v[33:34], v[37:38], s[10:11]
	s_mov_b32 s10, 0x6a5dcb37
	s_mov_b32 s11, 0x3e5ade15
	v_add_f64 v[35:36], v[58:59], v[31:32]
	v_add_f64 v[39:40], v[35:36], v[33:34]
	v_add_f64 v[58:59], v[58:59], -v[35:36]
	v_add_f64 v[35:36], v[35:36], -v[39:40]
	v_add_f64 v[31:32], v[31:32], v[58:59]
	v_add_f64 v[33:34], v[35:36], v[33:34]
	;; [unrolled: 1-line block ×4, first 2 shown]
	v_fma_f64 v[35:36], v[33:34], s[10:11], v[24:25]
	s_mov_b32 s10, 0x623fde64
	s_mov_b32 s11, 0x3ec71dee
	v_add_f64 v[39:40], v[39:40], -v[33:34]
	v_mul_f64 v[58:59], v[33:34], v[33:34]
	v_fma_f64 v[35:36], v[33:34], v[35:36], s[10:11]
	s_mov_b32 s10, 0x7c89e6b0
	s_mov_b32 s11, 0x3efa0199
	v_add_f64 v[31:32], v[31:32], v[39:40]
	v_fma_f64 v[39:40], v[33:34], v[33:34], -v[58:59]
	v_fma_f64 v[35:36], v[33:34], v[35:36], s[10:11]
	s_mov_b32 s10, 0x14761f6e
	s_mov_b32 s11, 0x3f2a01a0
	v_add_f64 v[60:61], v[31:32], v[31:32]
	v_fma_f64 v[35:36], v[33:34], v[35:36], s[10:11]
	s_mov_b32 s10, 0x1852b7b0
	s_mov_b32 s11, 0x3f56c16c
	v_fma_f64 v[39:40], v[33:34], v[60:61], v[39:40]
	v_fma_f64 v[35:36], v[33:34], v[35:36], s[10:11]
	s_mov_b32 s10, 0x55555511
	s_mov_b32 s11, 0x3fc55555
	v_add_f64 v[60:61], v[58:59], v[39:40]
	v_fma_f64 v[35:36], v[33:34], v[35:36], s[38:39]
	v_add_f64 v[58:59], v[60:61], -v[58:59]
	v_fma_f64 v[35:36], v[33:34], v[35:36], s[92:93]
	v_add_f64 v[39:40], v[39:40], -v[58:59]
	v_fma_f64 v[35:36], v[33:34], v[35:36], s[10:11]
	s_mov_b32 s10, 11
	s_mov_b32 s11, 0x3fe00000
	v_fma_f64 v[35:36], v[33:34], v[35:36], s[10:11]
	s_mov_b32 s10, 0xc751c08c
	s_mov_b32 s11, 0x3ef5e089
	v_mul_f64 v[62:63], v[60:61], v[35:36]
	v_fma_f64 v[58:59], v[60:61], v[35:36], -v[62:63]
	v_fma_f64 v[35:36], v[39:40], v[35:36], v[58:59]
	v_add_f64 v[39:40], v[62:63], v[35:36]
	v_add_f64 v[58:59], v[33:34], v[39:40]
	v_add_f64 v[60:61], v[39:40], -v[62:63]
	v_add_f64 v[33:34], v[58:59], -v[33:34]
	;; [unrolled: 1-line block ×3, first 2 shown]
	v_add_f64 v[60:61], v[28:29], v[28:29]
	v_add_f64 v[33:34], v[39:40], -v[33:34]
	v_add_f64 v[31:32], v[31:32], v[35:36]
	v_add_f64 v[31:32], v[31:32], v[33:34]
	;; [unrolled: 1-line block ×3, first 2 shown]
	v_add_f64 v[35:36], v[33:34], 1.0
	v_add_f64 v[39:40], v[33:34], -v[58:59]
	v_add_f64 v[58:59], v[35:36], -1.0
	v_add_f64 v[31:32], v[31:32], -v[39:40]
	v_add_f64 v[33:34], v[33:34], -v[58:59]
	v_add_f64 v[31:32], v[31:32], v[33:34]
	v_add_f64 v[33:34], v[35:36], v[31:32]
	v_ldexp_f64 v[37:38], v[33:34], v15
	v_add_f64 v[33:34], v[33:34], -v[35:36]
	v_rcp_f64_e32 v[39:40], v[37:38]
	v_add_f64 v[31:32], v[31:32], -v[33:34]
	v_ldexp_f64 v[31:32], v[31:32], v15
	v_fma_f64 v[58:59], -v[37:38], v[39:40], 1.0
	v_fma_f64 v[39:40], v[58:59], v[39:40], v[39:40]
	v_fma_f64 v[58:59], -v[37:38], v[39:40], 1.0
	v_fma_f64 v[35:36], v[58:59], v[39:40], v[39:40]
	v_mul_f64 v[39:40], v[26:27], v[26:27]
	v_mul_f64 v[33:34], v[37:38], v[35:36]
	v_fma_f64 v[62:63], v[26:27], v[26:27], -v[39:40]
	v_fma_f64 v[58:59], v[35:36], v[37:38], -v[33:34]
	v_fma_f64 v[60:61], v[26:27], v[60:61], v[62:63]
	v_fma_f64 v[58:59], v[35:36], v[31:32], v[58:59]
	v_add_f64 v[39:40], v[39:40], v[60:61]
	v_add_f64 v[62:63], v[33:34], v[58:59]
	v_fma_f64 v[64:65], v[39:40], s[10:11], v[22:23]
	s_mov_b32 s10, 0x90a8aae0
	s_mov_b32 s11, 0x3f17746f
	v_add_f64 v[60:61], -v[62:63], 1.0
	v_add_f64 v[33:34], v[62:63], -v[33:34]
	v_fma_f64 v[64:65], v[39:40], v[64:65], s[10:11]
	s_mov_b32 s10, 0xa6fbf144
	s_mov_b32 s11, 0xbefbb44d
	v_add_f64 v[66:67], -v[60:61], 1.0
	v_add_f64 v[33:34], v[33:34], -v[58:59]
	v_add_f64 v[58:59], v[66:67], -v[62:63]
	v_fma_f64 v[62:63], v[39:40], v[64:65], s[10:11]
	s_mov_b32 s10, 0xa7943acf
	s_mov_b32 s11, 0x3f21e634
	v_add_f64 v[33:34], v[33:34], v[58:59]
	v_fma_f64 v[58:59], v[39:40], v[62:63], s[10:11]
	s_mov_b32 s10, 0xdeb68feb
	s_mov_b32 s11, 0x3f2d250f
	v_add_f64 v[62:63], v[60:61], v[33:34]
	v_fma_f64 v[58:59], v[39:40], v[58:59], s[10:11]
	s_mov_b32 s10, 0xb58c4d95
	s_mov_b32 s11, 0x3f437fd9
	v_mul_f64 v[64:65], v[35:36], v[62:63]
	v_fma_f64 v[58:59], v[39:40], v[58:59], s[10:11]
	s_mov_b32 s10, 0x15120e2c
	s_mov_b32 s11, 0x3f57d5af
	v_add_f64 v[60:61], v[60:61], -v[62:63]
	v_mul_f64 v[66:67], v[37:38], v[64:65]
	v_fma_f64 v[58:59], v[39:40], v[58:59], s[10:11]
	s_mov_b32 s10, 0xe09491df
	s_mov_b32 s11, 0x3f6d6d93
	v_add_f64 v[33:34], v[33:34], v[60:61]
	v_fma_f64 v[68:69], v[64:65], v[37:38], -v[66:67]
	v_fma_f64 v[58:59], v[39:40], v[58:59], s[10:11]
	s_mov_b32 s10, 0x2033784d
	s_mov_b32 s11, 0x3f8226e1
	v_fma_f64 v[68:69], v[64:65], v[31:32], v[68:69]
	v_fma_f64 v[58:59], v[39:40], v[58:59], s[10:11]
	s_mov_b32 s10, 0x9ac36ae2
	s_mov_b32 s11, 0x3f9664f4
	v_add_f64 v[70:71], v[66:67], v[68:69]
	v_fma_f64 v[58:59], v[39:40], v[58:59], s[10:11]
	s_mov_b32 s10, 0x1b451c21
	s_mov_b32 s11, 0x3faba1ba
	v_add_f64 v[72:73], v[62:63], -v[70:71]
	v_fma_f64 v[58:59], v[39:40], v[58:59], s[10:11]
	s_mov_b32 s10, 0x111185b7
	s_mov_b32 s11, 0x3fc11111
	v_add_f64 v[60:61], v[70:71], -v[66:67]
	v_add_f64 v[62:63], v[62:63], -v[72:73]
	v_fma_f64 v[58:59], v[39:40], v[58:59], s[10:11]
	s_mov_b32 s10, 0x555554ee
	s_mov_b32 s11, 0x3fd55555
	v_add_f64 v[60:61], v[60:61], -v[68:69]
	v_add_f64 v[62:63], v[62:63], -v[70:71]
	v_fma_f64 v[58:59], v[39:40], v[58:59], s[10:11]
	s_mov_b32 s10, 0x8fb9f87e
	s_mov_b32 s11, 0x408633ce
	v_cmp_nge_f64_e64 vcc, |v[13:14]|, s[10:11]
	s_mov_b32 s10, 0
	s_mov_b32 s11, 0x3e400000
	v_add_f64 v[33:34], v[33:34], v[62:63]
	v_mul_f64 v[39:40], v[39:40], v[58:59]
	v_add_f64 v[58:59], v[35:36], v[64:65]
	v_add_f64 v[33:34], v[60:61], v[33:34]
	v_mul_f64 v[60:61], v[26:27], v[39:40]
	v_add_f64 v[62:63], v[58:59], -v[35:36]
	v_add_f64 v[33:34], v[72:73], v[33:34]
	v_add_f64 v[66:67], v[26:27], v[60:61]
	v_add_f64 v[62:63], v[64:65], -v[62:63]
	v_mul_f64 v[33:34], v[35:36], v[33:34]
	v_fma_f64 v[35:36], v[26:27], v[39:40], -v[60:61]
	v_add_f64 v[26:27], v[66:67], -v[26:27]
	v_add_f64 v[33:34], v[62:63], v[33:34]
	v_add_f64 v[28:29], v[28:29], v[35:36]
	v_add_f64 v[26:27], v[60:61], -v[26:27]
	v_add_f64 v[35:36], v[58:59], v[33:34]
	v_add_f64 v[26:27], v[28:29], v[26:27]
	v_ldexp_f64 v[28:29], v[35:36], -2
	v_add_f64 v[35:36], v[35:36], -v[58:59]
	v_add_f64 v[39:40], v[66:67], v[26:27]
	v_add_f64 v[60:61], v[37:38], -v[28:29]
	v_add_f64 v[33:34], v[33:34], -v[35:36]
	v_rcp_f64_e32 v[62:63], v[39:40]
	v_add_f64 v[37:38], v[37:38], -v[60:61]
	v_ldexp_f64 v[33:34], v[33:34], -2
	v_add_f64 v[28:29], v[37:38], -v[28:29]
	v_fma_f64 v[35:36], -v[39:40], v[62:63], 1.0
	v_add_f64 v[28:29], v[31:32], v[28:29]
	v_fma_f64 v[31:32], v[35:36], v[62:63], v[62:63]
	v_add_f64 v[28:29], v[28:29], -v[33:34]
	v_fma_f64 v[33:34], -v[39:40], v[31:32], 1.0
	v_add_f64 v[28:29], v[60:61], v[28:29]
	v_fma_f64 v[31:32], v[33:34], v[31:32], v[31:32]
	v_cndmask_b32_e32 v15, v54, v29, vcc
	v_cndmask_b32_e32 v35, 0, v28, vcc
	v_cmp_lt_f64_e64 vcc, |v[13:14]|, s[10:11]
	v_add_f64 v[28:29], v[39:40], -v[66:67]
	v_mul_f64 v[33:34], v[39:40], v[31:32]
	s_mov_b32 s10, 0
	s_brev_b32 s11, 8
	v_cndmask_b32_e32 v15, v15, v30, vcc
	v_cndmask_b32_e32 v13, v35, v13, vcc
	v_bfi_b32 v14, s75, v15, v14
	v_fma_f64 v[35:36], v[13:14], v[13:14], 1.0
	v_add_f64 v[26:27], v[26:27], -v[28:29]
	v_fma_f64 v[28:29], v[31:32], v[39:40], -v[33:34]
	v_and_b32_e32 v30, 0x80000000, v16
	v_cmp_gt_f64_e32 vcc, s[10:11], v[35:36]
	v_cmp_eq_u32_e64 s[10:11], 0, v18
	v_fma_f64 v[26:27], v[31:32], v[26:27], v[28:29]
	v_cndmask_b32_e32 v15, 0, v55, vcc
	v_ldexp_f64 v[35:36], v[35:36], v15
	v_add_f64 v[37:38], v[33:34], v[26:27]
	v_rsq_f64_e32 v[28:29], v[35:36]
	v_add_f64 v[58:59], -v[37:38], 1.0
	v_add_f64 v[33:34], v[37:38], -v[33:34]
	v_add_f64 v[62:63], -v[58:59], 1.0
	v_add_f64 v[26:27], v[33:34], -v[26:27]
	v_mul_f64 v[60:61], v[35:36], v[28:29]
	v_mul_f64 v[28:29], v[28:29], 0.5
	v_add_f64 v[37:38], v[62:63], -v[37:38]
	v_fma_f64 v[33:34], -v[28:29], v[60:61], 0.5
	v_add_f64 v[26:27], v[26:27], v[37:38]
	v_fma_f64 v[60:61], v[60:61], v[33:34], v[60:61]
	v_fma_f64 v[28:29], v[28:29], v[33:34], v[28:29]
	v_add_f64 v[26:27], v[58:59], v[26:27]
	v_fma_f64 v[33:34], -v[60:61], v[60:61], v[35:36]
	v_mul_f64 v[26:27], v[31:32], v[26:27]
	v_fma_f64 v[33:34], v[33:34], v[28:29], v[60:61]
	v_add_f64 v[26:27], v[31:32], v[26:27]
	v_fma_f64 v[37:38], -v[33:34], v[33:34], v[35:36]
	v_xor_b32_e32 v27, 0x80000000, v27
	v_cndmask_b32_e64 v18, v27, v40, s[10:11]
	v_xor_b32_e32 v27, v18, v30
	v_cndmask_b32_e32 v18, 0, v56, vcc
	v_cndmask_b32_e64 v26, v26, v39, s[10:11]
	v_cmp_class_f64_e32 vcc, v[35:36], v51
	v_fma_f64 v[15:16], v[37:38], v[28:29], v[33:34]
	v_fma_f64 v[28:29], v[26:27], v[26:27], 1.0
	v_ldexp_f64 v[15:16], v[15:16], v18
	v_mul_f64 v[30:31], v[13:14], v[28:29]
	v_cndmask_b32_e32 v16, v16, v36, vcc
	v_cndmask_b32_e32 v15, v15, v35, vcc
	v_mul_f64 v[15:16], v[15:16], v[28:29]
	v_fma_f64 v[28:29], v[13:14], v[30:31], 1.0
	v_mul_f64 v[13:14], v[13:14], v[15:16]
	v_div_scale_f64 v[30:31], s[10:11], v[28:29], v[28:29], v[26:27]
	v_div_scale_f64 v[15:16], s[10:11], v[28:29], v[28:29], v[13:14]
	;; [unrolled: 1-line block ×3, first 2 shown]
	v_rcp_f64_e32 v[34:35], v[30:31]
	v_rcp_f64_e32 v[32:33], v[15:16]
	v_fma_f64 v[38:39], -v[30:31], v[34:35], 1.0
	v_fma_f64 v[36:37], -v[15:16], v[32:33], 1.0
	v_fma_f64 v[34:35], v[34:35], v[38:39], v[34:35]
	v_fma_f64 v[32:33], v[32:33], v[36:37], v[32:33]
	v_div_scale_f64 v[36:37], vcc, v[13:14], v[28:29], v[13:14]
	v_fma_f64 v[58:59], -v[30:31], v[34:35], 1.0
	v_fma_f64 v[38:39], -v[15:16], v[32:33], 1.0
	v_fma_f64 v[34:35], v[34:35], v[58:59], v[34:35]
	v_fma_f64 v[32:33], v[32:33], v[38:39], v[32:33]
	v_mul_f64 v[58:59], v[40:41], v[34:35]
	v_mul_f64 v[38:39], v[36:37], v[32:33]
	v_fma_f64 v[30:31], -v[30:31], v[58:59], v[40:41]
	v_fma_f64 v[15:16], -v[15:16], v[38:39], v[36:37]
	v_div_fmas_f64 v[15:16], v[15:16], v[32:33], v[38:39]
	s_mov_b64 vcc, s[10:11]
	v_div_fmas_f64 v[30:31], v[30:31], v[34:35], v[58:59]
	v_div_fixup_f64 v[13:14], v[15:16], v[28:29], v[13:14]
	v_div_fixup_f64 v[15:16], v[30:31], v[28:29], v[26:27]
.LBB161_96:                             ;   in Loop: Header=BB161_4 Depth=1
	s_andn2_saveexec_b64 s[10:11], s[68:69]
	s_cbranch_execz .LBB161_106
; %bb.97:                               ;   in Loop: Header=BB161_4 Depth=1
	v_cmp_nlt_f64_e64 s[68:69], |v[15:16]|, s[44:45]
                                        ; implicit-def: $vgpr39
                                        ; implicit-def: $vgpr30_vgpr31
                                        ; implicit-def: $vgpr36_vgpr37
	s_and_saveexec_b64 s[70:71], s[68:69]
	s_xor_b64 s[70:71], exec, s[70:71]
	s_cbranch_execz .LBB161_99
; %bb.98:                               ;   in Loop: Header=BB161_4 Depth=1
	v_trig_preop_f64 v[26:27], |v[15:16]|, 0
	v_ldexp_f64 v[28:29], |v[15:16]|, s79
	v_cmp_ge_f64_e64 vcc, |v[15:16]|, s[46:47]
	v_trig_preop_f64 v[30:31], |v[15:16]|, 1
	v_and_b32_e32 v18, 0x7fffffff, v16
	v_trig_preop_f64 v[38:39], |v[15:16]|, 2
	s_mov_b32 s22, s50
	s_mov_b32 s55, s27
	v_cndmask_b32_e32 v29, v18, v29, vcc
	v_cndmask_b32_e32 v28, v15, v28, vcc
	v_mul_f64 v[32:33], v[26:27], v[28:29]
	v_mul_f64 v[34:35], v[30:31], v[28:29]
	v_mul_f64 v[60:61], v[38:39], v[28:29]
	v_fma_f64 v[26:27], v[26:27], v[28:29], -v[32:33]
	v_fma_f64 v[30:31], v[30:31], v[28:29], -v[34:35]
	;; [unrolled: 1-line block ×3, first 2 shown]
	v_add_f64 v[36:37], v[34:35], v[26:27]
	v_add_f64 v[40:41], v[36:37], -v[34:35]
	v_add_f64 v[62:63], v[32:33], v[36:37]
	v_add_f64 v[58:59], v[36:37], -v[40:41]
	v_add_f64 v[26:27], v[26:27], -v[40:41]
	v_add_f64 v[40:41], v[60:61], v[30:31]
	v_add_f64 v[32:33], v[62:63], -v[32:33]
	v_add_f64 v[34:35], v[34:35], -v[58:59]
	v_ldexp_f64 v[58:59], v[62:63], -2
	v_add_f64 v[64:65], v[40:41], -v[60:61]
	v_add_f64 v[32:33], v[36:37], -v[32:33]
	v_add_f64 v[26:27], v[26:27], v[34:35]
	v_fract_f64_e32 v[34:35], v[58:59]
	v_cmp_neq_f64_e64 vcc, |v[58:59]|, s[48:49]
	v_add_f64 v[30:31], v[30:31], -v[64:65]
	v_add_f64 v[36:37], v[40:41], v[26:27]
	v_ldexp_f64 v[34:35], v[34:35], 2
	v_add_f64 v[58:59], v[32:33], v[36:37]
	v_cndmask_b32_e32 v35, 0, v35, vcc
	v_cndmask_b32_e32 v34, 0, v34, vcc
	v_add_f64 v[66:67], v[36:37], -v[40:41]
	v_add_f64 v[62:63], v[58:59], v[34:35]
	v_add_f64 v[32:33], v[58:59], -v[32:33]
	v_add_f64 v[68:69], v[36:37], -v[66:67]
	;; [unrolled: 1-line block ×3, first 2 shown]
	v_cmp_gt_f64_e32 vcc, 0, v[62:63]
	v_add_f64 v[62:63], v[40:41], -v[64:65]
	v_add_f64 v[32:33], v[36:37], -v[32:33]
	;; [unrolled: 1-line block ×3, first 2 shown]
	v_cndmask_b32_e32 v18, 0, v52, vcc
	v_add_f64 v[34:35], v[34:35], v[17:18]
	v_add_f64 v[62:63], v[60:61], -v[62:63]
	v_add_f64 v[26:27], v[26:27], v[40:41]
	v_add_f64 v[70:71], v[58:59], v[34:35]
	;; [unrolled: 1-line block ×3, first 2 shown]
	v_cvt_i32_f64_e32 v66, v[70:71]
	v_add_f64 v[26:27], v[30:31], v[26:27]
	v_cvt_f64_i32_e32 v[64:65], v66
	v_add_f64 v[34:35], v[34:35], -v[64:65]
	v_add_f64 v[26:27], v[28:29], v[26:27]
	v_add_f64 v[30:31], v[58:59], v[34:35]
	;; [unrolled: 1-line block ×3, first 2 shown]
	v_add_f64 v[28:29], v[30:31], -v[34:35]
	v_cmp_le_f64_e32 vcc, 0.5, v[30:31]
	v_add_f64 v[28:29], v[58:59], -v[28:29]
	v_cndmask_b32_e32 v18, 0, v53, vcc
	v_addc_co_u32_e32 v39, vcc, 0, v66, vcc
	v_add_f64 v[26:27], v[26:27], v[28:29]
	v_add_f64 v[28:29], v[30:31], -v[17:18]
	v_add_f64 v[30:31], v[28:29], v[26:27]
	v_mul_f64 v[32:33], v[30:31], s[22:23]
	v_add_f64 v[28:29], v[30:31], -v[28:29]
	v_fma_f64 v[34:35], v[30:31], s[22:23], -v[32:33]
	v_add_f64 v[26:27], v[26:27], -v[28:29]
	v_fma_f64 v[28:29], v[30:31], s[54:55], v[34:35]
	v_fma_f64 v[26:27], v[26:27], s[22:23], v[28:29]
	v_add_f64 v[30:31], v[32:33], v[26:27]
	v_add_f64 v[28:29], v[30:31], -v[32:33]
	v_add_f64 v[36:37], v[26:27], -v[28:29]
	s_andn2_saveexec_b64 s[70:71], s[70:71]
	s_cbranch_execz .LBB161_101
	s_branch .LBB161_100
.LBB161_99:                             ;   in Loop: Header=BB161_4 Depth=1
	s_andn2_saveexec_b64 s[70:71], s[70:71]
	s_cbranch_execz .LBB161_101
.LBB161_100:                            ;   in Loop: Header=BB161_4 Depth=1
	v_mul_f64 v[26:27], |v[15:16]|, s[24:25]
	s_mov_b32 s26, s52
	v_rndne_f64_e32 v[26:27], v[26:27]
	v_fma_f64 v[28:29], v[26:27], s[50:51], |v[15:16]|
	v_mul_f64 v[30:31], v[26:27], s[52:53]
	v_cvt_i32_f64_e32 v39, v[26:27]
	v_add_f64 v[32:33], v[28:29], v[30:31]
	v_add_f64 v[34:35], v[28:29], -v[32:33]
	v_fma_f64 v[28:29], v[26:27], s[52:53], v[28:29]
	v_add_f64 v[34:35], v[34:35], v[30:31]
	v_add_f64 v[32:33], v[32:33], -v[28:29]
	v_fma_f64 v[30:31], v[26:27], s[26:27], v[30:31]
	;; [unrolled: 3-line block ×3, first 2 shown]
	v_add_f64 v[30:31], v[28:29], v[32:33]
	v_add_f64 v[28:29], v[30:31], -v[28:29]
	v_add_f64 v[36:37], v[32:33], -v[28:29]
.LBB161_101:                            ;   in Loop: Header=BB161_4 Depth=1
	s_or_b64 exec, exec, s[70:71]
                                        ; implicit-def: $vgpr38
                                        ; implicit-def: $vgpr26_vgpr27
                                        ; implicit-def: $vgpr28_vgpr29
	s_and_saveexec_b64 s[70:71], s[68:69]
	s_xor_b64 s[68:69], exec, s[70:71]
	s_cbranch_execz .LBB161_103
; %bb.102:                              ;   in Loop: Header=BB161_4 Depth=1
	v_trig_preop_f64 v[26:27], |v[15:16]|, 0
	v_ldexp_f64 v[28:29], |v[15:16]|, s79
	v_cmp_ge_f64_e64 vcc, |v[15:16]|, s[46:47]
	v_trig_preop_f64 v[32:33], |v[15:16]|, 1
	v_and_b32_e32 v18, 0x7fffffff, v16
	v_trig_preop_f64 v[60:61], |v[15:16]|, 2
	s_mov_b32 s22, s50
	s_mov_b32 s55, s27
	v_cndmask_b32_e32 v29, v18, v29, vcc
	v_cndmask_b32_e32 v28, v15, v28, vcc
	v_mul_f64 v[34:35], v[26:27], v[28:29]
	v_mul_f64 v[40:41], v[32:33], v[28:29]
	;; [unrolled: 1-line block ×3, first 2 shown]
	v_fma_f64 v[26:27], v[26:27], v[28:29], -v[34:35]
	v_fma_f64 v[32:33], v[32:33], v[28:29], -v[40:41]
	;; [unrolled: 1-line block ×3, first 2 shown]
	v_add_f64 v[58:59], v[40:41], v[26:27]
	v_add_f64 v[62:63], v[58:59], -v[40:41]
	v_add_f64 v[68:69], v[34:35], v[58:59]
	v_add_f64 v[64:65], v[58:59], -v[62:63]
	v_add_f64 v[26:27], v[26:27], -v[62:63]
	v_add_f64 v[62:63], v[66:67], v[32:33]
	v_add_f64 v[34:35], v[68:69], -v[34:35]
	v_add_f64 v[40:41], v[40:41], -v[64:65]
	v_ldexp_f64 v[64:65], v[68:69], -2
	v_add_f64 v[70:71], v[62:63], -v[66:67]
	v_add_f64 v[34:35], v[58:59], -v[34:35]
	v_add_f64 v[26:27], v[26:27], v[40:41]
	v_fract_f64_e32 v[40:41], v[64:65]
	v_cmp_neq_f64_e64 vcc, |v[64:65]|, s[48:49]
	v_add_f64 v[32:33], v[32:33], -v[70:71]
	v_add_f64 v[58:59], v[62:63], v[26:27]
	v_ldexp_f64 v[40:41], v[40:41], 2
	v_add_f64 v[64:65], v[34:35], v[58:59]
	v_cndmask_b32_e32 v41, 0, v41, vcc
	v_cndmask_b32_e32 v40, 0, v40, vcc
	v_add_f64 v[72:73], v[58:59], -v[62:63]
	v_add_f64 v[68:69], v[64:65], v[40:41]
	v_add_f64 v[34:35], v[64:65], -v[34:35]
	v_add_f64 v[74:75], v[58:59], -v[72:73]
	;; [unrolled: 1-line block ×3, first 2 shown]
	v_cmp_gt_f64_e32 vcc, 0, v[68:69]
	v_add_f64 v[68:69], v[62:63], -v[70:71]
	v_add_f64 v[34:35], v[58:59], -v[34:35]
	;; [unrolled: 1-line block ×3, first 2 shown]
	v_cndmask_b32_e32 v18, 0, v52, vcc
	v_add_f64 v[40:41], v[40:41], v[17:18]
	v_add_f64 v[68:69], v[66:67], -v[68:69]
	v_add_f64 v[26:27], v[26:27], v[62:63]
	v_add_f64 v[76:77], v[64:65], v[40:41]
	;; [unrolled: 1-line block ×3, first 2 shown]
	v_cvt_i32_f64_e32 v38, v[76:77]
	v_add_f64 v[26:27], v[32:33], v[26:27]
	v_cvt_f64_i32_e32 v[70:71], v38
	v_add_f64 v[40:41], v[40:41], -v[70:71]
	v_add_f64 v[26:27], v[28:29], v[26:27]
	v_add_f64 v[32:33], v[64:65], v[40:41]
	;; [unrolled: 1-line block ×3, first 2 shown]
	v_add_f64 v[28:29], v[32:33], -v[40:41]
	v_cmp_le_f64_e32 vcc, 0.5, v[32:33]
	v_add_f64 v[28:29], v[64:65], -v[28:29]
	v_cndmask_b32_e32 v18, 0, v53, vcc
	v_addc_co_u32_e32 v38, vcc, 0, v38, vcc
	v_add_f64 v[26:27], v[26:27], v[28:29]
	v_add_f64 v[28:29], v[32:33], -v[17:18]
	v_add_f64 v[32:33], v[28:29], v[26:27]
	v_mul_f64 v[34:35], v[32:33], s[22:23]
	v_add_f64 v[28:29], v[32:33], -v[28:29]
	v_fma_f64 v[40:41], v[32:33], s[22:23], -v[34:35]
	v_add_f64 v[26:27], v[26:27], -v[28:29]
	v_fma_f64 v[28:29], v[32:33], s[54:55], v[40:41]
	v_fma_f64 v[28:29], v[26:27], s[22:23], v[28:29]
	v_add_f64 v[26:27], v[34:35], v[28:29]
	v_add_f64 v[32:33], v[26:27], -v[34:35]
	v_add_f64 v[28:29], v[28:29], -v[32:33]
	s_andn2_saveexec_b64 s[68:69], s[68:69]
	s_cbranch_execnz .LBB161_104
	s_branch .LBB161_105
.LBB161_103:                            ;   in Loop: Header=BB161_4 Depth=1
	s_andn2_saveexec_b64 s[68:69], s[68:69]
	s_cbranch_execz .LBB161_105
.LBB161_104:                            ;   in Loop: Header=BB161_4 Depth=1
	v_mul_f64 v[26:27], |v[15:16]|, s[24:25]
	s_mov_b32 s26, s52
	v_rndne_f64_e32 v[32:33], v[26:27]
	v_fma_f64 v[26:27], v[32:33], s[50:51], |v[15:16]|
	v_mul_f64 v[28:29], v[32:33], s[52:53]
	v_cvt_i32_f64_e32 v38, v[32:33]
	v_fma_f64 v[58:59], v[32:33], s[52:53], v[26:27]
	v_add_f64 v[34:35], v[26:27], v[28:29]
	v_add_f64 v[40:41], v[26:27], -v[34:35]
	v_add_f64 v[34:35], v[34:35], -v[58:59]
	v_add_f64 v[26:27], v[40:41], v[28:29]
	v_fma_f64 v[28:29], v[32:33], s[26:27], v[28:29]
	v_add_f64 v[26:27], v[34:35], v[26:27]
	v_add_f64 v[26:27], v[26:27], -v[28:29]
	v_fma_f64 v[28:29], v[32:33], s[28:29], v[26:27]
	v_add_f64 v[26:27], v[58:59], v[28:29]
	v_add_f64 v[34:35], v[26:27], -v[58:59]
	v_add_f64 v[28:29], v[28:29], -v[34:35]
.LBB161_105:                            ;   in Loop: Header=BB161_4 Depth=1
	s_or_b64 exec, exec, s[68:69]
	v_mul_f64 v[40:41], v[30:31], v[30:31]
	v_mul_f64 v[64:65], v[36:37], 0.5
	s_mov_b32 s12, s14
	v_and_b32_e32 v15, 1, v39
	v_cmp_eq_u32_e32 vcc, 0, v15
	s_mov_b32 s68, 0x3b39803f
	s_mov_b32 s69, 0xbc7abc9e
	;; [unrolled: 1-line block ×3, first 2 shown]
	v_mul_f64 v[32:33], v[40:41], 0.5
	v_mul_f64 v[60:61], v[40:41], v[40:41]
	s_mov_b32 s93, s15
	v_add_f64 v[58:59], -v[32:33], 1.0
	v_add_f64 v[34:35], -v[58:59], 1.0
	v_add_f64 v[32:33], v[34:35], -v[32:33]
	v_mov_b32_e32 v34, s82
	v_mov_b32_e32 v35, s83
	v_fma_f64 v[62:63], v[40:41], s[84:85], v[34:35]
	v_fma_f64 v[32:33], v[30:31], -v[36:37], v[32:33]
	v_fma_f64 v[62:63], v[40:41], v[62:63], s[86:87]
	v_fma_f64 v[62:63], v[40:41], v[62:63], s[88:89]
	;; [unrolled: 1-line block ×5, first 2 shown]
	v_mul_f64 v[62:63], v[30:31], -v[40:41]
	v_add_f64 v[58:59], v[58:59], v[32:33]
	v_mov_b32_e32 v32, s94
	v_mov_b32_e32 v33, s95
	v_fma_f64 v[60:61], v[40:41], s[30:31], v[32:33]
	v_fma_f64 v[60:61], v[40:41], v[60:61], s[34:35]
	;; [unrolled: 1-line block ×5, first 2 shown]
	v_fma_f64 v[36:37], v[40:41], v[60:61], -v[36:37]
	v_fma_f64 v[36:37], v[62:63], s[12:13], v[36:37]
	v_add_f64 v[30:31], v[30:31], -v[36:37]
	v_cndmask_b32_e32 v15, v58, v30, vcc
	v_lshlrev_b32_e32 v30, 30, v39
	v_cndmask_b32_e32 v18, v59, v31, vcc
	v_xor_b32_e32 v16, v30, v16
	v_mul_f64 v[30:31], |v[13:14]|, s[62:63]
	v_and_b32_e32 v16, 0x80000000, v16
	v_xor_b32_e32 v16, v18, v16
	v_mul_f64 v[15:16], v[15:16], 4.0
	v_rndne_f64_e32 v[30:31], v[30:31]
	v_fma_f64 v[36:37], v[30:31], s[64:65], -|v[13:14]|
	v_cvt_i32_f64_e32 v18, v[30:31]
	v_fma_f64 v[36:37], v[30:31], s[68:69], v[36:37]
	s_mov_b32 s68, 0x6a5dcb37
	s_mov_b32 s69, 0x3e5ade15
	v_fma_f64 v[39:40], v[36:37], s[68:69], v[24:25]
	s_mov_b32 s68, 0x623fde64
	s_mov_b32 s69, 0x3ec71dee
	;; [unrolled: 3-line block ×6, first 2 shown]
	v_fma_f64 v[39:40], v[36:37], v[39:40], s[38:39]
	v_fma_f64 v[39:40], v[36:37], v[39:40], s[92:93]
	;; [unrolled: 1-line block ×3, first 2 shown]
	s_mov_b32 s68, 11
	s_mov_b32 s69, 0x3fe00000
	v_fma_f64 v[39:40], v[36:37], v[39:40], s[68:69]
	s_mov_b32 s68, 0
	s_mov_b32 s69, 0x4090cc00
	v_cmp_ngt_f64_e64 vcc, |v[13:14]|, s[68:69]
	v_fma_f64 v[39:40], v[36:37], v[39:40], 1.0
	v_fma_f64 v[36:37], v[36:37], v[39:40], 1.0
	v_ldexp_f64 v[30:31], v[36:37], v18
	v_bfi_b32 v18, s75, v53, v14
	v_mul_f64 v[13:14], v[26:27], v[26:27]
	v_cndmask_b32_e32 v31, 0, v31, vcc
	v_cndmask_b32_e32 v30, 0, v30, vcc
	v_mul_f64 v[36:37], v[13:14], 0.5
	v_fma_f64 v[34:35], v[13:14], s[84:85], v[34:35]
	v_fma_f64 v[32:33], v[13:14], s[30:31], v[32:33]
	v_add_f64 v[39:40], -v[36:37], 1.0
	v_fma_f64 v[34:35], v[13:14], v[34:35], s[86:87]
	v_fma_f64 v[32:33], v[13:14], v[32:33], s[34:35]
	v_add_f64 v[58:59], -v[39:40], 1.0
	v_fma_f64 v[34:35], v[13:14], v[34:35], s[88:89]
	v_fma_f64 v[32:33], v[13:14], v[32:33], s[36:37]
	v_add_f64 v[36:37], v[58:59], -v[36:37]
	v_fma_f64 v[34:35], v[13:14], v[34:35], s[90:91]
	v_mul_f64 v[58:59], v[13:14], v[13:14]
	v_fma_f64 v[32:33], v[13:14], v[32:33], s[80:81]
	v_fma_f64 v[36:37], v[26:27], -v[28:29], v[36:37]
	v_fma_f64 v[34:35], v[13:14], v[34:35], s[14:15]
	v_fma_f64 v[34:35], v[58:59], v[34:35], v[36:37]
	v_mul_f64 v[36:37], v[26:27], -v[13:14]
	v_add_f64 v[34:35], v[39:40], v[34:35]
	v_mul_f64 v[39:40], v[28:29], 0.5
	v_fma_f64 v[32:33], v[36:37], v[32:33], v[39:40]
	v_fma_f64 v[13:14], v[13:14], v[32:33], -v[28:29]
	v_fma_f64 v[13:14], v[36:37], s[12:13], v[13:14]
	v_add_f64 v[13:14], v[26:27], -v[13:14]
	v_and_b32_e32 v26, 1, v38
	v_cmp_eq_u32_e32 vcc, 0, v26
	v_lshlrev_b32_e32 v26, 30, v38
	v_and_b32_e32 v26, 0x80000000, v26
	v_xor_b32_e32 v14, 0x80000000, v14
	v_cndmask_b32_e32 v14, v14, v35, vcc
	v_cndmask_b32_e32 v13, v13, v34, vcc
	v_xor_b32_e32 v14, v14, v26
	v_mul_f64 v[13:14], v[15:16], v[13:14]
	v_mul_f64 v[13:14], v[30:31], v[13:14]
	;; [unrolled: 1-line block ×3, first 2 shown]
	v_mov_b32_e32 v13, v17
	v_mov_b32_e32 v14, v18
.LBB161_106:                            ;   in Loop: Header=BB161_4 Depth=1
	s_or_b64 exec, exec, s[10:11]
.LBB161_107:                            ;   in Loop: Header=BB161_4 Depth=1
	s_andn2_saveexec_b64 s[10:11], s[66:67]
	s_cbranch_execz .LBB161_109
; %bb.108:                              ;   in Loop: Header=BB161_4 Depth=1
	v_add_f64 v[15:16], v[15:16], -v[15:16]
	v_mov_b32_e32 v13, v15
	v_mov_b32_e32 v14, v16
.LBB161_109:                            ;   in Loop: Header=BB161_4 Depth=1
	s_or_b64 exec, exec, s[10:11]
.LBB161_110:                            ;   in Loop: Header=BB161_4 Depth=1
	s_andn2_saveexec_b64 s[60:61], s[60:61]
	s_cbranch_execz .LBB161_126
; %bb.111:                              ;   in Loop: Header=BB161_4 Depth=1
	v_and_or_b32 v18, v14, s78, v13
	v_cmp_ne_u32_e32 vcc, 0, v18
	s_and_saveexec_b64 s[10:11], vcc
	s_xor_b64 s[10:11], exec, s[10:11]
	s_cbranch_execz .LBB161_113
; %bb.112:                              ;   in Loop: Header=BB161_4 Depth=1
	v_mul_f64 v[26:27], v[15:16], v[13:14]
	v_cmp_eq_f64_e32 vcc, 0, v[15:16]
	v_cndmask_b32_e32 v16, v27, v16, vcc
	v_cndmask_b32_e32 v15, v26, v15, vcc
.LBB161_113:                            ;   in Loop: Header=BB161_4 Depth=1
	s_andn2_saveexec_b64 s[66:67], s[10:11]
	s_cbranch_execz .LBB161_125
; %bb.114:                              ;   in Loop: Header=BB161_4 Depth=1
	v_cmp_neq_f64_e64 s[10:11], |v[15:16]|, s[48:49]
	s_and_saveexec_b64 s[68:69], s[10:11]
	s_cbranch_execz .LBB161_124
; %bb.115:                              ;   in Loop: Header=BB161_4 Depth=1
	v_trig_preop_f64 v[38:39], |v[15:16]|, 0
	v_trig_preop_f64 v[36:37], |v[15:16]|, 1
	;; [unrolled: 1-line block ×3, first 2 shown]
	v_cmp_nlt_f64_e64 s[10:11], |v[15:16]|, s[44:45]
	v_ldexp_f64 v[40:41], |v[15:16]|, s79
	v_and_b32_e32 v59, 0x7fffffff, v16
                                        ; implicit-def: $vgpr58
                                        ; implicit-def: $vgpr32_vgpr33
                                        ; implicit-def: $vgpr34_vgpr35
	s_and_saveexec_b64 s[70:71], s[10:11]
	s_xor_b64 s[70:71], exec, s[70:71]
	s_cbranch_execz .LBB161_117
; %bb.116:                              ;   in Loop: Header=BB161_4 Depth=1
	v_cmp_ge_f64_e64 vcc, |v[15:16]|, s[46:47]
	s_mov_b32 s22, s50
	s_mov_b32 s55, s27
	v_cndmask_b32_e32 v27, v59, v41, vcc
	v_cndmask_b32_e32 v26, v15, v40, vcc
	v_mul_f64 v[28:29], v[38:39], v[26:27]
	v_mul_f64 v[32:33], v[36:37], v[26:27]
	;; [unrolled: 1-line block ×3, first 2 shown]
	v_fma_f64 v[34:35], v[38:39], v[26:27], -v[28:29]
	v_fma_f64 v[68:69], v[36:37], v[26:27], -v[32:33]
	;; [unrolled: 1-line block ×3, first 2 shown]
	v_add_f64 v[60:61], v[32:33], v[34:35]
	v_add_f64 v[62:63], v[60:61], -v[32:33]
	v_add_f64 v[70:71], v[28:29], v[60:61]
	v_add_f64 v[64:65], v[60:61], -v[62:63]
	v_add_f64 v[34:35], v[34:35], -v[62:63]
	v_add_f64 v[62:63], v[66:67], v[68:69]
	v_add_f64 v[28:29], v[70:71], -v[28:29]
	v_add_f64 v[32:33], v[32:33], -v[64:65]
	v_ldexp_f64 v[64:65], v[70:71], -2
	v_add_f64 v[72:73], v[62:63], -v[66:67]
	v_add_f64 v[28:29], v[60:61], -v[28:29]
	v_add_f64 v[32:33], v[34:35], v[32:33]
	v_fract_f64_e32 v[34:35], v[64:65]
	v_cmp_neq_f64_e64 vcc, |v[64:65]|, s[48:49]
	v_add_f64 v[68:69], v[68:69], -v[72:73]
	v_add_f64 v[60:61], v[62:63], v[32:33]
	v_ldexp_f64 v[34:35], v[34:35], 2
	v_add_f64 v[64:65], v[28:29], v[60:61]
	v_cndmask_b32_e32 v35, 0, v35, vcc
	v_cndmask_b32_e32 v34, 0, v34, vcc
	v_add_f64 v[74:75], v[60:61], -v[62:63]
	v_add_f64 v[70:71], v[64:65], v[34:35]
	v_add_f64 v[28:29], v[64:65], -v[28:29]
	v_add_f64 v[76:77], v[60:61], -v[74:75]
	;; [unrolled: 1-line block ×3, first 2 shown]
	v_cmp_gt_f64_e32 vcc, 0, v[70:71]
	v_add_f64 v[70:71], v[62:63], -v[72:73]
	v_add_f64 v[28:29], v[60:61], -v[28:29]
	;; [unrolled: 1-line block ×3, first 2 shown]
	v_cndmask_b32_e32 v18, 0, v52, vcc
	v_add_f64 v[34:35], v[34:35], v[17:18]
	v_add_f64 v[70:71], v[66:67], -v[70:71]
	v_add_f64 v[32:33], v[32:33], v[62:63]
	v_add_f64 v[78:79], v[64:65], v[34:35]
	;; [unrolled: 1-line block ×3, first 2 shown]
	v_cvt_i32_f64_e32 v58, v[78:79]
	v_add_f64 v[32:33], v[68:69], v[32:33]
	v_cvt_f64_i32_e32 v[72:73], v58
	v_add_f64 v[34:35], v[34:35], -v[72:73]
	v_add_f64 v[26:27], v[26:27], v[32:33]
	v_add_f64 v[62:63], v[64:65], v[34:35]
	;; [unrolled: 1-line block ×3, first 2 shown]
	v_add_f64 v[32:33], v[62:63], -v[34:35]
	v_cmp_le_f64_e32 vcc, 0.5, v[62:63]
	v_add_f64 v[28:29], v[64:65], -v[32:33]
	v_cndmask_b32_e32 v18, 0, v53, vcc
	v_addc_co_u32_e32 v58, vcc, 0, v58, vcc
	v_add_f64 v[26:27], v[26:27], v[28:29]
	v_add_f64 v[28:29], v[62:63], -v[17:18]
	v_add_f64 v[32:33], v[28:29], v[26:27]
	v_mul_f64 v[34:35], v[32:33], s[22:23]
	v_add_f64 v[28:29], v[32:33], -v[28:29]
	v_fma_f64 v[60:61], v[32:33], s[22:23], -v[34:35]
	v_add_f64 v[26:27], v[26:27], -v[28:29]
	v_fma_f64 v[28:29], v[32:33], s[54:55], v[60:61]
	v_fma_f64 v[26:27], v[26:27], s[22:23], v[28:29]
	v_add_f64 v[32:33], v[34:35], v[26:27]
	v_add_f64 v[28:29], v[32:33], -v[34:35]
	v_add_f64 v[34:35], v[26:27], -v[28:29]
	s_andn2_saveexec_b64 s[70:71], s[70:71]
	s_cbranch_execz .LBB161_119
	s_branch .LBB161_118
.LBB161_117:                            ;   in Loop: Header=BB161_4 Depth=1
	s_andn2_saveexec_b64 s[70:71], s[70:71]
	s_cbranch_execz .LBB161_119
.LBB161_118:                            ;   in Loop: Header=BB161_4 Depth=1
	v_mul_f64 v[26:27], |v[15:16]|, s[24:25]
	s_mov_b32 s26, s52
	v_rndne_f64_e32 v[26:27], v[26:27]
	v_fma_f64 v[28:29], v[26:27], s[50:51], |v[15:16]|
	v_mul_f64 v[32:33], v[26:27], s[52:53]
	v_cvt_i32_f64_e32 v58, v[26:27]
	v_add_f64 v[34:35], v[28:29], v[32:33]
	v_add_f64 v[60:61], v[28:29], -v[34:35]
	v_fma_f64 v[28:29], v[26:27], s[52:53], v[28:29]
	v_add_f64 v[60:61], v[60:61], v[32:33]
	v_add_f64 v[34:35], v[34:35], -v[28:29]
	v_fma_f64 v[32:33], v[26:27], s[26:27], v[32:33]
	;; [unrolled: 3-line block ×3, first 2 shown]
	v_add_f64 v[32:33], v[28:29], v[34:35]
	v_add_f64 v[28:29], v[32:33], -v[28:29]
	v_add_f64 v[34:35], v[34:35], -v[28:29]
.LBB161_119:                            ;   in Loop: Header=BB161_4 Depth=1
	s_or_b64 exec, exec, s[70:71]
                                        ; implicit-def: $vgpr18
                                        ; implicit-def: $vgpr26_vgpr27
                                        ; implicit-def: $vgpr28_vgpr29
	s_and_saveexec_b64 s[70:71], s[10:11]
	s_xor_b64 s[10:11], exec, s[70:71]
	s_cbranch_execz .LBB161_121
; %bb.120:                              ;   in Loop: Header=BB161_4 Depth=1
	v_cmp_ge_f64_e64 vcc, |v[15:16]|, s[46:47]
	s_mov_b32 s22, s50
	s_mov_b32 s55, s27
	v_cndmask_b32_e32 v27, v59, v41, vcc
	v_cndmask_b32_e32 v26, v15, v40, vcc
	v_mul_f64 v[28:29], v[38:39], v[26:27]
	v_mul_f64 v[40:41], v[36:37], v[26:27]
	;; [unrolled: 1-line block ×3, first 2 shown]
	v_fma_f64 v[38:39], v[38:39], v[26:27], -v[28:29]
	v_fma_f64 v[36:37], v[36:37], v[26:27], -v[40:41]
	v_fma_f64 v[26:27], v[30:31], v[26:27], -v[65:66]
	v_add_f64 v[59:60], v[40:41], v[38:39]
	v_add_f64 v[61:62], v[59:60], -v[40:41]
	v_add_f64 v[67:68], v[28:29], v[59:60]
	v_add_f64 v[63:64], v[59:60], -v[61:62]
	v_add_f64 v[38:39], v[38:39], -v[61:62]
	v_add_f64 v[61:62], v[65:66], v[36:37]
	v_add_f64 v[28:29], v[67:68], -v[28:29]
	v_add_f64 v[40:41], v[40:41], -v[63:64]
	v_ldexp_f64 v[63:64], v[67:68], -2
	v_add_f64 v[69:70], v[61:62], -v[65:66]
	v_add_f64 v[28:29], v[59:60], -v[28:29]
	v_add_f64 v[38:39], v[38:39], v[40:41]
	v_fract_f64_e32 v[40:41], v[63:64]
	v_cmp_neq_f64_e64 vcc, |v[63:64]|, s[48:49]
	v_add_f64 v[36:37], v[36:37], -v[69:70]
	v_add_f64 v[59:60], v[61:62], v[38:39]
	v_ldexp_f64 v[40:41], v[40:41], 2
	v_add_f64 v[63:64], v[28:29], v[59:60]
	v_cndmask_b32_e32 v41, 0, v41, vcc
	v_cndmask_b32_e32 v40, 0, v40, vcc
	v_add_f64 v[71:72], v[59:60], -v[61:62]
	v_add_f64 v[67:68], v[63:64], v[40:41]
	v_add_f64 v[28:29], v[63:64], -v[28:29]
	v_add_f64 v[73:74], v[59:60], -v[71:72]
	;; [unrolled: 1-line block ×3, first 2 shown]
	v_cmp_gt_f64_e32 vcc, 0, v[67:68]
	v_add_f64 v[67:68], v[61:62], -v[69:70]
	v_add_f64 v[28:29], v[59:60], -v[28:29]
	;; [unrolled: 1-line block ×3, first 2 shown]
	v_cndmask_b32_e32 v18, 0, v52, vcc
	v_add_f64 v[40:41], v[40:41], v[17:18]
	v_add_f64 v[67:68], v[65:66], -v[67:68]
	v_add_f64 v[38:39], v[38:39], v[61:62]
	v_add_f64 v[75:76], v[63:64], v[40:41]
	v_add_f64 v[36:37], v[36:37], v[67:68]
	v_cvt_i32_f64_e32 v71, v[75:76]
	v_add_f64 v[30:31], v[36:37], v[38:39]
	v_cvt_f64_i32_e32 v[69:70], v71
	v_add_f64 v[40:41], v[40:41], -v[69:70]
	v_add_f64 v[26:27], v[26:27], v[30:31]
	v_add_f64 v[36:37], v[63:64], v[40:41]
	;; [unrolled: 1-line block ×3, first 2 shown]
	v_add_f64 v[30:31], v[36:37], -v[40:41]
	v_cmp_le_f64_e32 vcc, 0.5, v[36:37]
	v_add_f64 v[28:29], v[63:64], -v[30:31]
	v_cndmask_b32_e32 v18, 0, v53, vcc
	v_add_f64 v[26:27], v[26:27], v[28:29]
	v_add_f64 v[28:29], v[36:37], -v[17:18]
	v_addc_co_u32_e32 v18, vcc, 0, v71, vcc
	v_add_f64 v[30:31], v[28:29], v[26:27]
	v_mul_f64 v[36:37], v[30:31], s[22:23]
	v_add_f64 v[28:29], v[30:31], -v[28:29]
	v_fma_f64 v[38:39], v[30:31], s[22:23], -v[36:37]
	v_add_f64 v[26:27], v[26:27], -v[28:29]
	v_fma_f64 v[28:29], v[30:31], s[54:55], v[38:39]
	v_fma_f64 v[28:29], v[26:27], s[22:23], v[28:29]
	v_add_f64 v[26:27], v[36:37], v[28:29]
	v_add_f64 v[30:31], v[26:27], -v[36:37]
	v_add_f64 v[28:29], v[28:29], -v[30:31]
	s_andn2_saveexec_b64 s[10:11], s[10:11]
	s_cbranch_execnz .LBB161_122
	s_branch .LBB161_123
.LBB161_121:                            ;   in Loop: Header=BB161_4 Depth=1
	s_andn2_saveexec_b64 s[10:11], s[10:11]
	s_cbranch_execz .LBB161_123
.LBB161_122:                            ;   in Loop: Header=BB161_4 Depth=1
	v_mul_f64 v[26:27], |v[15:16]|, s[24:25]
	s_mov_b32 s26, s52
	v_rndne_f64_e32 v[30:31], v[26:27]
	v_fma_f64 v[26:27], v[30:31], s[50:51], |v[15:16]|
	v_mul_f64 v[28:29], v[30:31], s[52:53]
	v_cvt_i32_f64_e32 v18, v[30:31]
	v_fma_f64 v[40:41], v[30:31], s[52:53], v[26:27]
	v_add_f64 v[36:37], v[26:27], v[28:29]
	v_add_f64 v[38:39], v[26:27], -v[36:37]
	v_add_f64 v[36:37], v[36:37], -v[40:41]
	v_add_f64 v[26:27], v[38:39], v[28:29]
	v_fma_f64 v[28:29], v[30:31], s[26:27], v[28:29]
	v_add_f64 v[26:27], v[36:37], v[26:27]
	v_add_f64 v[26:27], v[26:27], -v[28:29]
	v_fma_f64 v[28:29], v[30:31], s[28:29], v[26:27]
	v_add_f64 v[26:27], v[40:41], v[28:29]
	v_add_f64 v[36:37], v[26:27], -v[40:41]
	v_add_f64 v[28:29], v[28:29], -v[36:37]
.LBB161_123:                            ;   in Loop: Header=BB161_4 Depth=1
	s_or_b64 exec, exec, s[10:11]
	v_mul_f64 v[30:31], v[32:33], v[32:33]
	v_mov_b32_e32 v59, s82
	v_mov_b32_e32 v60, s83
	v_mul_f64 v[63:64], v[34:35], 0.5
	s_mov_b32 s12, s14
	v_mul_f64 v[36:37], v[30:31], 0.5
	v_fma_f64 v[61:62], v[30:31], s[84:85], v[59:60]
	v_add_f64 v[38:39], -v[36:37], 1.0
	v_fma_f64 v[61:62], v[30:31], v[61:62], s[86:87]
	v_add_f64 v[40:41], -v[38:39], 1.0
	v_fma_f64 v[61:62], v[30:31], v[61:62], s[88:89]
	v_add_f64 v[36:37], v[40:41], -v[36:37]
	v_fma_f64 v[61:62], v[30:31], v[61:62], s[90:91]
	v_mul_f64 v[40:41], v[30:31], v[30:31]
	v_fma_f64 v[36:37], v[32:33], -v[34:35], v[36:37]
	v_fma_f64 v[61:62], v[30:31], v[61:62], s[14:15]
	v_fma_f64 v[36:37], v[40:41], v[61:62], v[36:37]
	v_mul_f64 v[61:62], v[32:33], -v[30:31]
	v_add_f64 v[36:37], v[38:39], v[36:37]
	v_mov_b32_e32 v38, s94
	v_mov_b32_e32 v39, s95
	v_fma_f64 v[40:41], v[30:31], s[30:31], v[38:39]
	v_fma_f64 v[40:41], v[30:31], v[40:41], s[34:35]
	;; [unrolled: 1-line block ×5, first 2 shown]
	v_fma_f64 v[30:31], v[30:31], v[40:41], -v[34:35]
	v_fma_f64 v[30:31], v[61:62], s[12:13], v[30:31]
	v_add_f64 v[30:31], v[32:33], -v[30:31]
	v_and_b32_e32 v32, 1, v58
	v_cmp_eq_u32_e32 vcc, 0, v32
	v_lshlrev_b32_e32 v32, 30, v58
	v_xor_b32_e32 v32, v32, v16
	v_and_b32_e32 v32, 0x80000000, v32
	v_cndmask_b32_e32 v30, v36, v30, vcc
	v_cndmask_b32_e32 v31, v37, v31, vcc
	v_cmp_class_f64_e64 vcc, v[15:16], s77
	v_xor_b32_e32 v31, v31, v32
	v_cndmask_b32_e32 v15, 0, v30, vcc
	v_cndmask_b32_e32 v16, v57, v31, vcc
	v_mul_f64 v[30:31], v[26:27], v[26:27]
	v_mul_f64 v[32:33], v[30:31], 0.5
	v_fma_f64 v[40:41], v[30:31], s[84:85], v[59:60]
	v_add_f64 v[34:35], -v[32:33], 1.0
	v_fma_f64 v[40:41], v[30:31], v[40:41], s[86:87]
	v_add_f64 v[36:37], -v[34:35], 1.0
	v_fma_f64 v[40:41], v[30:31], v[40:41], s[88:89]
	v_add_f64 v[32:33], v[36:37], -v[32:33]
	v_fma_f64 v[40:41], v[30:31], v[40:41], s[90:91]
	v_mul_f64 v[36:37], v[30:31], v[30:31]
	v_fma_f64 v[32:33], v[26:27], -v[28:29], v[32:33]
	v_fma_f64 v[40:41], v[30:31], v[40:41], s[14:15]
	v_fma_f64 v[32:33], v[36:37], v[40:41], v[32:33]
	v_mul_f64 v[36:37], v[26:27], -v[30:31]
	v_add_f64 v[32:33], v[34:35], v[32:33]
	v_fma_f64 v[34:35], v[30:31], s[30:31], v[38:39]
	v_mul_f64 v[38:39], v[28:29], 0.5
	v_fma_f64 v[34:35], v[30:31], v[34:35], s[34:35]
	v_fma_f64 v[34:35], v[30:31], v[34:35], s[36:37]
	;; [unrolled: 1-line block ×4, first 2 shown]
	v_fma_f64 v[28:29], v[30:31], v[34:35], -v[28:29]
	v_fma_f64 v[28:29], v[36:37], s[12:13], v[28:29]
	v_add_f64 v[26:27], v[26:27], -v[28:29]
	v_and_b32_e32 v28, 1, v18
	v_cmp_eq_u32_e64 s[10:11], 0, v28
	v_lshlrev_b32_e32 v18, 30, v18
	v_and_b32_e32 v18, 0x80000000, v18
	v_xor_b32_e32 v27, 0x80000000, v27
	v_cndmask_b32_e64 v27, v27, v33, s[10:11]
	v_cndmask_b32_e64 v26, v26, v32, s[10:11]
	v_xor_b32_e32 v18, v27, v18
	v_cndmask_b32_e32 v26, 0, v26, vcc
	v_cndmask_b32_e32 v27, v57, v18, vcc
	v_mul_f64 v[15:16], v[15:16], v[26:27]
.LBB161_124:                            ;   in Loop: Header=BB161_4 Depth=1
	s_or_b64 exec, exec, s[68:69]
	v_bfi_b32 v18, s75, 0, v16
	v_mov_b32_e32 v15, v17
	v_add_u32_e32 v14, -2.0, v14
	v_mov_b32_e32 v16, v18
.LBB161_125:                            ;   in Loop: Header=BB161_4 Depth=1
	s_or_b64 exec, exec, s[66:67]
.LBB161_126:                            ;   in Loop: Header=BB161_4 Depth=1
	s_or_b64 exec, exec, s[60:61]
	v_and_b32_e32 v30, 0x7fffffff, v10
	v_cmp_gt_u32_e32 vcc, s76, v30
	s_and_saveexec_b64 s[10:11], vcc
	s_xor_b64 s[60:61], exec, s[10:11]
	s_cbranch_execz .LBB161_137
; %bb.127:                              ;   in Loop: Header=BB161_4 Depth=1
	v_cmp_class_f64_e64 s[10:11], v[11:12], s77
	s_and_saveexec_b64 s[66:67], s[10:11]
	s_xor_b64 s[66:67], exec, s[66:67]
	s_cbranch_execz .LBB161_156
; %bb.128:                              ;   in Loop: Header=BB161_4 Depth=1
	s_mov_b32 s10, 0x40360000
	v_cmp_gt_u32_e32 vcc, s10, v30
	s_and_saveexec_b64 s[10:11], vcc
	s_xor_b64 s[68:69], exec, s[10:11]
	s_cbranch_execz .LBB161_134
; %bb.129:                              ;   in Loop: Header=BB161_4 Depth=1
	v_cmp_nlt_f64_e64 s[10:11], |v[11:12]|, s[44:45]
                                        ; implicit-def: $vgpr18
                                        ; implicit-def: $vgpr26_vgpr27
                                        ; implicit-def: $vgpr28_vgpr29
	s_and_saveexec_b64 s[70:71], s[10:11]
	s_xor_b64 s[10:11], exec, s[70:71]
	s_cbranch_execz .LBB161_131
; %bb.130:                              ;   in Loop: Header=BB161_4 Depth=1
	v_trig_preop_f64 v[26:27], |v[11:12]|, 0
	v_ldexp_f64 v[28:29], |v[11:12]|, s79
	v_cmp_ge_f64_e64 vcc, |v[11:12]|, s[46:47]
	v_trig_preop_f64 v[31:32], |v[11:12]|, 1
	v_and_b32_e32 v18, 0x7fffffff, v12
	v_trig_preop_f64 v[39:40], |v[11:12]|, 2
	s_mov_b32 s22, s50
	s_mov_b32 s55, s27
	v_cndmask_b32_e32 v29, v18, v29, vcc
	v_cndmask_b32_e32 v28, v11, v28, vcc
	v_mul_f64 v[33:34], v[26:27], v[28:29]
	v_mul_f64 v[35:36], v[31:32], v[28:29]
	;; [unrolled: 1-line block ×3, first 2 shown]
	v_fma_f64 v[26:27], v[26:27], v[28:29], -v[33:34]
	v_fma_f64 v[31:32], v[31:32], v[28:29], -v[35:36]
	;; [unrolled: 1-line block ×3, first 2 shown]
	v_add_f64 v[37:38], v[35:36], v[26:27]
	v_add_f64 v[58:59], v[37:38], -v[35:36]
	v_add_f64 v[64:65], v[33:34], v[37:38]
	v_add_f64 v[60:61], v[37:38], -v[58:59]
	v_add_f64 v[26:27], v[26:27], -v[58:59]
	v_add_f64 v[58:59], v[62:63], v[31:32]
	v_add_f64 v[33:34], v[64:65], -v[33:34]
	v_add_f64 v[35:36], v[35:36], -v[60:61]
	v_ldexp_f64 v[60:61], v[64:65], -2
	v_add_f64 v[66:67], v[58:59], -v[62:63]
	v_add_f64 v[33:34], v[37:38], -v[33:34]
	v_add_f64 v[26:27], v[26:27], v[35:36]
	v_fract_f64_e32 v[35:36], v[60:61]
	v_cmp_neq_f64_e64 vcc, |v[60:61]|, s[48:49]
	v_add_f64 v[31:32], v[31:32], -v[66:67]
	v_add_f64 v[37:38], v[58:59], v[26:27]
	v_ldexp_f64 v[35:36], v[35:36], 2
	v_add_f64 v[60:61], v[33:34], v[37:38]
	v_cndmask_b32_e32 v36, 0, v36, vcc
	v_cndmask_b32_e32 v35, 0, v35, vcc
	v_add_f64 v[68:69], v[37:38], -v[58:59]
	v_add_f64 v[64:65], v[60:61], v[35:36]
	v_add_f64 v[33:34], v[60:61], -v[33:34]
	v_add_f64 v[70:71], v[37:38], -v[68:69]
	;; [unrolled: 1-line block ×3, first 2 shown]
	v_cmp_gt_f64_e32 vcc, 0, v[64:65]
	v_add_f64 v[64:65], v[58:59], -v[66:67]
	v_add_f64 v[33:34], v[37:38], -v[33:34]
	;; [unrolled: 1-line block ×3, first 2 shown]
	v_cndmask_b32_e32 v18, 0, v52, vcc
	v_add_f64 v[35:36], v[35:36], v[17:18]
	v_add_f64 v[64:65], v[62:63], -v[64:65]
	v_add_f64 v[26:27], v[26:27], v[58:59]
	v_add_f64 v[72:73], v[60:61], v[35:36]
	;; [unrolled: 1-line block ×3, first 2 shown]
	v_cvt_i32_f64_e32 v41, v[72:73]
	v_add_f64 v[26:27], v[31:32], v[26:27]
	v_cvt_f64_i32_e32 v[66:67], v41
	v_add_f64 v[35:36], v[35:36], -v[66:67]
	v_add_f64 v[26:27], v[28:29], v[26:27]
	v_add_f64 v[31:32], v[60:61], v[35:36]
	;; [unrolled: 1-line block ×3, first 2 shown]
	v_add_f64 v[28:29], v[31:32], -v[35:36]
	v_cmp_le_f64_e32 vcc, 0.5, v[31:32]
	v_add_f64 v[28:29], v[60:61], -v[28:29]
	v_cndmask_b32_e32 v18, 0, v53, vcc
	v_add_f64 v[26:27], v[26:27], v[28:29]
	v_add_f64 v[28:29], v[31:32], -v[17:18]
	v_addc_co_u32_e32 v18, vcc, 0, v41, vcc
	v_add_f64 v[31:32], v[28:29], v[26:27]
	v_mul_f64 v[33:34], v[31:32], s[22:23]
	v_add_f64 v[28:29], v[31:32], -v[28:29]
	v_fma_f64 v[35:36], v[31:32], s[22:23], -v[33:34]
	v_add_f64 v[26:27], v[26:27], -v[28:29]
	v_fma_f64 v[28:29], v[31:32], s[54:55], v[35:36]
	v_fma_f64 v[28:29], v[26:27], s[22:23], v[28:29]
	v_add_f64 v[26:27], v[33:34], v[28:29]
	v_add_f64 v[31:32], v[26:27], -v[33:34]
	v_add_f64 v[28:29], v[28:29], -v[31:32]
.LBB161_131:                            ;   in Loop: Header=BB161_4 Depth=1
	s_andn2_saveexec_b64 s[10:11], s[10:11]
	s_cbranch_execz .LBB161_133
; %bb.132:                              ;   in Loop: Header=BB161_4 Depth=1
	v_mul_f64 v[26:27], |v[11:12]|, s[24:25]
	s_mov_b32 s26, s52
	v_rndne_f64_e32 v[31:32], v[26:27]
	v_fma_f64 v[26:27], v[31:32], s[50:51], |v[11:12]|
	v_mul_f64 v[28:29], v[31:32], s[52:53]
	v_cvt_i32_f64_e32 v18, v[31:32]
	v_fma_f64 v[37:38], v[31:32], s[52:53], v[26:27]
	v_add_f64 v[33:34], v[26:27], v[28:29]
	v_add_f64 v[35:36], v[26:27], -v[33:34]
	v_add_f64 v[33:34], v[33:34], -v[37:38]
	v_add_f64 v[26:27], v[35:36], v[28:29]
	v_fma_f64 v[28:29], v[31:32], s[26:27], v[28:29]
	v_add_f64 v[26:27], v[33:34], v[26:27]
	v_add_f64 v[26:27], v[26:27], -v[28:29]
	v_fma_f64 v[28:29], v[31:32], s[28:29], v[26:27]
	v_add_f64 v[26:27], v[37:38], v[28:29]
	v_add_f64 v[33:34], v[26:27], -v[37:38]
	v_add_f64 v[28:29], v[28:29], -v[33:34]
.LBB161_133:                            ;   in Loop: Header=BB161_4 Depth=1
	s_or_b64 exec, exec, s[10:11]
	v_add_f64 v[31:32], |v[9:10]|, s[64:65]
	s_mov_b32 s58, s64
	s_mov_b32 s10, 0x3b39803f
	s_mov_b32 s11, 0xbc7abc9e
	s_mov_b32 s40, s62
	s_mov_b32 s57, s65
	s_mov_b32 s39, s81
	s_mov_b32 s93, s15
	v_add_f64 v[33:34], v[31:32], -|v[9:10]|
	v_and_b32_e32 v18, 1, v18
	v_add_f64 v[35:36], v[33:34], -v[31:32]
	v_add_f64 v[33:34], v[33:34], s[58:59]
	v_add_f64 v[35:36], |v[9:10]|, v[35:36]
	v_add_f64 v[33:34], v[35:36], -v[33:34]
	v_add_f64 v[33:34], v[33:34], s[10:11]
	s_mov_b32 s10, 0xf278e000
	s_mov_b32 s11, 0xbd53de6a
	v_add_f64 v[35:36], v[31:32], v[33:34]
	v_mul_f64 v[37:38], v[35:36], s[40:41]
	v_add_f64 v[31:32], v[31:32], -v[35:36]
	v_rndne_f64_e32 v[37:38], v[37:38]
	v_add_f64 v[31:32], v[33:34], v[31:32]
	v_fma_f64 v[33:34], v[37:38], s[56:57], v[35:36]
	v_mul_f64 v[35:36], v[37:38], s[10:11]
	s_mov_b32 s10, 0xf97b57a0
	s_mov_b32 s11, 0xbac9cc01
	v_cvt_i32_f64_e32 v11, v[37:38]
	v_add_f64 v[39:40], v[31:32], v[33:34]
	v_add_f64 v[58:59], v[39:40], v[35:36]
	v_add_f64 v[33:34], v[33:34], -v[39:40]
	v_add_f64 v[39:40], v[39:40], -v[58:59]
	v_add_f64 v[31:32], v[31:32], v[33:34]
	v_add_f64 v[33:34], v[39:40], v[35:36]
	;; [unrolled: 1-line block ×3, first 2 shown]
	v_mul_f64 v[33:34], v[37:38], s[10:11]
	s_mov_b32 s10, 0x6a5dcb37
	s_mov_b32 s11, 0x3e5ade15
	v_add_f64 v[35:36], v[58:59], v[31:32]
	v_add_f64 v[39:40], v[35:36], v[33:34]
	v_add_f64 v[58:59], v[58:59], -v[35:36]
	v_add_f64 v[35:36], v[35:36], -v[39:40]
	v_add_f64 v[31:32], v[31:32], v[58:59]
	v_add_f64 v[33:34], v[35:36], v[33:34]
	;; [unrolled: 1-line block ×4, first 2 shown]
	v_fma_f64 v[35:36], v[33:34], s[10:11], v[24:25]
	s_mov_b32 s10, 0x623fde64
	s_mov_b32 s11, 0x3ec71dee
	v_add_f64 v[39:40], v[39:40], -v[33:34]
	v_mul_f64 v[58:59], v[33:34], v[33:34]
	v_fma_f64 v[35:36], v[33:34], v[35:36], s[10:11]
	s_mov_b32 s10, 0x7c89e6b0
	s_mov_b32 s11, 0x3efa0199
	v_add_f64 v[31:32], v[31:32], v[39:40]
	v_fma_f64 v[39:40], v[33:34], v[33:34], -v[58:59]
	v_fma_f64 v[35:36], v[33:34], v[35:36], s[10:11]
	s_mov_b32 s10, 0x14761f6e
	s_mov_b32 s11, 0x3f2a01a0
	v_add_f64 v[60:61], v[31:32], v[31:32]
	v_fma_f64 v[35:36], v[33:34], v[35:36], s[10:11]
	s_mov_b32 s10, 0x1852b7b0
	s_mov_b32 s11, 0x3f56c16c
	v_fma_f64 v[39:40], v[33:34], v[60:61], v[39:40]
	v_fma_f64 v[35:36], v[33:34], v[35:36], s[10:11]
	s_mov_b32 s10, 0x55555511
	s_mov_b32 s11, 0x3fc55555
	v_add_f64 v[60:61], v[58:59], v[39:40]
	v_fma_f64 v[35:36], v[33:34], v[35:36], s[38:39]
	v_add_f64 v[58:59], v[60:61], -v[58:59]
	v_fma_f64 v[35:36], v[33:34], v[35:36], s[92:93]
	v_add_f64 v[39:40], v[39:40], -v[58:59]
	v_fma_f64 v[35:36], v[33:34], v[35:36], s[10:11]
	s_mov_b32 s10, 11
	s_mov_b32 s11, 0x3fe00000
	v_fma_f64 v[35:36], v[33:34], v[35:36], s[10:11]
	s_mov_b32 s10, 0xc751c08c
	s_mov_b32 s11, 0x3ef5e089
	v_mul_f64 v[62:63], v[60:61], v[35:36]
	v_fma_f64 v[58:59], v[60:61], v[35:36], -v[62:63]
	v_fma_f64 v[35:36], v[39:40], v[35:36], v[58:59]
	v_add_f64 v[39:40], v[62:63], v[35:36]
	v_add_f64 v[58:59], v[33:34], v[39:40]
	v_add_f64 v[60:61], v[39:40], -v[62:63]
	v_add_f64 v[33:34], v[58:59], -v[33:34]
	;; [unrolled: 1-line block ×3, first 2 shown]
	v_add_f64 v[60:61], v[28:29], v[28:29]
	v_add_f64 v[33:34], v[39:40], -v[33:34]
	v_add_f64 v[31:32], v[31:32], v[35:36]
	v_add_f64 v[31:32], v[31:32], v[33:34]
	;; [unrolled: 1-line block ×3, first 2 shown]
	v_add_f64 v[35:36], v[33:34], 1.0
	v_add_f64 v[39:40], v[33:34], -v[58:59]
	v_add_f64 v[58:59], v[35:36], -1.0
	v_add_f64 v[31:32], v[31:32], -v[39:40]
	v_add_f64 v[33:34], v[33:34], -v[58:59]
	v_add_f64 v[31:32], v[31:32], v[33:34]
	v_add_f64 v[33:34], v[35:36], v[31:32]
	v_ldexp_f64 v[37:38], v[33:34], v11
	v_add_f64 v[33:34], v[33:34], -v[35:36]
	v_rcp_f64_e32 v[39:40], v[37:38]
	v_add_f64 v[31:32], v[31:32], -v[33:34]
	v_ldexp_f64 v[31:32], v[31:32], v11
	v_fma_f64 v[58:59], -v[37:38], v[39:40], 1.0
	v_fma_f64 v[39:40], v[58:59], v[39:40], v[39:40]
	v_fma_f64 v[58:59], -v[37:38], v[39:40], 1.0
	v_fma_f64 v[35:36], v[58:59], v[39:40], v[39:40]
	v_mul_f64 v[39:40], v[26:27], v[26:27]
	v_mul_f64 v[33:34], v[37:38], v[35:36]
	v_fma_f64 v[62:63], v[26:27], v[26:27], -v[39:40]
	v_fma_f64 v[58:59], v[35:36], v[37:38], -v[33:34]
	v_fma_f64 v[60:61], v[26:27], v[60:61], v[62:63]
	v_fma_f64 v[58:59], v[35:36], v[31:32], v[58:59]
	v_add_f64 v[39:40], v[39:40], v[60:61]
	v_add_f64 v[62:63], v[33:34], v[58:59]
	v_fma_f64 v[64:65], v[39:40], s[10:11], v[22:23]
	s_mov_b32 s10, 0x90a8aae0
	s_mov_b32 s11, 0x3f17746f
	v_add_f64 v[60:61], -v[62:63], 1.0
	v_add_f64 v[33:34], v[62:63], -v[33:34]
	v_fma_f64 v[64:65], v[39:40], v[64:65], s[10:11]
	s_mov_b32 s10, 0xa6fbf144
	s_mov_b32 s11, 0xbefbb44d
	v_add_f64 v[66:67], -v[60:61], 1.0
	v_add_f64 v[33:34], v[33:34], -v[58:59]
	v_add_f64 v[58:59], v[66:67], -v[62:63]
	v_fma_f64 v[62:63], v[39:40], v[64:65], s[10:11]
	s_mov_b32 s10, 0xa7943acf
	s_mov_b32 s11, 0x3f21e634
	v_add_f64 v[33:34], v[33:34], v[58:59]
	v_fma_f64 v[58:59], v[39:40], v[62:63], s[10:11]
	s_mov_b32 s10, 0xdeb68feb
	s_mov_b32 s11, 0x3f2d250f
	v_add_f64 v[62:63], v[60:61], v[33:34]
	v_fma_f64 v[58:59], v[39:40], v[58:59], s[10:11]
	s_mov_b32 s10, 0xb58c4d95
	s_mov_b32 s11, 0x3f437fd9
	v_mul_f64 v[64:65], v[35:36], v[62:63]
	v_fma_f64 v[58:59], v[39:40], v[58:59], s[10:11]
	s_mov_b32 s10, 0x15120e2c
	s_mov_b32 s11, 0x3f57d5af
	v_add_f64 v[60:61], v[60:61], -v[62:63]
	v_mul_f64 v[66:67], v[37:38], v[64:65]
	v_fma_f64 v[58:59], v[39:40], v[58:59], s[10:11]
	s_mov_b32 s10, 0xe09491df
	s_mov_b32 s11, 0x3f6d6d93
	v_add_f64 v[33:34], v[33:34], v[60:61]
	v_fma_f64 v[68:69], v[64:65], v[37:38], -v[66:67]
	v_fma_f64 v[58:59], v[39:40], v[58:59], s[10:11]
	s_mov_b32 s10, 0x2033784d
	s_mov_b32 s11, 0x3f8226e1
	v_fma_f64 v[68:69], v[64:65], v[31:32], v[68:69]
	v_fma_f64 v[58:59], v[39:40], v[58:59], s[10:11]
	s_mov_b32 s10, 0x9ac36ae2
	s_mov_b32 s11, 0x3f9664f4
	v_add_f64 v[70:71], v[66:67], v[68:69]
	v_fma_f64 v[58:59], v[39:40], v[58:59], s[10:11]
	s_mov_b32 s10, 0x1b451c21
	s_mov_b32 s11, 0x3faba1ba
	v_add_f64 v[72:73], v[62:63], -v[70:71]
	v_fma_f64 v[58:59], v[39:40], v[58:59], s[10:11]
	s_mov_b32 s10, 0x111185b7
	s_mov_b32 s11, 0x3fc11111
	v_add_f64 v[60:61], v[70:71], -v[66:67]
	v_add_f64 v[62:63], v[62:63], -v[72:73]
	v_fma_f64 v[58:59], v[39:40], v[58:59], s[10:11]
	s_mov_b32 s10, 0x555554ee
	s_mov_b32 s11, 0x3fd55555
	v_add_f64 v[60:61], v[60:61], -v[68:69]
	v_add_f64 v[62:63], v[62:63], -v[70:71]
	v_fma_f64 v[58:59], v[39:40], v[58:59], s[10:11]
	s_mov_b32 s10, 0x8fb9f87e
	s_mov_b32 s11, 0x408633ce
	v_cmp_nge_f64_e64 vcc, |v[9:10]|, s[10:11]
	s_mov_b32 s10, 0
	s_mov_b32 s11, 0x3e400000
	v_add_f64 v[33:34], v[33:34], v[62:63]
	v_mul_f64 v[39:40], v[39:40], v[58:59]
	v_add_f64 v[58:59], v[35:36], v[64:65]
	v_add_f64 v[33:34], v[60:61], v[33:34]
	v_mul_f64 v[60:61], v[26:27], v[39:40]
	v_add_f64 v[62:63], v[58:59], -v[35:36]
	v_add_f64 v[33:34], v[72:73], v[33:34]
	v_add_f64 v[66:67], v[26:27], v[60:61]
	v_add_f64 v[62:63], v[64:65], -v[62:63]
	v_mul_f64 v[33:34], v[35:36], v[33:34]
	v_fma_f64 v[35:36], v[26:27], v[39:40], -v[60:61]
	v_add_f64 v[26:27], v[66:67], -v[26:27]
	v_add_f64 v[33:34], v[62:63], v[33:34]
	v_add_f64 v[28:29], v[28:29], v[35:36]
	v_add_f64 v[26:27], v[60:61], -v[26:27]
	v_add_f64 v[35:36], v[58:59], v[33:34]
	v_add_f64 v[26:27], v[28:29], v[26:27]
	v_ldexp_f64 v[28:29], v[35:36], -2
	v_add_f64 v[35:36], v[35:36], -v[58:59]
	v_add_f64 v[39:40], v[66:67], v[26:27]
	v_add_f64 v[60:61], v[37:38], -v[28:29]
	v_add_f64 v[33:34], v[33:34], -v[35:36]
	v_rcp_f64_e32 v[62:63], v[39:40]
	v_add_f64 v[37:38], v[37:38], -v[60:61]
	v_ldexp_f64 v[33:34], v[33:34], -2
	v_add_f64 v[28:29], v[37:38], -v[28:29]
	v_fma_f64 v[35:36], -v[39:40], v[62:63], 1.0
	v_add_f64 v[28:29], v[31:32], v[28:29]
	v_fma_f64 v[31:32], v[35:36], v[62:63], v[62:63]
	v_add_f64 v[28:29], v[28:29], -v[33:34]
	v_fma_f64 v[33:34], -v[39:40], v[31:32], 1.0
	v_add_f64 v[28:29], v[60:61], v[28:29]
	v_fma_f64 v[31:32], v[33:34], v[31:32], v[31:32]
	v_cndmask_b32_e32 v11, v54, v29, vcc
	v_cndmask_b32_e32 v35, 0, v28, vcc
	v_cmp_lt_f64_e64 vcc, |v[9:10]|, s[10:11]
	v_add_f64 v[28:29], v[39:40], -v[66:67]
	v_mul_f64 v[33:34], v[39:40], v[31:32]
	s_mov_b32 s10, 0
	s_brev_b32 s11, 8
	v_cndmask_b32_e32 v11, v11, v30, vcc
	v_cndmask_b32_e32 v9, v35, v9, vcc
	v_bfi_b32 v10, s75, v11, v10
	v_fma_f64 v[35:36], v[9:10], v[9:10], 1.0
	v_add_f64 v[26:27], v[26:27], -v[28:29]
	v_fma_f64 v[28:29], v[31:32], v[39:40], -v[33:34]
	v_and_b32_e32 v30, 0x80000000, v12
	v_cmp_gt_f64_e32 vcc, s[10:11], v[35:36]
	v_cmp_eq_u32_e64 s[10:11], 0, v18
	v_fma_f64 v[26:27], v[31:32], v[26:27], v[28:29]
	v_cndmask_b32_e32 v11, 0, v55, vcc
	v_ldexp_f64 v[35:36], v[35:36], v11
	v_add_f64 v[37:38], v[33:34], v[26:27]
	v_rsq_f64_e32 v[28:29], v[35:36]
	v_add_f64 v[58:59], -v[37:38], 1.0
	v_add_f64 v[33:34], v[37:38], -v[33:34]
	v_add_f64 v[62:63], -v[58:59], 1.0
	v_add_f64 v[26:27], v[33:34], -v[26:27]
	v_mul_f64 v[60:61], v[35:36], v[28:29]
	v_mul_f64 v[28:29], v[28:29], 0.5
	v_add_f64 v[37:38], v[62:63], -v[37:38]
	v_fma_f64 v[33:34], -v[28:29], v[60:61], 0.5
	v_add_f64 v[26:27], v[26:27], v[37:38]
	v_fma_f64 v[60:61], v[60:61], v[33:34], v[60:61]
	v_fma_f64 v[28:29], v[28:29], v[33:34], v[28:29]
	v_add_f64 v[26:27], v[58:59], v[26:27]
	v_fma_f64 v[33:34], -v[60:61], v[60:61], v[35:36]
	v_mul_f64 v[26:27], v[31:32], v[26:27]
	v_fma_f64 v[33:34], v[33:34], v[28:29], v[60:61]
	v_add_f64 v[26:27], v[31:32], v[26:27]
	v_fma_f64 v[37:38], -v[33:34], v[33:34], v[35:36]
	v_xor_b32_e32 v27, 0x80000000, v27
	v_cndmask_b32_e64 v18, v27, v40, s[10:11]
	v_xor_b32_e32 v27, v18, v30
	v_cndmask_b32_e32 v18, 0, v56, vcc
	v_cndmask_b32_e64 v26, v26, v39, s[10:11]
	v_cmp_class_f64_e32 vcc, v[35:36], v51
	v_fma_f64 v[11:12], v[37:38], v[28:29], v[33:34]
	v_fma_f64 v[28:29], v[26:27], v[26:27], 1.0
	v_ldexp_f64 v[11:12], v[11:12], v18
	v_mul_f64 v[30:31], v[9:10], v[28:29]
	v_cndmask_b32_e32 v12, v12, v36, vcc
	v_cndmask_b32_e32 v11, v11, v35, vcc
	v_mul_f64 v[11:12], v[11:12], v[28:29]
	v_fma_f64 v[28:29], v[9:10], v[30:31], 1.0
	v_mul_f64 v[9:10], v[9:10], v[11:12]
	v_div_scale_f64 v[30:31], s[10:11], v[28:29], v[28:29], v[26:27]
	v_div_scale_f64 v[11:12], s[10:11], v[28:29], v[28:29], v[9:10]
	v_div_scale_f64 v[40:41], s[10:11], v[26:27], v[28:29], v[26:27]
	v_rcp_f64_e32 v[34:35], v[30:31]
	v_rcp_f64_e32 v[32:33], v[11:12]
	v_fma_f64 v[38:39], -v[30:31], v[34:35], 1.0
	v_fma_f64 v[36:37], -v[11:12], v[32:33], 1.0
	v_fma_f64 v[34:35], v[34:35], v[38:39], v[34:35]
	v_fma_f64 v[32:33], v[32:33], v[36:37], v[32:33]
	v_div_scale_f64 v[36:37], vcc, v[9:10], v[28:29], v[9:10]
	v_fma_f64 v[58:59], -v[30:31], v[34:35], 1.0
	v_fma_f64 v[38:39], -v[11:12], v[32:33], 1.0
	v_fma_f64 v[34:35], v[34:35], v[58:59], v[34:35]
	v_fma_f64 v[32:33], v[32:33], v[38:39], v[32:33]
	v_mul_f64 v[58:59], v[40:41], v[34:35]
	v_mul_f64 v[38:39], v[36:37], v[32:33]
	v_fma_f64 v[30:31], -v[30:31], v[58:59], v[40:41]
	v_fma_f64 v[11:12], -v[11:12], v[38:39], v[36:37]
	v_div_fmas_f64 v[11:12], v[11:12], v[32:33], v[38:39]
	s_mov_b64 vcc, s[10:11]
	v_div_fmas_f64 v[30:31], v[30:31], v[34:35], v[58:59]
	v_div_fixup_f64 v[9:10], v[11:12], v[28:29], v[9:10]
	v_div_fixup_f64 v[11:12], v[30:31], v[28:29], v[26:27]
.LBB161_134:                            ;   in Loop: Header=BB161_4 Depth=1
	s_andn2_saveexec_b64 s[10:11], s[68:69]
	s_cbranch_execz .LBB161_155
; %bb.135:                              ;   in Loop: Header=BB161_4 Depth=1
	v_cmp_nlt_f64_e64 s[68:69], |v[11:12]|, s[44:45]
                                        ; implicit-def: $vgpr39
                                        ; implicit-def: $vgpr30_vgpr31
                                        ; implicit-def: $vgpr36_vgpr37
	s_and_saveexec_b64 s[70:71], s[68:69]
	s_xor_b64 s[70:71], exec, s[70:71]
	s_cbranch_execz .LBB161_144
; %bb.136:                              ;   in Loop: Header=BB161_4 Depth=1
	v_trig_preop_f64 v[26:27], |v[11:12]|, 0
	v_ldexp_f64 v[28:29], |v[11:12]|, s79
	v_cmp_ge_f64_e64 vcc, |v[11:12]|, s[46:47]
	v_trig_preop_f64 v[30:31], |v[11:12]|, 1
	v_and_b32_e32 v18, 0x7fffffff, v12
	v_trig_preop_f64 v[38:39], |v[11:12]|, 2
	s_mov_b32 s22, s50
	s_mov_b32 s55, s27
	v_cndmask_b32_e32 v29, v18, v29, vcc
	v_cndmask_b32_e32 v28, v11, v28, vcc
	v_mul_f64 v[32:33], v[26:27], v[28:29]
	v_mul_f64 v[34:35], v[30:31], v[28:29]
	;; [unrolled: 1-line block ×3, first 2 shown]
	v_fma_f64 v[26:27], v[26:27], v[28:29], -v[32:33]
	v_fma_f64 v[30:31], v[30:31], v[28:29], -v[34:35]
	;; [unrolled: 1-line block ×3, first 2 shown]
	v_add_f64 v[36:37], v[34:35], v[26:27]
	v_add_f64 v[40:41], v[36:37], -v[34:35]
	v_add_f64 v[62:63], v[32:33], v[36:37]
	v_add_f64 v[58:59], v[36:37], -v[40:41]
	v_add_f64 v[26:27], v[26:27], -v[40:41]
	v_add_f64 v[40:41], v[60:61], v[30:31]
	v_add_f64 v[32:33], v[62:63], -v[32:33]
	v_add_f64 v[34:35], v[34:35], -v[58:59]
	v_ldexp_f64 v[58:59], v[62:63], -2
	v_add_f64 v[64:65], v[40:41], -v[60:61]
	v_add_f64 v[32:33], v[36:37], -v[32:33]
	v_add_f64 v[26:27], v[26:27], v[34:35]
	v_fract_f64_e32 v[34:35], v[58:59]
	v_cmp_neq_f64_e64 vcc, |v[58:59]|, s[48:49]
	v_add_f64 v[30:31], v[30:31], -v[64:65]
	v_add_f64 v[36:37], v[40:41], v[26:27]
	v_ldexp_f64 v[34:35], v[34:35], 2
	v_add_f64 v[58:59], v[32:33], v[36:37]
	v_cndmask_b32_e32 v35, 0, v35, vcc
	v_cndmask_b32_e32 v34, 0, v34, vcc
	v_add_f64 v[66:67], v[36:37], -v[40:41]
	v_add_f64 v[62:63], v[58:59], v[34:35]
	v_add_f64 v[32:33], v[58:59], -v[32:33]
	v_add_f64 v[68:69], v[36:37], -v[66:67]
	;; [unrolled: 1-line block ×3, first 2 shown]
	v_cmp_gt_f64_e32 vcc, 0, v[62:63]
	v_add_f64 v[62:63], v[40:41], -v[64:65]
	v_add_f64 v[32:33], v[36:37], -v[32:33]
	;; [unrolled: 1-line block ×3, first 2 shown]
	v_cndmask_b32_e32 v18, 0, v52, vcc
	v_add_f64 v[34:35], v[34:35], v[17:18]
	v_add_f64 v[62:63], v[60:61], -v[62:63]
	v_add_f64 v[26:27], v[26:27], v[40:41]
	v_add_f64 v[70:71], v[58:59], v[34:35]
	;; [unrolled: 1-line block ×3, first 2 shown]
	v_cvt_i32_f64_e32 v66, v[70:71]
	v_add_f64 v[26:27], v[30:31], v[26:27]
	v_cvt_f64_i32_e32 v[64:65], v66
	v_add_f64 v[34:35], v[34:35], -v[64:65]
	v_add_f64 v[26:27], v[28:29], v[26:27]
	v_add_f64 v[30:31], v[58:59], v[34:35]
	v_add_f64 v[26:27], v[32:33], v[26:27]
	v_add_f64 v[28:29], v[30:31], -v[34:35]
	v_cmp_le_f64_e32 vcc, 0.5, v[30:31]
	v_add_f64 v[28:29], v[58:59], -v[28:29]
	v_cndmask_b32_e32 v18, 0, v53, vcc
	v_addc_co_u32_e32 v39, vcc, 0, v66, vcc
	v_add_f64 v[26:27], v[26:27], v[28:29]
	v_add_f64 v[28:29], v[30:31], -v[17:18]
	v_add_f64 v[30:31], v[28:29], v[26:27]
	v_mul_f64 v[32:33], v[30:31], s[22:23]
	v_add_f64 v[28:29], v[30:31], -v[28:29]
	v_fma_f64 v[34:35], v[30:31], s[22:23], -v[32:33]
	v_add_f64 v[26:27], v[26:27], -v[28:29]
	v_fma_f64 v[28:29], v[30:31], s[54:55], v[34:35]
	v_fma_f64 v[26:27], v[26:27], s[22:23], v[28:29]
	v_add_f64 v[30:31], v[32:33], v[26:27]
	v_add_f64 v[28:29], v[30:31], -v[32:33]
	v_add_f64 v[36:37], v[26:27], -v[28:29]
	s_andn2_saveexec_b64 s[70:71], s[70:71]
	s_cbranch_execz .LBB161_146
	s_branch .LBB161_145
.LBB161_137:                            ;   in Loop: Header=BB161_4 Depth=1
	s_andn2_saveexec_b64 s[60:61], s[60:61]
	s_cbranch_execz .LBB161_159
.LBB161_138:                            ;   in Loop: Header=BB161_4 Depth=1
	v_and_or_b32 v18, v10, s78, v9
	v_cmp_ne_u32_e32 vcc, 0, v18
	s_and_saveexec_b64 s[10:11], vcc
	s_xor_b64 s[10:11], exec, s[10:11]
	s_cbranch_execz .LBB161_140
; %bb.139:                              ;   in Loop: Header=BB161_4 Depth=1
	v_mul_f64 v[26:27], v[11:12], v[9:10]
	v_cmp_eq_f64_e32 vcc, 0, v[11:12]
	v_cndmask_b32_e32 v12, v27, v12, vcc
	v_cndmask_b32_e32 v11, v26, v11, vcc
.LBB161_140:                            ;   in Loop: Header=BB161_4 Depth=1
	s_andn2_saveexec_b64 s[66:67], s[10:11]
	s_cbranch_execz .LBB161_167
; %bb.141:                              ;   in Loop: Header=BB161_4 Depth=1
	v_cmp_neq_f64_e64 s[10:11], |v[11:12]|, s[48:49]
	s_and_saveexec_b64 s[68:69], s[10:11]
	s_cbranch_execz .LBB161_166
; %bb.142:                              ;   in Loop: Header=BB161_4 Depth=1
	v_trig_preop_f64 v[38:39], |v[11:12]|, 0
	v_trig_preop_f64 v[36:37], |v[11:12]|, 1
	;; [unrolled: 1-line block ×3, first 2 shown]
	v_cmp_nlt_f64_e64 s[10:11], |v[11:12]|, s[44:45]
	v_ldexp_f64 v[40:41], |v[11:12]|, s79
	v_and_b32_e32 v59, 0x7fffffff, v12
                                        ; implicit-def: $vgpr58
                                        ; implicit-def: $vgpr32_vgpr33
                                        ; implicit-def: $vgpr34_vgpr35
	s_and_saveexec_b64 s[70:71], s[10:11]
	s_xor_b64 s[70:71], exec, s[70:71]
	s_cbranch_execz .LBB161_148
; %bb.143:                              ;   in Loop: Header=BB161_4 Depth=1
	v_cmp_ge_f64_e64 vcc, |v[11:12]|, s[46:47]
	s_mov_b32 s22, s50
	s_mov_b32 s55, s27
	v_cndmask_b32_e32 v27, v59, v41, vcc
	v_cndmask_b32_e32 v26, v11, v40, vcc
	v_mul_f64 v[28:29], v[38:39], v[26:27]
	v_mul_f64 v[32:33], v[36:37], v[26:27]
	;; [unrolled: 1-line block ×3, first 2 shown]
	v_fma_f64 v[34:35], v[38:39], v[26:27], -v[28:29]
	v_fma_f64 v[68:69], v[36:37], v[26:27], -v[32:33]
	;; [unrolled: 1-line block ×3, first 2 shown]
	v_add_f64 v[60:61], v[32:33], v[34:35]
	v_add_f64 v[62:63], v[60:61], -v[32:33]
	v_add_f64 v[70:71], v[28:29], v[60:61]
	v_add_f64 v[64:65], v[60:61], -v[62:63]
	v_add_f64 v[34:35], v[34:35], -v[62:63]
	v_add_f64 v[62:63], v[66:67], v[68:69]
	v_add_f64 v[28:29], v[70:71], -v[28:29]
	v_add_f64 v[32:33], v[32:33], -v[64:65]
	v_ldexp_f64 v[64:65], v[70:71], -2
	v_add_f64 v[72:73], v[62:63], -v[66:67]
	v_add_f64 v[28:29], v[60:61], -v[28:29]
	v_add_f64 v[32:33], v[34:35], v[32:33]
	v_fract_f64_e32 v[34:35], v[64:65]
	v_cmp_neq_f64_e64 vcc, |v[64:65]|, s[48:49]
	v_add_f64 v[68:69], v[68:69], -v[72:73]
	v_add_f64 v[60:61], v[62:63], v[32:33]
	v_ldexp_f64 v[34:35], v[34:35], 2
	v_add_f64 v[64:65], v[28:29], v[60:61]
	v_cndmask_b32_e32 v35, 0, v35, vcc
	v_cndmask_b32_e32 v34, 0, v34, vcc
	v_add_f64 v[74:75], v[60:61], -v[62:63]
	v_add_f64 v[70:71], v[64:65], v[34:35]
	v_add_f64 v[28:29], v[64:65], -v[28:29]
	v_add_f64 v[76:77], v[60:61], -v[74:75]
	;; [unrolled: 1-line block ×3, first 2 shown]
	v_cmp_gt_f64_e32 vcc, 0, v[70:71]
	v_add_f64 v[70:71], v[62:63], -v[72:73]
	v_add_f64 v[28:29], v[60:61], -v[28:29]
	;; [unrolled: 1-line block ×3, first 2 shown]
	v_cndmask_b32_e32 v18, 0, v52, vcc
	v_add_f64 v[34:35], v[34:35], v[17:18]
	v_add_f64 v[70:71], v[66:67], -v[70:71]
	v_add_f64 v[32:33], v[32:33], v[62:63]
	v_add_f64 v[78:79], v[64:65], v[34:35]
	;; [unrolled: 1-line block ×3, first 2 shown]
	v_cvt_i32_f64_e32 v58, v[78:79]
	v_add_f64 v[32:33], v[68:69], v[32:33]
	v_cvt_f64_i32_e32 v[72:73], v58
	v_add_f64 v[34:35], v[34:35], -v[72:73]
	v_add_f64 v[26:27], v[26:27], v[32:33]
	v_add_f64 v[62:63], v[64:65], v[34:35]
	;; [unrolled: 1-line block ×3, first 2 shown]
	v_add_f64 v[32:33], v[62:63], -v[34:35]
	v_cmp_le_f64_e32 vcc, 0.5, v[62:63]
	v_add_f64 v[28:29], v[64:65], -v[32:33]
	v_cndmask_b32_e32 v18, 0, v53, vcc
	v_addc_co_u32_e32 v58, vcc, 0, v58, vcc
	v_add_f64 v[26:27], v[26:27], v[28:29]
	v_add_f64 v[28:29], v[62:63], -v[17:18]
	v_add_f64 v[32:33], v[28:29], v[26:27]
	v_mul_f64 v[34:35], v[32:33], s[22:23]
	v_add_f64 v[28:29], v[32:33], -v[28:29]
	v_fma_f64 v[60:61], v[32:33], s[22:23], -v[34:35]
	v_add_f64 v[26:27], v[26:27], -v[28:29]
	v_fma_f64 v[28:29], v[32:33], s[54:55], v[60:61]
	v_fma_f64 v[26:27], v[26:27], s[22:23], v[28:29]
	v_add_f64 v[32:33], v[34:35], v[26:27]
	v_add_f64 v[28:29], v[32:33], -v[34:35]
	v_add_f64 v[34:35], v[26:27], -v[28:29]
	s_andn2_saveexec_b64 s[70:71], s[70:71]
	s_cbranch_execz .LBB161_150
	s_branch .LBB161_149
.LBB161_144:                            ;   in Loop: Header=BB161_4 Depth=1
	s_andn2_saveexec_b64 s[70:71], s[70:71]
	s_cbranch_execz .LBB161_146
.LBB161_145:                            ;   in Loop: Header=BB161_4 Depth=1
	v_mul_f64 v[26:27], |v[11:12]|, s[24:25]
	s_mov_b32 s26, s52
	v_rndne_f64_e32 v[26:27], v[26:27]
	v_fma_f64 v[28:29], v[26:27], s[50:51], |v[11:12]|
	v_mul_f64 v[30:31], v[26:27], s[52:53]
	v_cvt_i32_f64_e32 v39, v[26:27]
	v_add_f64 v[32:33], v[28:29], v[30:31]
	v_add_f64 v[34:35], v[28:29], -v[32:33]
	v_fma_f64 v[28:29], v[26:27], s[52:53], v[28:29]
	v_add_f64 v[34:35], v[34:35], v[30:31]
	v_add_f64 v[32:33], v[32:33], -v[28:29]
	v_fma_f64 v[30:31], v[26:27], s[26:27], v[30:31]
	;; [unrolled: 3-line block ×3, first 2 shown]
	v_add_f64 v[30:31], v[28:29], v[32:33]
	v_add_f64 v[28:29], v[30:31], -v[28:29]
	v_add_f64 v[36:37], v[32:33], -v[28:29]
.LBB161_146:                            ;   in Loop: Header=BB161_4 Depth=1
	s_or_b64 exec, exec, s[70:71]
                                        ; implicit-def: $vgpr38
                                        ; implicit-def: $vgpr26_vgpr27
                                        ; implicit-def: $vgpr28_vgpr29
	s_and_saveexec_b64 s[70:71], s[68:69]
	s_xor_b64 s[68:69], exec, s[70:71]
	s_cbranch_execz .LBB161_152
; %bb.147:                              ;   in Loop: Header=BB161_4 Depth=1
	v_trig_preop_f64 v[26:27], |v[11:12]|, 0
	v_ldexp_f64 v[28:29], |v[11:12]|, s79
	v_cmp_ge_f64_e64 vcc, |v[11:12]|, s[46:47]
	v_trig_preop_f64 v[32:33], |v[11:12]|, 1
	v_and_b32_e32 v18, 0x7fffffff, v12
	v_trig_preop_f64 v[60:61], |v[11:12]|, 2
	s_mov_b32 s22, s50
	s_mov_b32 s55, s27
	v_cndmask_b32_e32 v29, v18, v29, vcc
	v_cndmask_b32_e32 v28, v11, v28, vcc
	v_mul_f64 v[34:35], v[26:27], v[28:29]
	v_mul_f64 v[40:41], v[32:33], v[28:29]
	;; [unrolled: 1-line block ×3, first 2 shown]
	v_fma_f64 v[26:27], v[26:27], v[28:29], -v[34:35]
	v_fma_f64 v[32:33], v[32:33], v[28:29], -v[40:41]
	;; [unrolled: 1-line block ×3, first 2 shown]
	v_add_f64 v[58:59], v[40:41], v[26:27]
	v_add_f64 v[62:63], v[58:59], -v[40:41]
	v_add_f64 v[68:69], v[34:35], v[58:59]
	v_add_f64 v[64:65], v[58:59], -v[62:63]
	v_add_f64 v[26:27], v[26:27], -v[62:63]
	v_add_f64 v[62:63], v[66:67], v[32:33]
	v_add_f64 v[34:35], v[68:69], -v[34:35]
	v_add_f64 v[40:41], v[40:41], -v[64:65]
	v_ldexp_f64 v[64:65], v[68:69], -2
	v_add_f64 v[70:71], v[62:63], -v[66:67]
	v_add_f64 v[34:35], v[58:59], -v[34:35]
	v_add_f64 v[26:27], v[26:27], v[40:41]
	v_fract_f64_e32 v[40:41], v[64:65]
	v_cmp_neq_f64_e64 vcc, |v[64:65]|, s[48:49]
	v_add_f64 v[32:33], v[32:33], -v[70:71]
	v_add_f64 v[58:59], v[62:63], v[26:27]
	v_ldexp_f64 v[40:41], v[40:41], 2
	v_add_f64 v[64:65], v[34:35], v[58:59]
	v_cndmask_b32_e32 v41, 0, v41, vcc
	v_cndmask_b32_e32 v40, 0, v40, vcc
	v_add_f64 v[72:73], v[58:59], -v[62:63]
	v_add_f64 v[68:69], v[64:65], v[40:41]
	v_add_f64 v[34:35], v[64:65], -v[34:35]
	v_add_f64 v[74:75], v[58:59], -v[72:73]
	;; [unrolled: 1-line block ×3, first 2 shown]
	v_cmp_gt_f64_e32 vcc, 0, v[68:69]
	v_add_f64 v[68:69], v[62:63], -v[70:71]
	v_add_f64 v[34:35], v[58:59], -v[34:35]
	;; [unrolled: 1-line block ×3, first 2 shown]
	v_cndmask_b32_e32 v18, 0, v52, vcc
	v_add_f64 v[40:41], v[40:41], v[17:18]
	v_add_f64 v[68:69], v[66:67], -v[68:69]
	v_add_f64 v[26:27], v[26:27], v[62:63]
	v_add_f64 v[76:77], v[64:65], v[40:41]
	;; [unrolled: 1-line block ×3, first 2 shown]
	v_cvt_i32_f64_e32 v38, v[76:77]
	v_add_f64 v[26:27], v[32:33], v[26:27]
	v_cvt_f64_i32_e32 v[70:71], v38
	v_add_f64 v[40:41], v[40:41], -v[70:71]
	v_add_f64 v[26:27], v[28:29], v[26:27]
	v_add_f64 v[32:33], v[64:65], v[40:41]
	v_add_f64 v[26:27], v[34:35], v[26:27]
	v_add_f64 v[28:29], v[32:33], -v[40:41]
	v_cmp_le_f64_e32 vcc, 0.5, v[32:33]
	v_add_f64 v[28:29], v[64:65], -v[28:29]
	v_cndmask_b32_e32 v18, 0, v53, vcc
	v_addc_co_u32_e32 v38, vcc, 0, v38, vcc
	v_add_f64 v[26:27], v[26:27], v[28:29]
	v_add_f64 v[28:29], v[32:33], -v[17:18]
	v_add_f64 v[32:33], v[28:29], v[26:27]
	v_mul_f64 v[34:35], v[32:33], s[22:23]
	v_add_f64 v[28:29], v[32:33], -v[28:29]
	v_fma_f64 v[40:41], v[32:33], s[22:23], -v[34:35]
	v_add_f64 v[26:27], v[26:27], -v[28:29]
	v_fma_f64 v[28:29], v[32:33], s[54:55], v[40:41]
	v_fma_f64 v[28:29], v[26:27], s[22:23], v[28:29]
	v_add_f64 v[26:27], v[34:35], v[28:29]
	v_add_f64 v[32:33], v[26:27], -v[34:35]
	v_add_f64 v[28:29], v[28:29], -v[32:33]
	s_andn2_saveexec_b64 s[68:69], s[68:69]
	s_cbranch_execnz .LBB161_153
	s_branch .LBB161_154
.LBB161_148:                            ;   in Loop: Header=BB161_4 Depth=1
	s_andn2_saveexec_b64 s[70:71], s[70:71]
	s_cbranch_execz .LBB161_150
.LBB161_149:                            ;   in Loop: Header=BB161_4 Depth=1
	v_mul_f64 v[26:27], |v[11:12]|, s[24:25]
	s_mov_b32 s26, s52
	v_rndne_f64_e32 v[26:27], v[26:27]
	v_fma_f64 v[28:29], v[26:27], s[50:51], |v[11:12]|
	v_mul_f64 v[32:33], v[26:27], s[52:53]
	v_cvt_i32_f64_e32 v58, v[26:27]
	v_add_f64 v[34:35], v[28:29], v[32:33]
	v_add_f64 v[60:61], v[28:29], -v[34:35]
	v_fma_f64 v[28:29], v[26:27], s[52:53], v[28:29]
	v_add_f64 v[60:61], v[60:61], v[32:33]
	v_add_f64 v[34:35], v[34:35], -v[28:29]
	v_fma_f64 v[32:33], v[26:27], s[26:27], v[32:33]
	;; [unrolled: 3-line block ×3, first 2 shown]
	v_add_f64 v[32:33], v[28:29], v[34:35]
	v_add_f64 v[28:29], v[32:33], -v[28:29]
	v_add_f64 v[34:35], v[34:35], -v[28:29]
.LBB161_150:                            ;   in Loop: Header=BB161_4 Depth=1
	s_or_b64 exec, exec, s[70:71]
                                        ; implicit-def: $vgpr18
                                        ; implicit-def: $vgpr26_vgpr27
                                        ; implicit-def: $vgpr28_vgpr29
	s_and_saveexec_b64 s[70:71], s[10:11]
	s_xor_b64 s[10:11], exec, s[70:71]
	s_cbranch_execz .LBB161_163
; %bb.151:                              ;   in Loop: Header=BB161_4 Depth=1
	v_cmp_ge_f64_e64 vcc, |v[11:12]|, s[46:47]
	s_mov_b32 s22, s50
	s_mov_b32 s55, s27
	v_cndmask_b32_e32 v27, v59, v41, vcc
	v_cndmask_b32_e32 v26, v11, v40, vcc
	v_mul_f64 v[28:29], v[38:39], v[26:27]
	v_mul_f64 v[40:41], v[36:37], v[26:27]
	;; [unrolled: 1-line block ×3, first 2 shown]
	v_fma_f64 v[38:39], v[38:39], v[26:27], -v[28:29]
	v_fma_f64 v[36:37], v[36:37], v[26:27], -v[40:41]
	;; [unrolled: 1-line block ×3, first 2 shown]
	v_add_f64 v[59:60], v[40:41], v[38:39]
	v_add_f64 v[61:62], v[59:60], -v[40:41]
	v_add_f64 v[67:68], v[28:29], v[59:60]
	v_add_f64 v[63:64], v[59:60], -v[61:62]
	v_add_f64 v[38:39], v[38:39], -v[61:62]
	v_add_f64 v[61:62], v[65:66], v[36:37]
	v_add_f64 v[28:29], v[67:68], -v[28:29]
	v_add_f64 v[40:41], v[40:41], -v[63:64]
	v_ldexp_f64 v[63:64], v[67:68], -2
	v_add_f64 v[69:70], v[61:62], -v[65:66]
	v_add_f64 v[28:29], v[59:60], -v[28:29]
	v_add_f64 v[38:39], v[38:39], v[40:41]
	v_fract_f64_e32 v[40:41], v[63:64]
	v_cmp_neq_f64_e64 vcc, |v[63:64]|, s[48:49]
	v_add_f64 v[36:37], v[36:37], -v[69:70]
	v_add_f64 v[59:60], v[61:62], v[38:39]
	v_ldexp_f64 v[40:41], v[40:41], 2
	v_add_f64 v[63:64], v[28:29], v[59:60]
	v_cndmask_b32_e32 v41, 0, v41, vcc
	v_cndmask_b32_e32 v40, 0, v40, vcc
	v_add_f64 v[71:72], v[59:60], -v[61:62]
	v_add_f64 v[67:68], v[63:64], v[40:41]
	v_add_f64 v[28:29], v[63:64], -v[28:29]
	v_add_f64 v[73:74], v[59:60], -v[71:72]
	;; [unrolled: 1-line block ×3, first 2 shown]
	v_cmp_gt_f64_e32 vcc, 0, v[67:68]
	v_add_f64 v[67:68], v[61:62], -v[69:70]
	v_add_f64 v[28:29], v[59:60], -v[28:29]
	;; [unrolled: 1-line block ×3, first 2 shown]
	v_cndmask_b32_e32 v18, 0, v52, vcc
	v_add_f64 v[40:41], v[40:41], v[17:18]
	v_add_f64 v[67:68], v[65:66], -v[67:68]
	v_add_f64 v[38:39], v[38:39], v[61:62]
	v_add_f64 v[75:76], v[63:64], v[40:41]
	;; [unrolled: 1-line block ×3, first 2 shown]
	v_cvt_i32_f64_e32 v71, v[75:76]
	v_add_f64 v[30:31], v[36:37], v[38:39]
	v_cvt_f64_i32_e32 v[69:70], v71
	v_add_f64 v[40:41], v[40:41], -v[69:70]
	v_add_f64 v[26:27], v[26:27], v[30:31]
	v_add_f64 v[36:37], v[63:64], v[40:41]
	;; [unrolled: 1-line block ×3, first 2 shown]
	v_add_f64 v[30:31], v[36:37], -v[40:41]
	v_cmp_le_f64_e32 vcc, 0.5, v[36:37]
	v_add_f64 v[28:29], v[63:64], -v[30:31]
	v_cndmask_b32_e32 v18, 0, v53, vcc
	v_add_f64 v[26:27], v[26:27], v[28:29]
	v_add_f64 v[28:29], v[36:37], -v[17:18]
	v_addc_co_u32_e32 v18, vcc, 0, v71, vcc
	v_add_f64 v[30:31], v[28:29], v[26:27]
	v_mul_f64 v[36:37], v[30:31], s[22:23]
	v_add_f64 v[28:29], v[30:31], -v[28:29]
	v_fma_f64 v[38:39], v[30:31], s[22:23], -v[36:37]
	v_add_f64 v[26:27], v[26:27], -v[28:29]
	v_fma_f64 v[28:29], v[30:31], s[54:55], v[38:39]
	v_fma_f64 v[28:29], v[26:27], s[22:23], v[28:29]
	v_add_f64 v[26:27], v[36:37], v[28:29]
	v_add_f64 v[30:31], v[26:27], -v[36:37]
	v_add_f64 v[28:29], v[28:29], -v[30:31]
	s_andn2_saveexec_b64 s[10:11], s[10:11]
	s_cbranch_execnz .LBB161_164
	s_branch .LBB161_165
.LBB161_152:                            ;   in Loop: Header=BB161_4 Depth=1
	s_andn2_saveexec_b64 s[68:69], s[68:69]
	s_cbranch_execz .LBB161_154
.LBB161_153:                            ;   in Loop: Header=BB161_4 Depth=1
	v_mul_f64 v[26:27], |v[11:12]|, s[24:25]
	s_mov_b32 s26, s52
	v_rndne_f64_e32 v[32:33], v[26:27]
	v_fma_f64 v[26:27], v[32:33], s[50:51], |v[11:12]|
	v_mul_f64 v[28:29], v[32:33], s[52:53]
	v_cvt_i32_f64_e32 v38, v[32:33]
	v_fma_f64 v[58:59], v[32:33], s[52:53], v[26:27]
	v_add_f64 v[34:35], v[26:27], v[28:29]
	v_add_f64 v[40:41], v[26:27], -v[34:35]
	v_add_f64 v[34:35], v[34:35], -v[58:59]
	v_add_f64 v[26:27], v[40:41], v[28:29]
	v_fma_f64 v[28:29], v[32:33], s[26:27], v[28:29]
	v_add_f64 v[26:27], v[34:35], v[26:27]
	v_add_f64 v[26:27], v[26:27], -v[28:29]
	v_fma_f64 v[28:29], v[32:33], s[28:29], v[26:27]
	v_add_f64 v[26:27], v[58:59], v[28:29]
	v_add_f64 v[34:35], v[26:27], -v[58:59]
	v_add_f64 v[28:29], v[28:29], -v[34:35]
.LBB161_154:                            ;   in Loop: Header=BB161_4 Depth=1
	s_or_b64 exec, exec, s[68:69]
	v_mul_f64 v[40:41], v[30:31], v[30:31]
	v_mul_f64 v[64:65], v[36:37], 0.5
	s_mov_b32 s12, s14
	v_and_b32_e32 v11, 1, v39
	v_cmp_eq_u32_e32 vcc, 0, v11
	s_mov_b32 s68, 0x3b39803f
	s_mov_b32 s69, 0xbc7abc9e
	;; [unrolled: 1-line block ×3, first 2 shown]
	v_mul_f64 v[32:33], v[40:41], 0.5
	v_mul_f64 v[60:61], v[40:41], v[40:41]
	s_mov_b32 s93, s15
	v_add_f64 v[58:59], -v[32:33], 1.0
	v_add_f64 v[34:35], -v[58:59], 1.0
	v_add_f64 v[32:33], v[34:35], -v[32:33]
	v_mov_b32_e32 v34, s82
	v_mov_b32_e32 v35, s83
	v_fma_f64 v[62:63], v[40:41], s[84:85], v[34:35]
	v_fma_f64 v[32:33], v[30:31], -v[36:37], v[32:33]
	v_fma_f64 v[62:63], v[40:41], v[62:63], s[86:87]
	v_fma_f64 v[62:63], v[40:41], v[62:63], s[88:89]
	;; [unrolled: 1-line block ×5, first 2 shown]
	v_mul_f64 v[62:63], v[30:31], -v[40:41]
	v_add_f64 v[58:59], v[58:59], v[32:33]
	v_mov_b32_e32 v32, s94
	v_mov_b32_e32 v33, s95
	v_fma_f64 v[60:61], v[40:41], s[30:31], v[32:33]
	v_fma_f64 v[60:61], v[40:41], v[60:61], s[34:35]
	;; [unrolled: 1-line block ×5, first 2 shown]
	v_fma_f64 v[36:37], v[40:41], v[60:61], -v[36:37]
	v_fma_f64 v[36:37], v[62:63], s[12:13], v[36:37]
	v_add_f64 v[30:31], v[30:31], -v[36:37]
	v_cndmask_b32_e32 v11, v58, v30, vcc
	v_lshlrev_b32_e32 v30, 30, v39
	v_cndmask_b32_e32 v18, v59, v31, vcc
	v_xor_b32_e32 v12, v30, v12
	v_mul_f64 v[30:31], |v[9:10]|, s[62:63]
	v_and_b32_e32 v12, 0x80000000, v12
	v_xor_b32_e32 v12, v18, v12
	v_mul_f64 v[11:12], v[11:12], 4.0
	v_rndne_f64_e32 v[30:31], v[30:31]
	v_fma_f64 v[36:37], v[30:31], s[64:65], -|v[9:10]|
	v_cvt_i32_f64_e32 v18, v[30:31]
	v_fma_f64 v[36:37], v[30:31], s[68:69], v[36:37]
	s_mov_b32 s68, 0x6a5dcb37
	s_mov_b32 s69, 0x3e5ade15
	v_fma_f64 v[39:40], v[36:37], s[68:69], v[24:25]
	s_mov_b32 s68, 0x623fde64
	s_mov_b32 s69, 0x3ec71dee
	;; [unrolled: 3-line block ×6, first 2 shown]
	v_fma_f64 v[39:40], v[36:37], v[39:40], s[38:39]
	v_fma_f64 v[39:40], v[36:37], v[39:40], s[92:93]
	v_fma_f64 v[39:40], v[36:37], v[39:40], s[68:69]
	s_mov_b32 s68, 11
	s_mov_b32 s69, 0x3fe00000
	v_fma_f64 v[39:40], v[36:37], v[39:40], s[68:69]
	s_mov_b32 s68, 0
	s_mov_b32 s69, 0x4090cc00
	v_cmp_ngt_f64_e64 vcc, |v[9:10]|, s[68:69]
	v_fma_f64 v[39:40], v[36:37], v[39:40], 1.0
	v_fma_f64 v[36:37], v[36:37], v[39:40], 1.0
	v_ldexp_f64 v[30:31], v[36:37], v18
	v_bfi_b32 v18, s75, v53, v10
	v_mul_f64 v[9:10], v[26:27], v[26:27]
	v_cndmask_b32_e32 v31, 0, v31, vcc
	v_cndmask_b32_e32 v30, 0, v30, vcc
	v_mul_f64 v[36:37], v[9:10], 0.5
	v_fma_f64 v[34:35], v[9:10], s[84:85], v[34:35]
	v_fma_f64 v[32:33], v[9:10], s[30:31], v[32:33]
	v_add_f64 v[39:40], -v[36:37], 1.0
	v_fma_f64 v[34:35], v[9:10], v[34:35], s[86:87]
	v_fma_f64 v[32:33], v[9:10], v[32:33], s[34:35]
	v_add_f64 v[58:59], -v[39:40], 1.0
	v_fma_f64 v[34:35], v[9:10], v[34:35], s[88:89]
	v_fma_f64 v[32:33], v[9:10], v[32:33], s[36:37]
	v_add_f64 v[36:37], v[58:59], -v[36:37]
	v_fma_f64 v[34:35], v[9:10], v[34:35], s[90:91]
	v_mul_f64 v[58:59], v[9:10], v[9:10]
	v_fma_f64 v[32:33], v[9:10], v[32:33], s[80:81]
	v_fma_f64 v[36:37], v[26:27], -v[28:29], v[36:37]
	v_fma_f64 v[34:35], v[9:10], v[34:35], s[14:15]
	v_fma_f64 v[34:35], v[58:59], v[34:35], v[36:37]
	v_mul_f64 v[36:37], v[26:27], -v[9:10]
	v_add_f64 v[34:35], v[39:40], v[34:35]
	v_mul_f64 v[39:40], v[28:29], 0.5
	v_fma_f64 v[32:33], v[36:37], v[32:33], v[39:40]
	v_fma_f64 v[9:10], v[9:10], v[32:33], -v[28:29]
	v_fma_f64 v[9:10], v[36:37], s[12:13], v[9:10]
	v_add_f64 v[9:10], v[26:27], -v[9:10]
	v_and_b32_e32 v26, 1, v38
	v_cmp_eq_u32_e32 vcc, 0, v26
	v_lshlrev_b32_e32 v26, 30, v38
	v_and_b32_e32 v26, 0x80000000, v26
	v_xor_b32_e32 v10, 0x80000000, v10
	v_cndmask_b32_e32 v10, v10, v35, vcc
	v_cndmask_b32_e32 v9, v9, v34, vcc
	v_xor_b32_e32 v10, v10, v26
	v_mul_f64 v[9:10], v[11:12], v[9:10]
	v_mul_f64 v[9:10], v[30:31], v[9:10]
	v_mul_f64 v[11:12], v[30:31], v[9:10]
	v_mov_b32_e32 v9, v17
	v_mov_b32_e32 v10, v18
.LBB161_155:                            ;   in Loop: Header=BB161_4 Depth=1
	s_or_b64 exec, exec, s[10:11]
.LBB161_156:                            ;   in Loop: Header=BB161_4 Depth=1
	s_andn2_saveexec_b64 s[10:11], s[66:67]
	s_cbranch_execz .LBB161_158
; %bb.157:                              ;   in Loop: Header=BB161_4 Depth=1
	v_add_f64 v[11:12], v[11:12], -v[11:12]
	v_mov_b32_e32 v9, v11
	v_mov_b32_e32 v10, v12
.LBB161_158:                            ;   in Loop: Header=BB161_4 Depth=1
	s_or_b64 exec, exec, s[10:11]
	s_andn2_saveexec_b64 s[60:61], s[60:61]
	s_cbranch_execnz .LBB161_138
.LBB161_159:                            ;   in Loop: Header=BB161_4 Depth=1
	s_or_b64 exec, exec, s[60:61]
	s_and_saveexec_b64 s[10:11], s[0:1]
	s_xor_b64 s[0:1], exec, s[10:11]
	s_cbranch_execz .LBB161_168
.LBB161_160:                            ;   in Loop: Header=BB161_4 Depth=1
	v_mov_b32_e32 v18, s72
	v_add_co_u32_e32 v26, vcc, s33, v19
	v_addc_co_u32_e32 v27, vcc, 0, v18, vcc
	global_store_dwordx4 v[26:27], v[5:8], off
	s_or_b64 exec, exec, s[0:1]
	s_and_saveexec_b64 s[0:1], s[2:3]
	s_cbranch_execnz .LBB161_169
.LBB161_161:                            ;   in Loop: Header=BB161_4 Depth=1
	s_or_b64 exec, exec, s[0:1]
	s_and_saveexec_b64 s[0:1], s[6:7]
	s_cbranch_execz .LBB161_170
.LBB161_162:                            ;   in Loop: Header=BB161_4 Depth=1
	v_mov_b32_e32 v2, s72
	v_add_co_u32_e32 v1, vcc, s33, v48
	v_addc_co_u32_e32 v2, vcc, v2, v47, vcc
	global_store_dwordx4 v[1:2], v[13:16], off offset:-8
	s_or_b64 exec, exec, s[0:1]
	s_and_saveexec_b64 s[0:1], s[8:9]
	s_cbranch_execz .LBB161_3
	s_branch .LBB161_171
.LBB161_163:                            ;   in Loop: Header=BB161_4 Depth=1
	s_andn2_saveexec_b64 s[10:11], s[10:11]
	s_cbranch_execz .LBB161_165
.LBB161_164:                            ;   in Loop: Header=BB161_4 Depth=1
	v_mul_f64 v[26:27], |v[11:12]|, s[24:25]
	s_mov_b32 s26, s52
	v_rndne_f64_e32 v[30:31], v[26:27]
	v_fma_f64 v[26:27], v[30:31], s[50:51], |v[11:12]|
	v_mul_f64 v[28:29], v[30:31], s[52:53]
	v_cvt_i32_f64_e32 v18, v[30:31]
	v_fma_f64 v[40:41], v[30:31], s[52:53], v[26:27]
	v_add_f64 v[36:37], v[26:27], v[28:29]
	v_add_f64 v[38:39], v[26:27], -v[36:37]
	v_add_f64 v[36:37], v[36:37], -v[40:41]
	v_add_f64 v[26:27], v[38:39], v[28:29]
	v_fma_f64 v[28:29], v[30:31], s[26:27], v[28:29]
	v_add_f64 v[26:27], v[36:37], v[26:27]
	v_add_f64 v[26:27], v[26:27], -v[28:29]
	v_fma_f64 v[28:29], v[30:31], s[28:29], v[26:27]
	v_add_f64 v[26:27], v[40:41], v[28:29]
	v_add_f64 v[36:37], v[26:27], -v[40:41]
	v_add_f64 v[28:29], v[28:29], -v[36:37]
.LBB161_165:                            ;   in Loop: Header=BB161_4 Depth=1
	s_or_b64 exec, exec, s[10:11]
	v_mul_f64 v[30:31], v[32:33], v[32:33]
	v_mov_b32_e32 v59, s82
	v_mov_b32_e32 v60, s83
	v_mul_f64 v[63:64], v[34:35], 0.5
	s_mov_b32 s12, s14
	v_mul_f64 v[36:37], v[30:31], 0.5
	v_fma_f64 v[61:62], v[30:31], s[84:85], v[59:60]
	v_add_f64 v[38:39], -v[36:37], 1.0
	v_fma_f64 v[61:62], v[30:31], v[61:62], s[86:87]
	v_add_f64 v[40:41], -v[38:39], 1.0
	v_fma_f64 v[61:62], v[30:31], v[61:62], s[88:89]
	v_add_f64 v[36:37], v[40:41], -v[36:37]
	v_fma_f64 v[61:62], v[30:31], v[61:62], s[90:91]
	v_mul_f64 v[40:41], v[30:31], v[30:31]
	v_fma_f64 v[36:37], v[32:33], -v[34:35], v[36:37]
	v_fma_f64 v[61:62], v[30:31], v[61:62], s[14:15]
	v_fma_f64 v[36:37], v[40:41], v[61:62], v[36:37]
	v_mul_f64 v[61:62], v[32:33], -v[30:31]
	v_add_f64 v[36:37], v[38:39], v[36:37]
	v_mov_b32_e32 v38, s94
	v_mov_b32_e32 v39, s95
	v_fma_f64 v[40:41], v[30:31], s[30:31], v[38:39]
	v_fma_f64 v[40:41], v[30:31], v[40:41], s[34:35]
	;; [unrolled: 1-line block ×5, first 2 shown]
	v_fma_f64 v[30:31], v[30:31], v[40:41], -v[34:35]
	v_fma_f64 v[30:31], v[61:62], s[12:13], v[30:31]
	v_add_f64 v[30:31], v[32:33], -v[30:31]
	v_and_b32_e32 v32, 1, v58
	v_cmp_eq_u32_e32 vcc, 0, v32
	v_lshlrev_b32_e32 v32, 30, v58
	v_xor_b32_e32 v32, v32, v12
	v_and_b32_e32 v32, 0x80000000, v32
	v_cndmask_b32_e32 v30, v36, v30, vcc
	v_cndmask_b32_e32 v31, v37, v31, vcc
	v_cmp_class_f64_e64 vcc, v[11:12], s77
	v_xor_b32_e32 v31, v31, v32
	v_cndmask_b32_e32 v11, 0, v30, vcc
	v_cndmask_b32_e32 v12, v57, v31, vcc
	v_mul_f64 v[30:31], v[26:27], v[26:27]
	v_mul_f64 v[32:33], v[30:31], 0.5
	v_fma_f64 v[40:41], v[30:31], s[84:85], v[59:60]
	v_add_f64 v[34:35], -v[32:33], 1.0
	v_fma_f64 v[40:41], v[30:31], v[40:41], s[86:87]
	v_add_f64 v[36:37], -v[34:35], 1.0
	v_fma_f64 v[40:41], v[30:31], v[40:41], s[88:89]
	v_add_f64 v[32:33], v[36:37], -v[32:33]
	v_fma_f64 v[40:41], v[30:31], v[40:41], s[90:91]
	v_mul_f64 v[36:37], v[30:31], v[30:31]
	v_fma_f64 v[32:33], v[26:27], -v[28:29], v[32:33]
	v_fma_f64 v[40:41], v[30:31], v[40:41], s[14:15]
	v_fma_f64 v[32:33], v[36:37], v[40:41], v[32:33]
	v_mul_f64 v[36:37], v[26:27], -v[30:31]
	v_add_f64 v[32:33], v[34:35], v[32:33]
	v_fma_f64 v[34:35], v[30:31], s[30:31], v[38:39]
	v_mul_f64 v[38:39], v[28:29], 0.5
	v_fma_f64 v[34:35], v[30:31], v[34:35], s[34:35]
	v_fma_f64 v[34:35], v[30:31], v[34:35], s[36:37]
	;; [unrolled: 1-line block ×4, first 2 shown]
	v_fma_f64 v[28:29], v[30:31], v[34:35], -v[28:29]
	v_fma_f64 v[28:29], v[36:37], s[12:13], v[28:29]
	v_add_f64 v[26:27], v[26:27], -v[28:29]
	v_and_b32_e32 v28, 1, v18
	v_cmp_eq_u32_e64 s[10:11], 0, v28
	v_lshlrev_b32_e32 v18, 30, v18
	v_and_b32_e32 v18, 0x80000000, v18
	v_xor_b32_e32 v27, 0x80000000, v27
	v_cndmask_b32_e64 v27, v27, v33, s[10:11]
	v_cndmask_b32_e64 v26, v26, v32, s[10:11]
	v_xor_b32_e32 v18, v27, v18
	v_cndmask_b32_e32 v26, 0, v26, vcc
	v_cndmask_b32_e32 v27, v57, v18, vcc
	v_mul_f64 v[11:12], v[11:12], v[26:27]
.LBB161_166:                            ;   in Loop: Header=BB161_4 Depth=1
	s_or_b64 exec, exec, s[68:69]
	v_bfi_b32 v18, s75, 0, v12
	v_mov_b32_e32 v11, v17
	v_add_u32_e32 v10, -2.0, v10
	v_mov_b32_e32 v12, v18
.LBB161_167:                            ;   in Loop: Header=BB161_4 Depth=1
	s_or_b64 exec, exec, s[66:67]
	s_or_b64 exec, exec, s[60:61]
	s_and_saveexec_b64 s[10:11], s[0:1]
	s_xor_b64 s[0:1], exec, s[10:11]
	s_cbranch_execnz .LBB161_160
.LBB161_168:                            ;   in Loop: Header=BB161_4 Depth=1
	s_or_b64 exec, exec, s[0:1]
	s_and_saveexec_b64 s[0:1], s[2:3]
	s_cbranch_execz .LBB161_161
.LBB161_169:                            ;   in Loop: Header=BB161_4 Depth=1
	v_mov_b32_e32 v6, s72
	v_add_co_u32_e32 v5, vcc, s33, v46
	v_addc_co_u32_e32 v6, vcc, 0, v6, vcc
	global_store_dwordx4 v[5:6], v[1:4], off
	s_or_b64 exec, exec, s[0:1]
	s_and_saveexec_b64 s[0:1], s[6:7]
	s_cbranch_execnz .LBB161_162
.LBB161_170:                            ;   in Loop: Header=BB161_4 Depth=1
	s_or_b64 exec, exec, s[0:1]
	s_and_saveexec_b64 s[0:1], s[8:9]
	s_cbranch_execz .LBB161_3
.LBB161_171:                            ;   in Loop: Header=BB161_4 Depth=1
	v_mov_b32_e32 v2, s72
	v_add_co_u32_e32 v1, vcc, s33, v20
	v_addc_co_u32_e32 v2, vcc, v2, v21, vcc
	global_store_dwordx4 v[1:2], v[9:12], off offset:-8
	s_branch .LBB161_3
.LBB161_172:
	s_cbranch_execz .LBB161_174
	s_branch .LBB161_329
.LBB161_173:
.LBB161_174:
	v_mov_b32_e32 v1, 0x10000
	v_mov_b32_e32 v2, 0
	v_cmp_lt_i64_e32 vcc, s[16:17], v[1:2]
	v_mov_b32_e32 v18, 0
	s_and_b64 s[0:1], vcc, exec
	s_cselect_b32 s3, s17, 0
	s_cselect_b32 s2, s16, 0x10000
	v_lshlrev_b32_e32 v1, 2, v0
	v_mov_b32_e32 v2, v18
	v_cmp_gt_i64_e32 vcc, s[2:3], v[1:2]
	s_and_saveexec_b64 s[0:1], vcc
	s_cbranch_execz .LBB161_329
; %bb.175:
	s_load_dword s0, s[4:5], 0xd3c
	v_readlane_b32 s4, v81, 2
	v_readlane_b32 s5, v81, 3
	v_lshlrev_b32_e32 v2, 6, v0
	s_mov_b32 s12, 0x54442d18
	s_waitcnt lgkmcnt(0)
	s_and_b32 s33, s0, 0xffff
	v_readlane_b32 s0, v81, 0
	v_readlane_b32 s1, v81, 1
	s_add_u32 s0, s0, s4
	s_addc_u32 s1, s1, s5
	v_mov_b32_e32 v3, s1
	v_add_co_u32_e32 v20, vcc, s0, v2
	s_mov_b32 s6, 0x6dc9c883
	s_mov_b32 s14, 0x33145c00
	;; [unrolled: 1-line block ×26, first 2 shown]
	v_mov_b32_e32 v1, v18
	v_addc_co_u32_e32 v21, vcc, 0, v3, vcc
	s_lshl_b32 s28, s33, 6
	s_mov_b32 s13, 0xbff921fb
	s_mov_b32 s7, 0x3fe45f30
	;; [unrolled: 1-line block ×15, first 2 shown]
	v_mov_b32_e32 v42, 0x260
	s_mov_b32 s71, 0x3e21eeb6
	s_mov_b32 s73, 0xbda907db
	;; [unrolled: 1-line block ×9, first 2 shown]
	v_mov_b32_e32 v43, 0x40100000
	v_mov_b32_e32 v44, 0x3ff00000
	;; [unrolled: 1-line block ×10, first 2 shown]
	s_brev_b32 s29, -2
	s_mov_b32 s30, 0x7ff00000
	s_movk_i32 s31, 0x1f8
	s_mov_b32 s34, 0x40360000
	s_movk_i32 s35, 0xff80
	s_mov_b32 s42, 0xfffff
	s_mov_b64 s[88:89], 0
	s_mov_b32 s91, 0x41d00000
	s_mov_b32 s93, 0x7b000000
	;; [unrolled: 1-line block ×12, first 2 shown]
	s_branch .LBB161_180
.LBB161_176:                            ;   in Loop: Header=BB161_180 Depth=1
	s_or_b64 exec, exec, s[0:1]
	v_mul_f64 v[30:31], v[26:27], v[26:27]
	v_mul_f64 v[34:35], v[32:33], v[32:33]
	v_mov_b32_e32 v36, s80
	v_mov_b32_e32 v37, s81
	v_mov_b32_e32 v50, s70
	v_mov_b32_e32 v51, s71
	v_mul_f64 v[60:61], v[28:29], 0.5
	v_mul_f64 v[68:69], v[40:41], 0.5
	v_fma_f64 v[38:39], v[30:31], s[82:83], v[36:37]
	v_fma_f64 v[36:37], v[34:35], s[82:83], v[36:37]
	;; [unrolled: 1-line block ×3, first 2 shown]
	v_mul_f64 v[54:55], v[30:31], 0.5
	v_fma_f64 v[50:51], v[34:35], s[72:73], v[50:51]
	v_mul_f64 v[56:57], v[34:35], 0.5
	v_mul_f64 v[62:63], v[26:27], -v[30:31]
	v_mul_f64 v[70:71], v[32:33], -v[34:35]
	v_fma_f64 v[38:39], v[30:31], v[38:39], s[84:85]
	v_fma_f64 v[36:37], v[34:35], v[36:37], s[84:85]
	;; [unrolled: 1-line block ×3, first 2 shown]
	v_add_f64 v[58:59], -v[54:55], 1.0
	v_fma_f64 v[50:51], v[34:35], v[50:51], s[74:75]
	v_add_f64 v[64:65], -v[56:57], 1.0
	s_mov_b32 s26, s36
	v_cmp_class_f64_e64 s[0:1], v[4:5], s31
	v_fma_f64 v[38:39], v[30:31], v[38:39], s[86:87]
	v_fma_f64 v[36:37], v[34:35], v[36:37], s[86:87]
	;; [unrolled: 1-line block ×3, first 2 shown]
	v_add_f64 v[66:67], -v[58:59], 1.0
	v_fma_f64 v[50:51], v[34:35], v[50:51], s[76:77]
	v_add_f64 v[72:73], -v[64:65], 1.0
	v_fma_f64 v[38:39], v[30:31], v[38:39], s[24:25]
	v_fma_f64 v[36:37], v[34:35], v[36:37], s[24:25]
	;; [unrolled: 1-line block ×3, first 2 shown]
	v_add_f64 v[54:55], v[66:67], -v[54:55]
	v_fma_f64 v[50:51], v[34:35], v[50:51], s[78:79]
	v_add_f64 v[56:57], v[72:73], -v[56:57]
	v_fma_f64 v[38:39], v[62:63], v[38:39], v[60:61]
	v_fma_f64 v[36:37], v[70:71], v[36:37], v[68:69]
	v_mul_f64 v[60:61], v[30:31], v[30:31]
	v_fma_f64 v[52:53], v[30:31], v[52:53], s[36:37]
	v_fma_f64 v[54:55], v[26:27], -v[28:29], v[54:55]
	v_fma_f64 v[28:29], v[30:31], v[38:39], -v[28:29]
	v_fma_f64 v[36:37], v[34:35], v[36:37], -v[40:41]
	v_mul_f64 v[30:31], v[34:35], v[34:35]
	v_fma_f64 v[34:35], v[34:35], v[50:51], s[36:37]
	v_fma_f64 v[38:39], v[32:33], -v[40:41], v[56:57]
	v_fma_f64 v[40:41], v[60:61], v[52:53], v[54:55]
	v_and_b32_e32 v50, 1, v49
	v_lshlrev_b32_e32 v49, 30, v49
	v_fma_f64 v[28:29], v[62:63], s[26:27], v[28:29]
	v_fma_f64 v[36:37], v[70:71], s[26:27], v[36:37]
	v_cmp_eq_u32_e32 vcc, 0, v50
	v_fma_f64 v[30:31], v[30:31], v[34:35], v[38:39]
	v_add_f64 v[34:35], v[58:59], v[40:41]
	v_and_b32_e32 v38, 1, v19
	v_lshlrev_b32_e32 v19, 30, v19
	v_add_f64 v[26:27], v[26:27], -v[28:29]
	v_add_f64 v[28:29], v[32:33], -v[36:37]
	v_xor_b32_e32 v39, v49, v5
	v_and_b32_e32 v19, 0x80000000, v19
	v_add_f64 v[30:31], v[64:65], v[30:31]
	v_and_b32_e32 v32, 0x80000000, v39
	v_cndmask_b32_e32 v26, v34, v26, vcc
	v_cndmask_b32_e32 v4, v35, v27, vcc
	v_xor_b32_e32 v5, 0x80000000, v29
	v_cmp_eq_u32_e32 vcc, 0, v38
	v_cndmask_b32_e32 v5, v5, v31, vcc
	v_cndmask_b32_e32 v27, v28, v30, vcc
	v_xor_b32_e32 v28, v4, v32
	v_xor_b32_e32 v19, v5, v19
	v_cndmask_b32_e64 v4, 0, v26, s[0:1]
	v_cndmask_b32_e64 v5, v48, v28, s[0:1]
	v_cndmask_b32_e64 v26, 0, v27, s[0:1]
	v_cndmask_b32_e64 v27, v48, v19, s[0:1]
	v_mul_f64 v[4:5], v[4:5], v[26:27]
.LBB161_177:                            ;   in Loop: Header=BB161_180 Depth=1
	s_or_b64 exec, exec, s[48:49]
	v_bfi_b32 v19, s29, 0, v5
	v_mov_b32_e32 v4, v18
	v_add_u32_e32 v3, -2.0, v3
	v_mov_b32_e32 v5, v19
.LBB161_178:                            ;   in Loop: Header=BB161_180 Depth=1
	s_or_b64 exec, exec, s[46:47]
.LBB161_179:                            ;   in Loop: Header=BB161_180 Depth=1
	s_or_b64 exec, exec, s[38:39]
	v_add_co_u32_e32 v0, vcc, s33, v0
	v_addc_co_u32_e32 v1, vcc, 0, v1, vcc
	global_store_dwordx4 v[20:21], v[14:17], off
	global_store_dwordx4 v[20:21], v[10:13], off offset:16
	global_store_dwordx4 v[20:21], v[6:9], off offset:32
	v_lshlrev_b64 v[10:11], 2, v[0:1]
	global_store_dwordx4 v[20:21], v[2:5], off offset:48
	v_cmp_le_i64_e32 vcc, s[2:3], v[10:11]
	s_or_b64 s[88:89], vcc, s[88:89]
	v_add_co_u32_e32 v20, vcc, s28, v20
	v_addc_co_u32_e32 v21, vcc, 0, v21, vcc
	s_andn2_b64 exec, exec, s[88:89]
	s_cbranch_execz .LBB161_329
.LBB161_180:                            ; =>This Inner Loop Header: Depth=1
	global_load_dwordx4 v[10:13], v[20:21], off offset:16
	global_load_dwordx4 v[14:17], v[20:21], off
	global_load_dwordx4 v[2:5], v[20:21], off offset:48
	global_load_dwordx4 v[6:9], v[20:21], off offset:32
	s_waitcnt vmcnt(2)
	v_and_b32_e32 v19, 0x7fffffff, v15
	v_cmp_gt_u32_e32 vcc, s30, v19
	s_and_saveexec_b64 s[0:1], vcc
	s_xor_b64 s[38:39], exec, s[0:1]
	s_cbranch_execz .LBB161_202
; %bb.181:                              ;   in Loop: Header=BB161_180 Depth=1
	v_cmp_class_f64_e64 s[0:1], v[16:17], s31
	s_and_saveexec_b64 s[46:47], s[0:1]
	s_xor_b64 s[46:47], exec, s[46:47]
	s_cbranch_execz .LBB161_199
; %bb.182:                              ;   in Loop: Header=BB161_180 Depth=1
	v_cmp_gt_u32_e32 vcc, s34, v19
	s_and_saveexec_b64 s[0:1], vcc
	s_xor_b64 s[48:49], exec, s[0:1]
	s_cbranch_execz .LBB161_188
; %bb.183:                              ;   in Loop: Header=BB161_180 Depth=1
	v_cmp_nlt_f64_e64 s[0:1], |v[16:17]|, s[90:91]
                                        ; implicit-def: $vgpr19
                                        ; implicit-def: $vgpr26_vgpr27
                                        ; implicit-def: $vgpr28_vgpr29
	s_and_saveexec_b64 s[68:69], s[0:1]
	s_xor_b64 s[0:1], exec, s[68:69]
	s_cbranch_execz .LBB161_185
; %bb.184:                              ;   in Loop: Header=BB161_180 Depth=1
	v_trig_preop_f64 v[26:27], |v[16:17]|, 0
	v_ldexp_f64 v[28:29], |v[16:17]|, s35
	v_cmp_ge_f64_e64 vcc, |v[16:17]|, s[92:93]
	v_trig_preop_f64 v[30:31], |v[16:17]|, 1
	v_and_b32_e32 v19, 0x7fffffff, v17
	v_trig_preop_f64 v[38:39], |v[16:17]|, 2
	s_mov_b32 s4, s12
	s_mov_b32 s17, s9
	v_cndmask_b32_e32 v29, v19, v29, vcc
	v_cndmask_b32_e32 v28, v16, v28, vcc
	v_mul_f64 v[32:33], v[26:27], v[28:29]
	v_mul_f64 v[34:35], v[30:31], v[28:29]
	;; [unrolled: 1-line block ×3, first 2 shown]
	v_fma_f64 v[26:27], v[26:27], v[28:29], -v[32:33]
	v_fma_f64 v[30:31], v[30:31], v[28:29], -v[34:35]
	v_fma_f64 v[28:29], v[38:39], v[28:29], -v[51:52]
	v_add_f64 v[36:37], v[34:35], v[26:27]
	v_add_f64 v[40:41], v[36:37], -v[34:35]
	v_add_f64 v[53:54], v[32:33], v[36:37]
	v_add_f64 v[49:50], v[36:37], -v[40:41]
	v_add_f64 v[26:27], v[26:27], -v[40:41]
	v_add_f64 v[40:41], v[51:52], v[30:31]
	v_add_f64 v[32:33], v[53:54], -v[32:33]
	v_add_f64 v[34:35], v[34:35], -v[49:50]
	v_ldexp_f64 v[49:50], v[53:54], -2
	v_add_f64 v[55:56], v[40:41], -v[51:52]
	v_add_f64 v[32:33], v[36:37], -v[32:33]
	v_add_f64 v[26:27], v[26:27], v[34:35]
	v_fract_f64_e32 v[34:35], v[49:50]
	v_cmp_neq_f64_e64 vcc, |v[49:50]|, s[94:95]
	v_add_f64 v[30:31], v[30:31], -v[55:56]
	v_add_f64 v[36:37], v[40:41], v[26:27]
	v_ldexp_f64 v[34:35], v[34:35], 2
	v_add_f64 v[49:50], v[32:33], v[36:37]
	v_cndmask_b32_e32 v35, 0, v35, vcc
	v_cndmask_b32_e32 v34, 0, v34, vcc
	v_add_f64 v[57:58], v[36:37], -v[40:41]
	v_add_f64 v[53:54], v[49:50], v[34:35]
	v_add_f64 v[32:33], v[49:50], -v[32:33]
	v_add_f64 v[59:60], v[36:37], -v[57:58]
	;; [unrolled: 1-line block ×3, first 2 shown]
	v_cmp_gt_f64_e32 vcc, 0, v[53:54]
	v_add_f64 v[53:54], v[40:41], -v[55:56]
	v_add_f64 v[32:33], v[36:37], -v[32:33]
	;; [unrolled: 1-line block ×3, first 2 shown]
	v_cndmask_b32_e32 v19, 0, v43, vcc
	v_add_f64 v[34:35], v[34:35], v[18:19]
	v_add_f64 v[53:54], v[51:52], -v[53:54]
	v_add_f64 v[26:27], v[26:27], v[40:41]
	v_add_f64 v[61:62], v[49:50], v[34:35]
	;; [unrolled: 1-line block ×3, first 2 shown]
	v_cvt_i32_f64_e32 v57, v[61:62]
	v_add_f64 v[26:27], v[30:31], v[26:27]
	v_cvt_f64_i32_e32 v[55:56], v57
	v_add_f64 v[34:35], v[34:35], -v[55:56]
	v_add_f64 v[26:27], v[28:29], v[26:27]
	v_add_f64 v[30:31], v[49:50], v[34:35]
	;; [unrolled: 1-line block ×3, first 2 shown]
	v_add_f64 v[28:29], v[30:31], -v[34:35]
	v_cmp_le_f64_e32 vcc, 0.5, v[30:31]
	v_add_f64 v[28:29], v[49:50], -v[28:29]
	v_cndmask_b32_e32 v19, 0, v44, vcc
	v_add_f64 v[26:27], v[26:27], v[28:29]
	v_add_f64 v[28:29], v[30:31], -v[18:19]
	v_addc_co_u32_e32 v19, vcc, 0, v57, vcc
	v_add_f64 v[30:31], v[28:29], v[26:27]
	v_mul_f64 v[32:33], v[30:31], s[4:5]
	v_add_f64 v[28:29], v[30:31], -v[28:29]
	v_fma_f64 v[34:35], v[30:31], s[4:5], -v[32:33]
	v_add_f64 v[26:27], v[26:27], -v[28:29]
	v_fma_f64 v[28:29], v[30:31], s[16:17], v[34:35]
	v_fma_f64 v[28:29], v[26:27], s[4:5], v[28:29]
	v_add_f64 v[26:27], v[32:33], v[28:29]
	v_add_f64 v[30:31], v[26:27], -v[32:33]
	v_add_f64 v[28:29], v[28:29], -v[30:31]
.LBB161_185:                            ;   in Loop: Header=BB161_180 Depth=1
	s_andn2_saveexec_b64 s[0:1], s[0:1]
	s_cbranch_execz .LBB161_187
; %bb.186:                              ;   in Loop: Header=BB161_180 Depth=1
	v_mul_f64 v[26:27], |v[16:17]|, s[6:7]
	s_mov_b32 s8, s14
	v_rndne_f64_e32 v[30:31], v[26:27]
	v_fma_f64 v[26:27], v[30:31], s[12:13], |v[16:17]|
	v_mul_f64 v[28:29], v[30:31], s[14:15]
	v_cvt_i32_f64_e32 v19, v[30:31]
	v_fma_f64 v[36:37], v[30:31], s[14:15], v[26:27]
	v_add_f64 v[32:33], v[26:27], v[28:29]
	v_add_f64 v[34:35], v[26:27], -v[32:33]
	v_add_f64 v[32:33], v[32:33], -v[36:37]
	v_add_f64 v[26:27], v[34:35], v[28:29]
	v_fma_f64 v[28:29], v[30:31], s[8:9], v[28:29]
	v_add_f64 v[26:27], v[32:33], v[26:27]
	v_add_f64 v[26:27], v[26:27], -v[28:29]
	v_fma_f64 v[28:29], v[30:31], s[10:11], v[26:27]
	v_add_f64 v[26:27], v[36:37], v[28:29]
	v_add_f64 v[32:33], v[26:27], -v[36:37]
	v_add_f64 v[28:29], v[28:29], -v[32:33]
.LBB161_187:                            ;   in Loop: Header=BB161_180 Depth=1
	s_or_b64 exec, exec, s[0:1]
	v_add_f64 v[30:31], |v[14:15]|, s[22:23]
	s_mov_b32 s40, s22
	s_mov_b32 s0, 0x3b39803f
	;; [unrolled: 1-line block ×7, first 2 shown]
	v_add_f64 v[32:33], v[30:31], -|v[14:15]|
	v_and_b32_e32 v19, 1, v19
	v_add_f64 v[34:35], v[32:33], -v[30:31]
	v_add_f64 v[32:33], v[32:33], s[40:41]
	v_add_f64 v[34:35], |v[14:15]|, v[34:35]
	v_add_f64 v[32:33], v[34:35], -v[32:33]
	v_add_f64 v[32:33], v[32:33], s[0:1]
	s_mov_b32 s0, 0xf278e000
	s_mov_b32 s1, 0xbd53de6a
	v_add_f64 v[34:35], v[30:31], v[32:33]
	v_mul_f64 v[36:37], v[34:35], s[44:45]
	v_add_f64 v[30:31], v[30:31], -v[34:35]
	v_rndne_f64_e32 v[36:37], v[36:37]
	v_add_f64 v[30:31], v[32:33], v[30:31]
	v_fma_f64 v[32:33], v[36:37], s[18:19], v[34:35]
	v_mul_f64 v[34:35], v[36:37], s[0:1]
	s_mov_b32 s0, 0xf97b57a0
	s_mov_b32 s1, 0xbac9cc01
	v_cvt_i32_f64_e32 v16, v[36:37]
	v_add_f64 v[38:39], v[30:31], v[32:33]
	v_add_f64 v[40:41], v[38:39], v[34:35]
	v_add_f64 v[32:33], v[32:33], -v[38:39]
	v_add_f64 v[38:39], v[38:39], -v[40:41]
	v_add_f64 v[30:31], v[30:31], v[32:33]
	v_add_f64 v[32:33], v[38:39], v[34:35]
	;; [unrolled: 1-line block ×3, first 2 shown]
	v_mul_f64 v[32:33], v[36:37], s[0:1]
	s_mov_b32 s0, 0xc751c08c
	s_mov_b32 s1, 0x3ef5e089
	v_add_f64 v[34:35], v[40:41], v[30:31]
	v_add_f64 v[38:39], v[34:35], v[32:33]
	v_add_f64 v[40:41], v[40:41], -v[34:35]
	v_add_f64 v[34:35], v[34:35], -v[38:39]
	v_add_f64 v[30:31], v[30:31], v[40:41]
	v_add_f64 v[32:33], v[34:35], v[32:33]
	;; [unrolled: 1-line block ×4, first 2 shown]
	v_fma_f64 v[34:35], v[32:33], s[50:51], v[24:25]
	v_add_f64 v[38:39], v[38:39], -v[32:33]
	v_mul_f64 v[40:41], v[32:33], v[32:33]
	v_fma_f64 v[34:35], v[32:33], v[34:35], s[52:53]
	v_add_f64 v[30:31], v[30:31], v[38:39]
	v_fma_f64 v[38:39], v[32:33], v[32:33], -v[40:41]
	v_fma_f64 v[34:35], v[32:33], v[34:35], s[54:55]
	v_add_f64 v[49:50], v[30:31], v[30:31]
	v_fma_f64 v[34:35], v[32:33], v[34:35], s[56:57]
	v_fma_f64 v[38:39], v[32:33], v[49:50], v[38:39]
	;; [unrolled: 1-line block ×3, first 2 shown]
	v_add_f64 v[49:50], v[40:41], v[38:39]
	v_fma_f64 v[34:35], v[32:33], v[34:35], s[60:61]
	v_add_f64 v[40:41], v[49:50], -v[40:41]
	v_fma_f64 v[34:35], v[32:33], v[34:35], s[62:63]
	v_add_f64 v[38:39], v[38:39], -v[40:41]
	v_fma_f64 v[34:35], v[32:33], v[34:35], s[64:65]
	v_fma_f64 v[34:35], v[32:33], v[34:35], s[66:67]
	v_mul_f64 v[51:52], v[49:50], v[34:35]
	v_fma_f64 v[40:41], v[49:50], v[34:35], -v[51:52]
	v_fma_f64 v[34:35], v[38:39], v[34:35], v[40:41]
	v_add_f64 v[38:39], v[51:52], v[34:35]
	v_add_f64 v[40:41], v[32:33], v[38:39]
	v_add_f64 v[49:50], v[38:39], -v[51:52]
	v_add_f64 v[32:33], v[40:41], -v[32:33]
	;; [unrolled: 1-line block ×3, first 2 shown]
	v_add_f64 v[49:50], v[28:29], v[28:29]
	v_add_f64 v[32:33], v[38:39], -v[32:33]
	v_add_f64 v[30:31], v[30:31], v[34:35]
	v_add_f64 v[30:31], v[30:31], v[32:33]
	;; [unrolled: 1-line block ×3, first 2 shown]
	v_add_f64 v[34:35], v[32:33], 1.0
	v_add_f64 v[38:39], v[32:33], -v[40:41]
	v_add_f64 v[40:41], v[34:35], -1.0
	v_add_f64 v[30:31], v[30:31], -v[38:39]
	v_add_f64 v[32:33], v[32:33], -v[40:41]
	v_add_f64 v[30:31], v[30:31], v[32:33]
	v_add_f64 v[32:33], v[34:35], v[30:31]
	v_ldexp_f64 v[36:37], v[32:33], v16
	v_add_f64 v[32:33], v[32:33], -v[34:35]
	v_rcp_f64_e32 v[38:39], v[36:37]
	v_add_f64 v[30:31], v[30:31], -v[32:33]
	v_ldexp_f64 v[30:31], v[30:31], v16
	v_fma_f64 v[40:41], -v[36:37], v[38:39], 1.0
	v_fma_f64 v[38:39], v[40:41], v[38:39], v[38:39]
	v_fma_f64 v[40:41], -v[36:37], v[38:39], 1.0
	v_fma_f64 v[34:35], v[40:41], v[38:39], v[38:39]
	v_mul_f64 v[38:39], v[26:27], v[26:27]
	v_mul_f64 v[32:33], v[36:37], v[34:35]
	v_fma_f64 v[51:52], v[26:27], v[26:27], -v[38:39]
	v_fma_f64 v[40:41], v[34:35], v[36:37], -v[32:33]
	v_fma_f64 v[49:50], v[26:27], v[49:50], v[51:52]
	v_fma_f64 v[40:41], v[34:35], v[30:31], v[40:41]
	v_add_f64 v[38:39], v[38:39], v[49:50]
	v_add_f64 v[51:52], v[32:33], v[40:41]
	v_fma_f64 v[53:54], v[38:39], s[0:1], v[22:23]
	s_mov_b32 s0, 0x90a8aae0
	s_mov_b32 s1, 0x3f17746f
	v_add_f64 v[49:50], -v[51:52], 1.0
	v_add_f64 v[32:33], v[51:52], -v[32:33]
	v_fma_f64 v[53:54], v[38:39], v[53:54], s[0:1]
	s_mov_b32 s0, 0xa6fbf144
	s_mov_b32 s1, 0xbefbb44d
	v_add_f64 v[55:56], -v[49:50], 1.0
	v_add_f64 v[32:33], v[32:33], -v[40:41]
	v_add_f64 v[40:41], v[55:56], -v[51:52]
	v_fma_f64 v[51:52], v[38:39], v[53:54], s[0:1]
	s_mov_b32 s0, 0xa7943acf
	s_mov_b32 s1, 0x3f21e634
	v_add_f64 v[32:33], v[32:33], v[40:41]
	v_fma_f64 v[40:41], v[38:39], v[51:52], s[0:1]
	s_mov_b32 s0, 0xdeb68feb
	s_mov_b32 s1, 0x3f2d250f
	v_add_f64 v[51:52], v[49:50], v[32:33]
	v_fma_f64 v[40:41], v[38:39], v[40:41], s[0:1]
	s_mov_b32 s0, 0xb58c4d95
	s_mov_b32 s1, 0x3f437fd9
	v_mul_f64 v[53:54], v[34:35], v[51:52]
	v_fma_f64 v[40:41], v[38:39], v[40:41], s[0:1]
	s_mov_b32 s0, 0x15120e2c
	s_mov_b32 s1, 0x3f57d5af
	v_add_f64 v[49:50], v[49:50], -v[51:52]
	v_mul_f64 v[55:56], v[36:37], v[53:54]
	v_fma_f64 v[40:41], v[38:39], v[40:41], s[0:1]
	s_mov_b32 s0, 0xe09491df
	s_mov_b32 s1, 0x3f6d6d93
	v_add_f64 v[32:33], v[32:33], v[49:50]
	v_fma_f64 v[57:58], v[53:54], v[36:37], -v[55:56]
	v_fma_f64 v[40:41], v[38:39], v[40:41], s[0:1]
	s_mov_b32 s0, 0x2033784d
	s_mov_b32 s1, 0x3f8226e1
	v_fma_f64 v[57:58], v[53:54], v[30:31], v[57:58]
	v_fma_f64 v[40:41], v[38:39], v[40:41], s[0:1]
	s_mov_b32 s0, 0x9ac36ae2
	s_mov_b32 s1, 0x3f9664f4
	v_add_f64 v[59:60], v[55:56], v[57:58]
	v_fma_f64 v[40:41], v[38:39], v[40:41], s[0:1]
	s_mov_b32 s0, 0x1b451c21
	s_mov_b32 s1, 0x3faba1ba
	v_add_f64 v[61:62], v[51:52], -v[59:60]
	v_fma_f64 v[40:41], v[38:39], v[40:41], s[0:1]
	s_mov_b32 s0, 0x111185b7
	s_mov_b32 s1, 0x3fc11111
	v_add_f64 v[49:50], v[59:60], -v[55:56]
	v_add_f64 v[51:52], v[51:52], -v[61:62]
	v_fma_f64 v[40:41], v[38:39], v[40:41], s[0:1]
	s_mov_b32 s0, 0x555554ee
	s_mov_b32 s1, 0x3fd55555
	v_add_f64 v[49:50], v[49:50], -v[57:58]
	v_add_f64 v[51:52], v[51:52], -v[59:60]
	v_fma_f64 v[40:41], v[38:39], v[40:41], s[0:1]
	s_mov_b32 s0, 0x8fb9f87e
	s_mov_b32 s1, 0x408633ce
	v_cmp_nge_f64_e64 vcc, |v[14:15]|, s[0:1]
	s_mov_b32 s0, 0
	s_mov_b32 s1, 0x3e400000
	v_add_f64 v[32:33], v[32:33], v[51:52]
	v_mul_f64 v[38:39], v[38:39], v[40:41]
	v_add_f64 v[40:41], v[34:35], v[53:54]
	v_add_f64 v[32:33], v[49:50], v[32:33]
	v_mul_f64 v[49:50], v[26:27], v[38:39]
	v_add_f64 v[51:52], v[40:41], -v[34:35]
	v_add_f64 v[32:33], v[61:62], v[32:33]
	v_add_f64 v[55:56], v[26:27], v[49:50]
	v_add_f64 v[51:52], v[53:54], -v[51:52]
	v_mul_f64 v[32:33], v[34:35], v[32:33]
	v_fma_f64 v[34:35], v[26:27], v[38:39], -v[49:50]
	v_add_f64 v[26:27], v[55:56], -v[26:27]
	v_add_f64 v[32:33], v[51:52], v[32:33]
	v_add_f64 v[28:29], v[28:29], v[34:35]
	v_add_f64 v[26:27], v[49:50], -v[26:27]
	v_add_f64 v[34:35], v[40:41], v[32:33]
	v_add_f64 v[26:27], v[28:29], v[26:27]
	v_ldexp_f64 v[28:29], v[34:35], -2
	v_add_f64 v[34:35], v[34:35], -v[40:41]
	v_add_f64 v[38:39], v[55:56], v[26:27]
	v_add_f64 v[49:50], v[36:37], -v[28:29]
	v_add_f64 v[32:33], v[32:33], -v[34:35]
	v_rcp_f64_e32 v[51:52], v[38:39]
	v_add_f64 v[36:37], v[36:37], -v[49:50]
	v_ldexp_f64 v[32:33], v[32:33], -2
	v_add_f64 v[28:29], v[36:37], -v[28:29]
	v_fma_f64 v[34:35], -v[38:39], v[51:52], 1.0
	v_add_f64 v[28:29], v[30:31], v[28:29]
	v_fma_f64 v[30:31], v[34:35], v[51:52], v[51:52]
	v_and_b32_e32 v35, 0x7fffffff, v15
	v_add_f64 v[28:29], v[28:29], -v[32:33]
	v_fma_f64 v[32:33], -v[38:39], v[30:31], 1.0
	v_add_f64 v[28:29], v[49:50], v[28:29]
	v_fma_f64 v[30:31], v[32:33], v[30:31], v[30:31]
	v_cndmask_b32_e32 v16, v45, v29, vcc
	v_cndmask_b32_e32 v34, 0, v28, vcc
	v_cmp_lt_f64_e64 vcc, |v[14:15]|, s[0:1]
	v_add_f64 v[28:29], v[38:39], -v[55:56]
	v_mul_f64 v[32:33], v[38:39], v[30:31]
	s_mov_b32 s0, 0
	s_brev_b32 s1, 8
	v_cndmask_b32_e32 v16, v16, v35, vcc
	v_cndmask_b32_e32 v14, v34, v14, vcc
	v_bfi_b32 v15, s29, v16, v15
	v_fma_f64 v[34:35], v[14:15], v[14:15], 1.0
	v_add_f64 v[26:27], v[26:27], -v[28:29]
	v_fma_f64 v[28:29], v[30:31], v[38:39], -v[32:33]
	v_cmp_gt_f64_e32 vcc, s[0:1], v[34:35]
	v_cmp_eq_u32_e64 s[0:1], 0, v19
	v_fma_f64 v[26:27], v[30:31], v[26:27], v[28:29]
	v_cndmask_b32_e32 v16, 0, v46, vcc
	v_ldexp_f64 v[34:35], v[34:35], v16
	v_add_f64 v[36:37], v[32:33], v[26:27]
	v_rsq_f64_e32 v[28:29], v[34:35]
	v_add_f64 v[40:41], -v[36:37], 1.0
	v_add_f64 v[32:33], v[36:37], -v[32:33]
	v_add_f64 v[51:52], -v[40:41], 1.0
	v_add_f64 v[26:27], v[32:33], -v[26:27]
	v_mul_f64 v[49:50], v[34:35], v[28:29]
	v_mul_f64 v[28:29], v[28:29], 0.5
	v_add_f64 v[36:37], v[51:52], -v[36:37]
	v_fma_f64 v[32:33], -v[28:29], v[49:50], 0.5
	v_add_f64 v[26:27], v[26:27], v[36:37]
	v_fma_f64 v[49:50], v[49:50], v[32:33], v[49:50]
	v_fma_f64 v[28:29], v[28:29], v[32:33], v[28:29]
	v_add_f64 v[26:27], v[40:41], v[26:27]
	v_fma_f64 v[32:33], -v[49:50], v[49:50], v[34:35]
	v_mul_f64 v[26:27], v[30:31], v[26:27]
	v_fma_f64 v[32:33], v[32:33], v[28:29], v[49:50]
	v_add_f64 v[26:27], v[30:31], v[26:27]
	v_and_b32_e32 v30, 0x80000000, v17
	v_fma_f64 v[36:37], -v[32:33], v[32:33], v[34:35]
	v_xor_b32_e32 v27, 0x80000000, v27
	v_cndmask_b32_e64 v19, v27, v39, s[0:1]
	v_xor_b32_e32 v27, v19, v30
	v_cndmask_b32_e32 v19, 0, v47, vcc
	v_cndmask_b32_e64 v26, v26, v38, s[0:1]
	v_cmp_class_f64_e32 vcc, v[34:35], v42
	v_fma_f64 v[16:17], v[36:37], v[28:29], v[32:33]
	v_fma_f64 v[28:29], v[26:27], v[26:27], 1.0
	v_ldexp_f64 v[16:17], v[16:17], v19
	v_mul_f64 v[30:31], v[14:15], v[28:29]
	v_cndmask_b32_e32 v17, v17, v35, vcc
	v_cndmask_b32_e32 v16, v16, v34, vcc
	v_mul_f64 v[16:17], v[16:17], v[28:29]
	v_fma_f64 v[28:29], v[14:15], v[30:31], 1.0
	v_mul_f64 v[14:15], v[14:15], v[16:17]
	v_div_scale_f64 v[30:31], s[0:1], v[28:29], v[28:29], v[26:27]
	v_div_scale_f64 v[16:17], s[0:1], v[28:29], v[28:29], v[14:15]
	v_div_scale_f64 v[40:41], s[0:1], v[26:27], v[28:29], v[26:27]
	v_rcp_f64_e32 v[34:35], v[30:31]
	v_rcp_f64_e32 v[32:33], v[16:17]
	v_fma_f64 v[38:39], -v[30:31], v[34:35], 1.0
	v_fma_f64 v[36:37], -v[16:17], v[32:33], 1.0
	v_fma_f64 v[34:35], v[34:35], v[38:39], v[34:35]
	v_fma_f64 v[32:33], v[32:33], v[36:37], v[32:33]
	v_div_scale_f64 v[36:37], vcc, v[14:15], v[28:29], v[14:15]
	v_fma_f64 v[49:50], -v[30:31], v[34:35], 1.0
	v_fma_f64 v[38:39], -v[16:17], v[32:33], 1.0
	v_fma_f64 v[34:35], v[34:35], v[49:50], v[34:35]
	v_fma_f64 v[32:33], v[32:33], v[38:39], v[32:33]
	v_mul_f64 v[49:50], v[40:41], v[34:35]
	v_mul_f64 v[38:39], v[36:37], v[32:33]
	v_fma_f64 v[30:31], -v[30:31], v[49:50], v[40:41]
	v_fma_f64 v[16:17], -v[16:17], v[38:39], v[36:37]
	v_div_fmas_f64 v[16:17], v[16:17], v[32:33], v[38:39]
	s_mov_b64 vcc, s[0:1]
	v_div_fmas_f64 v[30:31], v[30:31], v[34:35], v[49:50]
	v_div_fixup_f64 v[14:15], v[16:17], v[28:29], v[14:15]
	v_div_fixup_f64 v[16:17], v[30:31], v[28:29], v[26:27]
.LBB161_188:                            ;   in Loop: Header=BB161_180 Depth=1
	s_andn2_saveexec_b64 s[0:1], s[48:49]
	s_cbranch_execz .LBB161_191
; %bb.189:                              ;   in Loop: Header=BB161_180 Depth=1
	v_cmp_nlt_f64_e64 s[48:49], |v[16:17]|, s[90:91]
                                        ; implicit-def: $vgpr34
                                        ; implicit-def: $vgpr26_vgpr27
                                        ; implicit-def: $vgpr28_vgpr29
	s_and_saveexec_b64 s[68:69], s[48:49]
	s_xor_b64 s[68:69], exec, s[68:69]
	s_cbranch_execz .LBB161_192
; %bb.190:                              ;   in Loop: Header=BB161_180 Depth=1
	v_trig_preop_f64 v[26:27], |v[16:17]|, 0
	v_ldexp_f64 v[28:29], |v[16:17]|, s35
	v_cmp_ge_f64_e64 vcc, |v[16:17]|, s[92:93]
	v_trig_preop_f64 v[30:31], |v[16:17]|, 1
	v_and_b32_e32 v19, 0x7fffffff, v17
	v_trig_preop_f64 v[38:39], |v[16:17]|, 2
	s_mov_b32 s4, s12
	s_mov_b32 s17, s9
	v_cndmask_b32_e32 v29, v19, v29, vcc
	v_cndmask_b32_e32 v28, v16, v28, vcc
	v_mul_f64 v[32:33], v[26:27], v[28:29]
	v_mul_f64 v[34:35], v[30:31], v[28:29]
	;; [unrolled: 1-line block ×3, first 2 shown]
	v_fma_f64 v[26:27], v[26:27], v[28:29], -v[32:33]
	v_fma_f64 v[30:31], v[30:31], v[28:29], -v[34:35]
	;; [unrolled: 1-line block ×3, first 2 shown]
	v_add_f64 v[36:37], v[34:35], v[26:27]
	v_add_f64 v[40:41], v[36:37], -v[34:35]
	v_add_f64 v[53:54], v[32:33], v[36:37]
	v_add_f64 v[49:50], v[36:37], -v[40:41]
	v_add_f64 v[26:27], v[26:27], -v[40:41]
	v_add_f64 v[40:41], v[51:52], v[30:31]
	v_add_f64 v[32:33], v[53:54], -v[32:33]
	v_add_f64 v[34:35], v[34:35], -v[49:50]
	v_ldexp_f64 v[49:50], v[53:54], -2
	v_add_f64 v[55:56], v[40:41], -v[51:52]
	v_add_f64 v[32:33], v[36:37], -v[32:33]
	v_add_f64 v[26:27], v[26:27], v[34:35]
	v_fract_f64_e32 v[34:35], v[49:50]
	v_cmp_neq_f64_e64 vcc, |v[49:50]|, s[94:95]
	v_add_f64 v[30:31], v[30:31], -v[55:56]
	v_add_f64 v[36:37], v[40:41], v[26:27]
	v_ldexp_f64 v[34:35], v[34:35], 2
	v_add_f64 v[49:50], v[32:33], v[36:37]
	v_cndmask_b32_e32 v35, 0, v35, vcc
	v_cndmask_b32_e32 v34, 0, v34, vcc
	v_add_f64 v[57:58], v[36:37], -v[40:41]
	v_add_f64 v[53:54], v[49:50], v[34:35]
	v_add_f64 v[32:33], v[49:50], -v[32:33]
	v_add_f64 v[59:60], v[36:37], -v[57:58]
	;; [unrolled: 1-line block ×3, first 2 shown]
	v_cmp_gt_f64_e32 vcc, 0, v[53:54]
	v_add_f64 v[53:54], v[40:41], -v[55:56]
	v_add_f64 v[32:33], v[36:37], -v[32:33]
	;; [unrolled: 1-line block ×3, first 2 shown]
	v_cndmask_b32_e32 v19, 0, v43, vcc
	v_add_f64 v[34:35], v[34:35], v[18:19]
	v_add_f64 v[53:54], v[51:52], -v[53:54]
	v_add_f64 v[26:27], v[26:27], v[40:41]
	v_add_f64 v[61:62], v[49:50], v[34:35]
	;; [unrolled: 1-line block ×3, first 2 shown]
	v_cvt_i32_f64_e32 v57, v[61:62]
	v_add_f64 v[26:27], v[30:31], v[26:27]
	v_cvt_f64_i32_e32 v[55:56], v57
	v_add_f64 v[34:35], v[34:35], -v[55:56]
	v_add_f64 v[26:27], v[28:29], v[26:27]
	v_add_f64 v[30:31], v[49:50], v[34:35]
	;; [unrolled: 1-line block ×3, first 2 shown]
	v_add_f64 v[28:29], v[30:31], -v[34:35]
	v_cmp_le_f64_e32 vcc, 0.5, v[30:31]
	v_add_f64 v[28:29], v[49:50], -v[28:29]
	v_cndmask_b32_e32 v19, 0, v44, vcc
	v_add_f64 v[26:27], v[26:27], v[28:29]
	v_add_f64 v[28:29], v[30:31], -v[18:19]
	v_add_f64 v[30:31], v[28:29], v[26:27]
	v_mul_f64 v[32:33], v[30:31], s[4:5]
	v_add_f64 v[28:29], v[30:31], -v[28:29]
	v_fma_f64 v[34:35], v[30:31], s[4:5], -v[32:33]
	v_add_f64 v[26:27], v[26:27], -v[28:29]
	v_fma_f64 v[28:29], v[30:31], s[16:17], v[34:35]
	v_addc_co_u32_e32 v34, vcc, 0, v57, vcc
	v_fma_f64 v[28:29], v[26:27], s[4:5], v[28:29]
	v_add_f64 v[26:27], v[32:33], v[28:29]
	v_add_f64 v[30:31], v[26:27], -v[32:33]
	v_add_f64 v[28:29], v[28:29], -v[30:31]
	s_andn2_saveexec_b64 s[68:69], s[68:69]
	s_cbranch_execz .LBB161_194
	s_branch .LBB161_193
.LBB161_191:                            ;   in Loop: Header=BB161_180 Depth=1
	s_or_b64 exec, exec, s[0:1]
	s_andn2_saveexec_b64 s[0:1], s[46:47]
	s_cbranch_execnz .LBB161_200
	s_branch .LBB161_201
.LBB161_192:                            ;   in Loop: Header=BB161_180 Depth=1
	s_andn2_saveexec_b64 s[68:69], s[68:69]
	s_cbranch_execz .LBB161_194
.LBB161_193:                            ;   in Loop: Header=BB161_180 Depth=1
	v_mul_f64 v[26:27], |v[16:17]|, s[6:7]
	s_mov_b32 s8, s14
	v_rndne_f64_e32 v[30:31], v[26:27]
	v_fma_f64 v[26:27], v[30:31], s[12:13], |v[16:17]|
	v_mul_f64 v[28:29], v[30:31], s[14:15]
	v_fma_f64 v[36:37], v[30:31], s[14:15], v[26:27]
	v_add_f64 v[32:33], v[26:27], v[28:29]
	v_add_f64 v[34:35], v[26:27], -v[32:33]
	v_add_f64 v[32:33], v[32:33], -v[36:37]
	v_add_f64 v[26:27], v[34:35], v[28:29]
	v_fma_f64 v[28:29], v[30:31], s[8:9], v[28:29]
	v_cvt_i32_f64_e32 v34, v[30:31]
	v_add_f64 v[26:27], v[32:33], v[26:27]
	v_add_f64 v[26:27], v[26:27], -v[28:29]
	v_fma_f64 v[28:29], v[30:31], s[10:11], v[26:27]
	v_add_f64 v[26:27], v[36:37], v[28:29]
	v_add_f64 v[32:33], v[26:27], -v[36:37]
	v_add_f64 v[28:29], v[28:29], -v[32:33]
.LBB161_194:                            ;   in Loop: Header=BB161_180 Depth=1
	s_or_b64 exec, exec, s[68:69]
                                        ; implicit-def: $vgpr19
                                        ; implicit-def: $vgpr30_vgpr31
                                        ; implicit-def: $vgpr32_vgpr33
	s_and_saveexec_b64 s[68:69], s[48:49]
	s_xor_b64 s[48:49], exec, s[68:69]
	s_cbranch_execz .LBB161_196
; %bb.195:                              ;   in Loop: Header=BB161_180 Depth=1
	v_trig_preop_f64 v[30:31], |v[16:17]|, 0
	v_ldexp_f64 v[32:33], |v[16:17]|, s35
	v_cmp_ge_f64_e64 vcc, |v[16:17]|, s[92:93]
	v_trig_preop_f64 v[35:36], |v[16:17]|, 1
	v_and_b32_e32 v19, 0x7fffffff, v17
	v_trig_preop_f64 v[51:52], |v[16:17]|, 2
	s_mov_b32 s4, s12
	s_mov_b32 s17, s9
	v_cndmask_b32_e32 v33, v19, v33, vcc
	v_cndmask_b32_e32 v32, v16, v32, vcc
	v_mul_f64 v[37:38], v[30:31], v[32:33]
	v_mul_f64 v[39:40], v[35:36], v[32:33]
	;; [unrolled: 1-line block ×3, first 2 shown]
	v_fma_f64 v[30:31], v[30:31], v[32:33], -v[37:38]
	v_fma_f64 v[35:36], v[35:36], v[32:33], -v[39:40]
	v_fma_f64 v[32:33], v[51:52], v[32:33], -v[57:58]
	v_add_f64 v[49:50], v[39:40], v[30:31]
	v_add_f64 v[53:54], v[49:50], -v[39:40]
	v_add_f64 v[59:60], v[37:38], v[49:50]
	v_add_f64 v[55:56], v[49:50], -v[53:54]
	v_add_f64 v[30:31], v[30:31], -v[53:54]
	v_add_f64 v[53:54], v[57:58], v[35:36]
	v_add_f64 v[37:38], v[59:60], -v[37:38]
	v_add_f64 v[39:40], v[39:40], -v[55:56]
	v_ldexp_f64 v[55:56], v[59:60], -2
	v_add_f64 v[61:62], v[53:54], -v[57:58]
	v_add_f64 v[37:38], v[49:50], -v[37:38]
	v_add_f64 v[30:31], v[30:31], v[39:40]
	v_fract_f64_e32 v[39:40], v[55:56]
	v_cmp_neq_f64_e64 vcc, |v[55:56]|, s[94:95]
	v_add_f64 v[35:36], v[35:36], -v[61:62]
	v_add_f64 v[49:50], v[53:54], v[30:31]
	v_ldexp_f64 v[39:40], v[39:40], 2
	v_add_f64 v[55:56], v[37:38], v[49:50]
	v_cndmask_b32_e32 v40, 0, v40, vcc
	v_cndmask_b32_e32 v39, 0, v39, vcc
	v_add_f64 v[63:64], v[49:50], -v[53:54]
	v_add_f64 v[59:60], v[55:56], v[39:40]
	v_add_f64 v[37:38], v[55:56], -v[37:38]
	v_add_f64 v[65:66], v[49:50], -v[63:64]
	;; [unrolled: 1-line block ×3, first 2 shown]
	v_cmp_gt_f64_e32 vcc, 0, v[59:60]
	v_add_f64 v[59:60], v[53:54], -v[61:62]
	v_add_f64 v[37:38], v[49:50], -v[37:38]
	;; [unrolled: 1-line block ×3, first 2 shown]
	v_cndmask_b32_e32 v19, 0, v43, vcc
	v_add_f64 v[39:40], v[39:40], v[18:19]
	v_add_f64 v[59:60], v[57:58], -v[59:60]
	v_add_f64 v[30:31], v[30:31], v[53:54]
	v_add_f64 v[67:68], v[55:56], v[39:40]
	;; [unrolled: 1-line block ×3, first 2 shown]
	v_cvt_i32_f64_e32 v41, v[67:68]
	v_add_f64 v[30:31], v[35:36], v[30:31]
	v_cvt_f64_i32_e32 v[61:62], v41
	v_add_f64 v[39:40], v[39:40], -v[61:62]
	v_add_f64 v[30:31], v[32:33], v[30:31]
	v_add_f64 v[35:36], v[55:56], v[39:40]
	;; [unrolled: 1-line block ×3, first 2 shown]
	v_add_f64 v[32:33], v[35:36], -v[39:40]
	v_cmp_le_f64_e32 vcc, 0.5, v[35:36]
	v_add_f64 v[32:33], v[55:56], -v[32:33]
	v_cndmask_b32_e32 v19, 0, v44, vcc
	v_add_f64 v[30:31], v[30:31], v[32:33]
	v_add_f64 v[32:33], v[35:36], -v[18:19]
	v_addc_co_u32_e32 v19, vcc, 0, v41, vcc
	v_add_f64 v[35:36], v[32:33], v[30:31]
	v_mul_f64 v[37:38], v[35:36], s[4:5]
	v_add_f64 v[32:33], v[35:36], -v[32:33]
	v_fma_f64 v[39:40], v[35:36], s[4:5], -v[37:38]
	v_add_f64 v[30:31], v[30:31], -v[32:33]
	v_fma_f64 v[32:33], v[35:36], s[16:17], v[39:40]
	v_fma_f64 v[32:33], v[30:31], s[4:5], v[32:33]
	v_add_f64 v[30:31], v[37:38], v[32:33]
	v_add_f64 v[35:36], v[30:31], -v[37:38]
	v_add_f64 v[32:33], v[32:33], -v[35:36]
	s_andn2_saveexec_b64 s[48:49], s[48:49]
	s_cbranch_execnz .LBB161_197
	s_branch .LBB161_198
.LBB161_196:                            ;   in Loop: Header=BB161_180 Depth=1
	s_andn2_saveexec_b64 s[48:49], s[48:49]
	s_cbranch_execz .LBB161_198
.LBB161_197:                            ;   in Loop: Header=BB161_180 Depth=1
	v_mul_f64 v[30:31], |v[16:17]|, s[6:7]
	s_mov_b32 s8, s14
	v_rndne_f64_e32 v[35:36], v[30:31]
	v_fma_f64 v[30:31], v[35:36], s[12:13], |v[16:17]|
	v_mul_f64 v[32:33], v[35:36], s[14:15]
	v_cvt_i32_f64_e32 v19, v[35:36]
	v_fma_f64 v[49:50], v[35:36], s[14:15], v[30:31]
	v_add_f64 v[37:38], v[30:31], v[32:33]
	v_add_f64 v[39:40], v[30:31], -v[37:38]
	v_add_f64 v[37:38], v[37:38], -v[49:50]
	v_add_f64 v[30:31], v[39:40], v[32:33]
	v_fma_f64 v[32:33], v[35:36], s[8:9], v[32:33]
	v_add_f64 v[30:31], v[37:38], v[30:31]
	v_add_f64 v[30:31], v[30:31], -v[32:33]
	v_fma_f64 v[32:33], v[35:36], s[10:11], v[30:31]
	v_add_f64 v[30:31], v[49:50], v[32:33]
	v_add_f64 v[37:38], v[30:31], -v[49:50]
	v_add_f64 v[32:33], v[32:33], -v[37:38]
.LBB161_198:                            ;   in Loop: Header=BB161_180 Depth=1
	s_or_b64 exec, exec, s[48:49]
	v_mul_f64 v[35:36], |v[14:15]|, s[20:21]
	s_mov_b32 s48, 0x3b39803f
	s_mov_b32 s49, 0xbc7abc9e
	v_mul_f64 v[49:50], v[26:27], v[26:27]
	v_mov_b32_e32 v53, s80
	v_mov_b32_e32 v54, s81
	v_mul_f64 v[55:56], v[30:31], v[30:31]
	v_mov_b32_e32 v51, s70
	v_rndne_f64_e32 v[35:36], v[35:36]
	v_mov_b32_e32 v52, s71
	v_mul_f64 v[57:58], v[28:29], 0.5
	v_fma_f64 v[59:60], v[49:50], s[82:83], v[53:54]
	v_fma_f64 v[61:62], v[49:50], s[72:73], v[51:52]
	v_mul_f64 v[63:64], v[49:50], 0.5
	v_fma_f64 v[53:54], v[55:56], s[82:83], v[53:54]
	v_mul_f64 v[67:68], v[55:56], 0.5
	v_fma_f64 v[37:38], v[35:36], s[22:23], -|v[14:15]|
	v_fma_f64 v[51:52], v[55:56], s[72:73], v[51:52]
	s_mov_b32 s61, s25
	v_fma_f64 v[59:60], v[49:50], v[59:60], s[84:85]
	v_fma_f64 v[61:62], v[49:50], v[61:62], s[74:75]
	v_add_f64 v[69:70], -v[63:64], 1.0
	v_fma_f64 v[53:54], v[55:56], v[53:54], s[84:85]
	v_mul_f64 v[71:72], v[26:27], -v[49:50]
	v_fma_f64 v[37:38], v[35:36], s[48:49], v[37:38]
	v_add_f64 v[73:74], -v[67:68], 1.0
	v_fma_f64 v[51:52], v[55:56], v[51:52], s[74:75]
	v_fma_f64 v[59:60], v[49:50], v[59:60], s[86:87]
	;; [unrolled: 1-line block ×3, first 2 shown]
	v_add_f64 v[75:76], -v[69:70], 1.0
	v_fma_f64 v[53:54], v[55:56], v[53:54], s[86:87]
	v_mul_f64 v[65:66], v[32:33], 0.5
	v_fma_f64 v[39:40], v[37:38], s[50:51], v[24:25]
	v_mul_f64 v[77:78], v[30:31], -v[55:56]
	s_mov_b32 s63, s37
	v_fma_f64 v[59:60], v[49:50], v[59:60], s[24:25]
	v_add_f64 v[79:80], -v[73:74], 1.0
	v_fma_f64 v[51:52], v[55:56], v[51:52], s[76:77]
	v_fma_f64 v[53:54], v[55:56], v[53:54], s[24:25]
	;; [unrolled: 1-line block ×4, first 2 shown]
	v_add_f64 v[63:64], v[75:76], -v[63:64]
	s_mov_b32 s26, s36
	v_fma_f64 v[57:58], v[71:72], v[59:60], v[57:58]
	v_mul_f64 v[59:60], v[49:50], v[49:50]
	v_add_f64 v[67:68], v[79:80], -v[67:68]
	v_fma_f64 v[53:54], v[77:78], v[53:54], v[65:66]
	v_fma_f64 v[51:52], v[55:56], v[51:52], s[78:79]
	;; [unrolled: 1-line block ×4, first 2 shown]
	v_fma_f64 v[63:64], v[26:27], -v[28:29], v[63:64]
	v_fma_f64 v[28:29], v[49:50], v[57:58], -v[28:29]
	v_mul_f64 v[49:50], v[55:56], v[55:56]
	v_lshlrev_b32_e32 v16, 30, v34
	v_fma_f64 v[53:54], v[55:56], v[53:54], -v[32:33]
	v_fma_f64 v[51:52], v[55:56], v[51:52], s[36:37]
	v_fma_f64 v[39:40], v[37:38], v[39:40], s[56:57]
	v_fma_f64 v[32:33], v[30:31], -v[32:33], v[67:68]
	v_fma_f64 v[55:56], v[59:60], v[61:62], v[63:64]
	v_fma_f64 v[28:29], v[71:72], s[26:27], v[28:29]
	v_xor_b32_e32 v57, v16, v17
	v_and_b32_e32 v41, 1, v34
	v_fma_f64 v[16:17], v[77:78], s[26:27], v[53:54]
	v_cmp_eq_u32_e32 vcc, 0, v41
	v_fma_f64 v[39:40], v[37:38], v[39:40], s[58:59]
	v_fma_f64 v[32:33], v[49:50], v[51:52], v[32:33]
	v_add_f64 v[49:50], v[69:70], v[55:56]
	v_add_f64 v[26:27], v[26:27], -v[28:29]
	v_cvt_i32_f64_e32 v35, v[35:36]
	v_and_b32_e32 v34, 1, v19
	v_add_f64 v[16:17], v[30:31], -v[16:17]
	v_lshlrev_b32_e32 v19, 30, v19
	v_fma_f64 v[39:40], v[37:38], v[39:40], s[60:61]
	v_add_f64 v[30:31], v[73:74], v[32:33]
	s_mov_b32 s48, 0
	v_cndmask_b32_e32 v27, v50, v27, vcc
	v_cndmask_b32_e32 v26, v49, v26, vcc
	v_cmp_eq_u32_e32 vcc, 0, v34
	v_xor_b32_e32 v17, 0x80000000, v17
	v_and_b32_e32 v19, 0x80000000, v19
	v_fma_f64 v[39:40], v[37:38], v[39:40], s[62:63]
	v_cndmask_b32_e32 v17, v17, v31, vcc
	s_mov_b32 s49, 0x4090cc00
	v_cndmask_b32_e32 v16, v16, v30, vcc
	v_xor_b32_e32 v17, v17, v19
	v_cmp_ngt_f64_e64 vcc, |v[14:15]|, s[48:49]
	v_bfi_b32 v19, s29, v44, v15
	v_mov_b32_e32 v14, v18
	v_fma_f64 v[39:40], v[37:38], v[39:40], s[64:65]
	v_mov_b32_e32 v15, v19
	v_fma_f64 v[39:40], v[37:38], v[39:40], s[66:67]
	v_fma_f64 v[28:29], v[37:38], v[39:40], 1.0
	v_and_b32_e32 v39, 0x80000000, v57
	v_xor_b32_e32 v27, v27, v39
	v_mul_f64 v[26:27], v[26:27], 4.0
	v_fma_f64 v[28:29], v[37:38], v[28:29], 1.0
	v_mul_f64 v[16:17], v[26:27], v[16:17]
	v_ldexp_f64 v[28:29], v[28:29], v35
	v_cndmask_b32_e32 v27, 0, v29, vcc
	v_cndmask_b32_e32 v26, 0, v28, vcc
	v_mul_f64 v[16:17], v[26:27], v[16:17]
	v_mul_f64 v[16:17], v[26:27], v[16:17]
	s_or_b64 exec, exec, s[0:1]
.LBB161_199:                            ;   in Loop: Header=BB161_180 Depth=1
	s_andn2_saveexec_b64 s[0:1], s[46:47]
	s_cbranch_execz .LBB161_201
.LBB161_200:                            ;   in Loop: Header=BB161_180 Depth=1
	v_add_f64 v[16:17], v[16:17], -v[16:17]
	v_mov_b32_e32 v14, v16
	v_mov_b32_e32 v15, v17
.LBB161_201:                            ;   in Loop: Header=BB161_180 Depth=1
	s_or_b64 exec, exec, s[0:1]
.LBB161_202:                            ;   in Loop: Header=BB161_180 Depth=1
	s_andn2_saveexec_b64 s[38:39], s[38:39]
	s_cbranch_execz .LBB161_218
; %bb.203:                              ;   in Loop: Header=BB161_180 Depth=1
	v_and_or_b32 v19, v15, s42, v14
	v_cmp_ne_u32_e32 vcc, 0, v19
	s_and_saveexec_b64 s[0:1], vcc
	s_xor_b64 s[0:1], exec, s[0:1]
	s_cbranch_execz .LBB161_205
; %bb.204:                              ;   in Loop: Header=BB161_180 Depth=1
	v_mul_f64 v[26:27], v[14:15], v[16:17]
	v_cmp_eq_f64_e32 vcc, 0, v[16:17]
	v_cndmask_b32_e32 v17, v27, v17, vcc
	v_cndmask_b32_e32 v16, v26, v16, vcc
.LBB161_205:                            ;   in Loop: Header=BB161_180 Depth=1
	s_andn2_saveexec_b64 s[46:47], s[0:1]
	s_cbranch_execz .LBB161_217
; %bb.206:                              ;   in Loop: Header=BB161_180 Depth=1
	v_cmp_neq_f64_e64 s[0:1], |v[16:17]|, s[94:95]
	s_and_saveexec_b64 s[48:49], s[0:1]
	s_cbranch_execz .LBB161_216
; %bb.207:                              ;   in Loop: Header=BB161_180 Depth=1
	v_trig_preop_f64 v[36:37], |v[16:17]|, 0
	v_trig_preop_f64 v[34:35], |v[16:17]|, 1
	;; [unrolled: 1-line block ×3, first 2 shown]
	v_cmp_nlt_f64_e64 s[0:1], |v[16:17]|, s[90:91]
	v_ldexp_f64 v[38:39], |v[16:17]|, s35
	v_and_b32_e32 v50, 0x7fffffff, v17
                                        ; implicit-def: $vgpr49
                                        ; implicit-def: $vgpr26_vgpr27
                                        ; implicit-def: $vgpr28_vgpr29
	s_and_saveexec_b64 s[68:69], s[0:1]
	s_xor_b64 s[68:69], exec, s[68:69]
	s_cbranch_execz .LBB161_209
; %bb.208:                              ;   in Loop: Header=BB161_180 Depth=1
	v_cmp_ge_f64_e64 vcc, |v[16:17]|, s[92:93]
	s_mov_b32 s4, s12
	s_mov_b32 s17, s9
	v_cndmask_b32_e32 v27, v50, v39, vcc
	v_cndmask_b32_e32 v26, v16, v38, vcc
	v_mul_f64 v[28:29], v[36:37], v[26:27]
	v_mul_f64 v[32:33], v[34:35], v[26:27]
	;; [unrolled: 1-line block ×3, first 2 shown]
	v_fma_f64 v[40:41], v[36:37], v[26:27], -v[28:29]
	v_fma_f64 v[59:60], v[34:35], v[26:27], -v[32:33]
	v_fma_f64 v[26:27], v[30:31], v[26:27], -v[57:58]
	v_add_f64 v[51:52], v[32:33], v[40:41]
	v_add_f64 v[53:54], v[51:52], -v[32:33]
	v_add_f64 v[61:62], v[28:29], v[51:52]
	v_add_f64 v[55:56], v[51:52], -v[53:54]
	v_add_f64 v[40:41], v[40:41], -v[53:54]
	v_add_f64 v[53:54], v[57:58], v[59:60]
	v_add_f64 v[28:29], v[61:62], -v[28:29]
	v_add_f64 v[32:33], v[32:33], -v[55:56]
	v_ldexp_f64 v[55:56], v[61:62], -2
	v_add_f64 v[63:64], v[53:54], -v[57:58]
	v_add_f64 v[28:29], v[51:52], -v[28:29]
	v_add_f64 v[32:33], v[40:41], v[32:33]
	v_fract_f64_e32 v[40:41], v[55:56]
	v_cmp_neq_f64_e64 vcc, |v[55:56]|, s[94:95]
	v_add_f64 v[59:60], v[59:60], -v[63:64]
	v_add_f64 v[51:52], v[53:54], v[32:33]
	v_ldexp_f64 v[40:41], v[40:41], 2
	v_add_f64 v[55:56], v[28:29], v[51:52]
	v_cndmask_b32_e32 v41, 0, v41, vcc
	v_cndmask_b32_e32 v40, 0, v40, vcc
	v_add_f64 v[65:66], v[51:52], -v[53:54]
	v_add_f64 v[61:62], v[55:56], v[40:41]
	v_add_f64 v[28:29], v[55:56], -v[28:29]
	v_add_f64 v[67:68], v[51:52], -v[65:66]
	;; [unrolled: 1-line block ×3, first 2 shown]
	v_cmp_gt_f64_e32 vcc, 0, v[61:62]
	v_add_f64 v[61:62], v[53:54], -v[63:64]
	v_add_f64 v[28:29], v[51:52], -v[28:29]
	;; [unrolled: 1-line block ×3, first 2 shown]
	v_cndmask_b32_e32 v19, 0, v43, vcc
	v_add_f64 v[40:41], v[40:41], v[18:19]
	v_add_f64 v[61:62], v[57:58], -v[61:62]
	v_add_f64 v[32:33], v[32:33], v[53:54]
	v_add_f64 v[69:70], v[55:56], v[40:41]
	;; [unrolled: 1-line block ×3, first 2 shown]
	v_cvt_i32_f64_e32 v49, v[69:70]
	v_add_f64 v[32:33], v[59:60], v[32:33]
	v_cvt_f64_i32_e32 v[63:64], v49
	v_add_f64 v[40:41], v[40:41], -v[63:64]
	v_add_f64 v[26:27], v[26:27], v[32:33]
	v_add_f64 v[53:54], v[55:56], v[40:41]
	;; [unrolled: 1-line block ×3, first 2 shown]
	v_add_f64 v[32:33], v[53:54], -v[40:41]
	v_cmp_le_f64_e32 vcc, 0.5, v[53:54]
	v_add_f64 v[28:29], v[55:56], -v[32:33]
	v_cndmask_b32_e32 v19, 0, v44, vcc
	v_addc_co_u32_e32 v49, vcc, 0, v49, vcc
	v_add_f64 v[26:27], v[26:27], v[28:29]
	v_add_f64 v[28:29], v[53:54], -v[18:19]
	v_add_f64 v[32:33], v[28:29], v[26:27]
	v_mul_f64 v[40:41], v[32:33], s[4:5]
	v_add_f64 v[28:29], v[32:33], -v[28:29]
	v_fma_f64 v[51:52], v[32:33], s[4:5], -v[40:41]
	v_add_f64 v[26:27], v[26:27], -v[28:29]
	v_fma_f64 v[28:29], v[32:33], s[16:17], v[51:52]
	v_fma_f64 v[28:29], v[26:27], s[4:5], v[28:29]
	v_add_f64 v[26:27], v[40:41], v[28:29]
	v_add_f64 v[32:33], v[26:27], -v[40:41]
	v_add_f64 v[28:29], v[28:29], -v[32:33]
	s_andn2_saveexec_b64 s[68:69], s[68:69]
	s_cbranch_execz .LBB161_211
	s_branch .LBB161_210
.LBB161_209:                            ;   in Loop: Header=BB161_180 Depth=1
	s_andn2_saveexec_b64 s[68:69], s[68:69]
	s_cbranch_execz .LBB161_211
.LBB161_210:                            ;   in Loop: Header=BB161_180 Depth=1
	v_mul_f64 v[26:27], |v[16:17]|, s[6:7]
	s_mov_b32 s8, s14
	v_rndne_f64_e32 v[32:33], v[26:27]
	v_fma_f64 v[26:27], v[32:33], s[12:13], |v[16:17]|
	v_mul_f64 v[28:29], v[32:33], s[14:15]
	v_cvt_i32_f64_e32 v49, v[32:33]
	v_fma_f64 v[53:54], v[32:33], s[14:15], v[26:27]
	v_add_f64 v[40:41], v[26:27], v[28:29]
	v_add_f64 v[51:52], v[26:27], -v[40:41]
	v_add_f64 v[40:41], v[40:41], -v[53:54]
	v_add_f64 v[26:27], v[51:52], v[28:29]
	v_fma_f64 v[28:29], v[32:33], s[8:9], v[28:29]
	v_add_f64 v[26:27], v[40:41], v[26:27]
	v_add_f64 v[26:27], v[26:27], -v[28:29]
	v_fma_f64 v[28:29], v[32:33], s[10:11], v[26:27]
	v_add_f64 v[26:27], v[53:54], v[28:29]
	v_add_f64 v[40:41], v[26:27], -v[53:54]
	v_add_f64 v[28:29], v[28:29], -v[40:41]
.LBB161_211:                            ;   in Loop: Header=BB161_180 Depth=1
	s_or_b64 exec, exec, s[68:69]
                                        ; implicit-def: $vgpr19
                                        ; implicit-def: $vgpr32_vgpr33
                                        ; implicit-def: $vgpr40_vgpr41
	s_and_saveexec_b64 s[68:69], s[0:1]
	s_xor_b64 s[0:1], exec, s[68:69]
	s_cbranch_execz .LBB161_213
; %bb.212:                              ;   in Loop: Header=BB161_180 Depth=1
	v_cmp_ge_f64_e64 vcc, |v[16:17]|, s[92:93]
	s_mov_b32 s4, s12
	s_mov_b32 s17, s9
	v_cndmask_b32_e32 v33, v50, v39, vcc
	v_cndmask_b32_e32 v32, v16, v38, vcc
	v_mul_f64 v[38:39], v[36:37], v[32:33]
	v_mul_f64 v[40:41], v[34:35], v[32:33]
	;; [unrolled: 1-line block ×3, first 2 shown]
	v_fma_f64 v[36:37], v[36:37], v[32:33], -v[38:39]
	v_fma_f64 v[34:35], v[34:35], v[32:33], -v[40:41]
	;; [unrolled: 1-line block ×3, first 2 shown]
	v_add_f64 v[50:51], v[40:41], v[36:37]
	v_add_f64 v[52:53], v[50:51], -v[40:41]
	v_add_f64 v[58:59], v[38:39], v[50:51]
	v_add_f64 v[54:55], v[50:51], -v[52:53]
	v_add_f64 v[36:37], v[36:37], -v[52:53]
	v_add_f64 v[52:53], v[56:57], v[34:35]
	v_add_f64 v[38:39], v[58:59], -v[38:39]
	v_add_f64 v[40:41], v[40:41], -v[54:55]
	v_ldexp_f64 v[54:55], v[58:59], -2
	v_add_f64 v[60:61], v[52:53], -v[56:57]
	v_add_f64 v[38:39], v[50:51], -v[38:39]
	v_add_f64 v[36:37], v[36:37], v[40:41]
	v_fract_f64_e32 v[40:41], v[54:55]
	v_cmp_neq_f64_e64 vcc, |v[54:55]|, s[94:95]
	v_add_f64 v[34:35], v[34:35], -v[60:61]
	v_add_f64 v[50:51], v[52:53], v[36:37]
	v_ldexp_f64 v[40:41], v[40:41], 2
	v_add_f64 v[54:55], v[38:39], v[50:51]
	v_cndmask_b32_e32 v41, 0, v41, vcc
	v_cndmask_b32_e32 v40, 0, v40, vcc
	v_add_f64 v[62:63], v[50:51], -v[52:53]
	v_add_f64 v[58:59], v[54:55], v[40:41]
	v_add_f64 v[32:33], v[54:55], -v[38:39]
	v_add_f64 v[64:65], v[50:51], -v[62:63]
	;; [unrolled: 1-line block ×3, first 2 shown]
	v_cmp_gt_f64_e32 vcc, 0, v[58:59]
	v_add_f64 v[58:59], v[52:53], -v[60:61]
	v_add_f64 v[32:33], v[50:51], -v[32:33]
	;; [unrolled: 1-line block ×3, first 2 shown]
	v_cndmask_b32_e32 v19, 0, v43, vcc
	v_add_f64 v[40:41], v[40:41], v[18:19]
	v_add_f64 v[58:59], v[56:57], -v[58:59]
	v_add_f64 v[36:37], v[36:37], v[52:53]
	v_add_f64 v[66:67], v[54:55], v[40:41]
	;; [unrolled: 1-line block ×3, first 2 shown]
	v_cvt_i32_f64_e32 v62, v[66:67]
	v_add_f64 v[34:35], v[34:35], v[36:37]
	v_cvt_f64_i32_e32 v[60:61], v62
	v_add_f64 v[40:41], v[40:41], -v[60:61]
	v_add_f64 v[30:31], v[30:31], v[34:35]
	v_add_f64 v[36:37], v[54:55], v[40:41]
	;; [unrolled: 1-line block ×3, first 2 shown]
	v_add_f64 v[34:35], v[36:37], -v[40:41]
	v_cmp_le_f64_e32 vcc, 0.5, v[36:37]
	v_add_f64 v[32:33], v[54:55], -v[34:35]
	v_cndmask_b32_e32 v19, 0, v44, vcc
	v_add_f64 v[30:31], v[30:31], v[32:33]
	v_add_f64 v[32:33], v[36:37], -v[18:19]
	v_addc_co_u32_e32 v19, vcc, 0, v62, vcc
	v_add_f64 v[34:35], v[32:33], v[30:31]
	v_mul_f64 v[36:37], v[34:35], s[4:5]
	v_add_f64 v[32:33], v[34:35], -v[32:33]
	v_fma_f64 v[38:39], v[34:35], s[4:5], -v[36:37]
	v_add_f64 v[30:31], v[30:31], -v[32:33]
	v_fma_f64 v[32:33], v[34:35], s[16:17], v[38:39]
	v_fma_f64 v[30:31], v[30:31], s[4:5], v[32:33]
	v_add_f64 v[32:33], v[36:37], v[30:31]
	v_add_f64 v[34:35], v[32:33], -v[36:37]
	v_add_f64 v[40:41], v[30:31], -v[34:35]
	s_andn2_saveexec_b64 s[0:1], s[0:1]
	s_cbranch_execnz .LBB161_214
	s_branch .LBB161_215
.LBB161_213:                            ;   in Loop: Header=BB161_180 Depth=1
	s_andn2_saveexec_b64 s[0:1], s[0:1]
	s_cbranch_execz .LBB161_215
.LBB161_214:                            ;   in Loop: Header=BB161_180 Depth=1
	v_mul_f64 v[30:31], |v[16:17]|, s[6:7]
	s_mov_b32 s8, s14
	v_rndne_f64_e32 v[30:31], v[30:31]
	v_fma_f64 v[32:33], v[30:31], s[12:13], |v[16:17]|
	v_mul_f64 v[34:35], v[30:31], s[14:15]
	v_cvt_i32_f64_e32 v19, v[30:31]
	v_fma_f64 v[40:41], v[30:31], s[14:15], v[32:33]
	v_add_f64 v[36:37], v[32:33], v[34:35]
	v_add_f64 v[38:39], v[32:33], -v[36:37]
	v_add_f64 v[36:37], v[36:37], -v[40:41]
	v_add_f64 v[32:33], v[38:39], v[34:35]
	v_fma_f64 v[34:35], v[30:31], s[8:9], v[34:35]
	v_add_f64 v[32:33], v[36:37], v[32:33]
	v_add_f64 v[32:33], v[32:33], -v[34:35]
	v_fma_f64 v[34:35], v[30:31], s[10:11], v[32:33]
	v_add_f64 v[32:33], v[40:41], v[34:35]
	v_add_f64 v[36:37], v[32:33], -v[40:41]
	v_add_f64 v[40:41], v[34:35], -v[36:37]
.LBB161_215:                            ;   in Loop: Header=BB161_180 Depth=1
	s_or_b64 exec, exec, s[0:1]
	v_mul_f64 v[30:31], v[26:27], v[26:27]
	v_mul_f64 v[34:35], v[32:33], v[32:33]
	v_mov_b32_e32 v36, s80
	v_mov_b32_e32 v37, s81
	;; [unrolled: 1-line block ×4, first 2 shown]
	v_mul_f64 v[60:61], v[28:29], 0.5
	v_mul_f64 v[68:69], v[40:41], 0.5
	v_fma_f64 v[38:39], v[30:31], s[82:83], v[36:37]
	v_fma_f64 v[36:37], v[34:35], s[82:83], v[36:37]
	;; [unrolled: 1-line block ×3, first 2 shown]
	v_mul_f64 v[54:55], v[30:31], 0.5
	v_fma_f64 v[50:51], v[34:35], s[72:73], v[50:51]
	v_mul_f64 v[56:57], v[34:35], 0.5
	v_mul_f64 v[62:63], v[26:27], -v[30:31]
	v_mul_f64 v[70:71], v[32:33], -v[34:35]
	v_fma_f64 v[38:39], v[30:31], v[38:39], s[84:85]
	v_fma_f64 v[36:37], v[34:35], v[36:37], s[84:85]
	;; [unrolled: 1-line block ×3, first 2 shown]
	v_add_f64 v[58:59], -v[54:55], 1.0
	v_fma_f64 v[50:51], v[34:35], v[50:51], s[74:75]
	v_add_f64 v[64:65], -v[56:57], 1.0
	s_mov_b32 s26, s36
	v_cmp_class_f64_e64 s[0:1], v[16:17], s31
	v_fma_f64 v[38:39], v[30:31], v[38:39], s[86:87]
	v_fma_f64 v[36:37], v[34:35], v[36:37], s[86:87]
	;; [unrolled: 1-line block ×3, first 2 shown]
	v_add_f64 v[66:67], -v[58:59], 1.0
	v_fma_f64 v[50:51], v[34:35], v[50:51], s[76:77]
	v_add_f64 v[72:73], -v[64:65], 1.0
	v_fma_f64 v[38:39], v[30:31], v[38:39], s[24:25]
	v_fma_f64 v[36:37], v[34:35], v[36:37], s[24:25]
	;; [unrolled: 1-line block ×3, first 2 shown]
	v_add_f64 v[54:55], v[66:67], -v[54:55]
	v_fma_f64 v[50:51], v[34:35], v[50:51], s[78:79]
	v_add_f64 v[56:57], v[72:73], -v[56:57]
	v_fma_f64 v[38:39], v[62:63], v[38:39], v[60:61]
	v_fma_f64 v[36:37], v[70:71], v[36:37], v[68:69]
	v_mul_f64 v[60:61], v[30:31], v[30:31]
	v_fma_f64 v[52:53], v[30:31], v[52:53], s[36:37]
	v_fma_f64 v[54:55], v[26:27], -v[28:29], v[54:55]
	v_fma_f64 v[28:29], v[30:31], v[38:39], -v[28:29]
	v_fma_f64 v[36:37], v[34:35], v[36:37], -v[40:41]
	v_mul_f64 v[30:31], v[34:35], v[34:35]
	v_fma_f64 v[34:35], v[34:35], v[50:51], s[36:37]
	v_fma_f64 v[38:39], v[32:33], -v[40:41], v[56:57]
	v_fma_f64 v[40:41], v[60:61], v[52:53], v[54:55]
	v_and_b32_e32 v50, 1, v49
	v_lshlrev_b32_e32 v49, 30, v49
	v_fma_f64 v[28:29], v[62:63], s[26:27], v[28:29]
	v_fma_f64 v[36:37], v[70:71], s[26:27], v[36:37]
	v_cmp_eq_u32_e32 vcc, 0, v50
	v_fma_f64 v[30:31], v[30:31], v[34:35], v[38:39]
	v_add_f64 v[34:35], v[58:59], v[40:41]
	v_and_b32_e32 v38, 1, v19
	v_lshlrev_b32_e32 v19, 30, v19
	v_add_f64 v[26:27], v[26:27], -v[28:29]
	v_add_f64 v[28:29], v[32:33], -v[36:37]
	v_xor_b32_e32 v39, v49, v17
	v_and_b32_e32 v19, 0x80000000, v19
	v_add_f64 v[30:31], v[64:65], v[30:31]
	v_and_b32_e32 v32, 0x80000000, v39
	v_cndmask_b32_e32 v26, v34, v26, vcc
	v_cndmask_b32_e32 v16, v35, v27, vcc
	v_xor_b32_e32 v17, 0x80000000, v29
	v_cmp_eq_u32_e32 vcc, 0, v38
	v_cndmask_b32_e32 v17, v17, v31, vcc
	v_cndmask_b32_e32 v27, v28, v30, vcc
	v_xor_b32_e32 v28, v16, v32
	v_xor_b32_e32 v19, v17, v19
	v_cndmask_b32_e64 v16, 0, v26, s[0:1]
	v_cndmask_b32_e64 v17, v48, v28, s[0:1]
	;; [unrolled: 1-line block ×4, first 2 shown]
	v_mul_f64 v[16:17], v[16:17], v[26:27]
.LBB161_216:                            ;   in Loop: Header=BB161_180 Depth=1
	s_or_b64 exec, exec, s[48:49]
	v_bfi_b32 v19, s29, 0, v17
	v_mov_b32_e32 v16, v18
	v_add_u32_e32 v15, -2.0, v15
	v_mov_b32_e32 v17, v19
.LBB161_217:                            ;   in Loop: Header=BB161_180 Depth=1
	s_or_b64 exec, exec, s[46:47]
.LBB161_218:                            ;   in Loop: Header=BB161_180 Depth=1
	s_or_b64 exec, exec, s[38:39]
	v_and_b32_e32 v19, 0x7fffffff, v11
	v_cmp_gt_u32_e32 vcc, s30, v19
	s_and_saveexec_b64 s[0:1], vcc
	s_xor_b64 s[38:39], exec, s[0:1]
	s_cbranch_execz .LBB161_240
; %bb.219:                              ;   in Loop: Header=BB161_180 Depth=1
	v_cmp_class_f64_e64 s[0:1], v[12:13], s31
	s_and_saveexec_b64 s[46:47], s[0:1]
	s_xor_b64 s[46:47], exec, s[46:47]
	s_cbranch_execz .LBB161_237
; %bb.220:                              ;   in Loop: Header=BB161_180 Depth=1
	v_cmp_gt_u32_e32 vcc, s34, v19
	s_and_saveexec_b64 s[0:1], vcc
	s_xor_b64 s[48:49], exec, s[0:1]
	s_cbranch_execz .LBB161_226
; %bb.221:                              ;   in Loop: Header=BB161_180 Depth=1
	v_cmp_nlt_f64_e64 s[0:1], |v[12:13]|, s[90:91]
                                        ; implicit-def: $vgpr19
                                        ; implicit-def: $vgpr26_vgpr27
                                        ; implicit-def: $vgpr28_vgpr29
	s_and_saveexec_b64 s[68:69], s[0:1]
	s_xor_b64 s[0:1], exec, s[68:69]
	s_cbranch_execz .LBB161_223
; %bb.222:                              ;   in Loop: Header=BB161_180 Depth=1
	v_trig_preop_f64 v[26:27], |v[12:13]|, 0
	v_ldexp_f64 v[28:29], |v[12:13]|, s35
	v_cmp_ge_f64_e64 vcc, |v[12:13]|, s[92:93]
	v_trig_preop_f64 v[30:31], |v[12:13]|, 1
	v_and_b32_e32 v19, 0x7fffffff, v13
	v_trig_preop_f64 v[38:39], |v[12:13]|, 2
	s_mov_b32 s4, s12
	s_mov_b32 s17, s9
	v_cndmask_b32_e32 v29, v19, v29, vcc
	v_cndmask_b32_e32 v28, v12, v28, vcc
	v_mul_f64 v[32:33], v[26:27], v[28:29]
	v_mul_f64 v[34:35], v[30:31], v[28:29]
	;; [unrolled: 1-line block ×3, first 2 shown]
	v_fma_f64 v[26:27], v[26:27], v[28:29], -v[32:33]
	v_fma_f64 v[30:31], v[30:31], v[28:29], -v[34:35]
	;; [unrolled: 1-line block ×3, first 2 shown]
	v_add_f64 v[36:37], v[34:35], v[26:27]
	v_add_f64 v[40:41], v[36:37], -v[34:35]
	v_add_f64 v[53:54], v[32:33], v[36:37]
	v_add_f64 v[49:50], v[36:37], -v[40:41]
	v_add_f64 v[26:27], v[26:27], -v[40:41]
	v_add_f64 v[40:41], v[51:52], v[30:31]
	v_add_f64 v[32:33], v[53:54], -v[32:33]
	v_add_f64 v[34:35], v[34:35], -v[49:50]
	v_ldexp_f64 v[49:50], v[53:54], -2
	v_add_f64 v[55:56], v[40:41], -v[51:52]
	v_add_f64 v[32:33], v[36:37], -v[32:33]
	v_add_f64 v[26:27], v[26:27], v[34:35]
	v_fract_f64_e32 v[34:35], v[49:50]
	v_cmp_neq_f64_e64 vcc, |v[49:50]|, s[94:95]
	v_add_f64 v[30:31], v[30:31], -v[55:56]
	v_add_f64 v[36:37], v[40:41], v[26:27]
	v_ldexp_f64 v[34:35], v[34:35], 2
	v_add_f64 v[49:50], v[32:33], v[36:37]
	v_cndmask_b32_e32 v35, 0, v35, vcc
	v_cndmask_b32_e32 v34, 0, v34, vcc
	v_add_f64 v[57:58], v[36:37], -v[40:41]
	v_add_f64 v[53:54], v[49:50], v[34:35]
	v_add_f64 v[32:33], v[49:50], -v[32:33]
	v_add_f64 v[59:60], v[36:37], -v[57:58]
	;; [unrolled: 1-line block ×3, first 2 shown]
	v_cmp_gt_f64_e32 vcc, 0, v[53:54]
	v_add_f64 v[53:54], v[40:41], -v[55:56]
	v_add_f64 v[32:33], v[36:37], -v[32:33]
	;; [unrolled: 1-line block ×3, first 2 shown]
	v_cndmask_b32_e32 v19, 0, v43, vcc
	v_add_f64 v[34:35], v[34:35], v[18:19]
	v_add_f64 v[53:54], v[51:52], -v[53:54]
	v_add_f64 v[26:27], v[26:27], v[40:41]
	v_add_f64 v[61:62], v[49:50], v[34:35]
	;; [unrolled: 1-line block ×3, first 2 shown]
	v_cvt_i32_f64_e32 v57, v[61:62]
	v_add_f64 v[26:27], v[30:31], v[26:27]
	v_cvt_f64_i32_e32 v[55:56], v57
	v_add_f64 v[34:35], v[34:35], -v[55:56]
	v_add_f64 v[26:27], v[28:29], v[26:27]
	v_add_f64 v[30:31], v[49:50], v[34:35]
	;; [unrolled: 1-line block ×3, first 2 shown]
	v_add_f64 v[28:29], v[30:31], -v[34:35]
	v_cmp_le_f64_e32 vcc, 0.5, v[30:31]
	v_add_f64 v[28:29], v[49:50], -v[28:29]
	v_cndmask_b32_e32 v19, 0, v44, vcc
	v_add_f64 v[26:27], v[26:27], v[28:29]
	v_add_f64 v[28:29], v[30:31], -v[18:19]
	v_addc_co_u32_e32 v19, vcc, 0, v57, vcc
	v_add_f64 v[30:31], v[28:29], v[26:27]
	v_mul_f64 v[32:33], v[30:31], s[4:5]
	v_add_f64 v[28:29], v[30:31], -v[28:29]
	v_fma_f64 v[34:35], v[30:31], s[4:5], -v[32:33]
	v_add_f64 v[26:27], v[26:27], -v[28:29]
	v_fma_f64 v[28:29], v[30:31], s[16:17], v[34:35]
	v_fma_f64 v[28:29], v[26:27], s[4:5], v[28:29]
	v_add_f64 v[26:27], v[32:33], v[28:29]
	v_add_f64 v[30:31], v[26:27], -v[32:33]
	v_add_f64 v[28:29], v[28:29], -v[30:31]
.LBB161_223:                            ;   in Loop: Header=BB161_180 Depth=1
	s_andn2_saveexec_b64 s[0:1], s[0:1]
	s_cbranch_execz .LBB161_225
; %bb.224:                              ;   in Loop: Header=BB161_180 Depth=1
	v_mul_f64 v[26:27], |v[12:13]|, s[6:7]
	s_mov_b32 s8, s14
	v_rndne_f64_e32 v[30:31], v[26:27]
	v_fma_f64 v[26:27], v[30:31], s[12:13], |v[12:13]|
	v_mul_f64 v[28:29], v[30:31], s[14:15]
	v_cvt_i32_f64_e32 v19, v[30:31]
	v_fma_f64 v[36:37], v[30:31], s[14:15], v[26:27]
	v_add_f64 v[32:33], v[26:27], v[28:29]
	v_add_f64 v[34:35], v[26:27], -v[32:33]
	v_add_f64 v[32:33], v[32:33], -v[36:37]
	v_add_f64 v[26:27], v[34:35], v[28:29]
	v_fma_f64 v[28:29], v[30:31], s[8:9], v[28:29]
	v_add_f64 v[26:27], v[32:33], v[26:27]
	v_add_f64 v[26:27], v[26:27], -v[28:29]
	v_fma_f64 v[28:29], v[30:31], s[10:11], v[26:27]
	v_add_f64 v[26:27], v[36:37], v[28:29]
	v_add_f64 v[32:33], v[26:27], -v[36:37]
	v_add_f64 v[28:29], v[28:29], -v[32:33]
.LBB161_225:                            ;   in Loop: Header=BB161_180 Depth=1
	s_or_b64 exec, exec, s[0:1]
	v_add_f64 v[30:31], |v[10:11]|, s[22:23]
	s_mov_b32 s40, s22
	s_mov_b32 s0, 0x3b39803f
	;; [unrolled: 1-line block ×7, first 2 shown]
	v_add_f64 v[32:33], v[30:31], -|v[10:11]|
	v_and_b32_e32 v19, 1, v19
	v_add_f64 v[34:35], v[32:33], -v[30:31]
	v_add_f64 v[32:33], v[32:33], s[40:41]
	v_add_f64 v[34:35], |v[10:11]|, v[34:35]
	v_add_f64 v[32:33], v[34:35], -v[32:33]
	v_add_f64 v[32:33], v[32:33], s[0:1]
	s_mov_b32 s0, 0xf278e000
	s_mov_b32 s1, 0xbd53de6a
	v_add_f64 v[34:35], v[30:31], v[32:33]
	v_mul_f64 v[36:37], v[34:35], s[44:45]
	v_add_f64 v[30:31], v[30:31], -v[34:35]
	v_rndne_f64_e32 v[36:37], v[36:37]
	v_add_f64 v[30:31], v[32:33], v[30:31]
	v_fma_f64 v[32:33], v[36:37], s[18:19], v[34:35]
	v_mul_f64 v[34:35], v[36:37], s[0:1]
	s_mov_b32 s0, 0xf97b57a0
	s_mov_b32 s1, 0xbac9cc01
	v_cvt_i32_f64_e32 v12, v[36:37]
	v_add_f64 v[38:39], v[30:31], v[32:33]
	v_add_f64 v[40:41], v[38:39], v[34:35]
	v_add_f64 v[32:33], v[32:33], -v[38:39]
	v_add_f64 v[38:39], v[38:39], -v[40:41]
	v_add_f64 v[30:31], v[30:31], v[32:33]
	v_add_f64 v[32:33], v[38:39], v[34:35]
	;; [unrolled: 1-line block ×3, first 2 shown]
	v_mul_f64 v[32:33], v[36:37], s[0:1]
	s_mov_b32 s0, 0xc751c08c
	s_mov_b32 s1, 0x3ef5e089
	v_add_f64 v[34:35], v[40:41], v[30:31]
	v_add_f64 v[38:39], v[34:35], v[32:33]
	v_add_f64 v[40:41], v[40:41], -v[34:35]
	v_add_f64 v[34:35], v[34:35], -v[38:39]
	v_add_f64 v[30:31], v[30:31], v[40:41]
	v_add_f64 v[32:33], v[34:35], v[32:33]
	;; [unrolled: 1-line block ×4, first 2 shown]
	v_fma_f64 v[34:35], v[32:33], s[50:51], v[24:25]
	v_add_f64 v[38:39], v[38:39], -v[32:33]
	v_mul_f64 v[40:41], v[32:33], v[32:33]
	v_fma_f64 v[34:35], v[32:33], v[34:35], s[52:53]
	v_add_f64 v[30:31], v[30:31], v[38:39]
	v_fma_f64 v[38:39], v[32:33], v[32:33], -v[40:41]
	v_fma_f64 v[34:35], v[32:33], v[34:35], s[54:55]
	v_add_f64 v[49:50], v[30:31], v[30:31]
	v_fma_f64 v[34:35], v[32:33], v[34:35], s[56:57]
	v_fma_f64 v[38:39], v[32:33], v[49:50], v[38:39]
	v_fma_f64 v[34:35], v[32:33], v[34:35], s[58:59]
	v_add_f64 v[49:50], v[40:41], v[38:39]
	v_fma_f64 v[34:35], v[32:33], v[34:35], s[60:61]
	v_add_f64 v[40:41], v[49:50], -v[40:41]
	v_fma_f64 v[34:35], v[32:33], v[34:35], s[62:63]
	v_add_f64 v[38:39], v[38:39], -v[40:41]
	v_fma_f64 v[34:35], v[32:33], v[34:35], s[64:65]
	v_fma_f64 v[34:35], v[32:33], v[34:35], s[66:67]
	v_mul_f64 v[51:52], v[49:50], v[34:35]
	v_fma_f64 v[40:41], v[49:50], v[34:35], -v[51:52]
	v_fma_f64 v[34:35], v[38:39], v[34:35], v[40:41]
	v_add_f64 v[38:39], v[51:52], v[34:35]
	v_add_f64 v[40:41], v[32:33], v[38:39]
	v_add_f64 v[49:50], v[38:39], -v[51:52]
	v_add_f64 v[32:33], v[40:41], -v[32:33]
	;; [unrolled: 1-line block ×3, first 2 shown]
	v_add_f64 v[49:50], v[28:29], v[28:29]
	v_add_f64 v[32:33], v[38:39], -v[32:33]
	v_add_f64 v[30:31], v[30:31], v[34:35]
	v_add_f64 v[30:31], v[30:31], v[32:33]
	;; [unrolled: 1-line block ×3, first 2 shown]
	v_add_f64 v[34:35], v[32:33], 1.0
	v_add_f64 v[38:39], v[32:33], -v[40:41]
	v_add_f64 v[40:41], v[34:35], -1.0
	v_add_f64 v[30:31], v[30:31], -v[38:39]
	v_add_f64 v[32:33], v[32:33], -v[40:41]
	v_add_f64 v[30:31], v[30:31], v[32:33]
	v_add_f64 v[32:33], v[34:35], v[30:31]
	v_ldexp_f64 v[36:37], v[32:33], v12
	v_add_f64 v[32:33], v[32:33], -v[34:35]
	v_rcp_f64_e32 v[38:39], v[36:37]
	v_add_f64 v[30:31], v[30:31], -v[32:33]
	v_ldexp_f64 v[30:31], v[30:31], v12
	v_fma_f64 v[40:41], -v[36:37], v[38:39], 1.0
	v_fma_f64 v[38:39], v[40:41], v[38:39], v[38:39]
	v_fma_f64 v[40:41], -v[36:37], v[38:39], 1.0
	v_fma_f64 v[34:35], v[40:41], v[38:39], v[38:39]
	v_mul_f64 v[38:39], v[26:27], v[26:27]
	v_mul_f64 v[32:33], v[36:37], v[34:35]
	v_fma_f64 v[51:52], v[26:27], v[26:27], -v[38:39]
	v_fma_f64 v[40:41], v[34:35], v[36:37], -v[32:33]
	v_fma_f64 v[49:50], v[26:27], v[49:50], v[51:52]
	v_fma_f64 v[40:41], v[34:35], v[30:31], v[40:41]
	v_add_f64 v[38:39], v[38:39], v[49:50]
	v_add_f64 v[51:52], v[32:33], v[40:41]
	v_fma_f64 v[53:54], v[38:39], s[0:1], v[22:23]
	s_mov_b32 s0, 0x90a8aae0
	s_mov_b32 s1, 0x3f17746f
	v_add_f64 v[49:50], -v[51:52], 1.0
	v_add_f64 v[32:33], v[51:52], -v[32:33]
	v_fma_f64 v[53:54], v[38:39], v[53:54], s[0:1]
	s_mov_b32 s0, 0xa6fbf144
	s_mov_b32 s1, 0xbefbb44d
	v_add_f64 v[55:56], -v[49:50], 1.0
	v_add_f64 v[32:33], v[32:33], -v[40:41]
	v_add_f64 v[40:41], v[55:56], -v[51:52]
	v_fma_f64 v[51:52], v[38:39], v[53:54], s[0:1]
	s_mov_b32 s0, 0xa7943acf
	s_mov_b32 s1, 0x3f21e634
	v_add_f64 v[32:33], v[32:33], v[40:41]
	v_fma_f64 v[40:41], v[38:39], v[51:52], s[0:1]
	s_mov_b32 s0, 0xdeb68feb
	s_mov_b32 s1, 0x3f2d250f
	v_add_f64 v[51:52], v[49:50], v[32:33]
	v_fma_f64 v[40:41], v[38:39], v[40:41], s[0:1]
	s_mov_b32 s0, 0xb58c4d95
	s_mov_b32 s1, 0x3f437fd9
	v_mul_f64 v[53:54], v[34:35], v[51:52]
	v_fma_f64 v[40:41], v[38:39], v[40:41], s[0:1]
	s_mov_b32 s0, 0x15120e2c
	s_mov_b32 s1, 0x3f57d5af
	v_add_f64 v[49:50], v[49:50], -v[51:52]
	v_mul_f64 v[55:56], v[36:37], v[53:54]
	v_fma_f64 v[40:41], v[38:39], v[40:41], s[0:1]
	s_mov_b32 s0, 0xe09491df
	s_mov_b32 s1, 0x3f6d6d93
	v_add_f64 v[32:33], v[32:33], v[49:50]
	v_fma_f64 v[57:58], v[53:54], v[36:37], -v[55:56]
	v_fma_f64 v[40:41], v[38:39], v[40:41], s[0:1]
	s_mov_b32 s0, 0x2033784d
	s_mov_b32 s1, 0x3f8226e1
	v_fma_f64 v[57:58], v[53:54], v[30:31], v[57:58]
	v_fma_f64 v[40:41], v[38:39], v[40:41], s[0:1]
	s_mov_b32 s0, 0x9ac36ae2
	s_mov_b32 s1, 0x3f9664f4
	v_add_f64 v[59:60], v[55:56], v[57:58]
	v_fma_f64 v[40:41], v[38:39], v[40:41], s[0:1]
	s_mov_b32 s0, 0x1b451c21
	s_mov_b32 s1, 0x3faba1ba
	v_add_f64 v[61:62], v[51:52], -v[59:60]
	v_fma_f64 v[40:41], v[38:39], v[40:41], s[0:1]
	s_mov_b32 s0, 0x111185b7
	s_mov_b32 s1, 0x3fc11111
	v_add_f64 v[49:50], v[59:60], -v[55:56]
	v_add_f64 v[51:52], v[51:52], -v[61:62]
	v_fma_f64 v[40:41], v[38:39], v[40:41], s[0:1]
	s_mov_b32 s0, 0x555554ee
	s_mov_b32 s1, 0x3fd55555
	v_add_f64 v[49:50], v[49:50], -v[57:58]
	v_add_f64 v[51:52], v[51:52], -v[59:60]
	v_fma_f64 v[40:41], v[38:39], v[40:41], s[0:1]
	s_mov_b32 s0, 0x8fb9f87e
	s_mov_b32 s1, 0x408633ce
	v_cmp_nge_f64_e64 vcc, |v[10:11]|, s[0:1]
	s_mov_b32 s0, 0
	s_mov_b32 s1, 0x3e400000
	v_add_f64 v[32:33], v[32:33], v[51:52]
	v_mul_f64 v[38:39], v[38:39], v[40:41]
	v_add_f64 v[40:41], v[34:35], v[53:54]
	v_add_f64 v[32:33], v[49:50], v[32:33]
	v_mul_f64 v[49:50], v[26:27], v[38:39]
	v_add_f64 v[51:52], v[40:41], -v[34:35]
	v_add_f64 v[32:33], v[61:62], v[32:33]
	v_add_f64 v[55:56], v[26:27], v[49:50]
	v_add_f64 v[51:52], v[53:54], -v[51:52]
	v_mul_f64 v[32:33], v[34:35], v[32:33]
	v_fma_f64 v[34:35], v[26:27], v[38:39], -v[49:50]
	v_add_f64 v[26:27], v[55:56], -v[26:27]
	v_add_f64 v[32:33], v[51:52], v[32:33]
	v_add_f64 v[28:29], v[28:29], v[34:35]
	v_add_f64 v[26:27], v[49:50], -v[26:27]
	v_add_f64 v[34:35], v[40:41], v[32:33]
	v_add_f64 v[26:27], v[28:29], v[26:27]
	v_ldexp_f64 v[28:29], v[34:35], -2
	v_add_f64 v[34:35], v[34:35], -v[40:41]
	v_add_f64 v[38:39], v[55:56], v[26:27]
	v_add_f64 v[49:50], v[36:37], -v[28:29]
	v_add_f64 v[32:33], v[32:33], -v[34:35]
	v_rcp_f64_e32 v[51:52], v[38:39]
	v_add_f64 v[36:37], v[36:37], -v[49:50]
	v_ldexp_f64 v[32:33], v[32:33], -2
	v_add_f64 v[28:29], v[36:37], -v[28:29]
	v_fma_f64 v[34:35], -v[38:39], v[51:52], 1.0
	v_add_f64 v[28:29], v[30:31], v[28:29]
	v_fma_f64 v[30:31], v[34:35], v[51:52], v[51:52]
	v_and_b32_e32 v35, 0x7fffffff, v11
	v_add_f64 v[28:29], v[28:29], -v[32:33]
	v_fma_f64 v[32:33], -v[38:39], v[30:31], 1.0
	v_add_f64 v[28:29], v[49:50], v[28:29]
	v_fma_f64 v[30:31], v[32:33], v[30:31], v[30:31]
	v_cndmask_b32_e32 v12, v45, v29, vcc
	v_cndmask_b32_e32 v34, 0, v28, vcc
	v_cmp_lt_f64_e64 vcc, |v[10:11]|, s[0:1]
	v_add_f64 v[28:29], v[38:39], -v[55:56]
	v_mul_f64 v[32:33], v[38:39], v[30:31]
	s_mov_b32 s0, 0
	s_brev_b32 s1, 8
	v_cndmask_b32_e32 v12, v12, v35, vcc
	v_cndmask_b32_e32 v10, v34, v10, vcc
	v_bfi_b32 v11, s29, v12, v11
	v_fma_f64 v[34:35], v[10:11], v[10:11], 1.0
	v_add_f64 v[26:27], v[26:27], -v[28:29]
	v_fma_f64 v[28:29], v[30:31], v[38:39], -v[32:33]
	v_cmp_gt_f64_e32 vcc, s[0:1], v[34:35]
	v_cmp_eq_u32_e64 s[0:1], 0, v19
	v_fma_f64 v[26:27], v[30:31], v[26:27], v[28:29]
	v_cndmask_b32_e32 v12, 0, v46, vcc
	v_ldexp_f64 v[34:35], v[34:35], v12
	v_add_f64 v[36:37], v[32:33], v[26:27]
	v_rsq_f64_e32 v[28:29], v[34:35]
	v_add_f64 v[40:41], -v[36:37], 1.0
	v_add_f64 v[32:33], v[36:37], -v[32:33]
	v_add_f64 v[51:52], -v[40:41], 1.0
	v_add_f64 v[26:27], v[32:33], -v[26:27]
	v_mul_f64 v[49:50], v[34:35], v[28:29]
	v_mul_f64 v[28:29], v[28:29], 0.5
	v_add_f64 v[36:37], v[51:52], -v[36:37]
	v_fma_f64 v[32:33], -v[28:29], v[49:50], 0.5
	v_add_f64 v[26:27], v[26:27], v[36:37]
	v_fma_f64 v[49:50], v[49:50], v[32:33], v[49:50]
	v_fma_f64 v[28:29], v[28:29], v[32:33], v[28:29]
	v_add_f64 v[26:27], v[40:41], v[26:27]
	v_fma_f64 v[32:33], -v[49:50], v[49:50], v[34:35]
	v_mul_f64 v[26:27], v[30:31], v[26:27]
	v_fma_f64 v[32:33], v[32:33], v[28:29], v[49:50]
	v_add_f64 v[26:27], v[30:31], v[26:27]
	v_and_b32_e32 v30, 0x80000000, v13
	v_fma_f64 v[36:37], -v[32:33], v[32:33], v[34:35]
	v_xor_b32_e32 v27, 0x80000000, v27
	v_cndmask_b32_e64 v19, v27, v39, s[0:1]
	v_xor_b32_e32 v27, v19, v30
	v_cndmask_b32_e32 v19, 0, v47, vcc
	v_cndmask_b32_e64 v26, v26, v38, s[0:1]
	v_cmp_class_f64_e32 vcc, v[34:35], v42
	v_fma_f64 v[12:13], v[36:37], v[28:29], v[32:33]
	v_fma_f64 v[28:29], v[26:27], v[26:27], 1.0
	v_ldexp_f64 v[12:13], v[12:13], v19
	v_mul_f64 v[30:31], v[10:11], v[28:29]
	v_cndmask_b32_e32 v13, v13, v35, vcc
	v_cndmask_b32_e32 v12, v12, v34, vcc
	v_mul_f64 v[12:13], v[12:13], v[28:29]
	v_fma_f64 v[28:29], v[10:11], v[30:31], 1.0
	v_mul_f64 v[10:11], v[10:11], v[12:13]
	v_div_scale_f64 v[30:31], s[0:1], v[28:29], v[28:29], v[26:27]
	v_div_scale_f64 v[12:13], s[0:1], v[28:29], v[28:29], v[10:11]
	;; [unrolled: 1-line block ×3, first 2 shown]
	v_rcp_f64_e32 v[34:35], v[30:31]
	v_rcp_f64_e32 v[32:33], v[12:13]
	v_fma_f64 v[38:39], -v[30:31], v[34:35], 1.0
	v_fma_f64 v[36:37], -v[12:13], v[32:33], 1.0
	v_fma_f64 v[34:35], v[34:35], v[38:39], v[34:35]
	v_fma_f64 v[32:33], v[32:33], v[36:37], v[32:33]
	v_div_scale_f64 v[36:37], vcc, v[10:11], v[28:29], v[10:11]
	v_fma_f64 v[49:50], -v[30:31], v[34:35], 1.0
	v_fma_f64 v[38:39], -v[12:13], v[32:33], 1.0
	v_fma_f64 v[34:35], v[34:35], v[49:50], v[34:35]
	v_fma_f64 v[32:33], v[32:33], v[38:39], v[32:33]
	v_mul_f64 v[49:50], v[40:41], v[34:35]
	v_mul_f64 v[38:39], v[36:37], v[32:33]
	v_fma_f64 v[30:31], -v[30:31], v[49:50], v[40:41]
	v_fma_f64 v[12:13], -v[12:13], v[38:39], v[36:37]
	v_div_fmas_f64 v[12:13], v[12:13], v[32:33], v[38:39]
	s_mov_b64 vcc, s[0:1]
	v_div_fmas_f64 v[30:31], v[30:31], v[34:35], v[49:50]
	v_div_fixup_f64 v[10:11], v[12:13], v[28:29], v[10:11]
	v_div_fixup_f64 v[12:13], v[30:31], v[28:29], v[26:27]
.LBB161_226:                            ;   in Loop: Header=BB161_180 Depth=1
	s_andn2_saveexec_b64 s[0:1], s[48:49]
	s_cbranch_execz .LBB161_236
; %bb.227:                              ;   in Loop: Header=BB161_180 Depth=1
	v_cmp_nlt_f64_e64 s[48:49], |v[12:13]|, s[90:91]
                                        ; implicit-def: $vgpr34
                                        ; implicit-def: $vgpr26_vgpr27
                                        ; implicit-def: $vgpr28_vgpr29
	s_and_saveexec_b64 s[68:69], s[48:49]
	s_xor_b64 s[68:69], exec, s[68:69]
	s_cbranch_execz .LBB161_229
; %bb.228:                              ;   in Loop: Header=BB161_180 Depth=1
	v_trig_preop_f64 v[26:27], |v[12:13]|, 0
	v_ldexp_f64 v[28:29], |v[12:13]|, s35
	v_cmp_ge_f64_e64 vcc, |v[12:13]|, s[92:93]
	v_trig_preop_f64 v[30:31], |v[12:13]|, 1
	v_and_b32_e32 v19, 0x7fffffff, v13
	v_trig_preop_f64 v[38:39], |v[12:13]|, 2
	s_mov_b32 s4, s12
	s_mov_b32 s17, s9
	v_cndmask_b32_e32 v29, v19, v29, vcc
	v_cndmask_b32_e32 v28, v12, v28, vcc
	v_mul_f64 v[32:33], v[26:27], v[28:29]
	v_mul_f64 v[34:35], v[30:31], v[28:29]
	;; [unrolled: 1-line block ×3, first 2 shown]
	v_fma_f64 v[26:27], v[26:27], v[28:29], -v[32:33]
	v_fma_f64 v[30:31], v[30:31], v[28:29], -v[34:35]
	;; [unrolled: 1-line block ×3, first 2 shown]
	v_add_f64 v[36:37], v[34:35], v[26:27]
	v_add_f64 v[40:41], v[36:37], -v[34:35]
	v_add_f64 v[53:54], v[32:33], v[36:37]
	v_add_f64 v[49:50], v[36:37], -v[40:41]
	v_add_f64 v[26:27], v[26:27], -v[40:41]
	v_add_f64 v[40:41], v[51:52], v[30:31]
	v_add_f64 v[32:33], v[53:54], -v[32:33]
	v_add_f64 v[34:35], v[34:35], -v[49:50]
	v_ldexp_f64 v[49:50], v[53:54], -2
	v_add_f64 v[55:56], v[40:41], -v[51:52]
	v_add_f64 v[32:33], v[36:37], -v[32:33]
	v_add_f64 v[26:27], v[26:27], v[34:35]
	v_fract_f64_e32 v[34:35], v[49:50]
	v_cmp_neq_f64_e64 vcc, |v[49:50]|, s[94:95]
	v_add_f64 v[30:31], v[30:31], -v[55:56]
	v_add_f64 v[36:37], v[40:41], v[26:27]
	v_ldexp_f64 v[34:35], v[34:35], 2
	v_add_f64 v[49:50], v[32:33], v[36:37]
	v_cndmask_b32_e32 v35, 0, v35, vcc
	v_cndmask_b32_e32 v34, 0, v34, vcc
	v_add_f64 v[57:58], v[36:37], -v[40:41]
	v_add_f64 v[53:54], v[49:50], v[34:35]
	v_add_f64 v[32:33], v[49:50], -v[32:33]
	v_add_f64 v[59:60], v[36:37], -v[57:58]
	;; [unrolled: 1-line block ×3, first 2 shown]
	v_cmp_gt_f64_e32 vcc, 0, v[53:54]
	v_add_f64 v[53:54], v[40:41], -v[55:56]
	v_add_f64 v[32:33], v[36:37], -v[32:33]
	;; [unrolled: 1-line block ×3, first 2 shown]
	v_cndmask_b32_e32 v19, 0, v43, vcc
	v_add_f64 v[34:35], v[34:35], v[18:19]
	v_add_f64 v[53:54], v[51:52], -v[53:54]
	v_add_f64 v[26:27], v[26:27], v[40:41]
	v_add_f64 v[61:62], v[49:50], v[34:35]
	v_add_f64 v[30:31], v[30:31], v[53:54]
	v_cvt_i32_f64_e32 v57, v[61:62]
	v_add_f64 v[26:27], v[30:31], v[26:27]
	v_cvt_f64_i32_e32 v[55:56], v57
	v_add_f64 v[34:35], v[34:35], -v[55:56]
	v_add_f64 v[26:27], v[28:29], v[26:27]
	v_add_f64 v[30:31], v[49:50], v[34:35]
	;; [unrolled: 1-line block ×3, first 2 shown]
	v_add_f64 v[28:29], v[30:31], -v[34:35]
	v_cmp_le_f64_e32 vcc, 0.5, v[30:31]
	v_add_f64 v[28:29], v[49:50], -v[28:29]
	v_cndmask_b32_e32 v19, 0, v44, vcc
	v_add_f64 v[26:27], v[26:27], v[28:29]
	v_add_f64 v[28:29], v[30:31], -v[18:19]
	v_add_f64 v[30:31], v[28:29], v[26:27]
	v_mul_f64 v[32:33], v[30:31], s[4:5]
	v_add_f64 v[28:29], v[30:31], -v[28:29]
	v_fma_f64 v[34:35], v[30:31], s[4:5], -v[32:33]
	v_add_f64 v[26:27], v[26:27], -v[28:29]
	v_fma_f64 v[28:29], v[30:31], s[16:17], v[34:35]
	v_addc_co_u32_e32 v34, vcc, 0, v57, vcc
	v_fma_f64 v[28:29], v[26:27], s[4:5], v[28:29]
	v_add_f64 v[26:27], v[32:33], v[28:29]
	v_add_f64 v[30:31], v[26:27], -v[32:33]
	v_add_f64 v[28:29], v[28:29], -v[30:31]
	s_andn2_saveexec_b64 s[68:69], s[68:69]
	s_cbranch_execz .LBB161_231
	s_branch .LBB161_230
.LBB161_229:                            ;   in Loop: Header=BB161_180 Depth=1
	s_andn2_saveexec_b64 s[68:69], s[68:69]
	s_cbranch_execz .LBB161_231
.LBB161_230:                            ;   in Loop: Header=BB161_180 Depth=1
	v_mul_f64 v[26:27], |v[12:13]|, s[6:7]
	s_mov_b32 s8, s14
	v_rndne_f64_e32 v[30:31], v[26:27]
	v_fma_f64 v[26:27], v[30:31], s[12:13], |v[12:13]|
	v_mul_f64 v[28:29], v[30:31], s[14:15]
	v_fma_f64 v[36:37], v[30:31], s[14:15], v[26:27]
	v_add_f64 v[32:33], v[26:27], v[28:29]
	v_add_f64 v[34:35], v[26:27], -v[32:33]
	v_add_f64 v[32:33], v[32:33], -v[36:37]
	v_add_f64 v[26:27], v[34:35], v[28:29]
	v_fma_f64 v[28:29], v[30:31], s[8:9], v[28:29]
	v_cvt_i32_f64_e32 v34, v[30:31]
	v_add_f64 v[26:27], v[32:33], v[26:27]
	v_add_f64 v[26:27], v[26:27], -v[28:29]
	v_fma_f64 v[28:29], v[30:31], s[10:11], v[26:27]
	v_add_f64 v[26:27], v[36:37], v[28:29]
	v_add_f64 v[32:33], v[26:27], -v[36:37]
	v_add_f64 v[28:29], v[28:29], -v[32:33]
.LBB161_231:                            ;   in Loop: Header=BB161_180 Depth=1
	s_or_b64 exec, exec, s[68:69]
                                        ; implicit-def: $vgpr19
                                        ; implicit-def: $vgpr30_vgpr31
                                        ; implicit-def: $vgpr32_vgpr33
	s_and_saveexec_b64 s[68:69], s[48:49]
	s_xor_b64 s[48:49], exec, s[68:69]
	s_cbranch_execz .LBB161_233
; %bb.232:                              ;   in Loop: Header=BB161_180 Depth=1
	v_trig_preop_f64 v[30:31], |v[12:13]|, 0
	v_ldexp_f64 v[32:33], |v[12:13]|, s35
	v_cmp_ge_f64_e64 vcc, |v[12:13]|, s[92:93]
	v_trig_preop_f64 v[35:36], |v[12:13]|, 1
	v_and_b32_e32 v19, 0x7fffffff, v13
	v_trig_preop_f64 v[51:52], |v[12:13]|, 2
	s_mov_b32 s4, s12
	s_mov_b32 s17, s9
	v_cndmask_b32_e32 v33, v19, v33, vcc
	v_cndmask_b32_e32 v32, v12, v32, vcc
	v_mul_f64 v[37:38], v[30:31], v[32:33]
	v_mul_f64 v[39:40], v[35:36], v[32:33]
	;; [unrolled: 1-line block ×3, first 2 shown]
	v_fma_f64 v[30:31], v[30:31], v[32:33], -v[37:38]
	v_fma_f64 v[35:36], v[35:36], v[32:33], -v[39:40]
	;; [unrolled: 1-line block ×3, first 2 shown]
	v_add_f64 v[49:50], v[39:40], v[30:31]
	v_add_f64 v[53:54], v[49:50], -v[39:40]
	v_add_f64 v[59:60], v[37:38], v[49:50]
	v_add_f64 v[55:56], v[49:50], -v[53:54]
	v_add_f64 v[30:31], v[30:31], -v[53:54]
	v_add_f64 v[53:54], v[57:58], v[35:36]
	v_add_f64 v[37:38], v[59:60], -v[37:38]
	v_add_f64 v[39:40], v[39:40], -v[55:56]
	v_ldexp_f64 v[55:56], v[59:60], -2
	v_add_f64 v[61:62], v[53:54], -v[57:58]
	v_add_f64 v[37:38], v[49:50], -v[37:38]
	v_add_f64 v[30:31], v[30:31], v[39:40]
	v_fract_f64_e32 v[39:40], v[55:56]
	v_cmp_neq_f64_e64 vcc, |v[55:56]|, s[94:95]
	v_add_f64 v[35:36], v[35:36], -v[61:62]
	v_add_f64 v[49:50], v[53:54], v[30:31]
	v_ldexp_f64 v[39:40], v[39:40], 2
	v_add_f64 v[55:56], v[37:38], v[49:50]
	v_cndmask_b32_e32 v40, 0, v40, vcc
	v_cndmask_b32_e32 v39, 0, v39, vcc
	v_add_f64 v[63:64], v[49:50], -v[53:54]
	v_add_f64 v[59:60], v[55:56], v[39:40]
	v_add_f64 v[37:38], v[55:56], -v[37:38]
	v_add_f64 v[65:66], v[49:50], -v[63:64]
	;; [unrolled: 1-line block ×3, first 2 shown]
	v_cmp_gt_f64_e32 vcc, 0, v[59:60]
	v_add_f64 v[59:60], v[53:54], -v[61:62]
	v_add_f64 v[37:38], v[49:50], -v[37:38]
	;; [unrolled: 1-line block ×3, first 2 shown]
	v_cndmask_b32_e32 v19, 0, v43, vcc
	v_add_f64 v[39:40], v[39:40], v[18:19]
	v_add_f64 v[59:60], v[57:58], -v[59:60]
	v_add_f64 v[30:31], v[30:31], v[53:54]
	v_add_f64 v[67:68], v[55:56], v[39:40]
	;; [unrolled: 1-line block ×3, first 2 shown]
	v_cvt_i32_f64_e32 v41, v[67:68]
	v_add_f64 v[30:31], v[35:36], v[30:31]
	v_cvt_f64_i32_e32 v[61:62], v41
	v_add_f64 v[39:40], v[39:40], -v[61:62]
	v_add_f64 v[30:31], v[32:33], v[30:31]
	v_add_f64 v[35:36], v[55:56], v[39:40]
	;; [unrolled: 1-line block ×3, first 2 shown]
	v_add_f64 v[32:33], v[35:36], -v[39:40]
	v_cmp_le_f64_e32 vcc, 0.5, v[35:36]
	v_add_f64 v[32:33], v[55:56], -v[32:33]
	v_cndmask_b32_e32 v19, 0, v44, vcc
	v_add_f64 v[30:31], v[30:31], v[32:33]
	v_add_f64 v[32:33], v[35:36], -v[18:19]
	v_addc_co_u32_e32 v19, vcc, 0, v41, vcc
	v_add_f64 v[35:36], v[32:33], v[30:31]
	v_mul_f64 v[37:38], v[35:36], s[4:5]
	v_add_f64 v[32:33], v[35:36], -v[32:33]
	v_fma_f64 v[39:40], v[35:36], s[4:5], -v[37:38]
	v_add_f64 v[30:31], v[30:31], -v[32:33]
	v_fma_f64 v[32:33], v[35:36], s[16:17], v[39:40]
	v_fma_f64 v[32:33], v[30:31], s[4:5], v[32:33]
	v_add_f64 v[30:31], v[37:38], v[32:33]
	v_add_f64 v[35:36], v[30:31], -v[37:38]
	v_add_f64 v[32:33], v[32:33], -v[35:36]
	s_andn2_saveexec_b64 s[48:49], s[48:49]
	s_cbranch_execnz .LBB161_234
	s_branch .LBB161_235
.LBB161_233:                            ;   in Loop: Header=BB161_180 Depth=1
	s_andn2_saveexec_b64 s[48:49], s[48:49]
	s_cbranch_execz .LBB161_235
.LBB161_234:                            ;   in Loop: Header=BB161_180 Depth=1
	v_mul_f64 v[30:31], |v[12:13]|, s[6:7]
	s_mov_b32 s8, s14
	v_rndne_f64_e32 v[35:36], v[30:31]
	v_fma_f64 v[30:31], v[35:36], s[12:13], |v[12:13]|
	v_mul_f64 v[32:33], v[35:36], s[14:15]
	v_cvt_i32_f64_e32 v19, v[35:36]
	v_fma_f64 v[49:50], v[35:36], s[14:15], v[30:31]
	v_add_f64 v[37:38], v[30:31], v[32:33]
	v_add_f64 v[39:40], v[30:31], -v[37:38]
	v_add_f64 v[37:38], v[37:38], -v[49:50]
	v_add_f64 v[30:31], v[39:40], v[32:33]
	v_fma_f64 v[32:33], v[35:36], s[8:9], v[32:33]
	v_add_f64 v[30:31], v[37:38], v[30:31]
	v_add_f64 v[30:31], v[30:31], -v[32:33]
	v_fma_f64 v[32:33], v[35:36], s[10:11], v[30:31]
	v_add_f64 v[30:31], v[49:50], v[32:33]
	v_add_f64 v[37:38], v[30:31], -v[49:50]
	v_add_f64 v[32:33], v[32:33], -v[37:38]
.LBB161_235:                            ;   in Loop: Header=BB161_180 Depth=1
	s_or_b64 exec, exec, s[48:49]
	v_mul_f64 v[35:36], |v[10:11]|, s[20:21]
	s_mov_b32 s48, 0x3b39803f
	s_mov_b32 s49, 0xbc7abc9e
	v_mul_f64 v[49:50], v[26:27], v[26:27]
	v_mov_b32_e32 v53, s80
	v_mov_b32_e32 v54, s81
	v_mul_f64 v[55:56], v[30:31], v[30:31]
	v_mov_b32_e32 v51, s70
	v_rndne_f64_e32 v[35:36], v[35:36]
	v_mov_b32_e32 v52, s71
	v_mul_f64 v[57:58], v[28:29], 0.5
	v_fma_f64 v[59:60], v[49:50], s[82:83], v[53:54]
	v_fma_f64 v[61:62], v[49:50], s[72:73], v[51:52]
	v_mul_f64 v[63:64], v[49:50], 0.5
	v_fma_f64 v[53:54], v[55:56], s[82:83], v[53:54]
	v_mul_f64 v[67:68], v[55:56], 0.5
	v_fma_f64 v[37:38], v[35:36], s[22:23], -|v[10:11]|
	v_fma_f64 v[51:52], v[55:56], s[72:73], v[51:52]
	s_mov_b32 s61, s25
	v_fma_f64 v[59:60], v[49:50], v[59:60], s[84:85]
	v_fma_f64 v[61:62], v[49:50], v[61:62], s[74:75]
	v_add_f64 v[69:70], -v[63:64], 1.0
	v_fma_f64 v[53:54], v[55:56], v[53:54], s[84:85]
	v_mul_f64 v[71:72], v[26:27], -v[49:50]
	v_fma_f64 v[37:38], v[35:36], s[48:49], v[37:38]
	v_add_f64 v[73:74], -v[67:68], 1.0
	v_fma_f64 v[51:52], v[55:56], v[51:52], s[74:75]
	v_fma_f64 v[59:60], v[49:50], v[59:60], s[86:87]
	;; [unrolled: 1-line block ×3, first 2 shown]
	v_add_f64 v[75:76], -v[69:70], 1.0
	v_fma_f64 v[53:54], v[55:56], v[53:54], s[86:87]
	v_mul_f64 v[65:66], v[32:33], 0.5
	v_fma_f64 v[39:40], v[37:38], s[50:51], v[24:25]
	v_mul_f64 v[77:78], v[30:31], -v[55:56]
	s_mov_b32 s63, s37
	v_fma_f64 v[59:60], v[49:50], v[59:60], s[24:25]
	v_add_f64 v[79:80], -v[73:74], 1.0
	v_fma_f64 v[51:52], v[55:56], v[51:52], s[76:77]
	v_fma_f64 v[53:54], v[55:56], v[53:54], s[24:25]
	;; [unrolled: 1-line block ×4, first 2 shown]
	v_add_f64 v[63:64], v[75:76], -v[63:64]
	s_mov_b32 s26, s36
	v_fma_f64 v[57:58], v[71:72], v[59:60], v[57:58]
	v_mul_f64 v[59:60], v[49:50], v[49:50]
	v_add_f64 v[67:68], v[79:80], -v[67:68]
	v_fma_f64 v[53:54], v[77:78], v[53:54], v[65:66]
	v_fma_f64 v[51:52], v[55:56], v[51:52], s[78:79]
	;; [unrolled: 1-line block ×4, first 2 shown]
	v_fma_f64 v[63:64], v[26:27], -v[28:29], v[63:64]
	v_fma_f64 v[28:29], v[49:50], v[57:58], -v[28:29]
	v_mul_f64 v[49:50], v[55:56], v[55:56]
	v_lshlrev_b32_e32 v12, 30, v34
	v_fma_f64 v[53:54], v[55:56], v[53:54], -v[32:33]
	v_fma_f64 v[51:52], v[55:56], v[51:52], s[36:37]
	v_fma_f64 v[39:40], v[37:38], v[39:40], s[56:57]
	v_fma_f64 v[32:33], v[30:31], -v[32:33], v[67:68]
	v_fma_f64 v[55:56], v[59:60], v[61:62], v[63:64]
	v_fma_f64 v[28:29], v[71:72], s[26:27], v[28:29]
	v_xor_b32_e32 v57, v12, v13
	v_and_b32_e32 v41, 1, v34
	v_fma_f64 v[12:13], v[77:78], s[26:27], v[53:54]
	v_cmp_eq_u32_e32 vcc, 0, v41
	v_fma_f64 v[39:40], v[37:38], v[39:40], s[58:59]
	v_fma_f64 v[32:33], v[49:50], v[51:52], v[32:33]
	v_add_f64 v[49:50], v[69:70], v[55:56]
	v_add_f64 v[26:27], v[26:27], -v[28:29]
	v_cvt_i32_f64_e32 v35, v[35:36]
	v_and_b32_e32 v34, 1, v19
	v_add_f64 v[12:13], v[30:31], -v[12:13]
	v_lshlrev_b32_e32 v19, 30, v19
	v_fma_f64 v[39:40], v[37:38], v[39:40], s[60:61]
	v_add_f64 v[30:31], v[73:74], v[32:33]
	s_mov_b32 s48, 0
	v_cndmask_b32_e32 v27, v50, v27, vcc
	v_cndmask_b32_e32 v26, v49, v26, vcc
	v_cmp_eq_u32_e32 vcc, 0, v34
	v_xor_b32_e32 v13, 0x80000000, v13
	v_and_b32_e32 v19, 0x80000000, v19
	v_fma_f64 v[39:40], v[37:38], v[39:40], s[62:63]
	v_cndmask_b32_e32 v13, v13, v31, vcc
	s_mov_b32 s49, 0x4090cc00
	v_cndmask_b32_e32 v12, v12, v30, vcc
	v_xor_b32_e32 v13, v13, v19
	v_cmp_ngt_f64_e64 vcc, |v[10:11]|, s[48:49]
	v_bfi_b32 v19, s29, v44, v11
	v_mov_b32_e32 v10, v18
	v_fma_f64 v[39:40], v[37:38], v[39:40], s[64:65]
	v_mov_b32_e32 v11, v19
	v_fma_f64 v[39:40], v[37:38], v[39:40], s[66:67]
	v_fma_f64 v[28:29], v[37:38], v[39:40], 1.0
	v_and_b32_e32 v39, 0x80000000, v57
	v_xor_b32_e32 v27, v27, v39
	v_mul_f64 v[26:27], v[26:27], 4.0
	v_fma_f64 v[28:29], v[37:38], v[28:29], 1.0
	v_mul_f64 v[12:13], v[26:27], v[12:13]
	v_ldexp_f64 v[28:29], v[28:29], v35
	v_cndmask_b32_e32 v27, 0, v29, vcc
	v_cndmask_b32_e32 v26, 0, v28, vcc
	v_mul_f64 v[12:13], v[26:27], v[12:13]
	v_mul_f64 v[12:13], v[26:27], v[12:13]
.LBB161_236:                            ;   in Loop: Header=BB161_180 Depth=1
	s_or_b64 exec, exec, s[0:1]
.LBB161_237:                            ;   in Loop: Header=BB161_180 Depth=1
	s_andn2_saveexec_b64 s[0:1], s[46:47]
	s_cbranch_execz .LBB161_239
; %bb.238:                              ;   in Loop: Header=BB161_180 Depth=1
	v_add_f64 v[12:13], v[12:13], -v[12:13]
	v_mov_b32_e32 v10, v12
	v_mov_b32_e32 v11, v13
.LBB161_239:                            ;   in Loop: Header=BB161_180 Depth=1
	s_or_b64 exec, exec, s[0:1]
.LBB161_240:                            ;   in Loop: Header=BB161_180 Depth=1
	s_andn2_saveexec_b64 s[38:39], s[38:39]
	s_cbranch_execz .LBB161_256
; %bb.241:                              ;   in Loop: Header=BB161_180 Depth=1
	v_and_or_b32 v19, v11, s42, v10
	v_cmp_ne_u32_e32 vcc, 0, v19
	s_and_saveexec_b64 s[0:1], vcc
	s_xor_b64 s[0:1], exec, s[0:1]
	s_cbranch_execz .LBB161_243
; %bb.242:                              ;   in Loop: Header=BB161_180 Depth=1
	v_mul_f64 v[26:27], v[10:11], v[12:13]
	v_cmp_eq_f64_e32 vcc, 0, v[12:13]
	v_cndmask_b32_e32 v13, v27, v13, vcc
	v_cndmask_b32_e32 v12, v26, v12, vcc
.LBB161_243:                            ;   in Loop: Header=BB161_180 Depth=1
	s_andn2_saveexec_b64 s[46:47], s[0:1]
	s_cbranch_execz .LBB161_255
; %bb.244:                              ;   in Loop: Header=BB161_180 Depth=1
	v_cmp_neq_f64_e64 s[0:1], |v[12:13]|, s[94:95]
	s_and_saveexec_b64 s[48:49], s[0:1]
	s_cbranch_execz .LBB161_254
; %bb.245:                              ;   in Loop: Header=BB161_180 Depth=1
	v_trig_preop_f64 v[36:37], |v[12:13]|, 0
	v_trig_preop_f64 v[34:35], |v[12:13]|, 1
	;; [unrolled: 1-line block ×3, first 2 shown]
	v_cmp_nlt_f64_e64 s[0:1], |v[12:13]|, s[90:91]
	v_ldexp_f64 v[38:39], |v[12:13]|, s35
	v_and_b32_e32 v50, 0x7fffffff, v13
                                        ; implicit-def: $vgpr49
                                        ; implicit-def: $vgpr26_vgpr27
                                        ; implicit-def: $vgpr28_vgpr29
	s_and_saveexec_b64 s[68:69], s[0:1]
	s_xor_b64 s[68:69], exec, s[68:69]
	s_cbranch_execz .LBB161_247
; %bb.246:                              ;   in Loop: Header=BB161_180 Depth=1
	v_cmp_ge_f64_e64 vcc, |v[12:13]|, s[92:93]
	s_mov_b32 s4, s12
	s_mov_b32 s17, s9
	v_cndmask_b32_e32 v27, v50, v39, vcc
	v_cndmask_b32_e32 v26, v12, v38, vcc
	v_mul_f64 v[28:29], v[36:37], v[26:27]
	v_mul_f64 v[32:33], v[34:35], v[26:27]
	;; [unrolled: 1-line block ×3, first 2 shown]
	v_fma_f64 v[40:41], v[36:37], v[26:27], -v[28:29]
	v_fma_f64 v[59:60], v[34:35], v[26:27], -v[32:33]
	;; [unrolled: 1-line block ×3, first 2 shown]
	v_add_f64 v[51:52], v[32:33], v[40:41]
	v_add_f64 v[53:54], v[51:52], -v[32:33]
	v_add_f64 v[61:62], v[28:29], v[51:52]
	v_add_f64 v[55:56], v[51:52], -v[53:54]
	v_add_f64 v[40:41], v[40:41], -v[53:54]
	v_add_f64 v[53:54], v[57:58], v[59:60]
	v_add_f64 v[28:29], v[61:62], -v[28:29]
	v_add_f64 v[32:33], v[32:33], -v[55:56]
	v_ldexp_f64 v[55:56], v[61:62], -2
	v_add_f64 v[63:64], v[53:54], -v[57:58]
	v_add_f64 v[28:29], v[51:52], -v[28:29]
	v_add_f64 v[32:33], v[40:41], v[32:33]
	v_fract_f64_e32 v[40:41], v[55:56]
	v_cmp_neq_f64_e64 vcc, |v[55:56]|, s[94:95]
	v_add_f64 v[59:60], v[59:60], -v[63:64]
	v_add_f64 v[51:52], v[53:54], v[32:33]
	v_ldexp_f64 v[40:41], v[40:41], 2
	v_add_f64 v[55:56], v[28:29], v[51:52]
	v_cndmask_b32_e32 v41, 0, v41, vcc
	v_cndmask_b32_e32 v40, 0, v40, vcc
	v_add_f64 v[65:66], v[51:52], -v[53:54]
	v_add_f64 v[61:62], v[55:56], v[40:41]
	v_add_f64 v[28:29], v[55:56], -v[28:29]
	v_add_f64 v[67:68], v[51:52], -v[65:66]
	;; [unrolled: 1-line block ×3, first 2 shown]
	v_cmp_gt_f64_e32 vcc, 0, v[61:62]
	v_add_f64 v[61:62], v[53:54], -v[63:64]
	v_add_f64 v[28:29], v[51:52], -v[28:29]
	v_add_f64 v[53:54], v[53:54], -v[67:68]
	v_cndmask_b32_e32 v19, 0, v43, vcc
	v_add_f64 v[40:41], v[40:41], v[18:19]
	v_add_f64 v[61:62], v[57:58], -v[61:62]
	v_add_f64 v[32:33], v[32:33], v[53:54]
	v_add_f64 v[69:70], v[55:56], v[40:41]
	;; [unrolled: 1-line block ×3, first 2 shown]
	v_cvt_i32_f64_e32 v49, v[69:70]
	v_add_f64 v[32:33], v[59:60], v[32:33]
	v_cvt_f64_i32_e32 v[63:64], v49
	v_add_f64 v[40:41], v[40:41], -v[63:64]
	v_add_f64 v[26:27], v[26:27], v[32:33]
	v_add_f64 v[53:54], v[55:56], v[40:41]
	;; [unrolled: 1-line block ×3, first 2 shown]
	v_add_f64 v[32:33], v[53:54], -v[40:41]
	v_cmp_le_f64_e32 vcc, 0.5, v[53:54]
	v_add_f64 v[28:29], v[55:56], -v[32:33]
	v_cndmask_b32_e32 v19, 0, v44, vcc
	v_addc_co_u32_e32 v49, vcc, 0, v49, vcc
	v_add_f64 v[26:27], v[26:27], v[28:29]
	v_add_f64 v[28:29], v[53:54], -v[18:19]
	v_add_f64 v[32:33], v[28:29], v[26:27]
	v_mul_f64 v[40:41], v[32:33], s[4:5]
	v_add_f64 v[28:29], v[32:33], -v[28:29]
	v_fma_f64 v[51:52], v[32:33], s[4:5], -v[40:41]
	v_add_f64 v[26:27], v[26:27], -v[28:29]
	v_fma_f64 v[28:29], v[32:33], s[16:17], v[51:52]
	v_fma_f64 v[28:29], v[26:27], s[4:5], v[28:29]
	v_add_f64 v[26:27], v[40:41], v[28:29]
	v_add_f64 v[32:33], v[26:27], -v[40:41]
	v_add_f64 v[28:29], v[28:29], -v[32:33]
	s_andn2_saveexec_b64 s[68:69], s[68:69]
	s_cbranch_execz .LBB161_249
	s_branch .LBB161_248
.LBB161_247:                            ;   in Loop: Header=BB161_180 Depth=1
	s_andn2_saveexec_b64 s[68:69], s[68:69]
	s_cbranch_execz .LBB161_249
.LBB161_248:                            ;   in Loop: Header=BB161_180 Depth=1
	v_mul_f64 v[26:27], |v[12:13]|, s[6:7]
	s_mov_b32 s8, s14
	v_rndne_f64_e32 v[32:33], v[26:27]
	v_fma_f64 v[26:27], v[32:33], s[12:13], |v[12:13]|
	v_mul_f64 v[28:29], v[32:33], s[14:15]
	v_cvt_i32_f64_e32 v49, v[32:33]
	v_fma_f64 v[53:54], v[32:33], s[14:15], v[26:27]
	v_add_f64 v[40:41], v[26:27], v[28:29]
	v_add_f64 v[51:52], v[26:27], -v[40:41]
	v_add_f64 v[40:41], v[40:41], -v[53:54]
	v_add_f64 v[26:27], v[51:52], v[28:29]
	v_fma_f64 v[28:29], v[32:33], s[8:9], v[28:29]
	v_add_f64 v[26:27], v[40:41], v[26:27]
	v_add_f64 v[26:27], v[26:27], -v[28:29]
	v_fma_f64 v[28:29], v[32:33], s[10:11], v[26:27]
	v_add_f64 v[26:27], v[53:54], v[28:29]
	v_add_f64 v[40:41], v[26:27], -v[53:54]
	v_add_f64 v[28:29], v[28:29], -v[40:41]
.LBB161_249:                            ;   in Loop: Header=BB161_180 Depth=1
	s_or_b64 exec, exec, s[68:69]
                                        ; implicit-def: $vgpr19
                                        ; implicit-def: $vgpr32_vgpr33
                                        ; implicit-def: $vgpr40_vgpr41
	s_and_saveexec_b64 s[68:69], s[0:1]
	s_xor_b64 s[0:1], exec, s[68:69]
	s_cbranch_execz .LBB161_251
; %bb.250:                              ;   in Loop: Header=BB161_180 Depth=1
	v_cmp_ge_f64_e64 vcc, |v[12:13]|, s[92:93]
	s_mov_b32 s4, s12
	s_mov_b32 s17, s9
	v_cndmask_b32_e32 v33, v50, v39, vcc
	v_cndmask_b32_e32 v32, v12, v38, vcc
	v_mul_f64 v[38:39], v[36:37], v[32:33]
	v_mul_f64 v[40:41], v[34:35], v[32:33]
	;; [unrolled: 1-line block ×3, first 2 shown]
	v_fma_f64 v[36:37], v[36:37], v[32:33], -v[38:39]
	v_fma_f64 v[34:35], v[34:35], v[32:33], -v[40:41]
	;; [unrolled: 1-line block ×3, first 2 shown]
	v_add_f64 v[50:51], v[40:41], v[36:37]
	v_add_f64 v[52:53], v[50:51], -v[40:41]
	v_add_f64 v[58:59], v[38:39], v[50:51]
	v_add_f64 v[54:55], v[50:51], -v[52:53]
	v_add_f64 v[36:37], v[36:37], -v[52:53]
	v_add_f64 v[52:53], v[56:57], v[34:35]
	v_add_f64 v[38:39], v[58:59], -v[38:39]
	v_add_f64 v[40:41], v[40:41], -v[54:55]
	v_ldexp_f64 v[54:55], v[58:59], -2
	v_add_f64 v[60:61], v[52:53], -v[56:57]
	v_add_f64 v[38:39], v[50:51], -v[38:39]
	v_add_f64 v[36:37], v[36:37], v[40:41]
	v_fract_f64_e32 v[40:41], v[54:55]
	v_cmp_neq_f64_e64 vcc, |v[54:55]|, s[94:95]
	v_add_f64 v[34:35], v[34:35], -v[60:61]
	v_add_f64 v[50:51], v[52:53], v[36:37]
	v_ldexp_f64 v[40:41], v[40:41], 2
	v_add_f64 v[54:55], v[38:39], v[50:51]
	v_cndmask_b32_e32 v41, 0, v41, vcc
	v_cndmask_b32_e32 v40, 0, v40, vcc
	v_add_f64 v[62:63], v[50:51], -v[52:53]
	v_add_f64 v[58:59], v[54:55], v[40:41]
	v_add_f64 v[32:33], v[54:55], -v[38:39]
	v_add_f64 v[64:65], v[50:51], -v[62:63]
	;; [unrolled: 1-line block ×3, first 2 shown]
	v_cmp_gt_f64_e32 vcc, 0, v[58:59]
	v_add_f64 v[58:59], v[52:53], -v[60:61]
	v_add_f64 v[32:33], v[50:51], -v[32:33]
	;; [unrolled: 1-line block ×3, first 2 shown]
	v_cndmask_b32_e32 v19, 0, v43, vcc
	v_add_f64 v[40:41], v[40:41], v[18:19]
	v_add_f64 v[58:59], v[56:57], -v[58:59]
	v_add_f64 v[36:37], v[36:37], v[52:53]
	v_add_f64 v[66:67], v[54:55], v[40:41]
	;; [unrolled: 1-line block ×3, first 2 shown]
	v_cvt_i32_f64_e32 v62, v[66:67]
	v_add_f64 v[34:35], v[34:35], v[36:37]
	v_cvt_f64_i32_e32 v[60:61], v62
	v_add_f64 v[40:41], v[40:41], -v[60:61]
	v_add_f64 v[30:31], v[30:31], v[34:35]
	v_add_f64 v[36:37], v[54:55], v[40:41]
	;; [unrolled: 1-line block ×3, first 2 shown]
	v_add_f64 v[34:35], v[36:37], -v[40:41]
	v_cmp_le_f64_e32 vcc, 0.5, v[36:37]
	v_add_f64 v[32:33], v[54:55], -v[34:35]
	v_cndmask_b32_e32 v19, 0, v44, vcc
	v_add_f64 v[30:31], v[30:31], v[32:33]
	v_add_f64 v[32:33], v[36:37], -v[18:19]
	v_addc_co_u32_e32 v19, vcc, 0, v62, vcc
	v_add_f64 v[34:35], v[32:33], v[30:31]
	v_mul_f64 v[36:37], v[34:35], s[4:5]
	v_add_f64 v[32:33], v[34:35], -v[32:33]
	v_fma_f64 v[38:39], v[34:35], s[4:5], -v[36:37]
	v_add_f64 v[30:31], v[30:31], -v[32:33]
	v_fma_f64 v[32:33], v[34:35], s[16:17], v[38:39]
	v_fma_f64 v[30:31], v[30:31], s[4:5], v[32:33]
	v_add_f64 v[32:33], v[36:37], v[30:31]
	v_add_f64 v[34:35], v[32:33], -v[36:37]
	v_add_f64 v[40:41], v[30:31], -v[34:35]
	s_andn2_saveexec_b64 s[0:1], s[0:1]
	s_cbranch_execnz .LBB161_252
	s_branch .LBB161_253
.LBB161_251:                            ;   in Loop: Header=BB161_180 Depth=1
	s_andn2_saveexec_b64 s[0:1], s[0:1]
	s_cbranch_execz .LBB161_253
.LBB161_252:                            ;   in Loop: Header=BB161_180 Depth=1
	v_mul_f64 v[30:31], |v[12:13]|, s[6:7]
	s_mov_b32 s8, s14
	v_rndne_f64_e32 v[30:31], v[30:31]
	v_fma_f64 v[32:33], v[30:31], s[12:13], |v[12:13]|
	v_mul_f64 v[34:35], v[30:31], s[14:15]
	v_cvt_i32_f64_e32 v19, v[30:31]
	v_fma_f64 v[40:41], v[30:31], s[14:15], v[32:33]
	v_add_f64 v[36:37], v[32:33], v[34:35]
	v_add_f64 v[38:39], v[32:33], -v[36:37]
	v_add_f64 v[36:37], v[36:37], -v[40:41]
	v_add_f64 v[32:33], v[38:39], v[34:35]
	v_fma_f64 v[34:35], v[30:31], s[8:9], v[34:35]
	v_add_f64 v[32:33], v[36:37], v[32:33]
	v_add_f64 v[32:33], v[32:33], -v[34:35]
	v_fma_f64 v[34:35], v[30:31], s[10:11], v[32:33]
	v_add_f64 v[32:33], v[40:41], v[34:35]
	v_add_f64 v[36:37], v[32:33], -v[40:41]
	v_add_f64 v[40:41], v[34:35], -v[36:37]
.LBB161_253:                            ;   in Loop: Header=BB161_180 Depth=1
	s_or_b64 exec, exec, s[0:1]
	v_mul_f64 v[30:31], v[26:27], v[26:27]
	v_mul_f64 v[34:35], v[32:33], v[32:33]
	v_mov_b32_e32 v36, s80
	v_mov_b32_e32 v37, s81
	;; [unrolled: 1-line block ×4, first 2 shown]
	v_mul_f64 v[60:61], v[28:29], 0.5
	v_mul_f64 v[68:69], v[40:41], 0.5
	v_fma_f64 v[38:39], v[30:31], s[82:83], v[36:37]
	v_fma_f64 v[36:37], v[34:35], s[82:83], v[36:37]
	v_fma_f64 v[52:53], v[30:31], s[72:73], v[50:51]
	v_mul_f64 v[54:55], v[30:31], 0.5
	v_fma_f64 v[50:51], v[34:35], s[72:73], v[50:51]
	v_mul_f64 v[56:57], v[34:35], 0.5
	v_mul_f64 v[62:63], v[26:27], -v[30:31]
	v_mul_f64 v[70:71], v[32:33], -v[34:35]
	v_fma_f64 v[38:39], v[30:31], v[38:39], s[84:85]
	v_fma_f64 v[36:37], v[34:35], v[36:37], s[84:85]
	;; [unrolled: 1-line block ×3, first 2 shown]
	v_add_f64 v[58:59], -v[54:55], 1.0
	v_fma_f64 v[50:51], v[34:35], v[50:51], s[74:75]
	v_add_f64 v[64:65], -v[56:57], 1.0
	s_mov_b32 s26, s36
	v_cmp_class_f64_e64 s[0:1], v[12:13], s31
	v_fma_f64 v[38:39], v[30:31], v[38:39], s[86:87]
	v_fma_f64 v[36:37], v[34:35], v[36:37], s[86:87]
	;; [unrolled: 1-line block ×3, first 2 shown]
	v_add_f64 v[66:67], -v[58:59], 1.0
	v_fma_f64 v[50:51], v[34:35], v[50:51], s[76:77]
	v_add_f64 v[72:73], -v[64:65], 1.0
	v_fma_f64 v[38:39], v[30:31], v[38:39], s[24:25]
	v_fma_f64 v[36:37], v[34:35], v[36:37], s[24:25]
	;; [unrolled: 1-line block ×3, first 2 shown]
	v_add_f64 v[54:55], v[66:67], -v[54:55]
	v_fma_f64 v[50:51], v[34:35], v[50:51], s[78:79]
	v_add_f64 v[56:57], v[72:73], -v[56:57]
	v_fma_f64 v[38:39], v[62:63], v[38:39], v[60:61]
	v_fma_f64 v[36:37], v[70:71], v[36:37], v[68:69]
	v_mul_f64 v[60:61], v[30:31], v[30:31]
	v_fma_f64 v[52:53], v[30:31], v[52:53], s[36:37]
	v_fma_f64 v[54:55], v[26:27], -v[28:29], v[54:55]
	v_fma_f64 v[28:29], v[30:31], v[38:39], -v[28:29]
	v_fma_f64 v[36:37], v[34:35], v[36:37], -v[40:41]
	v_mul_f64 v[30:31], v[34:35], v[34:35]
	v_fma_f64 v[34:35], v[34:35], v[50:51], s[36:37]
	v_fma_f64 v[38:39], v[32:33], -v[40:41], v[56:57]
	v_fma_f64 v[40:41], v[60:61], v[52:53], v[54:55]
	v_and_b32_e32 v50, 1, v49
	v_lshlrev_b32_e32 v49, 30, v49
	v_fma_f64 v[28:29], v[62:63], s[26:27], v[28:29]
	v_fma_f64 v[36:37], v[70:71], s[26:27], v[36:37]
	v_cmp_eq_u32_e32 vcc, 0, v50
	v_fma_f64 v[30:31], v[30:31], v[34:35], v[38:39]
	v_add_f64 v[34:35], v[58:59], v[40:41]
	v_and_b32_e32 v38, 1, v19
	v_lshlrev_b32_e32 v19, 30, v19
	v_add_f64 v[26:27], v[26:27], -v[28:29]
	v_add_f64 v[28:29], v[32:33], -v[36:37]
	v_xor_b32_e32 v39, v49, v13
	v_and_b32_e32 v19, 0x80000000, v19
	v_add_f64 v[30:31], v[64:65], v[30:31]
	v_and_b32_e32 v32, 0x80000000, v39
	v_cndmask_b32_e32 v26, v34, v26, vcc
	v_cndmask_b32_e32 v12, v35, v27, vcc
	v_xor_b32_e32 v13, 0x80000000, v29
	v_cmp_eq_u32_e32 vcc, 0, v38
	v_cndmask_b32_e32 v13, v13, v31, vcc
	v_cndmask_b32_e32 v27, v28, v30, vcc
	v_xor_b32_e32 v28, v12, v32
	v_xor_b32_e32 v19, v13, v19
	v_cndmask_b32_e64 v12, 0, v26, s[0:1]
	v_cndmask_b32_e64 v13, v48, v28, s[0:1]
	v_cndmask_b32_e64 v26, 0, v27, s[0:1]
	v_cndmask_b32_e64 v27, v48, v19, s[0:1]
	v_mul_f64 v[12:13], v[12:13], v[26:27]
.LBB161_254:                            ;   in Loop: Header=BB161_180 Depth=1
	s_or_b64 exec, exec, s[48:49]
	v_bfi_b32 v19, s29, 0, v13
	v_mov_b32_e32 v12, v18
	v_add_u32_e32 v11, -2.0, v11
	v_mov_b32_e32 v13, v19
.LBB161_255:                            ;   in Loop: Header=BB161_180 Depth=1
	s_or_b64 exec, exec, s[46:47]
.LBB161_256:                            ;   in Loop: Header=BB161_180 Depth=1
	s_or_b64 exec, exec, s[38:39]
	s_waitcnt vmcnt(0)
	v_and_b32_e32 v19, 0x7fffffff, v7
	v_cmp_gt_u32_e32 vcc, s30, v19
	s_and_saveexec_b64 s[0:1], vcc
	s_xor_b64 s[38:39], exec, s[0:1]
	s_cbranch_execz .LBB161_278
; %bb.257:                              ;   in Loop: Header=BB161_180 Depth=1
	v_cmp_class_f64_e64 s[0:1], v[8:9], s31
	s_and_saveexec_b64 s[46:47], s[0:1]
	s_xor_b64 s[46:47], exec, s[46:47]
	s_cbranch_execz .LBB161_275
; %bb.258:                              ;   in Loop: Header=BB161_180 Depth=1
	v_cmp_gt_u32_e32 vcc, s34, v19
	s_and_saveexec_b64 s[0:1], vcc
	s_xor_b64 s[48:49], exec, s[0:1]
	s_cbranch_execz .LBB161_264
; %bb.259:                              ;   in Loop: Header=BB161_180 Depth=1
	v_cmp_nlt_f64_e64 s[0:1], |v[8:9]|, s[90:91]
                                        ; implicit-def: $vgpr19
                                        ; implicit-def: $vgpr26_vgpr27
                                        ; implicit-def: $vgpr28_vgpr29
	s_and_saveexec_b64 s[68:69], s[0:1]
	s_xor_b64 s[0:1], exec, s[68:69]
	s_cbranch_execz .LBB161_261
; %bb.260:                              ;   in Loop: Header=BB161_180 Depth=1
	v_trig_preop_f64 v[26:27], |v[8:9]|, 0
	v_ldexp_f64 v[28:29], |v[8:9]|, s35
	v_cmp_ge_f64_e64 vcc, |v[8:9]|, s[92:93]
	v_trig_preop_f64 v[30:31], |v[8:9]|, 1
	v_and_b32_e32 v19, 0x7fffffff, v9
	v_trig_preop_f64 v[38:39], |v[8:9]|, 2
	s_mov_b32 s4, s12
	s_mov_b32 s17, s9
	v_cndmask_b32_e32 v29, v19, v29, vcc
	v_cndmask_b32_e32 v28, v8, v28, vcc
	v_mul_f64 v[32:33], v[26:27], v[28:29]
	v_mul_f64 v[34:35], v[30:31], v[28:29]
	;; [unrolled: 1-line block ×3, first 2 shown]
	v_fma_f64 v[26:27], v[26:27], v[28:29], -v[32:33]
	v_fma_f64 v[30:31], v[30:31], v[28:29], -v[34:35]
	;; [unrolled: 1-line block ×3, first 2 shown]
	v_add_f64 v[36:37], v[34:35], v[26:27]
	v_add_f64 v[40:41], v[36:37], -v[34:35]
	v_add_f64 v[53:54], v[32:33], v[36:37]
	v_add_f64 v[49:50], v[36:37], -v[40:41]
	v_add_f64 v[26:27], v[26:27], -v[40:41]
	v_add_f64 v[40:41], v[51:52], v[30:31]
	v_add_f64 v[32:33], v[53:54], -v[32:33]
	v_add_f64 v[34:35], v[34:35], -v[49:50]
	v_ldexp_f64 v[49:50], v[53:54], -2
	v_add_f64 v[55:56], v[40:41], -v[51:52]
	v_add_f64 v[32:33], v[36:37], -v[32:33]
	v_add_f64 v[26:27], v[26:27], v[34:35]
	v_fract_f64_e32 v[34:35], v[49:50]
	v_cmp_neq_f64_e64 vcc, |v[49:50]|, s[94:95]
	v_add_f64 v[30:31], v[30:31], -v[55:56]
	v_add_f64 v[36:37], v[40:41], v[26:27]
	v_ldexp_f64 v[34:35], v[34:35], 2
	v_add_f64 v[49:50], v[32:33], v[36:37]
	v_cndmask_b32_e32 v35, 0, v35, vcc
	v_cndmask_b32_e32 v34, 0, v34, vcc
	v_add_f64 v[57:58], v[36:37], -v[40:41]
	v_add_f64 v[53:54], v[49:50], v[34:35]
	v_add_f64 v[32:33], v[49:50], -v[32:33]
	v_add_f64 v[59:60], v[36:37], -v[57:58]
	;; [unrolled: 1-line block ×3, first 2 shown]
	v_cmp_gt_f64_e32 vcc, 0, v[53:54]
	v_add_f64 v[53:54], v[40:41], -v[55:56]
	v_add_f64 v[32:33], v[36:37], -v[32:33]
	;; [unrolled: 1-line block ×3, first 2 shown]
	v_cndmask_b32_e32 v19, 0, v43, vcc
	v_add_f64 v[34:35], v[34:35], v[18:19]
	v_add_f64 v[53:54], v[51:52], -v[53:54]
	v_add_f64 v[26:27], v[26:27], v[40:41]
	v_add_f64 v[61:62], v[49:50], v[34:35]
	;; [unrolled: 1-line block ×3, first 2 shown]
	v_cvt_i32_f64_e32 v57, v[61:62]
	v_add_f64 v[26:27], v[30:31], v[26:27]
	v_cvt_f64_i32_e32 v[55:56], v57
	v_add_f64 v[34:35], v[34:35], -v[55:56]
	v_add_f64 v[26:27], v[28:29], v[26:27]
	v_add_f64 v[30:31], v[49:50], v[34:35]
	v_add_f64 v[26:27], v[32:33], v[26:27]
	v_add_f64 v[28:29], v[30:31], -v[34:35]
	v_cmp_le_f64_e32 vcc, 0.5, v[30:31]
	v_add_f64 v[28:29], v[49:50], -v[28:29]
	v_cndmask_b32_e32 v19, 0, v44, vcc
	v_add_f64 v[26:27], v[26:27], v[28:29]
	v_add_f64 v[28:29], v[30:31], -v[18:19]
	v_addc_co_u32_e32 v19, vcc, 0, v57, vcc
	v_add_f64 v[30:31], v[28:29], v[26:27]
	v_mul_f64 v[32:33], v[30:31], s[4:5]
	v_add_f64 v[28:29], v[30:31], -v[28:29]
	v_fma_f64 v[34:35], v[30:31], s[4:5], -v[32:33]
	v_add_f64 v[26:27], v[26:27], -v[28:29]
	v_fma_f64 v[28:29], v[30:31], s[16:17], v[34:35]
	v_fma_f64 v[28:29], v[26:27], s[4:5], v[28:29]
	v_add_f64 v[26:27], v[32:33], v[28:29]
	v_add_f64 v[30:31], v[26:27], -v[32:33]
	v_add_f64 v[28:29], v[28:29], -v[30:31]
.LBB161_261:                            ;   in Loop: Header=BB161_180 Depth=1
	s_andn2_saveexec_b64 s[0:1], s[0:1]
	s_cbranch_execz .LBB161_263
; %bb.262:                              ;   in Loop: Header=BB161_180 Depth=1
	v_mul_f64 v[26:27], |v[8:9]|, s[6:7]
	s_mov_b32 s8, s14
	v_rndne_f64_e32 v[30:31], v[26:27]
	v_fma_f64 v[26:27], v[30:31], s[12:13], |v[8:9]|
	v_mul_f64 v[28:29], v[30:31], s[14:15]
	v_cvt_i32_f64_e32 v19, v[30:31]
	v_fma_f64 v[36:37], v[30:31], s[14:15], v[26:27]
	v_add_f64 v[32:33], v[26:27], v[28:29]
	v_add_f64 v[34:35], v[26:27], -v[32:33]
	v_add_f64 v[32:33], v[32:33], -v[36:37]
	v_add_f64 v[26:27], v[34:35], v[28:29]
	v_fma_f64 v[28:29], v[30:31], s[8:9], v[28:29]
	v_add_f64 v[26:27], v[32:33], v[26:27]
	v_add_f64 v[26:27], v[26:27], -v[28:29]
	v_fma_f64 v[28:29], v[30:31], s[10:11], v[26:27]
	v_add_f64 v[26:27], v[36:37], v[28:29]
	v_add_f64 v[32:33], v[26:27], -v[36:37]
	v_add_f64 v[28:29], v[28:29], -v[32:33]
.LBB161_263:                            ;   in Loop: Header=BB161_180 Depth=1
	s_or_b64 exec, exec, s[0:1]
	v_add_f64 v[30:31], |v[6:7]|, s[22:23]
	s_mov_b32 s40, s22
	s_mov_b32 s0, 0x3b39803f
	;; [unrolled: 1-line block ×7, first 2 shown]
	v_add_f64 v[32:33], v[30:31], -|v[6:7]|
	v_and_b32_e32 v19, 1, v19
	v_add_f64 v[34:35], v[32:33], -v[30:31]
	v_add_f64 v[32:33], v[32:33], s[40:41]
	v_add_f64 v[34:35], |v[6:7]|, v[34:35]
	v_add_f64 v[32:33], v[34:35], -v[32:33]
	v_add_f64 v[32:33], v[32:33], s[0:1]
	s_mov_b32 s0, 0xf278e000
	s_mov_b32 s1, 0xbd53de6a
	v_add_f64 v[34:35], v[30:31], v[32:33]
	v_mul_f64 v[36:37], v[34:35], s[44:45]
	v_add_f64 v[30:31], v[30:31], -v[34:35]
	v_rndne_f64_e32 v[36:37], v[36:37]
	v_add_f64 v[30:31], v[32:33], v[30:31]
	v_fma_f64 v[32:33], v[36:37], s[18:19], v[34:35]
	v_mul_f64 v[34:35], v[36:37], s[0:1]
	s_mov_b32 s0, 0xf97b57a0
	s_mov_b32 s1, 0xbac9cc01
	v_cvt_i32_f64_e32 v8, v[36:37]
	v_add_f64 v[38:39], v[30:31], v[32:33]
	v_add_f64 v[40:41], v[38:39], v[34:35]
	v_add_f64 v[32:33], v[32:33], -v[38:39]
	v_add_f64 v[38:39], v[38:39], -v[40:41]
	v_add_f64 v[30:31], v[30:31], v[32:33]
	v_add_f64 v[32:33], v[38:39], v[34:35]
	;; [unrolled: 1-line block ×3, first 2 shown]
	v_mul_f64 v[32:33], v[36:37], s[0:1]
	s_mov_b32 s0, 0xc751c08c
	s_mov_b32 s1, 0x3ef5e089
	v_add_f64 v[34:35], v[40:41], v[30:31]
	v_add_f64 v[38:39], v[34:35], v[32:33]
	v_add_f64 v[40:41], v[40:41], -v[34:35]
	v_add_f64 v[34:35], v[34:35], -v[38:39]
	v_add_f64 v[30:31], v[30:31], v[40:41]
	v_add_f64 v[32:33], v[34:35], v[32:33]
	;; [unrolled: 1-line block ×4, first 2 shown]
	v_fma_f64 v[34:35], v[32:33], s[50:51], v[24:25]
	v_add_f64 v[38:39], v[38:39], -v[32:33]
	v_mul_f64 v[40:41], v[32:33], v[32:33]
	v_fma_f64 v[34:35], v[32:33], v[34:35], s[52:53]
	v_add_f64 v[30:31], v[30:31], v[38:39]
	v_fma_f64 v[38:39], v[32:33], v[32:33], -v[40:41]
	v_fma_f64 v[34:35], v[32:33], v[34:35], s[54:55]
	v_add_f64 v[49:50], v[30:31], v[30:31]
	v_fma_f64 v[34:35], v[32:33], v[34:35], s[56:57]
	v_fma_f64 v[38:39], v[32:33], v[49:50], v[38:39]
	;; [unrolled: 1-line block ×3, first 2 shown]
	v_add_f64 v[49:50], v[40:41], v[38:39]
	v_fma_f64 v[34:35], v[32:33], v[34:35], s[60:61]
	v_add_f64 v[40:41], v[49:50], -v[40:41]
	v_fma_f64 v[34:35], v[32:33], v[34:35], s[62:63]
	v_add_f64 v[38:39], v[38:39], -v[40:41]
	v_fma_f64 v[34:35], v[32:33], v[34:35], s[64:65]
	v_fma_f64 v[34:35], v[32:33], v[34:35], s[66:67]
	v_mul_f64 v[51:52], v[49:50], v[34:35]
	v_fma_f64 v[40:41], v[49:50], v[34:35], -v[51:52]
	v_fma_f64 v[34:35], v[38:39], v[34:35], v[40:41]
	v_add_f64 v[38:39], v[51:52], v[34:35]
	v_add_f64 v[40:41], v[32:33], v[38:39]
	v_add_f64 v[49:50], v[38:39], -v[51:52]
	v_add_f64 v[32:33], v[40:41], -v[32:33]
	;; [unrolled: 1-line block ×3, first 2 shown]
	v_add_f64 v[49:50], v[28:29], v[28:29]
	v_add_f64 v[32:33], v[38:39], -v[32:33]
	v_add_f64 v[30:31], v[30:31], v[34:35]
	v_add_f64 v[30:31], v[30:31], v[32:33]
	;; [unrolled: 1-line block ×3, first 2 shown]
	v_add_f64 v[34:35], v[32:33], 1.0
	v_add_f64 v[38:39], v[32:33], -v[40:41]
	v_add_f64 v[40:41], v[34:35], -1.0
	v_add_f64 v[30:31], v[30:31], -v[38:39]
	v_add_f64 v[32:33], v[32:33], -v[40:41]
	v_add_f64 v[30:31], v[30:31], v[32:33]
	v_add_f64 v[32:33], v[34:35], v[30:31]
	v_ldexp_f64 v[36:37], v[32:33], v8
	v_add_f64 v[32:33], v[32:33], -v[34:35]
	v_rcp_f64_e32 v[38:39], v[36:37]
	v_add_f64 v[30:31], v[30:31], -v[32:33]
	v_ldexp_f64 v[30:31], v[30:31], v8
	v_fma_f64 v[40:41], -v[36:37], v[38:39], 1.0
	v_fma_f64 v[38:39], v[40:41], v[38:39], v[38:39]
	v_fma_f64 v[40:41], -v[36:37], v[38:39], 1.0
	v_fma_f64 v[34:35], v[40:41], v[38:39], v[38:39]
	v_mul_f64 v[38:39], v[26:27], v[26:27]
	v_mul_f64 v[32:33], v[36:37], v[34:35]
	v_fma_f64 v[51:52], v[26:27], v[26:27], -v[38:39]
	v_fma_f64 v[40:41], v[34:35], v[36:37], -v[32:33]
	v_fma_f64 v[49:50], v[26:27], v[49:50], v[51:52]
	v_fma_f64 v[40:41], v[34:35], v[30:31], v[40:41]
	v_add_f64 v[38:39], v[38:39], v[49:50]
	v_add_f64 v[51:52], v[32:33], v[40:41]
	v_fma_f64 v[53:54], v[38:39], s[0:1], v[22:23]
	s_mov_b32 s0, 0x90a8aae0
	s_mov_b32 s1, 0x3f17746f
	v_add_f64 v[49:50], -v[51:52], 1.0
	v_add_f64 v[32:33], v[51:52], -v[32:33]
	v_fma_f64 v[53:54], v[38:39], v[53:54], s[0:1]
	s_mov_b32 s0, 0xa6fbf144
	s_mov_b32 s1, 0xbefbb44d
	v_add_f64 v[55:56], -v[49:50], 1.0
	v_add_f64 v[32:33], v[32:33], -v[40:41]
	v_add_f64 v[40:41], v[55:56], -v[51:52]
	v_fma_f64 v[51:52], v[38:39], v[53:54], s[0:1]
	s_mov_b32 s0, 0xa7943acf
	s_mov_b32 s1, 0x3f21e634
	v_add_f64 v[32:33], v[32:33], v[40:41]
	v_fma_f64 v[40:41], v[38:39], v[51:52], s[0:1]
	s_mov_b32 s0, 0xdeb68feb
	s_mov_b32 s1, 0x3f2d250f
	v_add_f64 v[51:52], v[49:50], v[32:33]
	v_fma_f64 v[40:41], v[38:39], v[40:41], s[0:1]
	s_mov_b32 s0, 0xb58c4d95
	s_mov_b32 s1, 0x3f437fd9
	v_mul_f64 v[53:54], v[34:35], v[51:52]
	v_fma_f64 v[40:41], v[38:39], v[40:41], s[0:1]
	s_mov_b32 s0, 0x15120e2c
	s_mov_b32 s1, 0x3f57d5af
	v_add_f64 v[49:50], v[49:50], -v[51:52]
	v_mul_f64 v[55:56], v[36:37], v[53:54]
	v_fma_f64 v[40:41], v[38:39], v[40:41], s[0:1]
	s_mov_b32 s0, 0xe09491df
	s_mov_b32 s1, 0x3f6d6d93
	v_add_f64 v[32:33], v[32:33], v[49:50]
	v_fma_f64 v[57:58], v[53:54], v[36:37], -v[55:56]
	v_fma_f64 v[40:41], v[38:39], v[40:41], s[0:1]
	s_mov_b32 s0, 0x2033784d
	s_mov_b32 s1, 0x3f8226e1
	v_fma_f64 v[57:58], v[53:54], v[30:31], v[57:58]
	v_fma_f64 v[40:41], v[38:39], v[40:41], s[0:1]
	s_mov_b32 s0, 0x9ac36ae2
	s_mov_b32 s1, 0x3f9664f4
	v_add_f64 v[59:60], v[55:56], v[57:58]
	v_fma_f64 v[40:41], v[38:39], v[40:41], s[0:1]
	s_mov_b32 s0, 0x1b451c21
	s_mov_b32 s1, 0x3faba1ba
	v_add_f64 v[61:62], v[51:52], -v[59:60]
	v_fma_f64 v[40:41], v[38:39], v[40:41], s[0:1]
	s_mov_b32 s0, 0x111185b7
	s_mov_b32 s1, 0x3fc11111
	v_add_f64 v[49:50], v[59:60], -v[55:56]
	v_add_f64 v[51:52], v[51:52], -v[61:62]
	v_fma_f64 v[40:41], v[38:39], v[40:41], s[0:1]
	s_mov_b32 s0, 0x555554ee
	s_mov_b32 s1, 0x3fd55555
	v_add_f64 v[49:50], v[49:50], -v[57:58]
	v_add_f64 v[51:52], v[51:52], -v[59:60]
	v_fma_f64 v[40:41], v[38:39], v[40:41], s[0:1]
	s_mov_b32 s0, 0x8fb9f87e
	s_mov_b32 s1, 0x408633ce
	v_cmp_nge_f64_e64 vcc, |v[6:7]|, s[0:1]
	s_mov_b32 s0, 0
	s_mov_b32 s1, 0x3e400000
	v_add_f64 v[32:33], v[32:33], v[51:52]
	v_mul_f64 v[38:39], v[38:39], v[40:41]
	v_add_f64 v[40:41], v[34:35], v[53:54]
	v_add_f64 v[32:33], v[49:50], v[32:33]
	v_mul_f64 v[49:50], v[26:27], v[38:39]
	v_add_f64 v[51:52], v[40:41], -v[34:35]
	v_add_f64 v[32:33], v[61:62], v[32:33]
	v_add_f64 v[55:56], v[26:27], v[49:50]
	v_add_f64 v[51:52], v[53:54], -v[51:52]
	v_mul_f64 v[32:33], v[34:35], v[32:33]
	v_fma_f64 v[34:35], v[26:27], v[38:39], -v[49:50]
	v_add_f64 v[26:27], v[55:56], -v[26:27]
	v_add_f64 v[32:33], v[51:52], v[32:33]
	v_add_f64 v[28:29], v[28:29], v[34:35]
	v_add_f64 v[26:27], v[49:50], -v[26:27]
	v_add_f64 v[34:35], v[40:41], v[32:33]
	v_add_f64 v[26:27], v[28:29], v[26:27]
	v_ldexp_f64 v[28:29], v[34:35], -2
	v_add_f64 v[34:35], v[34:35], -v[40:41]
	v_add_f64 v[38:39], v[55:56], v[26:27]
	v_add_f64 v[49:50], v[36:37], -v[28:29]
	v_add_f64 v[32:33], v[32:33], -v[34:35]
	v_rcp_f64_e32 v[51:52], v[38:39]
	v_add_f64 v[36:37], v[36:37], -v[49:50]
	v_ldexp_f64 v[32:33], v[32:33], -2
	v_add_f64 v[28:29], v[36:37], -v[28:29]
	v_fma_f64 v[34:35], -v[38:39], v[51:52], 1.0
	v_add_f64 v[28:29], v[30:31], v[28:29]
	v_fma_f64 v[30:31], v[34:35], v[51:52], v[51:52]
	v_and_b32_e32 v35, 0x7fffffff, v7
	v_add_f64 v[28:29], v[28:29], -v[32:33]
	v_fma_f64 v[32:33], -v[38:39], v[30:31], 1.0
	v_add_f64 v[28:29], v[49:50], v[28:29]
	v_fma_f64 v[30:31], v[32:33], v[30:31], v[30:31]
	v_cndmask_b32_e32 v8, v45, v29, vcc
	v_cndmask_b32_e32 v34, 0, v28, vcc
	v_cmp_lt_f64_e64 vcc, |v[6:7]|, s[0:1]
	v_add_f64 v[28:29], v[38:39], -v[55:56]
	v_mul_f64 v[32:33], v[38:39], v[30:31]
	s_mov_b32 s0, 0
	s_brev_b32 s1, 8
	v_cndmask_b32_e32 v8, v8, v35, vcc
	v_cndmask_b32_e32 v6, v34, v6, vcc
	v_bfi_b32 v7, s29, v8, v7
	v_fma_f64 v[34:35], v[6:7], v[6:7], 1.0
	v_add_f64 v[26:27], v[26:27], -v[28:29]
	v_fma_f64 v[28:29], v[30:31], v[38:39], -v[32:33]
	v_cmp_gt_f64_e32 vcc, s[0:1], v[34:35]
	v_cmp_eq_u32_e64 s[0:1], 0, v19
	v_fma_f64 v[26:27], v[30:31], v[26:27], v[28:29]
	v_cndmask_b32_e32 v8, 0, v46, vcc
	v_ldexp_f64 v[34:35], v[34:35], v8
	v_add_f64 v[36:37], v[32:33], v[26:27]
	v_rsq_f64_e32 v[28:29], v[34:35]
	v_add_f64 v[40:41], -v[36:37], 1.0
	v_add_f64 v[32:33], v[36:37], -v[32:33]
	v_add_f64 v[51:52], -v[40:41], 1.0
	v_add_f64 v[26:27], v[32:33], -v[26:27]
	v_mul_f64 v[49:50], v[34:35], v[28:29]
	v_mul_f64 v[28:29], v[28:29], 0.5
	v_add_f64 v[36:37], v[51:52], -v[36:37]
	v_fma_f64 v[32:33], -v[28:29], v[49:50], 0.5
	v_add_f64 v[26:27], v[26:27], v[36:37]
	v_fma_f64 v[49:50], v[49:50], v[32:33], v[49:50]
	v_fma_f64 v[28:29], v[28:29], v[32:33], v[28:29]
	v_add_f64 v[26:27], v[40:41], v[26:27]
	v_fma_f64 v[32:33], -v[49:50], v[49:50], v[34:35]
	v_mul_f64 v[26:27], v[30:31], v[26:27]
	v_fma_f64 v[32:33], v[32:33], v[28:29], v[49:50]
	v_add_f64 v[26:27], v[30:31], v[26:27]
	v_and_b32_e32 v30, 0x80000000, v9
	v_fma_f64 v[36:37], -v[32:33], v[32:33], v[34:35]
	v_xor_b32_e32 v27, 0x80000000, v27
	v_cndmask_b32_e64 v19, v27, v39, s[0:1]
	v_xor_b32_e32 v27, v19, v30
	v_cndmask_b32_e32 v19, 0, v47, vcc
	v_cndmask_b32_e64 v26, v26, v38, s[0:1]
	v_cmp_class_f64_e32 vcc, v[34:35], v42
	v_fma_f64 v[8:9], v[36:37], v[28:29], v[32:33]
	v_fma_f64 v[28:29], v[26:27], v[26:27], 1.0
	v_ldexp_f64 v[8:9], v[8:9], v19
	v_mul_f64 v[30:31], v[6:7], v[28:29]
	v_cndmask_b32_e32 v9, v9, v35, vcc
	v_cndmask_b32_e32 v8, v8, v34, vcc
	v_mul_f64 v[8:9], v[8:9], v[28:29]
	v_fma_f64 v[28:29], v[6:7], v[30:31], 1.0
	v_mul_f64 v[6:7], v[6:7], v[8:9]
	v_div_scale_f64 v[30:31], s[0:1], v[28:29], v[28:29], v[26:27]
	v_div_scale_f64 v[8:9], s[0:1], v[28:29], v[28:29], v[6:7]
	;; [unrolled: 1-line block ×3, first 2 shown]
	v_rcp_f64_e32 v[34:35], v[30:31]
	v_rcp_f64_e32 v[32:33], v[8:9]
	v_fma_f64 v[38:39], -v[30:31], v[34:35], 1.0
	v_fma_f64 v[36:37], -v[8:9], v[32:33], 1.0
	v_fma_f64 v[34:35], v[34:35], v[38:39], v[34:35]
	v_fma_f64 v[32:33], v[32:33], v[36:37], v[32:33]
	v_div_scale_f64 v[36:37], vcc, v[6:7], v[28:29], v[6:7]
	v_fma_f64 v[49:50], -v[30:31], v[34:35], 1.0
	v_fma_f64 v[38:39], -v[8:9], v[32:33], 1.0
	v_fma_f64 v[34:35], v[34:35], v[49:50], v[34:35]
	v_fma_f64 v[32:33], v[32:33], v[38:39], v[32:33]
	v_mul_f64 v[49:50], v[40:41], v[34:35]
	v_mul_f64 v[38:39], v[36:37], v[32:33]
	v_fma_f64 v[30:31], -v[30:31], v[49:50], v[40:41]
	v_fma_f64 v[8:9], -v[8:9], v[38:39], v[36:37]
	v_div_fmas_f64 v[8:9], v[8:9], v[32:33], v[38:39]
	s_mov_b64 vcc, s[0:1]
	v_div_fmas_f64 v[30:31], v[30:31], v[34:35], v[49:50]
	v_div_fixup_f64 v[6:7], v[8:9], v[28:29], v[6:7]
	v_div_fixup_f64 v[8:9], v[30:31], v[28:29], v[26:27]
.LBB161_264:                            ;   in Loop: Header=BB161_180 Depth=1
	s_andn2_saveexec_b64 s[0:1], s[48:49]
	s_cbranch_execz .LBB161_274
; %bb.265:                              ;   in Loop: Header=BB161_180 Depth=1
	v_cmp_nlt_f64_e64 s[48:49], |v[8:9]|, s[90:91]
                                        ; implicit-def: $vgpr34
                                        ; implicit-def: $vgpr26_vgpr27
                                        ; implicit-def: $vgpr28_vgpr29
	s_and_saveexec_b64 s[68:69], s[48:49]
	s_xor_b64 s[68:69], exec, s[68:69]
	s_cbranch_execz .LBB161_267
; %bb.266:                              ;   in Loop: Header=BB161_180 Depth=1
	v_trig_preop_f64 v[26:27], |v[8:9]|, 0
	v_ldexp_f64 v[28:29], |v[8:9]|, s35
	v_cmp_ge_f64_e64 vcc, |v[8:9]|, s[92:93]
	v_trig_preop_f64 v[30:31], |v[8:9]|, 1
	v_and_b32_e32 v19, 0x7fffffff, v9
	v_trig_preop_f64 v[38:39], |v[8:9]|, 2
	s_mov_b32 s4, s12
	s_mov_b32 s17, s9
	v_cndmask_b32_e32 v29, v19, v29, vcc
	v_cndmask_b32_e32 v28, v8, v28, vcc
	v_mul_f64 v[32:33], v[26:27], v[28:29]
	v_mul_f64 v[34:35], v[30:31], v[28:29]
	;; [unrolled: 1-line block ×3, first 2 shown]
	v_fma_f64 v[26:27], v[26:27], v[28:29], -v[32:33]
	v_fma_f64 v[30:31], v[30:31], v[28:29], -v[34:35]
	v_fma_f64 v[28:29], v[38:39], v[28:29], -v[51:52]
	v_add_f64 v[36:37], v[34:35], v[26:27]
	v_add_f64 v[40:41], v[36:37], -v[34:35]
	v_add_f64 v[53:54], v[32:33], v[36:37]
	v_add_f64 v[49:50], v[36:37], -v[40:41]
	v_add_f64 v[26:27], v[26:27], -v[40:41]
	v_add_f64 v[40:41], v[51:52], v[30:31]
	v_add_f64 v[32:33], v[53:54], -v[32:33]
	v_add_f64 v[34:35], v[34:35], -v[49:50]
	v_ldexp_f64 v[49:50], v[53:54], -2
	v_add_f64 v[55:56], v[40:41], -v[51:52]
	v_add_f64 v[32:33], v[36:37], -v[32:33]
	v_add_f64 v[26:27], v[26:27], v[34:35]
	v_fract_f64_e32 v[34:35], v[49:50]
	v_cmp_neq_f64_e64 vcc, |v[49:50]|, s[94:95]
	v_add_f64 v[30:31], v[30:31], -v[55:56]
	v_add_f64 v[36:37], v[40:41], v[26:27]
	v_ldexp_f64 v[34:35], v[34:35], 2
	v_add_f64 v[49:50], v[32:33], v[36:37]
	v_cndmask_b32_e32 v35, 0, v35, vcc
	v_cndmask_b32_e32 v34, 0, v34, vcc
	v_add_f64 v[57:58], v[36:37], -v[40:41]
	v_add_f64 v[53:54], v[49:50], v[34:35]
	v_add_f64 v[32:33], v[49:50], -v[32:33]
	v_add_f64 v[59:60], v[36:37], -v[57:58]
	;; [unrolled: 1-line block ×3, first 2 shown]
	v_cmp_gt_f64_e32 vcc, 0, v[53:54]
	v_add_f64 v[53:54], v[40:41], -v[55:56]
	v_add_f64 v[32:33], v[36:37], -v[32:33]
	;; [unrolled: 1-line block ×3, first 2 shown]
	v_cndmask_b32_e32 v19, 0, v43, vcc
	v_add_f64 v[34:35], v[34:35], v[18:19]
	v_add_f64 v[53:54], v[51:52], -v[53:54]
	v_add_f64 v[26:27], v[26:27], v[40:41]
	v_add_f64 v[61:62], v[49:50], v[34:35]
	;; [unrolled: 1-line block ×3, first 2 shown]
	v_cvt_i32_f64_e32 v57, v[61:62]
	v_add_f64 v[26:27], v[30:31], v[26:27]
	v_cvt_f64_i32_e32 v[55:56], v57
	v_add_f64 v[34:35], v[34:35], -v[55:56]
	v_add_f64 v[26:27], v[28:29], v[26:27]
	v_add_f64 v[30:31], v[49:50], v[34:35]
	v_add_f64 v[26:27], v[32:33], v[26:27]
	v_add_f64 v[28:29], v[30:31], -v[34:35]
	v_cmp_le_f64_e32 vcc, 0.5, v[30:31]
	v_add_f64 v[28:29], v[49:50], -v[28:29]
	v_cndmask_b32_e32 v19, 0, v44, vcc
	v_add_f64 v[26:27], v[26:27], v[28:29]
	v_add_f64 v[28:29], v[30:31], -v[18:19]
	v_add_f64 v[30:31], v[28:29], v[26:27]
	v_mul_f64 v[32:33], v[30:31], s[4:5]
	v_add_f64 v[28:29], v[30:31], -v[28:29]
	v_fma_f64 v[34:35], v[30:31], s[4:5], -v[32:33]
	v_add_f64 v[26:27], v[26:27], -v[28:29]
	v_fma_f64 v[28:29], v[30:31], s[16:17], v[34:35]
	v_addc_co_u32_e32 v34, vcc, 0, v57, vcc
	v_fma_f64 v[28:29], v[26:27], s[4:5], v[28:29]
	v_add_f64 v[26:27], v[32:33], v[28:29]
	v_add_f64 v[30:31], v[26:27], -v[32:33]
	v_add_f64 v[28:29], v[28:29], -v[30:31]
	s_andn2_saveexec_b64 s[68:69], s[68:69]
	s_cbranch_execz .LBB161_269
	s_branch .LBB161_268
.LBB161_267:                            ;   in Loop: Header=BB161_180 Depth=1
	s_andn2_saveexec_b64 s[68:69], s[68:69]
	s_cbranch_execz .LBB161_269
.LBB161_268:                            ;   in Loop: Header=BB161_180 Depth=1
	v_mul_f64 v[26:27], |v[8:9]|, s[6:7]
	s_mov_b32 s8, s14
	v_rndne_f64_e32 v[30:31], v[26:27]
	v_fma_f64 v[26:27], v[30:31], s[12:13], |v[8:9]|
	v_mul_f64 v[28:29], v[30:31], s[14:15]
	v_fma_f64 v[36:37], v[30:31], s[14:15], v[26:27]
	v_add_f64 v[32:33], v[26:27], v[28:29]
	v_add_f64 v[34:35], v[26:27], -v[32:33]
	v_add_f64 v[32:33], v[32:33], -v[36:37]
	v_add_f64 v[26:27], v[34:35], v[28:29]
	v_fma_f64 v[28:29], v[30:31], s[8:9], v[28:29]
	v_cvt_i32_f64_e32 v34, v[30:31]
	v_add_f64 v[26:27], v[32:33], v[26:27]
	v_add_f64 v[26:27], v[26:27], -v[28:29]
	v_fma_f64 v[28:29], v[30:31], s[10:11], v[26:27]
	v_add_f64 v[26:27], v[36:37], v[28:29]
	v_add_f64 v[32:33], v[26:27], -v[36:37]
	v_add_f64 v[28:29], v[28:29], -v[32:33]
.LBB161_269:                            ;   in Loop: Header=BB161_180 Depth=1
	s_or_b64 exec, exec, s[68:69]
                                        ; implicit-def: $vgpr19
                                        ; implicit-def: $vgpr30_vgpr31
                                        ; implicit-def: $vgpr32_vgpr33
	s_and_saveexec_b64 s[68:69], s[48:49]
	s_xor_b64 s[48:49], exec, s[68:69]
	s_cbranch_execz .LBB161_271
; %bb.270:                              ;   in Loop: Header=BB161_180 Depth=1
	v_trig_preop_f64 v[30:31], |v[8:9]|, 0
	v_ldexp_f64 v[32:33], |v[8:9]|, s35
	v_cmp_ge_f64_e64 vcc, |v[8:9]|, s[92:93]
	v_trig_preop_f64 v[35:36], |v[8:9]|, 1
	v_and_b32_e32 v19, 0x7fffffff, v9
	v_trig_preop_f64 v[51:52], |v[8:9]|, 2
	s_mov_b32 s4, s12
	s_mov_b32 s17, s9
	v_cndmask_b32_e32 v33, v19, v33, vcc
	v_cndmask_b32_e32 v32, v8, v32, vcc
	v_mul_f64 v[37:38], v[30:31], v[32:33]
	v_mul_f64 v[39:40], v[35:36], v[32:33]
	;; [unrolled: 1-line block ×3, first 2 shown]
	v_fma_f64 v[30:31], v[30:31], v[32:33], -v[37:38]
	v_fma_f64 v[35:36], v[35:36], v[32:33], -v[39:40]
	;; [unrolled: 1-line block ×3, first 2 shown]
	v_add_f64 v[49:50], v[39:40], v[30:31]
	v_add_f64 v[53:54], v[49:50], -v[39:40]
	v_add_f64 v[59:60], v[37:38], v[49:50]
	v_add_f64 v[55:56], v[49:50], -v[53:54]
	v_add_f64 v[30:31], v[30:31], -v[53:54]
	v_add_f64 v[53:54], v[57:58], v[35:36]
	v_add_f64 v[37:38], v[59:60], -v[37:38]
	v_add_f64 v[39:40], v[39:40], -v[55:56]
	v_ldexp_f64 v[55:56], v[59:60], -2
	v_add_f64 v[61:62], v[53:54], -v[57:58]
	v_add_f64 v[37:38], v[49:50], -v[37:38]
	v_add_f64 v[30:31], v[30:31], v[39:40]
	v_fract_f64_e32 v[39:40], v[55:56]
	v_cmp_neq_f64_e64 vcc, |v[55:56]|, s[94:95]
	v_add_f64 v[35:36], v[35:36], -v[61:62]
	v_add_f64 v[49:50], v[53:54], v[30:31]
	v_ldexp_f64 v[39:40], v[39:40], 2
	v_add_f64 v[55:56], v[37:38], v[49:50]
	v_cndmask_b32_e32 v40, 0, v40, vcc
	v_cndmask_b32_e32 v39, 0, v39, vcc
	v_add_f64 v[63:64], v[49:50], -v[53:54]
	v_add_f64 v[59:60], v[55:56], v[39:40]
	v_add_f64 v[37:38], v[55:56], -v[37:38]
	v_add_f64 v[65:66], v[49:50], -v[63:64]
	;; [unrolled: 1-line block ×3, first 2 shown]
	v_cmp_gt_f64_e32 vcc, 0, v[59:60]
	v_add_f64 v[59:60], v[53:54], -v[61:62]
	v_add_f64 v[37:38], v[49:50], -v[37:38]
	;; [unrolled: 1-line block ×3, first 2 shown]
	v_cndmask_b32_e32 v19, 0, v43, vcc
	v_add_f64 v[39:40], v[39:40], v[18:19]
	v_add_f64 v[59:60], v[57:58], -v[59:60]
	v_add_f64 v[30:31], v[30:31], v[53:54]
	v_add_f64 v[67:68], v[55:56], v[39:40]
	;; [unrolled: 1-line block ×3, first 2 shown]
	v_cvt_i32_f64_e32 v41, v[67:68]
	v_add_f64 v[30:31], v[35:36], v[30:31]
	v_cvt_f64_i32_e32 v[61:62], v41
	v_add_f64 v[39:40], v[39:40], -v[61:62]
	v_add_f64 v[30:31], v[32:33], v[30:31]
	v_add_f64 v[35:36], v[55:56], v[39:40]
	;; [unrolled: 1-line block ×3, first 2 shown]
	v_add_f64 v[32:33], v[35:36], -v[39:40]
	v_cmp_le_f64_e32 vcc, 0.5, v[35:36]
	v_add_f64 v[32:33], v[55:56], -v[32:33]
	v_cndmask_b32_e32 v19, 0, v44, vcc
	v_add_f64 v[30:31], v[30:31], v[32:33]
	v_add_f64 v[32:33], v[35:36], -v[18:19]
	v_addc_co_u32_e32 v19, vcc, 0, v41, vcc
	v_add_f64 v[35:36], v[32:33], v[30:31]
	v_mul_f64 v[37:38], v[35:36], s[4:5]
	v_add_f64 v[32:33], v[35:36], -v[32:33]
	v_fma_f64 v[39:40], v[35:36], s[4:5], -v[37:38]
	v_add_f64 v[30:31], v[30:31], -v[32:33]
	v_fma_f64 v[32:33], v[35:36], s[16:17], v[39:40]
	v_fma_f64 v[32:33], v[30:31], s[4:5], v[32:33]
	v_add_f64 v[30:31], v[37:38], v[32:33]
	v_add_f64 v[35:36], v[30:31], -v[37:38]
	v_add_f64 v[32:33], v[32:33], -v[35:36]
	s_andn2_saveexec_b64 s[48:49], s[48:49]
	s_cbranch_execnz .LBB161_272
	s_branch .LBB161_273
.LBB161_271:                            ;   in Loop: Header=BB161_180 Depth=1
	s_andn2_saveexec_b64 s[48:49], s[48:49]
	s_cbranch_execz .LBB161_273
.LBB161_272:                            ;   in Loop: Header=BB161_180 Depth=1
	v_mul_f64 v[30:31], |v[8:9]|, s[6:7]
	s_mov_b32 s8, s14
	v_rndne_f64_e32 v[35:36], v[30:31]
	v_fma_f64 v[30:31], v[35:36], s[12:13], |v[8:9]|
	v_mul_f64 v[32:33], v[35:36], s[14:15]
	v_cvt_i32_f64_e32 v19, v[35:36]
	v_fma_f64 v[49:50], v[35:36], s[14:15], v[30:31]
	v_add_f64 v[37:38], v[30:31], v[32:33]
	v_add_f64 v[39:40], v[30:31], -v[37:38]
	v_add_f64 v[37:38], v[37:38], -v[49:50]
	v_add_f64 v[30:31], v[39:40], v[32:33]
	v_fma_f64 v[32:33], v[35:36], s[8:9], v[32:33]
	v_add_f64 v[30:31], v[37:38], v[30:31]
	v_add_f64 v[30:31], v[30:31], -v[32:33]
	v_fma_f64 v[32:33], v[35:36], s[10:11], v[30:31]
	v_add_f64 v[30:31], v[49:50], v[32:33]
	v_add_f64 v[37:38], v[30:31], -v[49:50]
	v_add_f64 v[32:33], v[32:33], -v[37:38]
.LBB161_273:                            ;   in Loop: Header=BB161_180 Depth=1
	s_or_b64 exec, exec, s[48:49]
	v_mul_f64 v[35:36], |v[6:7]|, s[20:21]
	s_mov_b32 s48, 0x3b39803f
	s_mov_b32 s49, 0xbc7abc9e
	v_mul_f64 v[49:50], v[26:27], v[26:27]
	v_mov_b32_e32 v53, s80
	v_mov_b32_e32 v54, s81
	v_mul_f64 v[55:56], v[30:31], v[30:31]
	v_mov_b32_e32 v51, s70
	v_rndne_f64_e32 v[35:36], v[35:36]
	v_mov_b32_e32 v52, s71
	v_mul_f64 v[57:58], v[28:29], 0.5
	v_fma_f64 v[59:60], v[49:50], s[82:83], v[53:54]
	v_fma_f64 v[61:62], v[49:50], s[72:73], v[51:52]
	v_mul_f64 v[63:64], v[49:50], 0.5
	v_fma_f64 v[53:54], v[55:56], s[82:83], v[53:54]
	v_mul_f64 v[67:68], v[55:56], 0.5
	v_fma_f64 v[37:38], v[35:36], s[22:23], -|v[6:7]|
	v_fma_f64 v[51:52], v[55:56], s[72:73], v[51:52]
	s_mov_b32 s61, s25
	v_fma_f64 v[59:60], v[49:50], v[59:60], s[84:85]
	v_fma_f64 v[61:62], v[49:50], v[61:62], s[74:75]
	v_add_f64 v[69:70], -v[63:64], 1.0
	v_fma_f64 v[53:54], v[55:56], v[53:54], s[84:85]
	v_mul_f64 v[71:72], v[26:27], -v[49:50]
	v_fma_f64 v[37:38], v[35:36], s[48:49], v[37:38]
	v_add_f64 v[73:74], -v[67:68], 1.0
	v_fma_f64 v[51:52], v[55:56], v[51:52], s[74:75]
	v_fma_f64 v[59:60], v[49:50], v[59:60], s[86:87]
	;; [unrolled: 1-line block ×3, first 2 shown]
	v_add_f64 v[75:76], -v[69:70], 1.0
	v_fma_f64 v[53:54], v[55:56], v[53:54], s[86:87]
	v_mul_f64 v[65:66], v[32:33], 0.5
	v_fma_f64 v[39:40], v[37:38], s[50:51], v[24:25]
	v_mul_f64 v[77:78], v[30:31], -v[55:56]
	s_mov_b32 s63, s37
	v_fma_f64 v[59:60], v[49:50], v[59:60], s[24:25]
	v_add_f64 v[79:80], -v[73:74], 1.0
	v_fma_f64 v[51:52], v[55:56], v[51:52], s[76:77]
	v_fma_f64 v[53:54], v[55:56], v[53:54], s[24:25]
	;; [unrolled: 1-line block ×4, first 2 shown]
	v_add_f64 v[63:64], v[75:76], -v[63:64]
	s_mov_b32 s26, s36
	v_fma_f64 v[57:58], v[71:72], v[59:60], v[57:58]
	v_mul_f64 v[59:60], v[49:50], v[49:50]
	v_add_f64 v[67:68], v[79:80], -v[67:68]
	v_fma_f64 v[53:54], v[77:78], v[53:54], v[65:66]
	v_fma_f64 v[51:52], v[55:56], v[51:52], s[78:79]
	;; [unrolled: 1-line block ×4, first 2 shown]
	v_fma_f64 v[63:64], v[26:27], -v[28:29], v[63:64]
	v_fma_f64 v[28:29], v[49:50], v[57:58], -v[28:29]
	v_mul_f64 v[49:50], v[55:56], v[55:56]
	v_lshlrev_b32_e32 v8, 30, v34
	v_fma_f64 v[53:54], v[55:56], v[53:54], -v[32:33]
	v_fma_f64 v[51:52], v[55:56], v[51:52], s[36:37]
	v_fma_f64 v[39:40], v[37:38], v[39:40], s[56:57]
	v_fma_f64 v[32:33], v[30:31], -v[32:33], v[67:68]
	v_fma_f64 v[55:56], v[59:60], v[61:62], v[63:64]
	v_fma_f64 v[28:29], v[71:72], s[26:27], v[28:29]
	v_xor_b32_e32 v57, v8, v9
	v_and_b32_e32 v41, 1, v34
	v_fma_f64 v[8:9], v[77:78], s[26:27], v[53:54]
	v_cmp_eq_u32_e32 vcc, 0, v41
	v_fma_f64 v[39:40], v[37:38], v[39:40], s[58:59]
	v_fma_f64 v[32:33], v[49:50], v[51:52], v[32:33]
	v_add_f64 v[49:50], v[69:70], v[55:56]
	v_add_f64 v[26:27], v[26:27], -v[28:29]
	v_cvt_i32_f64_e32 v35, v[35:36]
	v_and_b32_e32 v34, 1, v19
	v_add_f64 v[8:9], v[30:31], -v[8:9]
	v_lshlrev_b32_e32 v19, 30, v19
	v_fma_f64 v[39:40], v[37:38], v[39:40], s[60:61]
	v_add_f64 v[30:31], v[73:74], v[32:33]
	s_mov_b32 s48, 0
	v_cndmask_b32_e32 v27, v50, v27, vcc
	v_cndmask_b32_e32 v26, v49, v26, vcc
	v_cmp_eq_u32_e32 vcc, 0, v34
	v_xor_b32_e32 v9, 0x80000000, v9
	v_and_b32_e32 v19, 0x80000000, v19
	v_fma_f64 v[39:40], v[37:38], v[39:40], s[62:63]
	v_cndmask_b32_e32 v9, v9, v31, vcc
	s_mov_b32 s49, 0x4090cc00
	v_cndmask_b32_e32 v8, v8, v30, vcc
	v_xor_b32_e32 v9, v9, v19
	v_cmp_ngt_f64_e64 vcc, |v[6:7]|, s[48:49]
	v_bfi_b32 v19, s29, v44, v7
	v_mov_b32_e32 v6, v18
	v_fma_f64 v[39:40], v[37:38], v[39:40], s[64:65]
	v_mov_b32_e32 v7, v19
	v_fma_f64 v[39:40], v[37:38], v[39:40], s[66:67]
	v_fma_f64 v[28:29], v[37:38], v[39:40], 1.0
	v_and_b32_e32 v39, 0x80000000, v57
	v_xor_b32_e32 v27, v27, v39
	v_mul_f64 v[26:27], v[26:27], 4.0
	v_fma_f64 v[28:29], v[37:38], v[28:29], 1.0
	v_mul_f64 v[8:9], v[26:27], v[8:9]
	v_ldexp_f64 v[28:29], v[28:29], v35
	v_cndmask_b32_e32 v27, 0, v29, vcc
	v_cndmask_b32_e32 v26, 0, v28, vcc
	v_mul_f64 v[8:9], v[26:27], v[8:9]
	v_mul_f64 v[8:9], v[26:27], v[8:9]
.LBB161_274:                            ;   in Loop: Header=BB161_180 Depth=1
	s_or_b64 exec, exec, s[0:1]
.LBB161_275:                            ;   in Loop: Header=BB161_180 Depth=1
	s_andn2_saveexec_b64 s[0:1], s[46:47]
	s_cbranch_execz .LBB161_277
; %bb.276:                              ;   in Loop: Header=BB161_180 Depth=1
	v_add_f64 v[8:9], v[8:9], -v[8:9]
	v_mov_b32_e32 v6, v8
	v_mov_b32_e32 v7, v9
.LBB161_277:                            ;   in Loop: Header=BB161_180 Depth=1
	s_or_b64 exec, exec, s[0:1]
.LBB161_278:                            ;   in Loop: Header=BB161_180 Depth=1
	s_andn2_saveexec_b64 s[38:39], s[38:39]
	s_cbranch_execz .LBB161_294
; %bb.279:                              ;   in Loop: Header=BB161_180 Depth=1
	v_and_or_b32 v19, v7, s42, v6
	v_cmp_ne_u32_e32 vcc, 0, v19
	s_and_saveexec_b64 s[0:1], vcc
	s_xor_b64 s[0:1], exec, s[0:1]
	s_cbranch_execz .LBB161_281
; %bb.280:                              ;   in Loop: Header=BB161_180 Depth=1
	v_mul_f64 v[26:27], v[6:7], v[8:9]
	v_cmp_eq_f64_e32 vcc, 0, v[8:9]
	v_cndmask_b32_e32 v9, v27, v9, vcc
	v_cndmask_b32_e32 v8, v26, v8, vcc
.LBB161_281:                            ;   in Loop: Header=BB161_180 Depth=1
	s_andn2_saveexec_b64 s[46:47], s[0:1]
	s_cbranch_execz .LBB161_293
; %bb.282:                              ;   in Loop: Header=BB161_180 Depth=1
	v_cmp_neq_f64_e64 s[0:1], |v[8:9]|, s[94:95]
	s_and_saveexec_b64 s[48:49], s[0:1]
	s_cbranch_execz .LBB161_292
; %bb.283:                              ;   in Loop: Header=BB161_180 Depth=1
	v_trig_preop_f64 v[36:37], |v[8:9]|, 0
	v_trig_preop_f64 v[34:35], |v[8:9]|, 1
	;; [unrolled: 1-line block ×3, first 2 shown]
	v_cmp_nlt_f64_e64 s[0:1], |v[8:9]|, s[90:91]
	v_ldexp_f64 v[38:39], |v[8:9]|, s35
	v_and_b32_e32 v50, 0x7fffffff, v9
                                        ; implicit-def: $vgpr49
                                        ; implicit-def: $vgpr26_vgpr27
                                        ; implicit-def: $vgpr28_vgpr29
	s_and_saveexec_b64 s[68:69], s[0:1]
	s_xor_b64 s[68:69], exec, s[68:69]
	s_cbranch_execz .LBB161_285
; %bb.284:                              ;   in Loop: Header=BB161_180 Depth=1
	v_cmp_ge_f64_e64 vcc, |v[8:9]|, s[92:93]
	s_mov_b32 s4, s12
	s_mov_b32 s17, s9
	v_cndmask_b32_e32 v27, v50, v39, vcc
	v_cndmask_b32_e32 v26, v8, v38, vcc
	v_mul_f64 v[28:29], v[36:37], v[26:27]
	v_mul_f64 v[32:33], v[34:35], v[26:27]
	v_mul_f64 v[57:58], v[30:31], v[26:27]
	v_fma_f64 v[40:41], v[36:37], v[26:27], -v[28:29]
	v_fma_f64 v[59:60], v[34:35], v[26:27], -v[32:33]
	;; [unrolled: 1-line block ×3, first 2 shown]
	v_add_f64 v[51:52], v[32:33], v[40:41]
	v_add_f64 v[53:54], v[51:52], -v[32:33]
	v_add_f64 v[61:62], v[28:29], v[51:52]
	v_add_f64 v[55:56], v[51:52], -v[53:54]
	v_add_f64 v[40:41], v[40:41], -v[53:54]
	v_add_f64 v[53:54], v[57:58], v[59:60]
	v_add_f64 v[28:29], v[61:62], -v[28:29]
	v_add_f64 v[32:33], v[32:33], -v[55:56]
	v_ldexp_f64 v[55:56], v[61:62], -2
	v_add_f64 v[63:64], v[53:54], -v[57:58]
	v_add_f64 v[28:29], v[51:52], -v[28:29]
	v_add_f64 v[32:33], v[40:41], v[32:33]
	v_fract_f64_e32 v[40:41], v[55:56]
	v_cmp_neq_f64_e64 vcc, |v[55:56]|, s[94:95]
	v_add_f64 v[59:60], v[59:60], -v[63:64]
	v_add_f64 v[51:52], v[53:54], v[32:33]
	v_ldexp_f64 v[40:41], v[40:41], 2
	v_add_f64 v[55:56], v[28:29], v[51:52]
	v_cndmask_b32_e32 v41, 0, v41, vcc
	v_cndmask_b32_e32 v40, 0, v40, vcc
	v_add_f64 v[65:66], v[51:52], -v[53:54]
	v_add_f64 v[61:62], v[55:56], v[40:41]
	v_add_f64 v[28:29], v[55:56], -v[28:29]
	v_add_f64 v[67:68], v[51:52], -v[65:66]
	;; [unrolled: 1-line block ×3, first 2 shown]
	v_cmp_gt_f64_e32 vcc, 0, v[61:62]
	v_add_f64 v[61:62], v[53:54], -v[63:64]
	v_add_f64 v[28:29], v[51:52], -v[28:29]
	v_add_f64 v[53:54], v[53:54], -v[67:68]
	v_cndmask_b32_e32 v19, 0, v43, vcc
	v_add_f64 v[40:41], v[40:41], v[18:19]
	v_add_f64 v[61:62], v[57:58], -v[61:62]
	v_add_f64 v[32:33], v[32:33], v[53:54]
	v_add_f64 v[69:70], v[55:56], v[40:41]
	;; [unrolled: 1-line block ×3, first 2 shown]
	v_cvt_i32_f64_e32 v49, v[69:70]
	v_add_f64 v[32:33], v[59:60], v[32:33]
	v_cvt_f64_i32_e32 v[63:64], v49
	v_add_f64 v[40:41], v[40:41], -v[63:64]
	v_add_f64 v[26:27], v[26:27], v[32:33]
	v_add_f64 v[53:54], v[55:56], v[40:41]
	;; [unrolled: 1-line block ×3, first 2 shown]
	v_add_f64 v[32:33], v[53:54], -v[40:41]
	v_cmp_le_f64_e32 vcc, 0.5, v[53:54]
	v_add_f64 v[28:29], v[55:56], -v[32:33]
	v_cndmask_b32_e32 v19, 0, v44, vcc
	v_addc_co_u32_e32 v49, vcc, 0, v49, vcc
	v_add_f64 v[26:27], v[26:27], v[28:29]
	v_add_f64 v[28:29], v[53:54], -v[18:19]
	v_add_f64 v[32:33], v[28:29], v[26:27]
	v_mul_f64 v[40:41], v[32:33], s[4:5]
	v_add_f64 v[28:29], v[32:33], -v[28:29]
	v_fma_f64 v[51:52], v[32:33], s[4:5], -v[40:41]
	v_add_f64 v[26:27], v[26:27], -v[28:29]
	v_fma_f64 v[28:29], v[32:33], s[16:17], v[51:52]
	v_fma_f64 v[28:29], v[26:27], s[4:5], v[28:29]
	v_add_f64 v[26:27], v[40:41], v[28:29]
	v_add_f64 v[32:33], v[26:27], -v[40:41]
	v_add_f64 v[28:29], v[28:29], -v[32:33]
	s_andn2_saveexec_b64 s[68:69], s[68:69]
	s_cbranch_execz .LBB161_287
	s_branch .LBB161_286
.LBB161_285:                            ;   in Loop: Header=BB161_180 Depth=1
	s_andn2_saveexec_b64 s[68:69], s[68:69]
	s_cbranch_execz .LBB161_287
.LBB161_286:                            ;   in Loop: Header=BB161_180 Depth=1
	v_mul_f64 v[26:27], |v[8:9]|, s[6:7]
	s_mov_b32 s8, s14
	v_rndne_f64_e32 v[32:33], v[26:27]
	v_fma_f64 v[26:27], v[32:33], s[12:13], |v[8:9]|
	v_mul_f64 v[28:29], v[32:33], s[14:15]
	v_cvt_i32_f64_e32 v49, v[32:33]
	v_fma_f64 v[53:54], v[32:33], s[14:15], v[26:27]
	v_add_f64 v[40:41], v[26:27], v[28:29]
	v_add_f64 v[51:52], v[26:27], -v[40:41]
	v_add_f64 v[40:41], v[40:41], -v[53:54]
	v_add_f64 v[26:27], v[51:52], v[28:29]
	v_fma_f64 v[28:29], v[32:33], s[8:9], v[28:29]
	v_add_f64 v[26:27], v[40:41], v[26:27]
	v_add_f64 v[26:27], v[26:27], -v[28:29]
	v_fma_f64 v[28:29], v[32:33], s[10:11], v[26:27]
	v_add_f64 v[26:27], v[53:54], v[28:29]
	v_add_f64 v[40:41], v[26:27], -v[53:54]
	v_add_f64 v[28:29], v[28:29], -v[40:41]
.LBB161_287:                            ;   in Loop: Header=BB161_180 Depth=1
	s_or_b64 exec, exec, s[68:69]
                                        ; implicit-def: $vgpr19
                                        ; implicit-def: $vgpr32_vgpr33
                                        ; implicit-def: $vgpr40_vgpr41
	s_and_saveexec_b64 s[68:69], s[0:1]
	s_xor_b64 s[0:1], exec, s[68:69]
	s_cbranch_execz .LBB161_289
; %bb.288:                              ;   in Loop: Header=BB161_180 Depth=1
	v_cmp_ge_f64_e64 vcc, |v[8:9]|, s[92:93]
	s_mov_b32 s4, s12
	s_mov_b32 s17, s9
	v_cndmask_b32_e32 v33, v50, v39, vcc
	v_cndmask_b32_e32 v32, v8, v38, vcc
	v_mul_f64 v[38:39], v[36:37], v[32:33]
	v_mul_f64 v[40:41], v[34:35], v[32:33]
	;; [unrolled: 1-line block ×3, first 2 shown]
	v_fma_f64 v[36:37], v[36:37], v[32:33], -v[38:39]
	v_fma_f64 v[34:35], v[34:35], v[32:33], -v[40:41]
	;; [unrolled: 1-line block ×3, first 2 shown]
	v_add_f64 v[50:51], v[40:41], v[36:37]
	v_add_f64 v[52:53], v[50:51], -v[40:41]
	v_add_f64 v[58:59], v[38:39], v[50:51]
	v_add_f64 v[54:55], v[50:51], -v[52:53]
	v_add_f64 v[36:37], v[36:37], -v[52:53]
	v_add_f64 v[52:53], v[56:57], v[34:35]
	v_add_f64 v[38:39], v[58:59], -v[38:39]
	v_add_f64 v[40:41], v[40:41], -v[54:55]
	v_ldexp_f64 v[54:55], v[58:59], -2
	v_add_f64 v[60:61], v[52:53], -v[56:57]
	v_add_f64 v[38:39], v[50:51], -v[38:39]
	v_add_f64 v[36:37], v[36:37], v[40:41]
	v_fract_f64_e32 v[40:41], v[54:55]
	v_cmp_neq_f64_e64 vcc, |v[54:55]|, s[94:95]
	v_add_f64 v[34:35], v[34:35], -v[60:61]
	v_add_f64 v[50:51], v[52:53], v[36:37]
	v_ldexp_f64 v[40:41], v[40:41], 2
	v_add_f64 v[54:55], v[38:39], v[50:51]
	v_cndmask_b32_e32 v41, 0, v41, vcc
	v_cndmask_b32_e32 v40, 0, v40, vcc
	v_add_f64 v[62:63], v[50:51], -v[52:53]
	v_add_f64 v[58:59], v[54:55], v[40:41]
	v_add_f64 v[32:33], v[54:55], -v[38:39]
	v_add_f64 v[64:65], v[50:51], -v[62:63]
	;; [unrolled: 1-line block ×3, first 2 shown]
	v_cmp_gt_f64_e32 vcc, 0, v[58:59]
	v_add_f64 v[58:59], v[52:53], -v[60:61]
	v_add_f64 v[32:33], v[50:51], -v[32:33]
	;; [unrolled: 1-line block ×3, first 2 shown]
	v_cndmask_b32_e32 v19, 0, v43, vcc
	v_add_f64 v[40:41], v[40:41], v[18:19]
	v_add_f64 v[58:59], v[56:57], -v[58:59]
	v_add_f64 v[36:37], v[36:37], v[52:53]
	v_add_f64 v[66:67], v[54:55], v[40:41]
	;; [unrolled: 1-line block ×3, first 2 shown]
	v_cvt_i32_f64_e32 v62, v[66:67]
	v_add_f64 v[34:35], v[34:35], v[36:37]
	v_cvt_f64_i32_e32 v[60:61], v62
	v_add_f64 v[40:41], v[40:41], -v[60:61]
	v_add_f64 v[30:31], v[30:31], v[34:35]
	v_add_f64 v[36:37], v[54:55], v[40:41]
	;; [unrolled: 1-line block ×3, first 2 shown]
	v_add_f64 v[34:35], v[36:37], -v[40:41]
	v_cmp_le_f64_e32 vcc, 0.5, v[36:37]
	v_add_f64 v[32:33], v[54:55], -v[34:35]
	v_cndmask_b32_e32 v19, 0, v44, vcc
	v_add_f64 v[30:31], v[30:31], v[32:33]
	v_add_f64 v[32:33], v[36:37], -v[18:19]
	v_addc_co_u32_e32 v19, vcc, 0, v62, vcc
	v_add_f64 v[34:35], v[32:33], v[30:31]
	v_mul_f64 v[36:37], v[34:35], s[4:5]
	v_add_f64 v[32:33], v[34:35], -v[32:33]
	v_fma_f64 v[38:39], v[34:35], s[4:5], -v[36:37]
	v_add_f64 v[30:31], v[30:31], -v[32:33]
	v_fma_f64 v[32:33], v[34:35], s[16:17], v[38:39]
	v_fma_f64 v[30:31], v[30:31], s[4:5], v[32:33]
	v_add_f64 v[32:33], v[36:37], v[30:31]
	v_add_f64 v[34:35], v[32:33], -v[36:37]
	v_add_f64 v[40:41], v[30:31], -v[34:35]
	s_andn2_saveexec_b64 s[0:1], s[0:1]
	s_cbranch_execnz .LBB161_290
	s_branch .LBB161_291
.LBB161_289:                            ;   in Loop: Header=BB161_180 Depth=1
	s_andn2_saveexec_b64 s[0:1], s[0:1]
	s_cbranch_execz .LBB161_291
.LBB161_290:                            ;   in Loop: Header=BB161_180 Depth=1
	v_mul_f64 v[30:31], |v[8:9]|, s[6:7]
	s_mov_b32 s8, s14
	v_rndne_f64_e32 v[30:31], v[30:31]
	v_fma_f64 v[32:33], v[30:31], s[12:13], |v[8:9]|
	v_mul_f64 v[34:35], v[30:31], s[14:15]
	v_cvt_i32_f64_e32 v19, v[30:31]
	v_fma_f64 v[40:41], v[30:31], s[14:15], v[32:33]
	v_add_f64 v[36:37], v[32:33], v[34:35]
	v_add_f64 v[38:39], v[32:33], -v[36:37]
	v_add_f64 v[36:37], v[36:37], -v[40:41]
	v_add_f64 v[32:33], v[38:39], v[34:35]
	v_fma_f64 v[34:35], v[30:31], s[8:9], v[34:35]
	v_add_f64 v[32:33], v[36:37], v[32:33]
	v_add_f64 v[32:33], v[32:33], -v[34:35]
	v_fma_f64 v[34:35], v[30:31], s[10:11], v[32:33]
	v_add_f64 v[32:33], v[40:41], v[34:35]
	v_add_f64 v[36:37], v[32:33], -v[40:41]
	v_add_f64 v[40:41], v[34:35], -v[36:37]
.LBB161_291:                            ;   in Loop: Header=BB161_180 Depth=1
	s_or_b64 exec, exec, s[0:1]
	v_mul_f64 v[30:31], v[26:27], v[26:27]
	v_mul_f64 v[34:35], v[32:33], v[32:33]
	v_mov_b32_e32 v36, s80
	v_mov_b32_e32 v37, s81
	;; [unrolled: 1-line block ×4, first 2 shown]
	v_mul_f64 v[60:61], v[28:29], 0.5
	v_mul_f64 v[68:69], v[40:41], 0.5
	v_fma_f64 v[38:39], v[30:31], s[82:83], v[36:37]
	v_fma_f64 v[36:37], v[34:35], s[82:83], v[36:37]
	;; [unrolled: 1-line block ×3, first 2 shown]
	v_mul_f64 v[54:55], v[30:31], 0.5
	v_fma_f64 v[50:51], v[34:35], s[72:73], v[50:51]
	v_mul_f64 v[56:57], v[34:35], 0.5
	v_mul_f64 v[62:63], v[26:27], -v[30:31]
	v_mul_f64 v[70:71], v[32:33], -v[34:35]
	v_fma_f64 v[38:39], v[30:31], v[38:39], s[84:85]
	v_fma_f64 v[36:37], v[34:35], v[36:37], s[84:85]
	;; [unrolled: 1-line block ×3, first 2 shown]
	v_add_f64 v[58:59], -v[54:55], 1.0
	v_fma_f64 v[50:51], v[34:35], v[50:51], s[74:75]
	v_add_f64 v[64:65], -v[56:57], 1.0
	s_mov_b32 s26, s36
	v_cmp_class_f64_e64 s[0:1], v[8:9], s31
	v_fma_f64 v[38:39], v[30:31], v[38:39], s[86:87]
	v_fma_f64 v[36:37], v[34:35], v[36:37], s[86:87]
	;; [unrolled: 1-line block ×3, first 2 shown]
	v_add_f64 v[66:67], -v[58:59], 1.0
	v_fma_f64 v[50:51], v[34:35], v[50:51], s[76:77]
	v_add_f64 v[72:73], -v[64:65], 1.0
	v_fma_f64 v[38:39], v[30:31], v[38:39], s[24:25]
	v_fma_f64 v[36:37], v[34:35], v[36:37], s[24:25]
	v_fma_f64 v[52:53], v[30:31], v[52:53], s[78:79]
	v_add_f64 v[54:55], v[66:67], -v[54:55]
	v_fma_f64 v[50:51], v[34:35], v[50:51], s[78:79]
	v_add_f64 v[56:57], v[72:73], -v[56:57]
	v_fma_f64 v[38:39], v[62:63], v[38:39], v[60:61]
	v_fma_f64 v[36:37], v[70:71], v[36:37], v[68:69]
	v_mul_f64 v[60:61], v[30:31], v[30:31]
	v_fma_f64 v[52:53], v[30:31], v[52:53], s[36:37]
	v_fma_f64 v[54:55], v[26:27], -v[28:29], v[54:55]
	v_fma_f64 v[28:29], v[30:31], v[38:39], -v[28:29]
	v_fma_f64 v[36:37], v[34:35], v[36:37], -v[40:41]
	v_mul_f64 v[30:31], v[34:35], v[34:35]
	v_fma_f64 v[34:35], v[34:35], v[50:51], s[36:37]
	v_fma_f64 v[38:39], v[32:33], -v[40:41], v[56:57]
	v_fma_f64 v[40:41], v[60:61], v[52:53], v[54:55]
	v_and_b32_e32 v50, 1, v49
	v_lshlrev_b32_e32 v49, 30, v49
	v_fma_f64 v[28:29], v[62:63], s[26:27], v[28:29]
	v_fma_f64 v[36:37], v[70:71], s[26:27], v[36:37]
	v_cmp_eq_u32_e32 vcc, 0, v50
	v_fma_f64 v[30:31], v[30:31], v[34:35], v[38:39]
	v_add_f64 v[34:35], v[58:59], v[40:41]
	v_and_b32_e32 v38, 1, v19
	v_lshlrev_b32_e32 v19, 30, v19
	v_add_f64 v[26:27], v[26:27], -v[28:29]
	v_add_f64 v[28:29], v[32:33], -v[36:37]
	v_xor_b32_e32 v39, v49, v9
	v_and_b32_e32 v19, 0x80000000, v19
	v_add_f64 v[30:31], v[64:65], v[30:31]
	v_and_b32_e32 v32, 0x80000000, v39
	v_cndmask_b32_e32 v26, v34, v26, vcc
	v_cndmask_b32_e32 v8, v35, v27, vcc
	v_xor_b32_e32 v9, 0x80000000, v29
	v_cmp_eq_u32_e32 vcc, 0, v38
	v_cndmask_b32_e32 v9, v9, v31, vcc
	v_cndmask_b32_e32 v27, v28, v30, vcc
	v_xor_b32_e32 v28, v8, v32
	v_xor_b32_e32 v19, v9, v19
	v_cndmask_b32_e64 v8, 0, v26, s[0:1]
	v_cndmask_b32_e64 v9, v48, v28, s[0:1]
	;; [unrolled: 1-line block ×4, first 2 shown]
	v_mul_f64 v[8:9], v[8:9], v[26:27]
.LBB161_292:                            ;   in Loop: Header=BB161_180 Depth=1
	s_or_b64 exec, exec, s[48:49]
	v_bfi_b32 v19, s29, 0, v9
	v_mov_b32_e32 v8, v18
	v_add_u32_e32 v7, -2.0, v7
	v_mov_b32_e32 v9, v19
.LBB161_293:                            ;   in Loop: Header=BB161_180 Depth=1
	s_or_b64 exec, exec, s[46:47]
.LBB161_294:                            ;   in Loop: Header=BB161_180 Depth=1
	s_or_b64 exec, exec, s[38:39]
	v_and_b32_e32 v19, 0x7fffffff, v3
	v_cmp_gt_u32_e32 vcc, s30, v19
	s_and_saveexec_b64 s[0:1], vcc
	s_xor_b64 s[38:39], exec, s[0:1]
	s_cbranch_execz .LBB161_316
; %bb.295:                              ;   in Loop: Header=BB161_180 Depth=1
	v_cmp_class_f64_e64 s[0:1], v[4:5], s31
	s_and_saveexec_b64 s[46:47], s[0:1]
	s_xor_b64 s[46:47], exec, s[46:47]
	s_cbranch_execz .LBB161_313
; %bb.296:                              ;   in Loop: Header=BB161_180 Depth=1
	v_cmp_gt_u32_e32 vcc, s34, v19
	s_and_saveexec_b64 s[0:1], vcc
	s_xor_b64 s[48:49], exec, s[0:1]
	s_cbranch_execz .LBB161_302
; %bb.297:                              ;   in Loop: Header=BB161_180 Depth=1
	v_cmp_nlt_f64_e64 s[0:1], |v[4:5]|, s[90:91]
                                        ; implicit-def: $vgpr19
                                        ; implicit-def: $vgpr26_vgpr27
                                        ; implicit-def: $vgpr28_vgpr29
	s_and_saveexec_b64 s[68:69], s[0:1]
	s_xor_b64 s[0:1], exec, s[68:69]
	s_cbranch_execz .LBB161_299
; %bb.298:                              ;   in Loop: Header=BB161_180 Depth=1
	v_trig_preop_f64 v[26:27], |v[4:5]|, 0
	v_ldexp_f64 v[28:29], |v[4:5]|, s35
	v_cmp_ge_f64_e64 vcc, |v[4:5]|, s[92:93]
	v_trig_preop_f64 v[30:31], |v[4:5]|, 1
	v_and_b32_e32 v19, 0x7fffffff, v5
	v_trig_preop_f64 v[38:39], |v[4:5]|, 2
	s_mov_b32 s4, s12
	s_mov_b32 s17, s9
	v_cndmask_b32_e32 v29, v19, v29, vcc
	v_cndmask_b32_e32 v28, v4, v28, vcc
	v_mul_f64 v[32:33], v[26:27], v[28:29]
	v_mul_f64 v[34:35], v[30:31], v[28:29]
	;; [unrolled: 1-line block ×3, first 2 shown]
	v_fma_f64 v[26:27], v[26:27], v[28:29], -v[32:33]
	v_fma_f64 v[30:31], v[30:31], v[28:29], -v[34:35]
	;; [unrolled: 1-line block ×3, first 2 shown]
	v_add_f64 v[36:37], v[34:35], v[26:27]
	v_add_f64 v[40:41], v[36:37], -v[34:35]
	v_add_f64 v[53:54], v[32:33], v[36:37]
	v_add_f64 v[49:50], v[36:37], -v[40:41]
	v_add_f64 v[26:27], v[26:27], -v[40:41]
	v_add_f64 v[40:41], v[51:52], v[30:31]
	v_add_f64 v[32:33], v[53:54], -v[32:33]
	v_add_f64 v[34:35], v[34:35], -v[49:50]
	v_ldexp_f64 v[49:50], v[53:54], -2
	v_add_f64 v[55:56], v[40:41], -v[51:52]
	v_add_f64 v[32:33], v[36:37], -v[32:33]
	v_add_f64 v[26:27], v[26:27], v[34:35]
	v_fract_f64_e32 v[34:35], v[49:50]
	v_cmp_neq_f64_e64 vcc, |v[49:50]|, s[94:95]
	v_add_f64 v[30:31], v[30:31], -v[55:56]
	v_add_f64 v[36:37], v[40:41], v[26:27]
	v_ldexp_f64 v[34:35], v[34:35], 2
	v_add_f64 v[49:50], v[32:33], v[36:37]
	v_cndmask_b32_e32 v35, 0, v35, vcc
	v_cndmask_b32_e32 v34, 0, v34, vcc
	v_add_f64 v[57:58], v[36:37], -v[40:41]
	v_add_f64 v[53:54], v[49:50], v[34:35]
	v_add_f64 v[32:33], v[49:50], -v[32:33]
	v_add_f64 v[59:60], v[36:37], -v[57:58]
	;; [unrolled: 1-line block ×3, first 2 shown]
	v_cmp_gt_f64_e32 vcc, 0, v[53:54]
	v_add_f64 v[53:54], v[40:41], -v[55:56]
	v_add_f64 v[32:33], v[36:37], -v[32:33]
	;; [unrolled: 1-line block ×3, first 2 shown]
	v_cndmask_b32_e32 v19, 0, v43, vcc
	v_add_f64 v[34:35], v[34:35], v[18:19]
	v_add_f64 v[53:54], v[51:52], -v[53:54]
	v_add_f64 v[26:27], v[26:27], v[40:41]
	v_add_f64 v[61:62], v[49:50], v[34:35]
	;; [unrolled: 1-line block ×3, first 2 shown]
	v_cvt_i32_f64_e32 v57, v[61:62]
	v_add_f64 v[26:27], v[30:31], v[26:27]
	v_cvt_f64_i32_e32 v[55:56], v57
	v_add_f64 v[34:35], v[34:35], -v[55:56]
	v_add_f64 v[26:27], v[28:29], v[26:27]
	v_add_f64 v[30:31], v[49:50], v[34:35]
	;; [unrolled: 1-line block ×3, first 2 shown]
	v_add_f64 v[28:29], v[30:31], -v[34:35]
	v_cmp_le_f64_e32 vcc, 0.5, v[30:31]
	v_add_f64 v[28:29], v[49:50], -v[28:29]
	v_cndmask_b32_e32 v19, 0, v44, vcc
	v_add_f64 v[26:27], v[26:27], v[28:29]
	v_add_f64 v[28:29], v[30:31], -v[18:19]
	v_addc_co_u32_e32 v19, vcc, 0, v57, vcc
	v_add_f64 v[30:31], v[28:29], v[26:27]
	v_mul_f64 v[32:33], v[30:31], s[4:5]
	v_add_f64 v[28:29], v[30:31], -v[28:29]
	v_fma_f64 v[34:35], v[30:31], s[4:5], -v[32:33]
	v_add_f64 v[26:27], v[26:27], -v[28:29]
	v_fma_f64 v[28:29], v[30:31], s[16:17], v[34:35]
	v_fma_f64 v[28:29], v[26:27], s[4:5], v[28:29]
	v_add_f64 v[26:27], v[32:33], v[28:29]
	v_add_f64 v[30:31], v[26:27], -v[32:33]
	v_add_f64 v[28:29], v[28:29], -v[30:31]
.LBB161_299:                            ;   in Loop: Header=BB161_180 Depth=1
	s_andn2_saveexec_b64 s[0:1], s[0:1]
	s_cbranch_execz .LBB161_301
; %bb.300:                              ;   in Loop: Header=BB161_180 Depth=1
	v_mul_f64 v[26:27], |v[4:5]|, s[6:7]
	s_mov_b32 s8, s14
	v_rndne_f64_e32 v[30:31], v[26:27]
	v_fma_f64 v[26:27], v[30:31], s[12:13], |v[4:5]|
	v_mul_f64 v[28:29], v[30:31], s[14:15]
	v_cvt_i32_f64_e32 v19, v[30:31]
	v_fma_f64 v[36:37], v[30:31], s[14:15], v[26:27]
	v_add_f64 v[32:33], v[26:27], v[28:29]
	v_add_f64 v[34:35], v[26:27], -v[32:33]
	v_add_f64 v[32:33], v[32:33], -v[36:37]
	v_add_f64 v[26:27], v[34:35], v[28:29]
	v_fma_f64 v[28:29], v[30:31], s[8:9], v[28:29]
	v_add_f64 v[26:27], v[32:33], v[26:27]
	v_add_f64 v[26:27], v[26:27], -v[28:29]
	v_fma_f64 v[28:29], v[30:31], s[10:11], v[26:27]
	v_add_f64 v[26:27], v[36:37], v[28:29]
	v_add_f64 v[32:33], v[26:27], -v[36:37]
	v_add_f64 v[28:29], v[28:29], -v[32:33]
.LBB161_301:                            ;   in Loop: Header=BB161_180 Depth=1
	s_or_b64 exec, exec, s[0:1]
	v_add_f64 v[30:31], |v[2:3]|, s[22:23]
	s_mov_b32 s40, s22
	s_mov_b32 s0, 0x3b39803f
	;; [unrolled: 1-line block ×7, first 2 shown]
	v_add_f64 v[32:33], v[30:31], -|v[2:3]|
	v_and_b32_e32 v19, 1, v19
	v_add_f64 v[34:35], v[32:33], -v[30:31]
	v_add_f64 v[32:33], v[32:33], s[40:41]
	v_add_f64 v[34:35], |v[2:3]|, v[34:35]
	v_add_f64 v[32:33], v[34:35], -v[32:33]
	v_add_f64 v[32:33], v[32:33], s[0:1]
	s_mov_b32 s0, 0xf278e000
	s_mov_b32 s1, 0xbd53de6a
	v_add_f64 v[34:35], v[30:31], v[32:33]
	v_mul_f64 v[36:37], v[34:35], s[44:45]
	v_add_f64 v[30:31], v[30:31], -v[34:35]
	v_rndne_f64_e32 v[36:37], v[36:37]
	v_add_f64 v[30:31], v[32:33], v[30:31]
	v_fma_f64 v[32:33], v[36:37], s[18:19], v[34:35]
	v_mul_f64 v[34:35], v[36:37], s[0:1]
	s_mov_b32 s0, 0xf97b57a0
	s_mov_b32 s1, 0xbac9cc01
	v_cvt_i32_f64_e32 v4, v[36:37]
	v_add_f64 v[38:39], v[30:31], v[32:33]
	v_add_f64 v[40:41], v[38:39], v[34:35]
	v_add_f64 v[32:33], v[32:33], -v[38:39]
	v_add_f64 v[38:39], v[38:39], -v[40:41]
	v_add_f64 v[30:31], v[30:31], v[32:33]
	v_add_f64 v[32:33], v[38:39], v[34:35]
	v_add_f64 v[30:31], v[30:31], v[32:33]
	v_mul_f64 v[32:33], v[36:37], s[0:1]
	s_mov_b32 s0, 0xc751c08c
	s_mov_b32 s1, 0x3ef5e089
	v_add_f64 v[34:35], v[40:41], v[30:31]
	v_add_f64 v[38:39], v[34:35], v[32:33]
	v_add_f64 v[40:41], v[40:41], -v[34:35]
	v_add_f64 v[34:35], v[34:35], -v[38:39]
	v_add_f64 v[30:31], v[30:31], v[40:41]
	v_add_f64 v[32:33], v[34:35], v[32:33]
	;; [unrolled: 1-line block ×4, first 2 shown]
	v_fma_f64 v[34:35], v[32:33], s[50:51], v[24:25]
	v_add_f64 v[38:39], v[38:39], -v[32:33]
	v_mul_f64 v[40:41], v[32:33], v[32:33]
	v_fma_f64 v[34:35], v[32:33], v[34:35], s[52:53]
	v_add_f64 v[30:31], v[30:31], v[38:39]
	v_fma_f64 v[38:39], v[32:33], v[32:33], -v[40:41]
	v_fma_f64 v[34:35], v[32:33], v[34:35], s[54:55]
	v_add_f64 v[49:50], v[30:31], v[30:31]
	v_fma_f64 v[34:35], v[32:33], v[34:35], s[56:57]
	v_fma_f64 v[38:39], v[32:33], v[49:50], v[38:39]
	;; [unrolled: 1-line block ×3, first 2 shown]
	v_add_f64 v[49:50], v[40:41], v[38:39]
	v_fma_f64 v[34:35], v[32:33], v[34:35], s[60:61]
	v_add_f64 v[40:41], v[49:50], -v[40:41]
	v_fma_f64 v[34:35], v[32:33], v[34:35], s[62:63]
	v_add_f64 v[38:39], v[38:39], -v[40:41]
	v_fma_f64 v[34:35], v[32:33], v[34:35], s[64:65]
	v_fma_f64 v[34:35], v[32:33], v[34:35], s[66:67]
	v_mul_f64 v[51:52], v[49:50], v[34:35]
	v_fma_f64 v[40:41], v[49:50], v[34:35], -v[51:52]
	v_fma_f64 v[34:35], v[38:39], v[34:35], v[40:41]
	v_add_f64 v[38:39], v[51:52], v[34:35]
	v_add_f64 v[40:41], v[32:33], v[38:39]
	v_add_f64 v[49:50], v[38:39], -v[51:52]
	v_add_f64 v[32:33], v[40:41], -v[32:33]
	;; [unrolled: 1-line block ×3, first 2 shown]
	v_add_f64 v[49:50], v[28:29], v[28:29]
	v_add_f64 v[32:33], v[38:39], -v[32:33]
	v_add_f64 v[30:31], v[30:31], v[34:35]
	v_add_f64 v[30:31], v[30:31], v[32:33]
	;; [unrolled: 1-line block ×3, first 2 shown]
	v_add_f64 v[34:35], v[32:33], 1.0
	v_add_f64 v[38:39], v[32:33], -v[40:41]
	v_add_f64 v[40:41], v[34:35], -1.0
	v_add_f64 v[30:31], v[30:31], -v[38:39]
	v_add_f64 v[32:33], v[32:33], -v[40:41]
	v_add_f64 v[30:31], v[30:31], v[32:33]
	v_add_f64 v[32:33], v[34:35], v[30:31]
	v_ldexp_f64 v[36:37], v[32:33], v4
	v_add_f64 v[32:33], v[32:33], -v[34:35]
	v_rcp_f64_e32 v[38:39], v[36:37]
	v_add_f64 v[30:31], v[30:31], -v[32:33]
	v_ldexp_f64 v[30:31], v[30:31], v4
	v_fma_f64 v[40:41], -v[36:37], v[38:39], 1.0
	v_fma_f64 v[38:39], v[40:41], v[38:39], v[38:39]
	v_fma_f64 v[40:41], -v[36:37], v[38:39], 1.0
	v_fma_f64 v[34:35], v[40:41], v[38:39], v[38:39]
	v_mul_f64 v[38:39], v[26:27], v[26:27]
	v_mul_f64 v[32:33], v[36:37], v[34:35]
	v_fma_f64 v[51:52], v[26:27], v[26:27], -v[38:39]
	v_fma_f64 v[40:41], v[34:35], v[36:37], -v[32:33]
	v_fma_f64 v[49:50], v[26:27], v[49:50], v[51:52]
	v_fma_f64 v[40:41], v[34:35], v[30:31], v[40:41]
	v_add_f64 v[38:39], v[38:39], v[49:50]
	v_add_f64 v[51:52], v[32:33], v[40:41]
	v_fma_f64 v[53:54], v[38:39], s[0:1], v[22:23]
	s_mov_b32 s0, 0x90a8aae0
	s_mov_b32 s1, 0x3f17746f
	v_add_f64 v[49:50], -v[51:52], 1.0
	v_add_f64 v[32:33], v[51:52], -v[32:33]
	v_fma_f64 v[53:54], v[38:39], v[53:54], s[0:1]
	s_mov_b32 s0, 0xa6fbf144
	s_mov_b32 s1, 0xbefbb44d
	v_add_f64 v[55:56], -v[49:50], 1.0
	v_add_f64 v[32:33], v[32:33], -v[40:41]
	v_add_f64 v[40:41], v[55:56], -v[51:52]
	v_fma_f64 v[51:52], v[38:39], v[53:54], s[0:1]
	s_mov_b32 s0, 0xa7943acf
	s_mov_b32 s1, 0x3f21e634
	v_add_f64 v[32:33], v[32:33], v[40:41]
	v_fma_f64 v[40:41], v[38:39], v[51:52], s[0:1]
	s_mov_b32 s0, 0xdeb68feb
	s_mov_b32 s1, 0x3f2d250f
	v_add_f64 v[51:52], v[49:50], v[32:33]
	v_fma_f64 v[40:41], v[38:39], v[40:41], s[0:1]
	s_mov_b32 s0, 0xb58c4d95
	s_mov_b32 s1, 0x3f437fd9
	v_mul_f64 v[53:54], v[34:35], v[51:52]
	v_fma_f64 v[40:41], v[38:39], v[40:41], s[0:1]
	s_mov_b32 s0, 0x15120e2c
	s_mov_b32 s1, 0x3f57d5af
	v_add_f64 v[49:50], v[49:50], -v[51:52]
	v_mul_f64 v[55:56], v[36:37], v[53:54]
	v_fma_f64 v[40:41], v[38:39], v[40:41], s[0:1]
	s_mov_b32 s0, 0xe09491df
	s_mov_b32 s1, 0x3f6d6d93
	v_add_f64 v[32:33], v[32:33], v[49:50]
	v_fma_f64 v[57:58], v[53:54], v[36:37], -v[55:56]
	v_fma_f64 v[40:41], v[38:39], v[40:41], s[0:1]
	s_mov_b32 s0, 0x2033784d
	s_mov_b32 s1, 0x3f8226e1
	v_fma_f64 v[57:58], v[53:54], v[30:31], v[57:58]
	v_fma_f64 v[40:41], v[38:39], v[40:41], s[0:1]
	s_mov_b32 s0, 0x9ac36ae2
	s_mov_b32 s1, 0x3f9664f4
	v_add_f64 v[59:60], v[55:56], v[57:58]
	v_fma_f64 v[40:41], v[38:39], v[40:41], s[0:1]
	s_mov_b32 s0, 0x1b451c21
	s_mov_b32 s1, 0x3faba1ba
	v_add_f64 v[61:62], v[51:52], -v[59:60]
	v_fma_f64 v[40:41], v[38:39], v[40:41], s[0:1]
	s_mov_b32 s0, 0x111185b7
	s_mov_b32 s1, 0x3fc11111
	v_add_f64 v[49:50], v[59:60], -v[55:56]
	v_add_f64 v[51:52], v[51:52], -v[61:62]
	v_fma_f64 v[40:41], v[38:39], v[40:41], s[0:1]
	s_mov_b32 s0, 0x555554ee
	s_mov_b32 s1, 0x3fd55555
	v_add_f64 v[49:50], v[49:50], -v[57:58]
	v_add_f64 v[51:52], v[51:52], -v[59:60]
	v_fma_f64 v[40:41], v[38:39], v[40:41], s[0:1]
	s_mov_b32 s0, 0x8fb9f87e
	s_mov_b32 s1, 0x408633ce
	v_cmp_nge_f64_e64 vcc, |v[2:3]|, s[0:1]
	s_mov_b32 s0, 0
	s_mov_b32 s1, 0x3e400000
	v_add_f64 v[32:33], v[32:33], v[51:52]
	v_mul_f64 v[38:39], v[38:39], v[40:41]
	v_add_f64 v[40:41], v[34:35], v[53:54]
	v_add_f64 v[32:33], v[49:50], v[32:33]
	v_mul_f64 v[49:50], v[26:27], v[38:39]
	v_add_f64 v[51:52], v[40:41], -v[34:35]
	v_add_f64 v[32:33], v[61:62], v[32:33]
	v_add_f64 v[55:56], v[26:27], v[49:50]
	v_add_f64 v[51:52], v[53:54], -v[51:52]
	v_mul_f64 v[32:33], v[34:35], v[32:33]
	v_fma_f64 v[34:35], v[26:27], v[38:39], -v[49:50]
	v_add_f64 v[26:27], v[55:56], -v[26:27]
	v_add_f64 v[32:33], v[51:52], v[32:33]
	v_add_f64 v[28:29], v[28:29], v[34:35]
	v_add_f64 v[26:27], v[49:50], -v[26:27]
	v_add_f64 v[34:35], v[40:41], v[32:33]
	v_add_f64 v[26:27], v[28:29], v[26:27]
	v_ldexp_f64 v[28:29], v[34:35], -2
	v_add_f64 v[34:35], v[34:35], -v[40:41]
	v_add_f64 v[38:39], v[55:56], v[26:27]
	v_add_f64 v[49:50], v[36:37], -v[28:29]
	v_add_f64 v[32:33], v[32:33], -v[34:35]
	v_rcp_f64_e32 v[51:52], v[38:39]
	v_add_f64 v[36:37], v[36:37], -v[49:50]
	v_ldexp_f64 v[32:33], v[32:33], -2
	v_add_f64 v[28:29], v[36:37], -v[28:29]
	v_fma_f64 v[34:35], -v[38:39], v[51:52], 1.0
	v_add_f64 v[28:29], v[30:31], v[28:29]
	v_fma_f64 v[30:31], v[34:35], v[51:52], v[51:52]
	v_and_b32_e32 v35, 0x7fffffff, v3
	v_add_f64 v[28:29], v[28:29], -v[32:33]
	v_fma_f64 v[32:33], -v[38:39], v[30:31], 1.0
	v_add_f64 v[28:29], v[49:50], v[28:29]
	v_fma_f64 v[30:31], v[32:33], v[30:31], v[30:31]
	v_cndmask_b32_e32 v4, v45, v29, vcc
	v_cndmask_b32_e32 v34, 0, v28, vcc
	v_cmp_lt_f64_e64 vcc, |v[2:3]|, s[0:1]
	v_add_f64 v[28:29], v[38:39], -v[55:56]
	v_mul_f64 v[32:33], v[38:39], v[30:31]
	s_mov_b32 s0, 0
	s_brev_b32 s1, 8
	v_cndmask_b32_e32 v4, v4, v35, vcc
	v_cndmask_b32_e32 v2, v34, v2, vcc
	v_bfi_b32 v3, s29, v4, v3
	v_fma_f64 v[34:35], v[2:3], v[2:3], 1.0
	v_add_f64 v[26:27], v[26:27], -v[28:29]
	v_fma_f64 v[28:29], v[30:31], v[38:39], -v[32:33]
	v_cmp_gt_f64_e32 vcc, s[0:1], v[34:35]
	v_cmp_eq_u32_e64 s[0:1], 0, v19
	v_fma_f64 v[26:27], v[30:31], v[26:27], v[28:29]
	v_cndmask_b32_e32 v4, 0, v46, vcc
	v_ldexp_f64 v[34:35], v[34:35], v4
	v_add_f64 v[36:37], v[32:33], v[26:27]
	v_rsq_f64_e32 v[28:29], v[34:35]
	v_add_f64 v[40:41], -v[36:37], 1.0
	v_add_f64 v[32:33], v[36:37], -v[32:33]
	v_add_f64 v[51:52], -v[40:41], 1.0
	v_add_f64 v[26:27], v[32:33], -v[26:27]
	v_mul_f64 v[49:50], v[34:35], v[28:29]
	v_mul_f64 v[28:29], v[28:29], 0.5
	v_add_f64 v[36:37], v[51:52], -v[36:37]
	v_fma_f64 v[32:33], -v[28:29], v[49:50], 0.5
	v_add_f64 v[26:27], v[26:27], v[36:37]
	v_fma_f64 v[49:50], v[49:50], v[32:33], v[49:50]
	v_fma_f64 v[28:29], v[28:29], v[32:33], v[28:29]
	v_add_f64 v[26:27], v[40:41], v[26:27]
	v_fma_f64 v[32:33], -v[49:50], v[49:50], v[34:35]
	v_mul_f64 v[26:27], v[30:31], v[26:27]
	v_fma_f64 v[32:33], v[32:33], v[28:29], v[49:50]
	v_add_f64 v[26:27], v[30:31], v[26:27]
	v_and_b32_e32 v30, 0x80000000, v5
	v_fma_f64 v[36:37], -v[32:33], v[32:33], v[34:35]
	v_xor_b32_e32 v27, 0x80000000, v27
	v_cndmask_b32_e64 v19, v27, v39, s[0:1]
	v_xor_b32_e32 v27, v19, v30
	v_cndmask_b32_e32 v19, 0, v47, vcc
	v_cndmask_b32_e64 v26, v26, v38, s[0:1]
	v_cmp_class_f64_e32 vcc, v[34:35], v42
	v_fma_f64 v[4:5], v[36:37], v[28:29], v[32:33]
	v_fma_f64 v[28:29], v[26:27], v[26:27], 1.0
	v_ldexp_f64 v[4:5], v[4:5], v19
	v_mul_f64 v[30:31], v[2:3], v[28:29]
	v_cndmask_b32_e32 v5, v5, v35, vcc
	v_cndmask_b32_e32 v4, v4, v34, vcc
	v_mul_f64 v[4:5], v[4:5], v[28:29]
	v_fma_f64 v[28:29], v[2:3], v[30:31], 1.0
	v_mul_f64 v[2:3], v[2:3], v[4:5]
	v_div_scale_f64 v[30:31], s[0:1], v[28:29], v[28:29], v[26:27]
	v_div_scale_f64 v[4:5], s[0:1], v[28:29], v[28:29], v[2:3]
	;; [unrolled: 1-line block ×3, first 2 shown]
	v_rcp_f64_e32 v[34:35], v[30:31]
	v_rcp_f64_e32 v[32:33], v[4:5]
	v_fma_f64 v[38:39], -v[30:31], v[34:35], 1.0
	v_fma_f64 v[36:37], -v[4:5], v[32:33], 1.0
	v_fma_f64 v[34:35], v[34:35], v[38:39], v[34:35]
	v_fma_f64 v[32:33], v[32:33], v[36:37], v[32:33]
	v_div_scale_f64 v[36:37], vcc, v[2:3], v[28:29], v[2:3]
	v_fma_f64 v[49:50], -v[30:31], v[34:35], 1.0
	v_fma_f64 v[38:39], -v[4:5], v[32:33], 1.0
	v_fma_f64 v[34:35], v[34:35], v[49:50], v[34:35]
	v_fma_f64 v[32:33], v[32:33], v[38:39], v[32:33]
	v_mul_f64 v[49:50], v[40:41], v[34:35]
	v_mul_f64 v[38:39], v[36:37], v[32:33]
	v_fma_f64 v[30:31], -v[30:31], v[49:50], v[40:41]
	v_fma_f64 v[4:5], -v[4:5], v[38:39], v[36:37]
	v_div_fmas_f64 v[4:5], v[4:5], v[32:33], v[38:39]
	s_mov_b64 vcc, s[0:1]
	v_div_fmas_f64 v[30:31], v[30:31], v[34:35], v[49:50]
	v_div_fixup_f64 v[2:3], v[4:5], v[28:29], v[2:3]
	v_div_fixup_f64 v[4:5], v[30:31], v[28:29], v[26:27]
.LBB161_302:                            ;   in Loop: Header=BB161_180 Depth=1
	s_andn2_saveexec_b64 s[0:1], s[48:49]
	s_cbranch_execz .LBB161_312
; %bb.303:                              ;   in Loop: Header=BB161_180 Depth=1
	v_cmp_nlt_f64_e64 s[48:49], |v[4:5]|, s[90:91]
                                        ; implicit-def: $vgpr34
                                        ; implicit-def: $vgpr26_vgpr27
                                        ; implicit-def: $vgpr28_vgpr29
	s_and_saveexec_b64 s[68:69], s[48:49]
	s_xor_b64 s[68:69], exec, s[68:69]
	s_cbranch_execz .LBB161_305
; %bb.304:                              ;   in Loop: Header=BB161_180 Depth=1
	v_trig_preop_f64 v[26:27], |v[4:5]|, 0
	v_ldexp_f64 v[28:29], |v[4:5]|, s35
	v_cmp_ge_f64_e64 vcc, |v[4:5]|, s[92:93]
	v_trig_preop_f64 v[30:31], |v[4:5]|, 1
	v_and_b32_e32 v19, 0x7fffffff, v5
	v_trig_preop_f64 v[38:39], |v[4:5]|, 2
	s_mov_b32 s4, s12
	s_mov_b32 s17, s9
	v_cndmask_b32_e32 v29, v19, v29, vcc
	v_cndmask_b32_e32 v28, v4, v28, vcc
	v_mul_f64 v[32:33], v[26:27], v[28:29]
	v_mul_f64 v[34:35], v[30:31], v[28:29]
	;; [unrolled: 1-line block ×3, first 2 shown]
	v_fma_f64 v[26:27], v[26:27], v[28:29], -v[32:33]
	v_fma_f64 v[30:31], v[30:31], v[28:29], -v[34:35]
	;; [unrolled: 1-line block ×3, first 2 shown]
	v_add_f64 v[36:37], v[34:35], v[26:27]
	v_add_f64 v[40:41], v[36:37], -v[34:35]
	v_add_f64 v[53:54], v[32:33], v[36:37]
	v_add_f64 v[49:50], v[36:37], -v[40:41]
	v_add_f64 v[26:27], v[26:27], -v[40:41]
	v_add_f64 v[40:41], v[51:52], v[30:31]
	v_add_f64 v[32:33], v[53:54], -v[32:33]
	v_add_f64 v[34:35], v[34:35], -v[49:50]
	v_ldexp_f64 v[49:50], v[53:54], -2
	v_add_f64 v[55:56], v[40:41], -v[51:52]
	v_add_f64 v[32:33], v[36:37], -v[32:33]
	v_add_f64 v[26:27], v[26:27], v[34:35]
	v_fract_f64_e32 v[34:35], v[49:50]
	v_cmp_neq_f64_e64 vcc, |v[49:50]|, s[94:95]
	v_add_f64 v[30:31], v[30:31], -v[55:56]
	v_add_f64 v[36:37], v[40:41], v[26:27]
	v_ldexp_f64 v[34:35], v[34:35], 2
	v_add_f64 v[49:50], v[32:33], v[36:37]
	v_cndmask_b32_e32 v35, 0, v35, vcc
	v_cndmask_b32_e32 v34, 0, v34, vcc
	v_add_f64 v[57:58], v[36:37], -v[40:41]
	v_add_f64 v[53:54], v[49:50], v[34:35]
	v_add_f64 v[32:33], v[49:50], -v[32:33]
	v_add_f64 v[59:60], v[36:37], -v[57:58]
	;; [unrolled: 1-line block ×3, first 2 shown]
	v_cmp_gt_f64_e32 vcc, 0, v[53:54]
	v_add_f64 v[53:54], v[40:41], -v[55:56]
	v_add_f64 v[32:33], v[36:37], -v[32:33]
	;; [unrolled: 1-line block ×3, first 2 shown]
	v_cndmask_b32_e32 v19, 0, v43, vcc
	v_add_f64 v[34:35], v[34:35], v[18:19]
	v_add_f64 v[53:54], v[51:52], -v[53:54]
	v_add_f64 v[26:27], v[26:27], v[40:41]
	v_add_f64 v[61:62], v[49:50], v[34:35]
	;; [unrolled: 1-line block ×3, first 2 shown]
	v_cvt_i32_f64_e32 v57, v[61:62]
	v_add_f64 v[26:27], v[30:31], v[26:27]
	v_cvt_f64_i32_e32 v[55:56], v57
	v_add_f64 v[34:35], v[34:35], -v[55:56]
	v_add_f64 v[26:27], v[28:29], v[26:27]
	v_add_f64 v[30:31], v[49:50], v[34:35]
	;; [unrolled: 1-line block ×3, first 2 shown]
	v_add_f64 v[28:29], v[30:31], -v[34:35]
	v_cmp_le_f64_e32 vcc, 0.5, v[30:31]
	v_add_f64 v[28:29], v[49:50], -v[28:29]
	v_cndmask_b32_e32 v19, 0, v44, vcc
	v_add_f64 v[26:27], v[26:27], v[28:29]
	v_add_f64 v[28:29], v[30:31], -v[18:19]
	v_add_f64 v[30:31], v[28:29], v[26:27]
	v_mul_f64 v[32:33], v[30:31], s[4:5]
	v_add_f64 v[28:29], v[30:31], -v[28:29]
	v_fma_f64 v[34:35], v[30:31], s[4:5], -v[32:33]
	v_add_f64 v[26:27], v[26:27], -v[28:29]
	v_fma_f64 v[28:29], v[30:31], s[16:17], v[34:35]
	v_addc_co_u32_e32 v34, vcc, 0, v57, vcc
	v_fma_f64 v[28:29], v[26:27], s[4:5], v[28:29]
	v_add_f64 v[26:27], v[32:33], v[28:29]
	v_add_f64 v[30:31], v[26:27], -v[32:33]
	v_add_f64 v[28:29], v[28:29], -v[30:31]
	s_andn2_saveexec_b64 s[68:69], s[68:69]
	s_cbranch_execz .LBB161_307
	s_branch .LBB161_306
.LBB161_305:                            ;   in Loop: Header=BB161_180 Depth=1
	s_andn2_saveexec_b64 s[68:69], s[68:69]
	s_cbranch_execz .LBB161_307
.LBB161_306:                            ;   in Loop: Header=BB161_180 Depth=1
	v_mul_f64 v[26:27], |v[4:5]|, s[6:7]
	s_mov_b32 s8, s14
	v_rndne_f64_e32 v[30:31], v[26:27]
	v_fma_f64 v[26:27], v[30:31], s[12:13], |v[4:5]|
	v_mul_f64 v[28:29], v[30:31], s[14:15]
	v_fma_f64 v[36:37], v[30:31], s[14:15], v[26:27]
	v_add_f64 v[32:33], v[26:27], v[28:29]
	v_add_f64 v[34:35], v[26:27], -v[32:33]
	v_add_f64 v[32:33], v[32:33], -v[36:37]
	v_add_f64 v[26:27], v[34:35], v[28:29]
	v_fma_f64 v[28:29], v[30:31], s[8:9], v[28:29]
	v_cvt_i32_f64_e32 v34, v[30:31]
	v_add_f64 v[26:27], v[32:33], v[26:27]
	v_add_f64 v[26:27], v[26:27], -v[28:29]
	v_fma_f64 v[28:29], v[30:31], s[10:11], v[26:27]
	v_add_f64 v[26:27], v[36:37], v[28:29]
	v_add_f64 v[32:33], v[26:27], -v[36:37]
	v_add_f64 v[28:29], v[28:29], -v[32:33]
.LBB161_307:                            ;   in Loop: Header=BB161_180 Depth=1
	s_or_b64 exec, exec, s[68:69]
                                        ; implicit-def: $vgpr19
                                        ; implicit-def: $vgpr30_vgpr31
                                        ; implicit-def: $vgpr32_vgpr33
	s_and_saveexec_b64 s[68:69], s[48:49]
	s_xor_b64 s[48:49], exec, s[68:69]
	s_cbranch_execz .LBB161_309
; %bb.308:                              ;   in Loop: Header=BB161_180 Depth=1
	v_trig_preop_f64 v[30:31], |v[4:5]|, 0
	v_ldexp_f64 v[32:33], |v[4:5]|, s35
	v_cmp_ge_f64_e64 vcc, |v[4:5]|, s[92:93]
	v_trig_preop_f64 v[35:36], |v[4:5]|, 1
	v_and_b32_e32 v19, 0x7fffffff, v5
	v_trig_preop_f64 v[51:52], |v[4:5]|, 2
	s_mov_b32 s4, s12
	s_mov_b32 s17, s9
	v_cndmask_b32_e32 v33, v19, v33, vcc
	v_cndmask_b32_e32 v32, v4, v32, vcc
	v_mul_f64 v[37:38], v[30:31], v[32:33]
	v_mul_f64 v[39:40], v[35:36], v[32:33]
	;; [unrolled: 1-line block ×3, first 2 shown]
	v_fma_f64 v[30:31], v[30:31], v[32:33], -v[37:38]
	v_fma_f64 v[35:36], v[35:36], v[32:33], -v[39:40]
	;; [unrolled: 1-line block ×3, first 2 shown]
	v_add_f64 v[49:50], v[39:40], v[30:31]
	v_add_f64 v[53:54], v[49:50], -v[39:40]
	v_add_f64 v[59:60], v[37:38], v[49:50]
	v_add_f64 v[55:56], v[49:50], -v[53:54]
	v_add_f64 v[30:31], v[30:31], -v[53:54]
	v_add_f64 v[53:54], v[57:58], v[35:36]
	v_add_f64 v[37:38], v[59:60], -v[37:38]
	v_add_f64 v[39:40], v[39:40], -v[55:56]
	v_ldexp_f64 v[55:56], v[59:60], -2
	v_add_f64 v[61:62], v[53:54], -v[57:58]
	v_add_f64 v[37:38], v[49:50], -v[37:38]
	v_add_f64 v[30:31], v[30:31], v[39:40]
	v_fract_f64_e32 v[39:40], v[55:56]
	v_cmp_neq_f64_e64 vcc, |v[55:56]|, s[94:95]
	v_add_f64 v[35:36], v[35:36], -v[61:62]
	v_add_f64 v[49:50], v[53:54], v[30:31]
	v_ldexp_f64 v[39:40], v[39:40], 2
	v_add_f64 v[55:56], v[37:38], v[49:50]
	v_cndmask_b32_e32 v40, 0, v40, vcc
	v_cndmask_b32_e32 v39, 0, v39, vcc
	v_add_f64 v[63:64], v[49:50], -v[53:54]
	v_add_f64 v[59:60], v[55:56], v[39:40]
	v_add_f64 v[37:38], v[55:56], -v[37:38]
	v_add_f64 v[65:66], v[49:50], -v[63:64]
	;; [unrolled: 1-line block ×3, first 2 shown]
	v_cmp_gt_f64_e32 vcc, 0, v[59:60]
	v_add_f64 v[59:60], v[53:54], -v[61:62]
	v_add_f64 v[37:38], v[49:50], -v[37:38]
	;; [unrolled: 1-line block ×3, first 2 shown]
	v_cndmask_b32_e32 v19, 0, v43, vcc
	v_add_f64 v[39:40], v[39:40], v[18:19]
	v_add_f64 v[59:60], v[57:58], -v[59:60]
	v_add_f64 v[30:31], v[30:31], v[53:54]
	v_add_f64 v[67:68], v[55:56], v[39:40]
	;; [unrolled: 1-line block ×3, first 2 shown]
	v_cvt_i32_f64_e32 v41, v[67:68]
	v_add_f64 v[30:31], v[35:36], v[30:31]
	v_cvt_f64_i32_e32 v[61:62], v41
	v_add_f64 v[39:40], v[39:40], -v[61:62]
	v_add_f64 v[30:31], v[32:33], v[30:31]
	v_add_f64 v[35:36], v[55:56], v[39:40]
	v_add_f64 v[30:31], v[37:38], v[30:31]
	v_add_f64 v[32:33], v[35:36], -v[39:40]
	v_cmp_le_f64_e32 vcc, 0.5, v[35:36]
	v_add_f64 v[32:33], v[55:56], -v[32:33]
	v_cndmask_b32_e32 v19, 0, v44, vcc
	v_add_f64 v[30:31], v[30:31], v[32:33]
	v_add_f64 v[32:33], v[35:36], -v[18:19]
	v_addc_co_u32_e32 v19, vcc, 0, v41, vcc
	v_add_f64 v[35:36], v[32:33], v[30:31]
	v_mul_f64 v[37:38], v[35:36], s[4:5]
	v_add_f64 v[32:33], v[35:36], -v[32:33]
	v_fma_f64 v[39:40], v[35:36], s[4:5], -v[37:38]
	v_add_f64 v[30:31], v[30:31], -v[32:33]
	v_fma_f64 v[32:33], v[35:36], s[16:17], v[39:40]
	v_fma_f64 v[32:33], v[30:31], s[4:5], v[32:33]
	v_add_f64 v[30:31], v[37:38], v[32:33]
	v_add_f64 v[35:36], v[30:31], -v[37:38]
	v_add_f64 v[32:33], v[32:33], -v[35:36]
	s_andn2_saveexec_b64 s[48:49], s[48:49]
	s_cbranch_execnz .LBB161_310
	s_branch .LBB161_311
.LBB161_309:                            ;   in Loop: Header=BB161_180 Depth=1
	s_andn2_saveexec_b64 s[48:49], s[48:49]
	s_cbranch_execz .LBB161_311
.LBB161_310:                            ;   in Loop: Header=BB161_180 Depth=1
	v_mul_f64 v[30:31], |v[4:5]|, s[6:7]
	s_mov_b32 s8, s14
	v_rndne_f64_e32 v[35:36], v[30:31]
	v_fma_f64 v[30:31], v[35:36], s[12:13], |v[4:5]|
	v_mul_f64 v[32:33], v[35:36], s[14:15]
	v_cvt_i32_f64_e32 v19, v[35:36]
	v_fma_f64 v[49:50], v[35:36], s[14:15], v[30:31]
	v_add_f64 v[37:38], v[30:31], v[32:33]
	v_add_f64 v[39:40], v[30:31], -v[37:38]
	v_add_f64 v[37:38], v[37:38], -v[49:50]
	v_add_f64 v[30:31], v[39:40], v[32:33]
	v_fma_f64 v[32:33], v[35:36], s[8:9], v[32:33]
	v_add_f64 v[30:31], v[37:38], v[30:31]
	v_add_f64 v[30:31], v[30:31], -v[32:33]
	v_fma_f64 v[32:33], v[35:36], s[10:11], v[30:31]
	v_add_f64 v[30:31], v[49:50], v[32:33]
	v_add_f64 v[37:38], v[30:31], -v[49:50]
	v_add_f64 v[32:33], v[32:33], -v[37:38]
.LBB161_311:                            ;   in Loop: Header=BB161_180 Depth=1
	s_or_b64 exec, exec, s[48:49]
	v_mul_f64 v[35:36], |v[2:3]|, s[20:21]
	s_mov_b32 s48, 0x3b39803f
	s_mov_b32 s49, 0xbc7abc9e
	v_mul_f64 v[49:50], v[26:27], v[26:27]
	v_mov_b32_e32 v53, s80
	v_mov_b32_e32 v54, s81
	v_mul_f64 v[55:56], v[30:31], v[30:31]
	v_mov_b32_e32 v51, s70
	v_rndne_f64_e32 v[35:36], v[35:36]
	v_mov_b32_e32 v52, s71
	v_mul_f64 v[57:58], v[28:29], 0.5
	v_fma_f64 v[59:60], v[49:50], s[82:83], v[53:54]
	v_fma_f64 v[61:62], v[49:50], s[72:73], v[51:52]
	v_mul_f64 v[63:64], v[49:50], 0.5
	v_fma_f64 v[53:54], v[55:56], s[82:83], v[53:54]
	v_mul_f64 v[67:68], v[55:56], 0.5
	v_fma_f64 v[37:38], v[35:36], s[22:23], -|v[2:3]|
	v_fma_f64 v[51:52], v[55:56], s[72:73], v[51:52]
	s_mov_b32 s61, s25
	v_fma_f64 v[59:60], v[49:50], v[59:60], s[84:85]
	v_fma_f64 v[61:62], v[49:50], v[61:62], s[74:75]
	v_add_f64 v[69:70], -v[63:64], 1.0
	v_fma_f64 v[53:54], v[55:56], v[53:54], s[84:85]
	v_mul_f64 v[71:72], v[26:27], -v[49:50]
	v_fma_f64 v[37:38], v[35:36], s[48:49], v[37:38]
	v_add_f64 v[73:74], -v[67:68], 1.0
	v_fma_f64 v[51:52], v[55:56], v[51:52], s[74:75]
	v_fma_f64 v[59:60], v[49:50], v[59:60], s[86:87]
	;; [unrolled: 1-line block ×3, first 2 shown]
	v_add_f64 v[75:76], -v[69:70], 1.0
	v_fma_f64 v[53:54], v[55:56], v[53:54], s[86:87]
	v_mul_f64 v[65:66], v[32:33], 0.5
	v_fma_f64 v[39:40], v[37:38], s[50:51], v[24:25]
	v_mul_f64 v[77:78], v[30:31], -v[55:56]
	s_mov_b32 s63, s37
	v_fma_f64 v[59:60], v[49:50], v[59:60], s[24:25]
	v_add_f64 v[79:80], -v[73:74], 1.0
	v_fma_f64 v[51:52], v[55:56], v[51:52], s[76:77]
	v_fma_f64 v[53:54], v[55:56], v[53:54], s[24:25]
	;; [unrolled: 1-line block ×4, first 2 shown]
	v_add_f64 v[63:64], v[75:76], -v[63:64]
	s_mov_b32 s26, s36
	v_fma_f64 v[57:58], v[71:72], v[59:60], v[57:58]
	v_mul_f64 v[59:60], v[49:50], v[49:50]
	v_add_f64 v[67:68], v[79:80], -v[67:68]
	v_fma_f64 v[53:54], v[77:78], v[53:54], v[65:66]
	v_fma_f64 v[51:52], v[55:56], v[51:52], s[78:79]
	;; [unrolled: 1-line block ×4, first 2 shown]
	v_fma_f64 v[63:64], v[26:27], -v[28:29], v[63:64]
	v_fma_f64 v[28:29], v[49:50], v[57:58], -v[28:29]
	v_mul_f64 v[49:50], v[55:56], v[55:56]
	v_lshlrev_b32_e32 v4, 30, v34
	v_fma_f64 v[53:54], v[55:56], v[53:54], -v[32:33]
	v_fma_f64 v[51:52], v[55:56], v[51:52], s[36:37]
	v_fma_f64 v[39:40], v[37:38], v[39:40], s[56:57]
	v_fma_f64 v[32:33], v[30:31], -v[32:33], v[67:68]
	v_fma_f64 v[55:56], v[59:60], v[61:62], v[63:64]
	v_fma_f64 v[28:29], v[71:72], s[26:27], v[28:29]
	v_xor_b32_e32 v57, v4, v5
	v_and_b32_e32 v41, 1, v34
	v_fma_f64 v[4:5], v[77:78], s[26:27], v[53:54]
	v_cmp_eq_u32_e32 vcc, 0, v41
	v_fma_f64 v[39:40], v[37:38], v[39:40], s[58:59]
	v_fma_f64 v[32:33], v[49:50], v[51:52], v[32:33]
	v_add_f64 v[49:50], v[69:70], v[55:56]
	v_add_f64 v[26:27], v[26:27], -v[28:29]
	v_cvt_i32_f64_e32 v35, v[35:36]
	v_and_b32_e32 v34, 1, v19
	v_add_f64 v[4:5], v[30:31], -v[4:5]
	v_lshlrev_b32_e32 v19, 30, v19
	v_fma_f64 v[39:40], v[37:38], v[39:40], s[60:61]
	v_add_f64 v[30:31], v[73:74], v[32:33]
	s_mov_b32 s48, 0
	v_cndmask_b32_e32 v27, v50, v27, vcc
	v_cndmask_b32_e32 v26, v49, v26, vcc
	v_cmp_eq_u32_e32 vcc, 0, v34
	v_xor_b32_e32 v5, 0x80000000, v5
	v_and_b32_e32 v19, 0x80000000, v19
	v_fma_f64 v[39:40], v[37:38], v[39:40], s[62:63]
	v_cndmask_b32_e32 v5, v5, v31, vcc
	s_mov_b32 s49, 0x4090cc00
	v_cndmask_b32_e32 v4, v4, v30, vcc
	v_xor_b32_e32 v5, v5, v19
	v_cmp_ngt_f64_e64 vcc, |v[2:3]|, s[48:49]
	v_bfi_b32 v19, s29, v44, v3
	v_mov_b32_e32 v2, v18
	v_fma_f64 v[39:40], v[37:38], v[39:40], s[64:65]
	v_mov_b32_e32 v3, v19
	v_fma_f64 v[39:40], v[37:38], v[39:40], s[66:67]
	v_fma_f64 v[28:29], v[37:38], v[39:40], 1.0
	v_and_b32_e32 v39, 0x80000000, v57
	v_xor_b32_e32 v27, v27, v39
	v_mul_f64 v[26:27], v[26:27], 4.0
	v_fma_f64 v[28:29], v[37:38], v[28:29], 1.0
	v_mul_f64 v[4:5], v[26:27], v[4:5]
	v_ldexp_f64 v[28:29], v[28:29], v35
	v_cndmask_b32_e32 v27, 0, v29, vcc
	v_cndmask_b32_e32 v26, 0, v28, vcc
	v_mul_f64 v[4:5], v[26:27], v[4:5]
	v_mul_f64 v[4:5], v[26:27], v[4:5]
.LBB161_312:                            ;   in Loop: Header=BB161_180 Depth=1
	s_or_b64 exec, exec, s[0:1]
.LBB161_313:                            ;   in Loop: Header=BB161_180 Depth=1
	s_andn2_saveexec_b64 s[0:1], s[46:47]
	s_cbranch_execz .LBB161_315
; %bb.314:                              ;   in Loop: Header=BB161_180 Depth=1
	v_add_f64 v[4:5], v[4:5], -v[4:5]
	v_mov_b32_e32 v2, v4
	v_mov_b32_e32 v3, v5
.LBB161_315:                            ;   in Loop: Header=BB161_180 Depth=1
	s_or_b64 exec, exec, s[0:1]
.LBB161_316:                            ;   in Loop: Header=BB161_180 Depth=1
	s_andn2_saveexec_b64 s[38:39], s[38:39]
	s_cbranch_execz .LBB161_179
; %bb.317:                              ;   in Loop: Header=BB161_180 Depth=1
	v_and_or_b32 v19, v3, s42, v2
	v_cmp_ne_u32_e32 vcc, 0, v19
	s_and_saveexec_b64 s[0:1], vcc
	s_xor_b64 s[0:1], exec, s[0:1]
	s_cbranch_execz .LBB161_319
; %bb.318:                              ;   in Loop: Header=BB161_180 Depth=1
	v_mul_f64 v[26:27], v[2:3], v[4:5]
	v_cmp_eq_f64_e32 vcc, 0, v[4:5]
	v_cndmask_b32_e32 v5, v27, v5, vcc
	v_cndmask_b32_e32 v4, v26, v4, vcc
.LBB161_319:                            ;   in Loop: Header=BB161_180 Depth=1
	s_andn2_saveexec_b64 s[46:47], s[0:1]
	s_cbranch_execz .LBB161_178
; %bb.320:                              ;   in Loop: Header=BB161_180 Depth=1
	v_cmp_neq_f64_e64 s[0:1], |v[4:5]|, s[94:95]
	s_and_saveexec_b64 s[48:49], s[0:1]
	s_cbranch_execz .LBB161_177
; %bb.321:                              ;   in Loop: Header=BB161_180 Depth=1
	v_trig_preop_f64 v[36:37], |v[4:5]|, 0
	v_trig_preop_f64 v[34:35], |v[4:5]|, 1
	;; [unrolled: 1-line block ×3, first 2 shown]
	v_cmp_nlt_f64_e64 s[0:1], |v[4:5]|, s[90:91]
	v_ldexp_f64 v[38:39], |v[4:5]|, s35
	v_and_b32_e32 v50, 0x7fffffff, v5
                                        ; implicit-def: $vgpr49
                                        ; implicit-def: $vgpr26_vgpr27
                                        ; implicit-def: $vgpr28_vgpr29
	s_and_saveexec_b64 s[68:69], s[0:1]
	s_xor_b64 s[68:69], exec, s[68:69]
	s_cbranch_execz .LBB161_323
; %bb.322:                              ;   in Loop: Header=BB161_180 Depth=1
	v_cmp_ge_f64_e64 vcc, |v[4:5]|, s[92:93]
	s_mov_b32 s4, s12
	s_mov_b32 s17, s9
	v_cndmask_b32_e32 v27, v50, v39, vcc
	v_cndmask_b32_e32 v26, v4, v38, vcc
	v_mul_f64 v[28:29], v[36:37], v[26:27]
	v_mul_f64 v[32:33], v[34:35], v[26:27]
	;; [unrolled: 1-line block ×3, first 2 shown]
	v_fma_f64 v[40:41], v[36:37], v[26:27], -v[28:29]
	v_fma_f64 v[59:60], v[34:35], v[26:27], -v[32:33]
	;; [unrolled: 1-line block ×3, first 2 shown]
	v_add_f64 v[51:52], v[32:33], v[40:41]
	v_add_f64 v[53:54], v[51:52], -v[32:33]
	v_add_f64 v[61:62], v[28:29], v[51:52]
	v_add_f64 v[55:56], v[51:52], -v[53:54]
	v_add_f64 v[40:41], v[40:41], -v[53:54]
	v_add_f64 v[53:54], v[57:58], v[59:60]
	v_add_f64 v[28:29], v[61:62], -v[28:29]
	v_add_f64 v[32:33], v[32:33], -v[55:56]
	v_ldexp_f64 v[55:56], v[61:62], -2
	v_add_f64 v[63:64], v[53:54], -v[57:58]
	v_add_f64 v[28:29], v[51:52], -v[28:29]
	v_add_f64 v[32:33], v[40:41], v[32:33]
	v_fract_f64_e32 v[40:41], v[55:56]
	v_cmp_neq_f64_e64 vcc, |v[55:56]|, s[94:95]
	v_add_f64 v[59:60], v[59:60], -v[63:64]
	v_add_f64 v[51:52], v[53:54], v[32:33]
	v_ldexp_f64 v[40:41], v[40:41], 2
	v_add_f64 v[55:56], v[28:29], v[51:52]
	v_cndmask_b32_e32 v41, 0, v41, vcc
	v_cndmask_b32_e32 v40, 0, v40, vcc
	v_add_f64 v[65:66], v[51:52], -v[53:54]
	v_add_f64 v[61:62], v[55:56], v[40:41]
	v_add_f64 v[28:29], v[55:56], -v[28:29]
	v_add_f64 v[67:68], v[51:52], -v[65:66]
	v_add_f64 v[32:33], v[32:33], -v[65:66]
	v_cmp_gt_f64_e32 vcc, 0, v[61:62]
	v_add_f64 v[61:62], v[53:54], -v[63:64]
	v_add_f64 v[28:29], v[51:52], -v[28:29]
	;; [unrolled: 1-line block ×3, first 2 shown]
	v_cndmask_b32_e32 v19, 0, v43, vcc
	v_add_f64 v[40:41], v[40:41], v[18:19]
	v_add_f64 v[61:62], v[57:58], -v[61:62]
	v_add_f64 v[32:33], v[32:33], v[53:54]
	v_add_f64 v[69:70], v[55:56], v[40:41]
	;; [unrolled: 1-line block ×3, first 2 shown]
	v_cvt_i32_f64_e32 v49, v[69:70]
	v_add_f64 v[32:33], v[59:60], v[32:33]
	v_cvt_f64_i32_e32 v[63:64], v49
	v_add_f64 v[40:41], v[40:41], -v[63:64]
	v_add_f64 v[26:27], v[26:27], v[32:33]
	v_add_f64 v[53:54], v[55:56], v[40:41]
	v_add_f64 v[26:27], v[28:29], v[26:27]
	v_add_f64 v[32:33], v[53:54], -v[40:41]
	v_cmp_le_f64_e32 vcc, 0.5, v[53:54]
	v_add_f64 v[28:29], v[55:56], -v[32:33]
	v_cndmask_b32_e32 v19, 0, v44, vcc
	v_addc_co_u32_e32 v49, vcc, 0, v49, vcc
	v_add_f64 v[26:27], v[26:27], v[28:29]
	v_add_f64 v[28:29], v[53:54], -v[18:19]
	v_add_f64 v[32:33], v[28:29], v[26:27]
	v_mul_f64 v[40:41], v[32:33], s[4:5]
	v_add_f64 v[28:29], v[32:33], -v[28:29]
	v_fma_f64 v[51:52], v[32:33], s[4:5], -v[40:41]
	v_add_f64 v[26:27], v[26:27], -v[28:29]
	v_fma_f64 v[28:29], v[32:33], s[16:17], v[51:52]
	v_fma_f64 v[28:29], v[26:27], s[4:5], v[28:29]
	v_add_f64 v[26:27], v[40:41], v[28:29]
	v_add_f64 v[32:33], v[26:27], -v[40:41]
	v_add_f64 v[28:29], v[28:29], -v[32:33]
	s_andn2_saveexec_b64 s[68:69], s[68:69]
	s_cbranch_execz .LBB161_325
	s_branch .LBB161_324
.LBB161_323:                            ;   in Loop: Header=BB161_180 Depth=1
	s_andn2_saveexec_b64 s[68:69], s[68:69]
	s_cbranch_execz .LBB161_325
.LBB161_324:                            ;   in Loop: Header=BB161_180 Depth=1
	v_mul_f64 v[26:27], |v[4:5]|, s[6:7]
	s_mov_b32 s8, s14
	v_rndne_f64_e32 v[32:33], v[26:27]
	v_fma_f64 v[26:27], v[32:33], s[12:13], |v[4:5]|
	v_mul_f64 v[28:29], v[32:33], s[14:15]
	v_cvt_i32_f64_e32 v49, v[32:33]
	v_fma_f64 v[53:54], v[32:33], s[14:15], v[26:27]
	v_add_f64 v[40:41], v[26:27], v[28:29]
	v_add_f64 v[51:52], v[26:27], -v[40:41]
	v_add_f64 v[40:41], v[40:41], -v[53:54]
	v_add_f64 v[26:27], v[51:52], v[28:29]
	v_fma_f64 v[28:29], v[32:33], s[8:9], v[28:29]
	v_add_f64 v[26:27], v[40:41], v[26:27]
	v_add_f64 v[26:27], v[26:27], -v[28:29]
	v_fma_f64 v[28:29], v[32:33], s[10:11], v[26:27]
	v_add_f64 v[26:27], v[53:54], v[28:29]
	v_add_f64 v[40:41], v[26:27], -v[53:54]
	v_add_f64 v[28:29], v[28:29], -v[40:41]
.LBB161_325:                            ;   in Loop: Header=BB161_180 Depth=1
	s_or_b64 exec, exec, s[68:69]
                                        ; implicit-def: $vgpr19
                                        ; implicit-def: $vgpr32_vgpr33
                                        ; implicit-def: $vgpr40_vgpr41
	s_and_saveexec_b64 s[68:69], s[0:1]
	s_xor_b64 s[0:1], exec, s[68:69]
	s_cbranch_execz .LBB161_327
; %bb.326:                              ;   in Loop: Header=BB161_180 Depth=1
	v_cmp_ge_f64_e64 vcc, |v[4:5]|, s[92:93]
	s_mov_b32 s4, s12
	s_mov_b32 s17, s9
	v_cndmask_b32_e32 v33, v50, v39, vcc
	v_cndmask_b32_e32 v32, v4, v38, vcc
	v_mul_f64 v[38:39], v[36:37], v[32:33]
	v_mul_f64 v[40:41], v[34:35], v[32:33]
	;; [unrolled: 1-line block ×3, first 2 shown]
	v_fma_f64 v[36:37], v[36:37], v[32:33], -v[38:39]
	v_fma_f64 v[34:35], v[34:35], v[32:33], -v[40:41]
	;; [unrolled: 1-line block ×3, first 2 shown]
	v_add_f64 v[50:51], v[40:41], v[36:37]
	v_add_f64 v[52:53], v[50:51], -v[40:41]
	v_add_f64 v[58:59], v[38:39], v[50:51]
	v_add_f64 v[54:55], v[50:51], -v[52:53]
	v_add_f64 v[36:37], v[36:37], -v[52:53]
	v_add_f64 v[52:53], v[56:57], v[34:35]
	v_add_f64 v[38:39], v[58:59], -v[38:39]
	v_add_f64 v[40:41], v[40:41], -v[54:55]
	v_ldexp_f64 v[54:55], v[58:59], -2
	v_add_f64 v[60:61], v[52:53], -v[56:57]
	v_add_f64 v[38:39], v[50:51], -v[38:39]
	v_add_f64 v[36:37], v[36:37], v[40:41]
	v_fract_f64_e32 v[40:41], v[54:55]
	v_cmp_neq_f64_e64 vcc, |v[54:55]|, s[94:95]
	v_add_f64 v[34:35], v[34:35], -v[60:61]
	v_add_f64 v[50:51], v[52:53], v[36:37]
	v_ldexp_f64 v[40:41], v[40:41], 2
	v_add_f64 v[54:55], v[38:39], v[50:51]
	v_cndmask_b32_e32 v41, 0, v41, vcc
	v_cndmask_b32_e32 v40, 0, v40, vcc
	v_add_f64 v[62:63], v[50:51], -v[52:53]
	v_add_f64 v[58:59], v[54:55], v[40:41]
	v_add_f64 v[32:33], v[54:55], -v[38:39]
	v_add_f64 v[64:65], v[50:51], -v[62:63]
	;; [unrolled: 1-line block ×3, first 2 shown]
	v_cmp_gt_f64_e32 vcc, 0, v[58:59]
	v_add_f64 v[58:59], v[52:53], -v[60:61]
	v_add_f64 v[32:33], v[50:51], -v[32:33]
	;; [unrolled: 1-line block ×3, first 2 shown]
	v_cndmask_b32_e32 v19, 0, v43, vcc
	v_add_f64 v[40:41], v[40:41], v[18:19]
	v_add_f64 v[58:59], v[56:57], -v[58:59]
	v_add_f64 v[36:37], v[36:37], v[52:53]
	v_add_f64 v[66:67], v[54:55], v[40:41]
	v_add_f64 v[34:35], v[34:35], v[58:59]
	v_cvt_i32_f64_e32 v62, v[66:67]
	v_add_f64 v[34:35], v[34:35], v[36:37]
	v_cvt_f64_i32_e32 v[60:61], v62
	v_add_f64 v[40:41], v[40:41], -v[60:61]
	v_add_f64 v[30:31], v[30:31], v[34:35]
	v_add_f64 v[36:37], v[54:55], v[40:41]
	;; [unrolled: 1-line block ×3, first 2 shown]
	v_add_f64 v[34:35], v[36:37], -v[40:41]
	v_cmp_le_f64_e32 vcc, 0.5, v[36:37]
	v_add_f64 v[32:33], v[54:55], -v[34:35]
	v_cndmask_b32_e32 v19, 0, v44, vcc
	v_add_f64 v[30:31], v[30:31], v[32:33]
	v_add_f64 v[32:33], v[36:37], -v[18:19]
	v_addc_co_u32_e32 v19, vcc, 0, v62, vcc
	v_add_f64 v[34:35], v[32:33], v[30:31]
	v_mul_f64 v[36:37], v[34:35], s[4:5]
	v_add_f64 v[32:33], v[34:35], -v[32:33]
	v_fma_f64 v[38:39], v[34:35], s[4:5], -v[36:37]
	v_add_f64 v[30:31], v[30:31], -v[32:33]
	v_fma_f64 v[32:33], v[34:35], s[16:17], v[38:39]
	v_fma_f64 v[30:31], v[30:31], s[4:5], v[32:33]
	v_add_f64 v[32:33], v[36:37], v[30:31]
	v_add_f64 v[34:35], v[32:33], -v[36:37]
	v_add_f64 v[40:41], v[30:31], -v[34:35]
	s_andn2_saveexec_b64 s[0:1], s[0:1]
	s_cbranch_execz .LBB161_176
	s_branch .LBB161_328
.LBB161_327:                            ;   in Loop: Header=BB161_180 Depth=1
	s_andn2_saveexec_b64 s[0:1], s[0:1]
	s_cbranch_execz .LBB161_176
.LBB161_328:                            ;   in Loop: Header=BB161_180 Depth=1
	v_mul_f64 v[30:31], |v[4:5]|, s[6:7]
	s_mov_b32 s8, s14
	v_rndne_f64_e32 v[30:31], v[30:31]
	v_fma_f64 v[32:33], v[30:31], s[12:13], |v[4:5]|
	v_mul_f64 v[34:35], v[30:31], s[14:15]
	v_cvt_i32_f64_e32 v19, v[30:31]
	v_fma_f64 v[40:41], v[30:31], s[14:15], v[32:33]
	v_add_f64 v[36:37], v[32:33], v[34:35]
	v_add_f64 v[38:39], v[32:33], -v[36:37]
	v_add_f64 v[36:37], v[36:37], -v[40:41]
	v_add_f64 v[32:33], v[38:39], v[34:35]
	v_fma_f64 v[34:35], v[30:31], s[8:9], v[34:35]
	v_add_f64 v[32:33], v[36:37], v[32:33]
	v_add_f64 v[32:33], v[32:33], -v[34:35]
	v_fma_f64 v[34:35], v[30:31], s[10:11], v[32:33]
	v_add_f64 v[32:33], v[40:41], v[34:35]
	v_add_f64 v[36:37], v[32:33], -v[40:41]
	v_add_f64 v[40:41], v[34:35], -v[36:37]
	s_branch .LBB161_176
.LBB161_329:
	s_endpgm
	.section	.rodata,"a",@progbits
	.p2align	6, 0x0
	.amdhsa_kernel _ZN2at6native12_GLOBAL__N_125multi_tensor_apply_kernelINS1_18TensorListMetadataILi1EEENS1_14UnaryOpFunctorIN3c107complexIdEELi1ELi1ELi0EEEJNS0_4TanhIS8_EEEEEvT_T0_DpT1_
		.amdhsa_group_segment_fixed_size 0
		.amdhsa_private_segment_fixed_size 0
		.amdhsa_kernarg_size 3632
		.amdhsa_user_sgpr_count 6
		.amdhsa_user_sgpr_private_segment_buffer 1
		.amdhsa_user_sgpr_dispatch_ptr 0
		.amdhsa_user_sgpr_queue_ptr 0
		.amdhsa_user_sgpr_kernarg_segment_ptr 1
		.amdhsa_user_sgpr_dispatch_id 0
		.amdhsa_user_sgpr_flat_scratch_init 0
		.amdhsa_user_sgpr_private_segment_size 0
		.amdhsa_uses_dynamic_stack 0
		.amdhsa_system_sgpr_private_segment_wavefront_offset 0
		.amdhsa_system_sgpr_workgroup_id_x 1
		.amdhsa_system_sgpr_workgroup_id_y 0
		.amdhsa_system_sgpr_workgroup_id_z 0
		.amdhsa_system_sgpr_workgroup_info 0
		.amdhsa_system_vgpr_workitem_id 0
		.amdhsa_next_free_vgpr 82
		.amdhsa_next_free_sgpr 96
		.amdhsa_reserve_vcc 1
		.amdhsa_reserve_flat_scratch 0
		.amdhsa_float_round_mode_32 0
		.amdhsa_float_round_mode_16_64 0
		.amdhsa_float_denorm_mode_32 3
		.amdhsa_float_denorm_mode_16_64 3
		.amdhsa_dx10_clamp 1
		.amdhsa_ieee_mode 1
		.amdhsa_fp16_overflow 0
		.amdhsa_exception_fp_ieee_invalid_op 0
		.amdhsa_exception_fp_denorm_src 0
		.amdhsa_exception_fp_ieee_div_zero 0
		.amdhsa_exception_fp_ieee_overflow 0
		.amdhsa_exception_fp_ieee_underflow 0
		.amdhsa_exception_fp_ieee_inexact 0
		.amdhsa_exception_int_div_zero 0
	.end_amdhsa_kernel
	.section	.text._ZN2at6native12_GLOBAL__N_125multi_tensor_apply_kernelINS1_18TensorListMetadataILi1EEENS1_14UnaryOpFunctorIN3c107complexIdEELi1ELi1ELi0EEEJNS0_4TanhIS8_EEEEEvT_T0_DpT1_,"axG",@progbits,_ZN2at6native12_GLOBAL__N_125multi_tensor_apply_kernelINS1_18TensorListMetadataILi1EEENS1_14UnaryOpFunctorIN3c107complexIdEELi1ELi1ELi0EEEJNS0_4TanhIS8_EEEEEvT_T0_DpT1_,comdat
.Lfunc_end161:
	.size	_ZN2at6native12_GLOBAL__N_125multi_tensor_apply_kernelINS1_18TensorListMetadataILi1EEENS1_14UnaryOpFunctorIN3c107complexIdEELi1ELi1ELi0EEEJNS0_4TanhIS8_EEEEEvT_T0_DpT1_, .Lfunc_end161-_ZN2at6native12_GLOBAL__N_125multi_tensor_apply_kernelINS1_18TensorListMetadataILi1EEENS1_14UnaryOpFunctorIN3c107complexIdEELi1ELi1ELi0EEEJNS0_4TanhIS8_EEEEEvT_T0_DpT1_
                                        ; -- End function
	.set _ZN2at6native12_GLOBAL__N_125multi_tensor_apply_kernelINS1_18TensorListMetadataILi1EEENS1_14UnaryOpFunctorIN3c107complexIdEELi1ELi1ELi0EEEJNS0_4TanhIS8_EEEEEvT_T0_DpT1_.num_vgpr, 82
	.set _ZN2at6native12_GLOBAL__N_125multi_tensor_apply_kernelINS1_18TensorListMetadataILi1EEENS1_14UnaryOpFunctorIN3c107complexIdEELi1ELi1ELi0EEEJNS0_4TanhIS8_EEEEEvT_T0_DpT1_.num_agpr, 0
	.set _ZN2at6native12_GLOBAL__N_125multi_tensor_apply_kernelINS1_18TensorListMetadataILi1EEENS1_14UnaryOpFunctorIN3c107complexIdEELi1ELi1ELi0EEEJNS0_4TanhIS8_EEEEEvT_T0_DpT1_.numbered_sgpr, 96
	.set _ZN2at6native12_GLOBAL__N_125multi_tensor_apply_kernelINS1_18TensorListMetadataILi1EEENS1_14UnaryOpFunctorIN3c107complexIdEELi1ELi1ELi0EEEJNS0_4TanhIS8_EEEEEvT_T0_DpT1_.num_named_barrier, 0
	.set _ZN2at6native12_GLOBAL__N_125multi_tensor_apply_kernelINS1_18TensorListMetadataILi1EEENS1_14UnaryOpFunctorIN3c107complexIdEELi1ELi1ELi0EEEJNS0_4TanhIS8_EEEEEvT_T0_DpT1_.private_seg_size, 0
	.set _ZN2at6native12_GLOBAL__N_125multi_tensor_apply_kernelINS1_18TensorListMetadataILi1EEENS1_14UnaryOpFunctorIN3c107complexIdEELi1ELi1ELi0EEEJNS0_4TanhIS8_EEEEEvT_T0_DpT1_.uses_vcc, 1
	.set _ZN2at6native12_GLOBAL__N_125multi_tensor_apply_kernelINS1_18TensorListMetadataILi1EEENS1_14UnaryOpFunctorIN3c107complexIdEELi1ELi1ELi0EEEJNS0_4TanhIS8_EEEEEvT_T0_DpT1_.uses_flat_scratch, 0
	.set _ZN2at6native12_GLOBAL__N_125multi_tensor_apply_kernelINS1_18TensorListMetadataILi1EEENS1_14UnaryOpFunctorIN3c107complexIdEELi1ELi1ELi0EEEJNS0_4TanhIS8_EEEEEvT_T0_DpT1_.has_dyn_sized_stack, 0
	.set _ZN2at6native12_GLOBAL__N_125multi_tensor_apply_kernelINS1_18TensorListMetadataILi1EEENS1_14UnaryOpFunctorIN3c107complexIdEELi1ELi1ELi0EEEJNS0_4TanhIS8_EEEEEvT_T0_DpT1_.has_recursion, 0
	.set _ZN2at6native12_GLOBAL__N_125multi_tensor_apply_kernelINS1_18TensorListMetadataILi1EEENS1_14UnaryOpFunctorIN3c107complexIdEELi1ELi1ELi0EEEJNS0_4TanhIS8_EEEEEvT_T0_DpT1_.has_indirect_call, 0
	.section	.AMDGPU.csdata,"",@progbits
; Kernel info:
; codeLenInByte = 59388
; TotalNumSgprs: 100
; NumVgprs: 82
; ScratchSize: 0
; MemoryBound: 1
; FloatMode: 240
; IeeeMode: 1
; LDSByteSize: 0 bytes/workgroup (compile time only)
; SGPRBlocks: 12
; VGPRBlocks: 20
; NumSGPRsForWavesPerEU: 100
; NumVGPRsForWavesPerEU: 82
; Occupancy: 3
; WaveLimiterHint : 0
; COMPUTE_PGM_RSRC2:SCRATCH_EN: 0
; COMPUTE_PGM_RSRC2:USER_SGPR: 6
; COMPUTE_PGM_RSRC2:TRAP_HANDLER: 0
; COMPUTE_PGM_RSRC2:TGID_X_EN: 1
; COMPUTE_PGM_RSRC2:TGID_Y_EN: 0
; COMPUTE_PGM_RSRC2:TGID_Z_EN: 0
; COMPUTE_PGM_RSRC2:TIDIG_COMP_CNT: 0
	.section	.text._ZN2at6native12_GLOBAL__N_125multi_tensor_apply_kernelINS1_18TensorListMetadataILi1EEENS1_14UnaryOpFunctorIN3c107complexIfEELi1ELi1ELi0EEEJNS0_4TanhIS8_EEEEEvT_T0_DpT1_,"axG",@progbits,_ZN2at6native12_GLOBAL__N_125multi_tensor_apply_kernelINS1_18TensorListMetadataILi1EEENS1_14UnaryOpFunctorIN3c107complexIfEELi1ELi1ELi0EEEJNS0_4TanhIS8_EEEEEvT_T0_DpT1_,comdat
	.globl	_ZN2at6native12_GLOBAL__N_125multi_tensor_apply_kernelINS1_18TensorListMetadataILi1EEENS1_14UnaryOpFunctorIN3c107complexIfEELi1ELi1ELi0EEEJNS0_4TanhIS8_EEEEEvT_T0_DpT1_ ; -- Begin function _ZN2at6native12_GLOBAL__N_125multi_tensor_apply_kernelINS1_18TensorListMetadataILi1EEENS1_14UnaryOpFunctorIN3c107complexIfEELi1ELi1ELi0EEEJNS0_4TanhIS8_EEEEEvT_T0_DpT1_
	.p2align	8
	.type	_ZN2at6native12_GLOBAL__N_125multi_tensor_apply_kernelINS1_18TensorListMetadataILi1EEENS1_14UnaryOpFunctorIN3c107complexIfEELi1ELi1ELi0EEEJNS0_4TanhIS8_EEEEEvT_T0_DpT1_,@function
_ZN2at6native12_GLOBAL__N_125multi_tensor_apply_kernelINS1_18TensorListMetadataILi1EEENS1_14UnaryOpFunctorIN3c107complexIfEELi1ELi1ELi0EEEJNS0_4TanhIS8_EEEEEvT_T0_DpT1_: ; @_ZN2at6native12_GLOBAL__N_125multi_tensor_apply_kernelINS1_18TensorListMetadataILi1EEENS1_14UnaryOpFunctorIN3c107complexIfEELi1ELi1ELi0EEEJNS0_4TanhIS8_EEEEEvT_T0_DpT1_
; %bb.0:
	v_mov_b32_e32 v1, s6
	global_load_ubyte v1, v1, s[4:5] offset:1760
	s_add_u32 s0, s4, s6
	s_mul_hi_u32 s1, s6, 3
	s_mul_i32 s6, s6, 3
	s_addc_u32 s2, s5, 0
	s_add_u32 s0, s0, s6
	s_addc_u32 s1, s2, s1
	s_load_dword s0, s[0:1], 0x820
	s_mov_b32 s7, 0
	s_waitcnt vmcnt(0)
	v_readfirstlane_b32 s1, v1
	s_lshl_b32 s1, s1, 3
	s_load_dwordx2 s[16:17], s[4:5], s1 offset:0x0
	s_load_dwordx2 s[2:3], s[4:5], s1 offset:0x370
	s_waitcnt lgkmcnt(0)
	s_ashr_i32 s1, s0, 31
	s_lshl_b64 s[18:19], s[0:1], 19
	s_add_u32 s33, s16, s18
	s_addc_u32 s40, s17, s19
	s_lshl_b64 s[0:1], s[0:1], 16
	s_and_b32 s6, s33, 31
	s_sub_u32 s20, s2, s0
	s_subb_u32 s21, s3, s1
	s_and_b32 s0, s2, 3
	s_mov_b32 s1, s7
	s_or_b64 s[0:1], s[6:7], s[0:1]
	s_cmp_eq_u64 s[0:1], 0
	s_cbranch_scc1 .LBB162_173
; %bb.1:
	v_cmp_lt_i64_e64 s[0:1], s[20:21], 1
	s_and_b64 vcc, exec, s[0:1]
	s_cbranch_vccnz .LBB162_172
; %bb.2:
	v_mov_b32_e32 v3, 0x10000
	s_load_dword s2, s[4:5], 0xd3c
	v_mov_b32_e32 v4, 0
	v_cmp_lt_i64_e32 vcc, s[20:21], v[3:4]
	v_mov_b32_e32 v2, 0
	s_and_b64 s[0:1], vcc, exec
	v_cmp_lt_u64_e32 vcc, s[20:21], v[3:4]
	s_cselect_b32 s23, s21, 0
	s_cselect_b32 s22, s20, 0x10000
	s_waitcnt lgkmcnt(0)
	s_and_b32 s2, s2, 0xffff
	s_and_b64 s[0:1], vcc, exec
	s_mul_i32 s6, s2, 3
	v_add_co_u32_e32 v14, vcc, s2, v0
	v_lshlrev_b32_e32 v3, 3, v0
	v_mov_b32_e32 v4, v2
	v_addc_co_u32_e64 v15, s[0:1], 0, 0, vcc
	v_add_co_u32_e32 v16, vcc, s6, v0
	v_mad_u64_u32 v[4:5], s[0:1], s2, 24, v[3:4]
	v_addc_co_u32_e64 v17, s[0:1], 0, 0, vcc
	s_cselect_b32 s25, s21, 0
	s_cselect_b32 s24, s20, 0x10000
	s_lshl_b32 s0, s2, 4
	s_lshl_b32 s3, s2, 1
	v_add_co_u32_e32 v1, vcc, s0, v3
	v_addc_co_u32_e64 v19, s[0:1], 0, 0, vcc
	v_add_co_u32_e32 v21, vcc, s3, v0
	s_lshl_b32 s41, s2, 2
	s_lshl_b32 s42, s2, 5
	v_or_b32_e32 v4, 4, v4
	v_lshlrev_b32_e32 v18, 3, v14
	v_or_b32_e32 v20, 4, v1
	v_addc_co_u32_e64 v22, s[0:1], 0, 0, vcc
	s_mov_b64 s[26:27], 0
	s_brev_b32 s43, -2
	s_mov_b32 s44, 0x7f800000
	s_movk_i32 s45, 0x1f8
	s_mov_b32 s46, 0x41300000
	s_brev_b32 s47, 18
	s_mov_b32 s48, 0xfe5163ab
	s_mov_b32 s49, 0x3c439041
	;; [unrolled: 1-line block ×10, first 2 shown]
	v_mov_b32_e32 v23, 0x3f93f425
	s_mov_b32 s58, 0xbf317218
	v_mov_b32_e32 v24, 0x3d2aadcc
	v_mov_b32_e32 v25, 0x3e2aaa47
	s_mov_b32 s59, 0x42b2d4fc
	s_mov_b32 s60, 0x39800000
	;; [unrolled: 1-line block ×7, first 2 shown]
	v_mov_b32_e32 v26, 0x3efffffc
	v_mov_b32_e32 v27, 0x260
	;; [unrolled: 1-line block ×5, first 2 shown]
	v_not_b32_e32 v31, 63
	v_not_b32_e32 v32, 31
	v_mov_b32_e32 v33, 0x7f800000
	v_mov_b32_e32 v34, 0x7fc00000
	s_branch .LBB162_4
.LBB162_3:                              ;   in Loop: Header=BB162_4 Depth=1
	s_or_b64 exec, exec, s[0:1]
	s_add_u32 s26, s26, s41
	v_mov_b32_e32 v6, s22
	s_addc_u32 s27, s27, 0
	v_mov_b32_e32 v7, s23
	v_cmp_ge_i64_e32 vcc, s[26:27], v[6:7]
	s_add_u32 s33, s33, s42
	s_addc_u32 s40, s40, 0
	s_cbranch_vccnz .LBB162_172
.LBB162_4:                              ; =>This Inner Loop Header: Depth=1
	v_mov_b32_e32 v1, s27
	v_add_co_u32_e32 v6, vcc, s26, v0
	v_addc_co_u32_e32 v7, vcc, 0, v1, vcc
	v_cmp_gt_u64_e64 s[0:1], s[24:25], v[6:7]
	v_mov_b32_e32 v9, 0
	v_mov_b32_e32 v8, 0
	s_and_saveexec_b64 s[2:3], s[0:1]
	s_cbranch_execz .LBB162_6
; %bb.5:                                ;   in Loop: Header=BB162_4 Depth=1
	v_mov_b32_e32 v1, s40
	v_add_co_u32_e32 v6, vcc, s33, v3
	v_addc_co_u32_e32 v7, vcc, 0, v1, vcc
	global_load_dwordx2 v[8:9], v[6:7], off
.LBB162_6:                              ;   in Loop: Header=BB162_4 Depth=1
	s_or_b64 exec, exec, s[2:3]
	v_mov_b32_e32 v1, s27
	v_add_co_u32_e32 v6, vcc, s26, v14
	v_addc_co_u32_e32 v7, vcc, v15, v1, vcc
	v_cmp_gt_u64_e64 s[2:3], s[24:25], v[6:7]
	v_mov_b32_e32 v7, 0
	v_mov_b32_e32 v11, 0
	;; [unrolled: 1-line block ×3, first 2 shown]
	s_and_saveexec_b64 s[6:7], s[2:3]
	s_cbranch_execz .LBB162_8
; %bb.7:                                ;   in Loop: Header=BB162_4 Depth=1
	v_mov_b32_e32 v1, s40
	v_add_co_u32_e32 v10, vcc, s33, v18
	v_addc_co_u32_e32 v11, vcc, 0, v1, vcc
	global_load_dwordx2 v[10:11], v[10:11], off
.LBB162_8:                              ;   in Loop: Header=BB162_4 Depth=1
	s_or_b64 exec, exec, s[6:7]
	v_mov_b32_e32 v1, s27
	v_add_co_u32_e32 v12, vcc, s26, v21
	v_addc_co_u32_e32 v13, vcc, v22, v1, vcc
	v_cmp_gt_u64_e64 s[6:7], s[24:25], v[12:13]
	v_mov_b32_e32 v6, 0
	s_and_saveexec_b64 s[8:9], s[6:7]
	s_cbranch_execz .LBB162_10
; %bb.9:                                ;   in Loop: Header=BB162_4 Depth=1
	v_mov_b32_e32 v1, s40
	v_add_co_u32_e32 v6, vcc, s33, v20
	v_addc_co_u32_e32 v7, vcc, v1, v19, vcc
	global_load_dwordx2 v[6:7], v[6:7], off offset:-4
.LBB162_10:                             ;   in Loop: Header=BB162_4 Depth=1
	s_or_b64 exec, exec, s[8:9]
	v_mov_b32_e32 v1, s27
	v_add_co_u32_e32 v12, vcc, s26, v16
	v_addc_co_u32_e32 v13, vcc, v17, v1, vcc
	v_cmp_gt_u64_e64 s[8:9], s[24:25], v[12:13]
	v_mov_b32_e32 v13, 0
	v_mov_b32_e32 v12, 0
	s_and_saveexec_b64 s[10:11], s[8:9]
	s_cbranch_execz .LBB162_12
; %bb.11:                               ;   in Loop: Header=BB162_4 Depth=1
	v_mov_b32_e32 v1, s40
	v_add_co_u32_e32 v12, vcc, s33, v4
	v_addc_co_u32_e32 v13, vcc, v1, v5, vcc
	global_load_dwordx2 v[12:13], v[12:13], off offset:-4
.LBB162_12:                             ;   in Loop: Header=BB162_4 Depth=1
	s_or_b64 exec, exec, s[10:11]
	s_waitcnt vmcnt(0)
	v_and_b32_e32 v1, 0x7fffffff, v8
	v_cmp_gt_u32_e32 vcc, s44, v1
	s_and_saveexec_b64 s[10:11], vcc
	s_xor_b64 s[28:29], exec, s[10:11]
	s_cbranch_execz .LBB162_34
; %bb.13:                               ;   in Loop: Header=BB162_4 Depth=1
	v_cmp_class_f32_e64 s[10:11], v9, s45
	s_and_saveexec_b64 s[12:13], s[10:11]
	s_xor_b64 s[30:31], exec, s[12:13]
	s_cbranch_execz .LBB162_31
; %bb.14:                               ;   in Loop: Header=BB162_4 Depth=1
	v_and_b32_e32 v35, 0x7fffffff, v9
	v_cmp_gt_u32_e32 vcc, s46, v1
	s_and_saveexec_b64 s[10:11], vcc
	s_xor_b64 s[34:35], exec, s[10:11]
	s_cbranch_execz .LBB162_20
; %bb.15:                               ;   in Loop: Header=BB162_4 Depth=1
	v_cmp_nlt_f32_e64 s[10:11], |v9|, s47
                                        ; implicit-def: $vgpr36
                                        ; implicit-def: $vgpr1
	s_and_saveexec_b64 s[12:13], s[10:11]
	s_xor_b64 s[36:37], exec, s[12:13]
	s_cbranch_execz .LBB162_17
; %bb.16:                               ;   in Loop: Header=BB162_4 Depth=1
	v_and_b32_e32 v1, 0x7fffff, v35
	v_or_b32_e32 v43, 0x800000, v1
	v_mad_u64_u32 v[36:37], s[10:11], v43, s48, 0
	v_mov_b32_e32 v1, v37
	v_mad_u64_u32 v[37:38], s[10:11], v43, s49, v[1:2]
	v_mov_b32_e32 v1, v38
	;; [unrolled: 2-line block ×3, first 2 shown]
	v_mad_u64_u32 v[39:40], s[10:11], v43, s51, v[1:2]
	v_lshrrev_b32_e32 v1, 23, v35
	v_add_u32_e32 v42, 0xffffff88, v1
	v_mov_b32_e32 v1, v40
	v_mad_u64_u32 v[40:41], s[10:11], v43, s52, v[1:2]
	v_cmp_lt_u32_e32 vcc, 63, v42
	v_cndmask_b32_e32 v1, 0, v31, vcc
	v_add_u32_e32 v44, v1, v42
	v_mov_b32_e32 v1, v41
	v_mad_u64_u32 v[41:42], s[10:11], v43, s53, v[1:2]
	v_cmp_lt_u32_e64 s[10:11], 31, v44
	v_cndmask_b32_e64 v1, 0, v32, s[10:11]
	v_add_u32_e32 v44, v1, v44
	v_mov_b32_e32 v1, v42
	v_mad_u64_u32 v[42:43], s[12:13], v43, s54, v[1:2]
	v_cmp_lt_u32_e64 s[12:13], 31, v44
	v_cndmask_b32_e64 v1, 0, v32, s[12:13]
	v_add_u32_e32 v1, v1, v44
	v_cndmask_b32_e32 v44, v41, v39, vcc
	v_cndmask_b32_e32 v42, v42, v40, vcc
	;; [unrolled: 1-line block ×4, first 2 shown]
	v_cndmask_b32_e64 v43, v42, v44, s[10:11]
	v_cndmask_b32_e64 v41, v41, v42, s[10:11]
	;; [unrolled: 1-line block ×3, first 2 shown]
	v_sub_u32_e32 v44, 32, v1
	v_cmp_eq_u32_e64 s[14:15], 0, v1
	v_cndmask_b32_e32 v1, v39, v37, vcc
	v_cndmask_b32_e64 v41, v41, v43, s[12:13]
	v_cndmask_b32_e64 v43, v43, v42, s[12:13]
	;; [unrolled: 1-line block ×3, first 2 shown]
	v_alignbit_b32 v45, v41, v43, v44
	v_cndmask_b32_e64 v39, v42, v37, s[12:13]
	v_cndmask_b32_e64 v41, v45, v41, s[14:15]
	v_alignbit_b32 v40, v43, v39, v44
	v_cndmask_b32_e32 v36, v38, v36, vcc
	v_cndmask_b32_e64 v40, v40, v43, s[14:15]
	v_bfe_u32 v45, v41, 29, 1
	v_cndmask_b32_e64 v1, v1, v36, s[10:11]
	v_alignbit_b32 v42, v41, v40, 30
	v_sub_u32_e32 v46, 0, v45
	v_cndmask_b32_e64 v1, v37, v1, s[12:13]
	v_xor_b32_e32 v42, v42, v46
	v_alignbit_b32 v36, v39, v1, v44
	v_cndmask_b32_e64 v36, v36, v39, s[14:15]
	v_ffbh_u32_e32 v38, v42
	v_alignbit_b32 v37, v40, v36, 30
	v_min_u32_e32 v38, 32, v38
	v_alignbit_b32 v1, v36, v1, 30
	v_xor_b32_e32 v37, v37, v46
	v_sub_u32_e32 v39, 31, v38
	v_xor_b32_e32 v1, v1, v46
	v_alignbit_b32 v40, v42, v37, v39
	v_alignbit_b32 v1, v37, v1, v39
	;; [unrolled: 1-line block ×3, first 2 shown]
	v_ffbh_u32_e32 v37, v36
	v_min_u32_e32 v37, 32, v37
	v_lshrrev_b32_e32 v43, 29, v41
	v_not_b32_e32 v39, v37
	v_alignbit_b32 v1, v36, v1, v39
	v_lshlrev_b32_e32 v36, 31, v43
	v_or_b32_e32 v39, 0x33000000, v36
	v_add_lshl_u32 v37, v37, v38, 23
	v_lshrrev_b32_e32 v1, 9, v1
	v_sub_u32_e32 v37, v39, v37
	v_or_b32_e32 v36, 0.5, v36
	v_lshlrev_b32_e32 v38, 23, v38
	v_or_b32_e32 v1, v37, v1
	v_lshrrev_b32_e32 v37, 9, v40
	v_sub_u32_e32 v36, v36, v38
	v_or_b32_e32 v36, v37, v36
	v_mul_f32_e32 v37, 0x3fc90fda, v36
	v_fma_f32 v38, v36, s55, -v37
	v_fmac_f32_e32 v38, 0x33a22168, v36
	v_fmac_f32_e32 v38, 0x3fc90fda, v1
	v_lshrrev_b32_e32 v36, 30, v41
	v_add_f32_e32 v1, v37, v38
	v_add_u32_e32 v36, v45, v36
.LBB162_17:                             ;   in Loop: Header=BB162_4 Depth=1
	s_andn2_saveexec_b64 s[10:11], s[36:37]
; %bb.18:                               ;   in Loop: Header=BB162_4 Depth=1
	v_mul_f32_e64 v1, |v9|, s56
	v_rndne_f32_e32 v37, v1
	v_cvt_i32_f32_e32 v36, v37
	v_fma_f32 v1, v37, s57, |v9|
	v_fmac_f32_e32 v1, 0xb3a22168, v37
	v_fmac_f32_e32 v1, 0xa7c234c4, v37
; %bb.19:                               ;   in Loop: Header=BB162_4 Depth=1
	s_or_b64 exec, exec, s[10:11]
	v_mul_f32_e32 v37, v1, v1
	v_mov_b32_e32 v38, 0xbf039337
	v_fmac_f32_e32 v38, 0x3c971480, v37
	v_fma_f32 v38, v37, v38, v23
	v_rcp_f32_e32 v38, v38
	v_mov_b32_e32 v39, 0x3ec54587
	v_fmac_f32_e32 v39, 0xbc8cedd3, v37
	v_and_b32_e32 v36, 1, v36
	v_mul_f32_e32 v38, v39, v38
	v_mul_f32_e32 v37, v37, v38
	v_fma_f32 v38, v37, v1, v1
	v_rcp_f32_e32 v39, v38
	v_sub_f32_e32 v40, v38, v1
	v_fma_f32 v1, v37, v1, -v40
	v_cmp_eq_u32_e32 vcc, 0, v36
	v_fma_f32 v37, v38, -v39, 1.0
	v_fma_f32 v1, v1, -v39, v37
	v_add_f32_e64 v36, |v8|, s58
	v_fma_f32 v1, v1, -v39, -v39
	v_sub_f32_e64 v37, v36, |v8|
	v_cndmask_b32_e32 v1, v1, v38, vcc
	v_sub_f32_e32 v38, v37, v36
	v_add_f32_e64 v38, |v8|, v38
	v_add_f32_e32 v37, 0x3f317218, v37
	v_sub_f32_e32 v37, v38, v37
	v_add_f32_e32 v37, 0x3102e308, v37
	v_add_f32_e32 v38, v36, v37
	v_sub_f32_e32 v36, v36, v38
	v_add_f32_e32 v36, v37, v36
	v_mul_f32_e32 v37, 0x3fb8aa3b, v38
	v_rndne_f32_e32 v37, v37
	v_fmac_f32_e32 v38, 0xbf317200, v37
	v_add_f32_e32 v39, v36, v38
	v_sub_f32_e32 v38, v38, v39
	v_add_f32_e32 v36, v36, v38
	v_mul_f32_e32 v38, 0x35bfbc00, v37
	v_sub_f32_e32 v40, v39, v38
	v_sub_f32_e32 v39, v39, v40
	;; [unrolled: 1-line block ×3, first 2 shown]
	v_add_f32_e32 v36, v36, v38
	v_add_f32_e32 v38, v40, v36
	v_sub_f32_e32 v39, v40, v38
	v_add_f32_e32 v36, v36, v39
	v_mul_f32_e32 v39, 0x2ea39ef3, v37
	v_sub_f32_e32 v40, v38, v39
	v_sub_f32_e32 v38, v38, v40
	;; [unrolled: 1-line block ×3, first 2 shown]
	v_add_f32_e32 v36, v36, v38
	v_add_f32_e32 v38, v40, v36
	v_sub_f32_e32 v40, v40, v38
	v_mov_b32_e32 v39, 0x3c091de6
	v_add_f32_e32 v36, v36, v40
	v_mul_f32_e32 v41, v38, v38
	v_fmac_f32_e32 v39, 0x3ab42872, v38
	v_add_f32_e32 v40, v36, v36
	v_fma_f32 v42, v38, v38, -v41
	v_fma_f32 v39, v38, v39, v24
	v_fmac_f32_e32 v42, v38, v40
	v_fma_f32 v39, v38, v39, v25
	v_add_f32_e32 v40, v41, v42
	v_fma_f32 v39, v38, v39, v26
	v_sub_f32_e32 v41, v40, v41
	v_sub_f32_e32 v41, v42, v41
	v_mul_f32_e32 v42, v39, v40
	v_fma_f32 v40, v40, v39, -v42
	v_fmac_f32_e32 v40, v41, v39
	v_add_f32_e32 v39, v42, v40
	v_sub_f32_e32 v41, v39, v42
	v_sub_f32_e32 v40, v40, v41
	v_add_f32_e32 v41, v38, v39
	v_sub_f32_e32 v38, v41, v38
	v_sub_f32_e32 v38, v39, v38
	v_add_f32_e32 v36, v36, v40
	v_add_f32_e32 v36, v36, v38
	;; [unrolled: 1-line block ×3, first 2 shown]
	v_sub_f32_e32 v39, v38, v41
	v_sub_f32_e32 v36, v36, v39
	v_add_f32_e32 v39, 1.0, v38
	v_add_f32_e32 v40, -1.0, v39
	v_cvt_i32_f32_e32 v37, v37
	v_sub_f32_e32 v38, v38, v40
	v_add_f32_e32 v36, v36, v38
	v_add_f32_e32 v38, v39, v36
	v_ldexp_f32 v40, v38, v37
	v_rcp_f32_e32 v41, v40
	v_sub_f32_e32 v38, v38, v39
	v_sub_f32_e32 v36, v36, v38
	v_ldexp_f32 v36, v36, v37
	v_mul_f32_e32 v37, v40, v41
	v_fma_f32 v38, v41, v40, -v37
	v_fmac_f32_e32 v38, v41, v36
	v_add_f32_e32 v39, v37, v38
	v_sub_f32_e32 v42, 1.0, v39
	v_sub_f32_e32 v43, 1.0, v42
	v_sub_f32_e32 v37, v39, v37
	v_sub_f32_e32 v43, v43, v39
	;; [unrolled: 1-line block ×3, first 2 shown]
	v_add_f32_e32 v37, v37, v43
	v_add_f32_e32 v38, v42, v37
	v_mul_f32_e32 v39, v41, v38
	v_mul_f32_e32 v43, v40, v39
	v_fma_f32 v44, v39, v40, -v43
	v_fmac_f32_e32 v44, v39, v36
	v_sub_f32_e32 v42, v42, v38
	v_add_f32_e32 v37, v37, v42
	v_add_f32_e32 v42, v43, v44
	v_sub_f32_e32 v45, v38, v42
	v_sub_f32_e32 v38, v38, v45
	;; [unrolled: 1-line block ×4, first 2 shown]
	v_add_f32_e32 v37, v37, v38
	v_sub_f32_e32 v38, v43, v44
	v_add_f32_e32 v37, v38, v37
	v_add_f32_e32 v37, v45, v37
	;; [unrolled: 1-line block ×3, first 2 shown]
	v_mul_f32_e32 v37, v41, v37
	v_sub_f32_e32 v41, v38, v41
	v_sub_f32_e32 v39, v39, v41
	v_add_f32_e32 v37, v39, v37
	v_add_f32_e32 v39, v38, v37
	v_sub_f32_e32 v38, v39, v38
	v_sub_f32_e32 v37, v37, v38
	v_ldexp_f32 v38, v39, -2
	v_sub_f32_e32 v39, v40, v38
	v_sub_f32_e32 v40, v40, v39
	;; [unrolled: 1-line block ×3, first 2 shown]
	v_ldexp_f32 v37, v37, -2
	v_add_f32_e32 v36, v36, v38
	v_sub_f32_e32 v36, v36, v37
	v_add_f32_e32 v36, v39, v36
	v_cmp_ngt_f32_e64 vcc, |v8|, s59
	v_cndmask_b32_e32 v36, v33, v36, vcc
	v_cmp_lt_f32_e64 s[10:11], |v8|, s60
	v_cndmask_b32_e64 v36, v36, |v8|, s[10:11]
	v_bfi_b32 v8, s43, v36, v8
	v_fma_f32 v36, v8, v8, 1.0
	v_mul_f32_e32 v37, 0x4f800000, v36
	v_cmp_gt_f32_e32 vcc, s61, v36
	v_cndmask_b32_e32 v36, v36, v37, vcc
	v_sqrt_f32_e32 v37, v36
	v_xor_b32_e32 v1, v35, v1
	v_xor_b32_e32 v1, v1, v9
	v_fma_f32 v9, v1, v1, 1.0
	v_add_u32_e32 v35, -1, v37
	v_fma_f32 v38, -v35, v37, v36
	v_cmp_ge_f32_e64 s[10:11], 0, v38
	v_add_u32_e32 v38, 1, v37
	v_cndmask_b32_e64 v35, v37, v35, s[10:11]
	v_fma_f32 v37, -v38, v37, v36
	v_cmp_lt_f32_e64 s[10:11], 0, v37
	v_cndmask_b32_e64 v35, v35, v38, s[10:11]
	v_mul_f32_e32 v37, 0x37800000, v35
	v_cndmask_b32_e32 v35, v35, v37, vcc
	v_cmp_class_f32_e32 vcc, v36, v27
	v_cndmask_b32_e32 v35, v35, v36, vcc
	v_mul_f32_e32 v36, v8, v9
	v_mul_f32_e32 v9, v35, v9
	v_fma_f32 v36, v8, v36, 1.0
	v_mul_f32_e32 v8, v8, v9
	v_div_scale_f32 v9, s[10:11], v36, v36, v8
	v_div_scale_f32 v35, vcc, v8, v36, v8
	v_div_scale_f32 v37, s[10:11], v36, v36, v1
	v_div_scale_f32 v38, s[10:11], v1, v36, v1
	v_rcp_f32_e32 v39, v9
	v_fma_f32 v40, -v9, v39, 1.0
	v_fmac_f32_e32 v39, v40, v39
	v_mul_f32_e32 v40, v35, v39
	v_fma_f32 v41, -v9, v40, v35
	v_fmac_f32_e32 v40, v41, v39
	v_rcp_f32_e32 v41, v37
	v_fma_f32 v9, -v9, v40, v35
	v_div_fmas_f32 v9, v9, v39, v40
	s_mov_b64 vcc, s[10:11]
	v_fma_f32 v35, -v37, v41, 1.0
	v_fmac_f32_e32 v41, v35, v41
	v_mul_f32_e32 v35, v38, v41
	v_fma_f32 v39, -v37, v35, v38
	v_fmac_f32_e32 v35, v39, v41
	v_fma_f32 v37, -v37, v35, v38
	v_div_fmas_f32 v35, v37, v41, v35
	v_div_fixup_f32 v8, v9, v36, v8
	v_div_fixup_f32 v9, v35, v36, v1
                                        ; implicit-def: $vgpr35
.LBB162_20:                             ;   in Loop: Header=BB162_4 Depth=1
	s_andn2_saveexec_b64 s[34:35], s[34:35]
	s_cbranch_execz .LBB162_23
; %bb.21:                               ;   in Loop: Header=BB162_4 Depth=1
	v_lshrrev_b32_e32 v1, 23, v35
	v_and_b32_e32 v36, 0x7fffff, v35
	v_cmp_nlt_f32_e64 s[36:37], |v9|, s47
	v_add_u32_e32 v39, 0xffffff88, v1
	v_or_b32_e32 v36, 0x800000, v36
                                        ; implicit-def: $vgpr37
                                        ; implicit-def: $vgpr38
	s_and_saveexec_b64 s[10:11], s[36:37]
	s_xor_b64 s[38:39], exec, s[10:11]
	s_cbranch_execz .LBB162_24
; %bb.22:                               ;   in Loop: Header=BB162_4 Depth=1
	v_mad_u64_u32 v[37:38], s[10:11], v36, s48, 0
	v_cmp_lt_u32_e32 vcc, 63, v39
	v_mov_b32_e32 v1, v38
	v_mad_u64_u32 v[40:41], s[10:11], v36, s49, v[1:2]
	v_mov_b32_e32 v1, v41
	v_mad_u64_u32 v[41:42], s[10:11], v36, s50, v[1:2]
	v_mov_b32_e32 v1, v42
	v_mad_u64_u32 v[42:43], s[10:11], v36, s51, v[1:2]
	v_cndmask_b32_e32 v1, 0, v31, vcc
	v_add_u32_e32 v38, v1, v39
	v_mov_b32_e32 v1, v43
	v_mad_u64_u32 v[43:44], s[10:11], v36, s52, v[1:2]
	v_cmp_lt_u32_e64 s[10:11], 31, v38
	v_cndmask_b32_e64 v1, 0, v32, s[10:11]
	v_add_u32_e32 v38, v1, v38
	v_mov_b32_e32 v1, v44
	v_mad_u64_u32 v[44:45], s[12:13], v36, s53, v[1:2]
	v_cmp_lt_u32_e64 s[12:13], 31, v38
	v_cndmask_b32_e64 v1, 0, v32, s[12:13]
	v_add_u32_e32 v38, v1, v38
	v_mov_b32_e32 v1, v45
	v_mad_u64_u32 v[45:46], s[14:15], v36, s54, v[1:2]
	v_cndmask_b32_e32 v1, v43, v41, vcc
	v_cndmask_b32_e32 v47, v44, v42, vcc
	;; [unrolled: 1-line block ×4, first 2 shown]
	v_cndmask_b32_e64 v48, v47, v1, s[10:11]
	v_cndmask_b32_e64 v45, v43, v47, s[10:11]
	;; [unrolled: 1-line block ×5, first 2 shown]
	v_sub_u32_e32 v45, 32, v38
	v_cmp_eq_u32_e64 s[14:15], 0, v38
	v_cndmask_b32_e32 v38, v42, v40, vcc
	v_cndmask_b32_e64 v1, v1, v38, s[10:11]
	v_alignbit_b32 v46, v43, v44, v45
	v_cndmask_b32_e64 v40, v48, v1, s[12:13]
	v_cndmask_b32_e64 v43, v46, v43, s[14:15]
	v_alignbit_b32 v42, v44, v40, v45
	v_cndmask_b32_e32 v37, v41, v37, vcc
	v_cndmask_b32_e64 v42, v42, v44, s[14:15]
	v_bfe_u32 v47, v43, 29, 1
	v_cndmask_b32_e64 v37, v38, v37, s[10:11]
	v_alignbit_b32 v44, v43, v42, 30
	v_sub_u32_e32 v48, 0, v47
	v_cndmask_b32_e64 v1, v1, v37, s[12:13]
	v_xor_b32_e32 v44, v44, v48
	v_alignbit_b32 v37, v40, v1, v45
	v_cndmask_b32_e64 v37, v37, v40, s[14:15]
	v_ffbh_u32_e32 v40, v44
	v_alignbit_b32 v38, v42, v37, 30
	v_min_u32_e32 v40, 32, v40
	v_alignbit_b32 v1, v37, v1, 30
	v_xor_b32_e32 v38, v38, v48
	v_sub_u32_e32 v41, 31, v40
	v_xor_b32_e32 v1, v1, v48
	v_alignbit_b32 v42, v44, v38, v41
	v_alignbit_b32 v1, v38, v1, v41
	;; [unrolled: 1-line block ×3, first 2 shown]
	v_ffbh_u32_e32 v38, v37
	v_min_u32_e32 v38, 32, v38
	v_lshrrev_b32_e32 v46, 29, v43
	v_not_b32_e32 v41, v38
	v_alignbit_b32 v1, v37, v1, v41
	v_lshlrev_b32_e32 v37, 31, v46
	v_or_b32_e32 v41, 0x33000000, v37
	v_add_lshl_u32 v38, v38, v40, 23
	v_lshrrev_b32_e32 v1, 9, v1
	v_sub_u32_e32 v38, v41, v38
	v_or_b32_e32 v37, 0.5, v37
	v_lshlrev_b32_e32 v40, 23, v40
	v_or_b32_e32 v1, v38, v1
	v_lshrrev_b32_e32 v38, 9, v42
	v_sub_u32_e32 v37, v37, v40
	v_or_b32_e32 v37, v38, v37
	v_mul_f32_e32 v38, 0x3fc90fda, v37
	v_fma_f32 v40, v37, s55, -v38
	v_fmac_f32_e32 v40, 0x33a22168, v37
	v_fmac_f32_e32 v40, 0x3fc90fda, v1
	v_lshrrev_b32_e32 v1, 30, v43
	v_add_f32_e32 v38, v38, v40
	v_add_u32_e32 v37, v47, v1
	s_andn2_saveexec_b64 s[10:11], s[38:39]
	s_branch .LBB162_25
.LBB162_23:                             ;   in Loop: Header=BB162_4 Depth=1
	s_or_b64 exec, exec, s[34:35]
	s_andn2_saveexec_b64 s[10:11], s[30:31]
	s_cbranch_execnz .LBB162_32
	s_branch .LBB162_33
.LBB162_24:                             ;   in Loop: Header=BB162_4 Depth=1
	s_andn2_saveexec_b64 s[10:11], s[38:39]
.LBB162_25:                             ;   in Loop: Header=BB162_4 Depth=1
	v_mul_f32_e64 v1, |v9|, s56
	v_rndne_f32_e32 v1, v1
	v_cvt_i32_f32_e32 v37, v1
	v_fma_f32 v38, v1, s57, |v9|
	v_fmac_f32_e32 v38, 0xb3a22168, v1
	v_fmac_f32_e32 v38, 0xa7c234c4, v1
; %bb.26:                               ;   in Loop: Header=BB162_4 Depth=1
	s_or_b64 exec, exec, s[10:11]
                                        ; implicit-def: $vgpr1
                                        ; implicit-def: $vgpr40
	s_and_saveexec_b64 s[10:11], s[36:37]
	s_xor_b64 s[36:37], exec, s[10:11]
	s_cbranch_execz .LBB162_28
; %bb.27:                               ;   in Loop: Header=BB162_4 Depth=1
	v_mad_u64_u32 v[40:41], s[10:11], v36, s48, 0
	v_cmp_lt_u32_e32 vcc, 63, v39
	v_mov_b32_e32 v1, v41
	v_mad_u64_u32 v[41:42], s[10:11], v36, s49, v[1:2]
	v_mov_b32_e32 v1, v42
	v_mad_u64_u32 v[42:43], s[10:11], v36, s50, v[1:2]
	;; [unrolled: 2-line block ×3, first 2 shown]
	v_cndmask_b32_e32 v1, 0, v31, vcc
	v_add_u32_e32 v39, v1, v39
	v_mov_b32_e32 v1, v44
	v_mad_u64_u32 v[44:45], s[10:11], v36, s52, v[1:2]
	v_cmp_lt_u32_e64 s[10:11], 31, v39
	v_cndmask_b32_e64 v1, 0, v32, s[10:11]
	v_add_u32_e32 v39, v1, v39
	v_mov_b32_e32 v1, v45
	v_mad_u64_u32 v[45:46], s[12:13], v36, s53, v[1:2]
	v_cmp_lt_u32_e64 s[12:13], 31, v39
	v_cndmask_b32_e64 v1, 0, v32, s[12:13]
	v_add_u32_e32 v39, v1, v39
	v_mov_b32_e32 v1, v46
	v_mad_u64_u32 v[46:47], s[14:15], v36, s54, v[1:2]
	v_cndmask_b32_e32 v1, v44, v42, vcc
	v_cndmask_b32_e32 v36, v45, v43, vcc
	;; [unrolled: 1-line block ×4, first 2 shown]
	v_cndmask_b32_e64 v48, v36, v1, s[10:11]
	v_cndmask_b32_e64 v36, v44, v36, s[10:11]
	;; [unrolled: 1-line block ×3, first 2 shown]
	v_cndmask_b32_e32 v41, v43, v41, vcc
	v_cndmask_b32_e64 v44, v44, v36, s[12:13]
	v_cndmask_b32_e64 v36, v36, v48, s[12:13]
	v_sub_u32_e32 v45, 32, v39
	v_cndmask_b32_e64 v1, v1, v41, s[10:11]
	v_alignbit_b32 v46, v44, v36, v45
	v_cmp_eq_u32_e64 s[14:15], 0, v39
	v_cndmask_b32_e64 v43, v48, v1, s[12:13]
	v_cndmask_b32_e64 v39, v46, v44, s[14:15]
	v_alignbit_b32 v44, v36, v43, v45
	v_cndmask_b32_e32 v40, v42, v40, vcc
	v_cndmask_b32_e64 v36, v44, v36, s[14:15]
	v_bfe_u32 v47, v39, 29, 1
	v_cndmask_b32_e64 v40, v41, v40, s[10:11]
	v_alignbit_b32 v44, v39, v36, 30
	v_sub_u32_e32 v48, 0, v47
	v_cndmask_b32_e64 v1, v1, v40, s[12:13]
	v_xor_b32_e32 v44, v44, v48
	v_alignbit_b32 v40, v43, v1, v45
	v_cndmask_b32_e64 v40, v40, v43, s[14:15]
	v_ffbh_u32_e32 v41, v44
	v_alignbit_b32 v36, v36, v40, 30
	v_min_u32_e32 v41, 32, v41
	v_alignbit_b32 v1, v40, v1, 30
	v_xor_b32_e32 v36, v36, v48
	v_sub_u32_e32 v42, 31, v41
	v_xor_b32_e32 v1, v1, v48
	v_alignbit_b32 v43, v44, v36, v42
	v_alignbit_b32 v1, v36, v1, v42
	;; [unrolled: 1-line block ×3, first 2 shown]
	v_ffbh_u32_e32 v40, v36
	v_min_u32_e32 v40, 32, v40
	v_lshrrev_b32_e32 v46, 29, v39
	v_not_b32_e32 v42, v40
	v_alignbit_b32 v1, v36, v1, v42
	v_lshlrev_b32_e32 v36, 31, v46
	v_or_b32_e32 v42, 0x33000000, v36
	v_add_lshl_u32 v40, v40, v41, 23
	v_lshrrev_b32_e32 v1, 9, v1
	v_sub_u32_e32 v40, v42, v40
	v_or_b32_e32 v36, 0.5, v36
	v_lshlrev_b32_e32 v41, 23, v41
	v_or_b32_e32 v1, v40, v1
	v_lshrrev_b32_e32 v40, 9, v43
	v_sub_u32_e32 v36, v36, v41
	v_or_b32_e32 v36, v40, v36
	v_mul_f32_e32 v40, 0x3fc90fda, v36
	v_fma_f32 v41, v36, s55, -v40
	v_fmac_f32_e32 v41, 0x33a22168, v36
	v_fmac_f32_e32 v41, 0x3fc90fda, v1
	v_lshrrev_b32_e32 v1, 30, v39
	v_add_f32_e32 v40, v40, v41
	v_add_u32_e32 v1, v47, v1
	s_andn2_saveexec_b64 s[10:11], s[36:37]
	s_cbranch_execnz .LBB162_29
	s_branch .LBB162_30
.LBB162_28:                             ;   in Loop: Header=BB162_4 Depth=1
	s_andn2_saveexec_b64 s[10:11], s[36:37]
.LBB162_29:                             ;   in Loop: Header=BB162_4 Depth=1
	v_mul_f32_e64 v1, |v9|, s56
	v_rndne_f32_e32 v36, v1
	v_cvt_i32_f32_e32 v1, v36
	v_fma_f32 v40, v36, s57, |v9|
	v_fmac_f32_e32 v40, 0xb3a22168, v36
	v_fmac_f32_e32 v40, 0xa7c234c4, v36
.LBB162_30:                             ;   in Loop: Header=BB162_4 Depth=1
	s_or_b64 exec, exec, s[10:11]
	v_mul_f32_e32 v36, v38, v38
	v_mov_b32_e32 v39, 0x3c0881c4
	v_fmac_f32_e32 v39, 0xb94c1982, v36
	v_fma_f32 v39, v36, v39, v28
	v_mul_f32_e32 v39, v36, v39
	v_fmac_f32_e32 v38, v38, v39
	v_mov_b32_e32 v39, 0xbab64f3b
	v_fmac_f32_e32 v39, 0x37d75334, v36
	v_fma_f32 v39, v36, v39, v29
	v_fma_f32 v39, v36, v39, v30
	v_fma_f32 v36, v36, v39, 1.0
	v_and_b32_e32 v39, 1, v37
	v_lshlrev_b32_e32 v37, 30, v37
	v_and_b32_e32 v37, 0x80000000, v37
	v_cmp_eq_u32_e32 vcc, 0, v39
	v_xor_b32_e32 v35, v35, v37
	v_mul_f32_e64 v37, |v8|, s62
	v_cndmask_b32_e32 v36, v36, v38, vcc
	v_rndne_f32_e32 v38, v37
	v_sub_f32_e32 v39, v37, v38
	v_fma_f32 v37, |v8|, s62, -v37
	v_fma_f32 v37, |v8|, s63, v37
	v_add_f32_e32 v37, v39, v37
	v_exp_f32_e32 v37, v37
	v_cvt_i32_f32_e32 v38, v38
	v_xor_b32_e32 v35, v35, v36
	v_xor_b32_e32 v9, v35, v9
	v_mul_f32_e32 v36, v40, v40
	v_ldexp_f32 v35, v37, v38
	v_mov_b32_e32 v37, 0x3c0881c4
	v_fmac_f32_e32 v37, 0xb94c1982, v36
	v_fma_f32 v37, v36, v37, v28
	v_mul_f32_e32 v37, v36, v37
	v_fmac_f32_e32 v40, v40, v37
	v_mov_b32_e32 v37, 0xbab64f3b
	v_fmac_f32_e32 v37, 0x37d75334, v36
	v_fma_f32 v37, v36, v37, v29
	v_cmp_ngt_f32_e64 vcc, |v8|, s64
	v_fma_f32 v37, v36, v37, v30
	v_cndmask_b32_e32 v35, 0, v35, vcc
	v_cmp_nlt_f32_e64 vcc, |v8|, s65
	v_fma_f32 v36, v36, v37, 1.0
	v_and_b32_e32 v37, 1, v1
	v_cndmask_b32_e32 v35, v33, v35, vcc
	v_cmp_eq_u32_e32 vcc, 0, v37
	v_lshlrev_b32_e32 v1, 30, v1
	v_cndmask_b32_e64 v36, -v40, v36, vcc
	v_and_b32_e32 v1, 0x80000000, v1
	v_mul_f32_e32 v9, 4.0, v9
	v_xor_b32_e32 v1, v1, v36
	v_mul_f32_e32 v1, v9, v1
	v_mul_f32_e32 v1, v35, v1
	v_bfi_b32 v8, s43, 1.0, v8
	v_mul_f32_e32 v9, v35, v1
	s_or_b64 exec, exec, s[34:35]
.LBB162_31:                             ;   in Loop: Header=BB162_4 Depth=1
	s_andn2_saveexec_b64 s[10:11], s[30:31]
.LBB162_32:                             ;   in Loop: Header=BB162_4 Depth=1
	v_sub_f32_e32 v9, v9, v9
	v_mov_b32_e32 v8, v9
.LBB162_33:                             ;   in Loop: Header=BB162_4 Depth=1
	s_or_b64 exec, exec, s[10:11]
.LBB162_34:                             ;   in Loop: Header=BB162_4 Depth=1
	s_andn2_saveexec_b64 s[28:29], s[28:29]
	s_cbranch_execz .LBB162_50
; %bb.35:                               ;   in Loop: Header=BB162_4 Depth=1
	v_and_b32_e32 v1, 0x7fffff, v8
	v_cmp_ne_u32_e32 vcc, 0, v1
	s_and_saveexec_b64 s[10:11], vcc
	s_xor_b64 s[10:11], exec, s[10:11]
; %bb.36:                               ;   in Loop: Header=BB162_4 Depth=1
	v_mul_f32_e32 v1, v9, v8
	v_cmp_eq_f32_e32 vcc, 0, v9
	v_cndmask_b32_e32 v9, v1, v9, vcc
; %bb.37:                               ;   in Loop: Header=BB162_4 Depth=1
	s_andn2_saveexec_b64 s[30:31], s[10:11]
	s_cbranch_execz .LBB162_49
; %bb.38:                               ;   in Loop: Header=BB162_4 Depth=1
	v_cmp_neq_f32_e64 s[10:11], |v9|, s44
	s_and_saveexec_b64 s[34:35], s[10:11]
	s_cbranch_execz .LBB162_48
; %bb.39:                               ;   in Loop: Header=BB162_4 Depth=1
	v_and_b32_e32 v35, 0x7fffffff, v9
	v_lshrrev_b32_e32 v1, 23, v35
	v_and_b32_e32 v36, 0x7fffff, v35
	v_cmp_nlt_f32_e64 s[36:37], |v9|, s47
	v_add_u32_e32 v39, 0xffffff88, v1
	v_or_b32_e32 v37, 0x800000, v36
                                        ; implicit-def: $vgpr36
                                        ; implicit-def: $vgpr38
	s_and_saveexec_b64 s[10:11], s[36:37]
	s_xor_b64 s[38:39], exec, s[10:11]
	s_cbranch_execz .LBB162_41
; %bb.40:                               ;   in Loop: Header=BB162_4 Depth=1
	v_mad_u64_u32 v[40:41], s[10:11], v37, s48, 0
	v_cmp_lt_u32_e32 vcc, 63, v39
	v_mov_b32_e32 v1, v41
	v_mad_u64_u32 v[41:42], s[10:11], v37, s49, v[1:2]
	v_mov_b32_e32 v1, v42
	v_mad_u64_u32 v[42:43], s[10:11], v37, s50, v[1:2]
	;; [unrolled: 2-line block ×3, first 2 shown]
	v_cndmask_b32_e32 v1, 0, v31, vcc
	v_add_u32_e32 v36, v1, v39
	v_mov_b32_e32 v1, v44
	v_mad_u64_u32 v[44:45], s[10:11], v37, s52, v[1:2]
	v_cmp_lt_u32_e64 s[10:11], 31, v36
	v_cndmask_b32_e64 v1, 0, v32, s[10:11]
	v_add_u32_e32 v36, v1, v36
	v_mov_b32_e32 v1, v45
	v_mad_u64_u32 v[45:46], s[12:13], v37, s53, v[1:2]
	v_cmp_lt_u32_e64 s[12:13], 31, v36
	v_cndmask_b32_e64 v1, 0, v32, s[12:13]
	v_add_u32_e32 v36, v1, v36
	v_mov_b32_e32 v1, v46
	v_mad_u64_u32 v[46:47], s[14:15], v37, s54, v[1:2]
	v_cndmask_b32_e32 v1, v44, v42, vcc
	v_cndmask_b32_e32 v38, v45, v43, vcc
	;; [unrolled: 1-line block ×4, first 2 shown]
	v_cndmask_b32_e64 v48, v38, v1, s[10:11]
	v_cndmask_b32_e64 v38, v44, v38, s[10:11]
	;; [unrolled: 1-line block ×3, first 2 shown]
	v_cndmask_b32_e32 v41, v43, v41, vcc
	v_cndmask_b32_e64 v44, v44, v38, s[12:13]
	v_cndmask_b32_e64 v38, v38, v48, s[12:13]
	v_sub_u32_e32 v45, 32, v36
	v_cndmask_b32_e64 v1, v1, v41, s[10:11]
	v_alignbit_b32 v46, v44, v38, v45
	v_cmp_eq_u32_e64 s[14:15], 0, v36
	v_cndmask_b32_e64 v43, v48, v1, s[12:13]
	v_cndmask_b32_e64 v36, v46, v44, s[14:15]
	v_alignbit_b32 v44, v38, v43, v45
	v_cndmask_b32_e32 v40, v42, v40, vcc
	v_cndmask_b32_e64 v38, v44, v38, s[14:15]
	v_bfe_u32 v47, v36, 29, 1
	v_cndmask_b32_e64 v40, v41, v40, s[10:11]
	v_alignbit_b32 v44, v36, v38, 30
	v_sub_u32_e32 v48, 0, v47
	v_cndmask_b32_e64 v1, v1, v40, s[12:13]
	v_xor_b32_e32 v44, v44, v48
	v_alignbit_b32 v40, v43, v1, v45
	v_cndmask_b32_e64 v40, v40, v43, s[14:15]
	v_ffbh_u32_e32 v41, v44
	v_alignbit_b32 v38, v38, v40, 30
	v_min_u32_e32 v41, 32, v41
	v_alignbit_b32 v1, v40, v1, 30
	v_xor_b32_e32 v38, v38, v48
	v_sub_u32_e32 v42, 31, v41
	v_xor_b32_e32 v1, v1, v48
	v_alignbit_b32 v43, v44, v38, v42
	v_alignbit_b32 v1, v38, v1, v42
	;; [unrolled: 1-line block ×3, first 2 shown]
	v_ffbh_u32_e32 v40, v38
	v_min_u32_e32 v40, 32, v40
	v_lshrrev_b32_e32 v46, 29, v36
	v_not_b32_e32 v42, v40
	v_alignbit_b32 v1, v38, v1, v42
	v_lshlrev_b32_e32 v38, 31, v46
	v_or_b32_e32 v42, 0x33000000, v38
	v_add_lshl_u32 v40, v40, v41, 23
	v_lshrrev_b32_e32 v1, 9, v1
	v_sub_u32_e32 v40, v42, v40
	v_or_b32_e32 v38, 0.5, v38
	v_lshlrev_b32_e32 v41, 23, v41
	v_or_b32_e32 v1, v40, v1
	v_lshrrev_b32_e32 v40, 9, v43
	v_sub_u32_e32 v38, v38, v41
	v_or_b32_e32 v38, v40, v38
	v_mul_f32_e32 v40, 0x3fc90fda, v38
	v_fma_f32 v41, v38, s55, -v40
	v_fmac_f32_e32 v41, 0x33a22168, v38
	v_fmac_f32_e32 v41, 0x3fc90fda, v1
	v_lshrrev_b32_e32 v1, 30, v36
	v_add_f32_e32 v38, v40, v41
	v_add_u32_e32 v36, v47, v1
.LBB162_41:                             ;   in Loop: Header=BB162_4 Depth=1
	s_or_saveexec_b64 s[10:11], s[38:39]
	v_mul_f32_e64 v1, |v9|, s56
	v_rndne_f32_e32 v41, v1
	s_xor_b64 exec, exec, s[10:11]
; %bb.42:                               ;   in Loop: Header=BB162_4 Depth=1
	v_cvt_i32_f32_e32 v36, v41
	v_fma_f32 v38, v41, s57, |v9|
	v_fmac_f32_e32 v38, 0xb3a22168, v41
	v_fmac_f32_e32 v38, 0xa7c234c4, v41
; %bb.43:                               ;   in Loop: Header=BB162_4 Depth=1
	s_or_b64 exec, exec, s[10:11]
                                        ; implicit-def: $vgpr1
                                        ; implicit-def: $vgpr40
	s_and_saveexec_b64 s[10:11], s[36:37]
	s_xor_b64 s[36:37], exec, s[10:11]
	s_cbranch_execz .LBB162_45
; %bb.44:                               ;   in Loop: Header=BB162_4 Depth=1
	v_mad_u64_u32 v[40:41], s[10:11], v37, s48, 0
	v_cmp_lt_u32_e32 vcc, 63, v39
	v_mov_b32_e32 v1, v41
	v_mad_u64_u32 v[41:42], s[10:11], v37, s49, v[1:2]
	v_mov_b32_e32 v1, v42
	v_mad_u64_u32 v[42:43], s[10:11], v37, s50, v[1:2]
	;; [unrolled: 2-line block ×3, first 2 shown]
	v_cndmask_b32_e32 v1, 0, v31, vcc
	v_add_u32_e32 v39, v1, v39
	v_mov_b32_e32 v1, v44
	v_mad_u64_u32 v[44:45], s[10:11], v37, s52, v[1:2]
	v_cmp_lt_u32_e64 s[10:11], 31, v39
	v_cndmask_b32_e64 v1, 0, v32, s[10:11]
	v_add_u32_e32 v39, v1, v39
	v_mov_b32_e32 v1, v45
	v_mad_u64_u32 v[45:46], s[12:13], v37, s53, v[1:2]
	v_cmp_lt_u32_e64 s[12:13], 31, v39
	v_cndmask_b32_e64 v1, 0, v32, s[12:13]
	v_add_u32_e32 v39, v1, v39
	v_mov_b32_e32 v1, v46
	v_mad_u64_u32 v[46:47], s[14:15], v37, s54, v[1:2]
	v_cndmask_b32_e32 v1, v44, v42, vcc
	v_cndmask_b32_e32 v37, v45, v43, vcc
	;; [unrolled: 1-line block ×4, first 2 shown]
	v_cndmask_b32_e64 v48, v37, v1, s[10:11]
	v_cndmask_b32_e64 v37, v44, v37, s[10:11]
	;; [unrolled: 1-line block ×3, first 2 shown]
	v_cndmask_b32_e32 v41, v43, v41, vcc
	v_cndmask_b32_e64 v44, v44, v37, s[12:13]
	v_cndmask_b32_e64 v37, v37, v48, s[12:13]
	v_sub_u32_e32 v45, 32, v39
	v_cndmask_b32_e64 v1, v1, v41, s[10:11]
	v_alignbit_b32 v46, v44, v37, v45
	v_cmp_eq_u32_e64 s[14:15], 0, v39
	v_cndmask_b32_e64 v43, v48, v1, s[12:13]
	v_cndmask_b32_e64 v39, v46, v44, s[14:15]
	v_alignbit_b32 v44, v37, v43, v45
	v_cndmask_b32_e32 v40, v42, v40, vcc
	v_cndmask_b32_e64 v37, v44, v37, s[14:15]
	v_bfe_u32 v47, v39, 29, 1
	v_cndmask_b32_e64 v40, v41, v40, s[10:11]
	v_alignbit_b32 v44, v39, v37, 30
	v_sub_u32_e32 v48, 0, v47
	v_cndmask_b32_e64 v1, v1, v40, s[12:13]
	v_xor_b32_e32 v44, v44, v48
	v_alignbit_b32 v40, v43, v1, v45
	v_cndmask_b32_e64 v40, v40, v43, s[14:15]
	v_ffbh_u32_e32 v41, v44
	v_alignbit_b32 v37, v37, v40, 30
	v_min_u32_e32 v41, 32, v41
	v_alignbit_b32 v1, v40, v1, 30
	v_xor_b32_e32 v37, v37, v48
	v_sub_u32_e32 v42, 31, v41
	v_xor_b32_e32 v1, v1, v48
	v_alignbit_b32 v43, v44, v37, v42
	v_alignbit_b32 v1, v37, v1, v42
	;; [unrolled: 1-line block ×3, first 2 shown]
	v_ffbh_u32_e32 v40, v37
	v_min_u32_e32 v40, 32, v40
	v_lshrrev_b32_e32 v46, 29, v39
	v_not_b32_e32 v42, v40
	v_alignbit_b32 v1, v37, v1, v42
	v_lshlrev_b32_e32 v37, 31, v46
	v_or_b32_e32 v42, 0x33000000, v37
	v_add_lshl_u32 v40, v40, v41, 23
	v_lshrrev_b32_e32 v1, 9, v1
	v_sub_u32_e32 v40, v42, v40
	v_or_b32_e32 v37, 0.5, v37
	v_lshlrev_b32_e32 v41, 23, v41
	v_or_b32_e32 v1, v40, v1
	v_lshrrev_b32_e32 v40, 9, v43
	v_sub_u32_e32 v37, v37, v41
	v_or_b32_e32 v37, v40, v37
	v_mul_f32_e32 v40, 0x3fc90fda, v37
	v_fma_f32 v41, v37, s55, -v40
	v_fmac_f32_e32 v41, 0x33a22168, v37
	v_fmac_f32_e32 v41, 0x3fc90fda, v1
	v_lshrrev_b32_e32 v1, 30, v39
	v_add_f32_e32 v40, v40, v41
	v_add_u32_e32 v1, v47, v1
                                        ; implicit-def: $vgpr41
	s_andn2_saveexec_b64 s[10:11], s[36:37]
	s_cbranch_execnz .LBB162_46
	s_branch .LBB162_47
.LBB162_45:                             ;   in Loop: Header=BB162_4 Depth=1
	s_andn2_saveexec_b64 s[10:11], s[36:37]
.LBB162_46:                             ;   in Loop: Header=BB162_4 Depth=1
	v_cvt_i32_f32_e32 v1, v41
	v_fma_f32 v40, v41, s57, |v9|
	v_fmac_f32_e32 v40, 0xb3a22168, v41
	v_fmac_f32_e32 v40, 0xa7c234c4, v41
.LBB162_47:                             ;   in Loop: Header=BB162_4 Depth=1
	s_or_b64 exec, exec, s[10:11]
	v_mul_f32_e32 v37, v38, v38
	v_mov_b32_e32 v39, 0x3c0881c4
	v_fmac_f32_e32 v39, 0xb94c1982, v37
	v_fma_f32 v39, v37, v39, v28
	v_mul_f32_e32 v39, v37, v39
	v_fmac_f32_e32 v38, v38, v39
	v_mov_b32_e32 v39, 0xbab64f3b
	v_fmac_f32_e32 v39, 0x37d75334, v37
	v_fma_f32 v39, v37, v39, v29
	v_fma_f32 v39, v37, v39, v30
	v_fma_f32 v37, v37, v39, 1.0
	v_and_b32_e32 v39, 1, v36
	v_lshlrev_b32_e32 v36, 30, v36
	v_cmp_eq_u32_e32 vcc, 0, v39
	v_and_b32_e32 v36, 0x80000000, v36
	v_cndmask_b32_e32 v37, v37, v38, vcc
	v_xor_b32_e32 v35, v35, v36
	v_xor_b32_e32 v35, v35, v37
	v_mul_f32_e32 v36, v40, v40
	v_mov_b32_e32 v37, 0x3c0881c4
	v_fmac_f32_e32 v37, 0xb94c1982, v36
	v_fma_f32 v37, v36, v37, v28
	v_mul_f32_e32 v37, v36, v37
	v_fmac_f32_e32 v40, v40, v37
	v_mov_b32_e32 v37, 0xbab64f3b
	v_fmac_f32_e32 v37, 0x37d75334, v36
	v_fma_f32 v37, v36, v37, v29
	v_fma_f32 v37, v36, v37, v30
	v_fma_f32 v36, v36, v37, 1.0
	v_and_b32_e32 v37, 1, v1
	v_cmp_eq_u32_e32 vcc, 0, v37
	v_lshlrev_b32_e32 v1, 30, v1
	v_cndmask_b32_e64 v36, -v40, v36, vcc
	v_and_b32_e32 v1, 0x80000000, v1
	v_xor_b32_e32 v35, v35, v9
	v_xor_b32_e32 v1, v1, v36
	v_mul_f32_e32 v1, v35, v1
	v_cmp_class_f32_e64 vcc, v9, s45
	v_cndmask_b32_e32 v9, v34, v1, vcc
.LBB162_48:                             ;   in Loop: Header=BB162_4 Depth=1
	s_or_b64 exec, exec, s[34:35]
	v_add_u32_e32 v8, -2.0, v8
	v_bfi_b32 v9, s43, 0, v9
.LBB162_49:                             ;   in Loop: Header=BB162_4 Depth=1
	s_or_b64 exec, exec, s[30:31]
.LBB162_50:                             ;   in Loop: Header=BB162_4 Depth=1
	s_or_b64 exec, exec, s[28:29]
	v_and_b32_e32 v1, 0x7fffffff, v10
	v_cmp_gt_u32_e32 vcc, s44, v1
	s_and_saveexec_b64 s[10:11], vcc
	s_xor_b64 s[28:29], exec, s[10:11]
	s_cbranch_execz .LBB162_72
; %bb.51:                               ;   in Loop: Header=BB162_4 Depth=1
	v_cmp_class_f32_e64 s[10:11], v11, s45
	s_and_saveexec_b64 s[12:13], s[10:11]
	s_xor_b64 s[30:31], exec, s[12:13]
	s_cbranch_execz .LBB162_69
; %bb.52:                               ;   in Loop: Header=BB162_4 Depth=1
	v_and_b32_e32 v35, 0x7fffffff, v11
	v_cmp_gt_u32_e32 vcc, s46, v1
	s_and_saveexec_b64 s[10:11], vcc
	s_xor_b64 s[34:35], exec, s[10:11]
	s_cbranch_execz .LBB162_58
; %bb.53:                               ;   in Loop: Header=BB162_4 Depth=1
	v_cmp_nlt_f32_e64 s[10:11], |v11|, s47
                                        ; implicit-def: $vgpr36
                                        ; implicit-def: $vgpr1
	s_and_saveexec_b64 s[12:13], s[10:11]
	s_xor_b64 s[36:37], exec, s[12:13]
	s_cbranch_execz .LBB162_55
; %bb.54:                               ;   in Loop: Header=BB162_4 Depth=1
	v_and_b32_e32 v1, 0x7fffff, v35
	v_or_b32_e32 v43, 0x800000, v1
	v_mad_u64_u32 v[36:37], s[10:11], v43, s48, 0
	v_mov_b32_e32 v1, v37
	v_mad_u64_u32 v[37:38], s[10:11], v43, s49, v[1:2]
	v_mov_b32_e32 v1, v38
	;; [unrolled: 2-line block ×3, first 2 shown]
	v_mad_u64_u32 v[39:40], s[10:11], v43, s51, v[1:2]
	v_lshrrev_b32_e32 v1, 23, v35
	v_add_u32_e32 v42, 0xffffff88, v1
	v_mov_b32_e32 v1, v40
	v_mad_u64_u32 v[40:41], s[10:11], v43, s52, v[1:2]
	v_cmp_lt_u32_e32 vcc, 63, v42
	v_cndmask_b32_e32 v1, 0, v31, vcc
	v_add_u32_e32 v44, v1, v42
	v_mov_b32_e32 v1, v41
	v_mad_u64_u32 v[41:42], s[10:11], v43, s53, v[1:2]
	v_cmp_lt_u32_e64 s[10:11], 31, v44
	v_cndmask_b32_e64 v1, 0, v32, s[10:11]
	v_add_u32_e32 v44, v1, v44
	v_mov_b32_e32 v1, v42
	v_mad_u64_u32 v[42:43], s[12:13], v43, s54, v[1:2]
	v_cmp_lt_u32_e64 s[12:13], 31, v44
	v_cndmask_b32_e64 v1, 0, v32, s[12:13]
	v_add_u32_e32 v1, v1, v44
	v_cndmask_b32_e32 v44, v41, v39, vcc
	v_cndmask_b32_e32 v42, v42, v40, vcc
	;; [unrolled: 1-line block ×4, first 2 shown]
	v_cndmask_b32_e64 v43, v42, v44, s[10:11]
	v_cndmask_b32_e64 v41, v41, v42, s[10:11]
	;; [unrolled: 1-line block ×3, first 2 shown]
	v_sub_u32_e32 v44, 32, v1
	v_cmp_eq_u32_e64 s[14:15], 0, v1
	v_cndmask_b32_e32 v1, v39, v37, vcc
	v_cndmask_b32_e64 v41, v41, v43, s[12:13]
	v_cndmask_b32_e64 v43, v43, v42, s[12:13]
	;; [unrolled: 1-line block ×3, first 2 shown]
	v_alignbit_b32 v45, v41, v43, v44
	v_cndmask_b32_e64 v39, v42, v37, s[12:13]
	v_cndmask_b32_e64 v41, v45, v41, s[14:15]
	v_alignbit_b32 v40, v43, v39, v44
	v_cndmask_b32_e32 v36, v38, v36, vcc
	v_cndmask_b32_e64 v40, v40, v43, s[14:15]
	v_bfe_u32 v45, v41, 29, 1
	v_cndmask_b32_e64 v1, v1, v36, s[10:11]
	v_alignbit_b32 v42, v41, v40, 30
	v_sub_u32_e32 v46, 0, v45
	v_cndmask_b32_e64 v1, v37, v1, s[12:13]
	v_xor_b32_e32 v42, v42, v46
	v_alignbit_b32 v36, v39, v1, v44
	v_cndmask_b32_e64 v36, v36, v39, s[14:15]
	v_ffbh_u32_e32 v38, v42
	v_alignbit_b32 v37, v40, v36, 30
	v_min_u32_e32 v38, 32, v38
	v_alignbit_b32 v1, v36, v1, 30
	v_xor_b32_e32 v37, v37, v46
	v_sub_u32_e32 v39, 31, v38
	v_xor_b32_e32 v1, v1, v46
	v_alignbit_b32 v40, v42, v37, v39
	v_alignbit_b32 v1, v37, v1, v39
	;; [unrolled: 1-line block ×3, first 2 shown]
	v_ffbh_u32_e32 v37, v36
	v_min_u32_e32 v37, 32, v37
	v_lshrrev_b32_e32 v43, 29, v41
	v_not_b32_e32 v39, v37
	v_alignbit_b32 v1, v36, v1, v39
	v_lshlrev_b32_e32 v36, 31, v43
	v_or_b32_e32 v39, 0x33000000, v36
	v_add_lshl_u32 v37, v37, v38, 23
	v_lshrrev_b32_e32 v1, 9, v1
	v_sub_u32_e32 v37, v39, v37
	v_or_b32_e32 v36, 0.5, v36
	v_lshlrev_b32_e32 v38, 23, v38
	v_or_b32_e32 v1, v37, v1
	v_lshrrev_b32_e32 v37, 9, v40
	v_sub_u32_e32 v36, v36, v38
	v_or_b32_e32 v36, v37, v36
	v_mul_f32_e32 v37, 0x3fc90fda, v36
	v_fma_f32 v38, v36, s55, -v37
	v_fmac_f32_e32 v38, 0x33a22168, v36
	v_fmac_f32_e32 v38, 0x3fc90fda, v1
	v_lshrrev_b32_e32 v36, 30, v41
	v_add_f32_e32 v1, v37, v38
	v_add_u32_e32 v36, v45, v36
.LBB162_55:                             ;   in Loop: Header=BB162_4 Depth=1
	s_andn2_saveexec_b64 s[10:11], s[36:37]
; %bb.56:                               ;   in Loop: Header=BB162_4 Depth=1
	v_mul_f32_e64 v1, |v11|, s56
	v_rndne_f32_e32 v37, v1
	v_cvt_i32_f32_e32 v36, v37
	v_fma_f32 v1, v37, s57, |v11|
	v_fmac_f32_e32 v1, 0xb3a22168, v37
	v_fmac_f32_e32 v1, 0xa7c234c4, v37
; %bb.57:                               ;   in Loop: Header=BB162_4 Depth=1
	s_or_b64 exec, exec, s[10:11]
	v_mul_f32_e32 v37, v1, v1
	v_mov_b32_e32 v38, 0xbf039337
	v_fmac_f32_e32 v38, 0x3c971480, v37
	v_fma_f32 v38, v37, v38, v23
	v_rcp_f32_e32 v38, v38
	v_mov_b32_e32 v39, 0x3ec54587
	v_fmac_f32_e32 v39, 0xbc8cedd3, v37
	v_and_b32_e32 v36, 1, v36
	v_mul_f32_e32 v38, v39, v38
	v_mul_f32_e32 v37, v37, v38
	v_fma_f32 v38, v37, v1, v1
	v_rcp_f32_e32 v39, v38
	v_sub_f32_e32 v40, v38, v1
	v_fma_f32 v1, v37, v1, -v40
	v_cmp_eq_u32_e32 vcc, 0, v36
	v_fma_f32 v37, v38, -v39, 1.0
	v_fma_f32 v1, v1, -v39, v37
	v_add_f32_e64 v36, |v10|, s58
	v_fma_f32 v1, v1, -v39, -v39
	v_sub_f32_e64 v37, v36, |v10|
	v_cndmask_b32_e32 v1, v1, v38, vcc
	v_sub_f32_e32 v38, v37, v36
	v_add_f32_e64 v38, |v10|, v38
	v_add_f32_e32 v37, 0x3f317218, v37
	v_sub_f32_e32 v37, v38, v37
	v_add_f32_e32 v37, 0x3102e308, v37
	v_add_f32_e32 v38, v36, v37
	v_sub_f32_e32 v36, v36, v38
	v_add_f32_e32 v36, v37, v36
	v_mul_f32_e32 v37, 0x3fb8aa3b, v38
	v_rndne_f32_e32 v37, v37
	v_fmac_f32_e32 v38, 0xbf317200, v37
	v_add_f32_e32 v39, v36, v38
	v_sub_f32_e32 v38, v38, v39
	v_add_f32_e32 v36, v36, v38
	v_mul_f32_e32 v38, 0x35bfbc00, v37
	v_sub_f32_e32 v40, v39, v38
	v_sub_f32_e32 v39, v39, v40
	;; [unrolled: 1-line block ×3, first 2 shown]
	v_add_f32_e32 v36, v36, v38
	v_add_f32_e32 v38, v40, v36
	v_sub_f32_e32 v39, v40, v38
	v_add_f32_e32 v36, v36, v39
	v_mul_f32_e32 v39, 0x2ea39ef3, v37
	v_sub_f32_e32 v40, v38, v39
	v_sub_f32_e32 v38, v38, v40
	;; [unrolled: 1-line block ×3, first 2 shown]
	v_add_f32_e32 v36, v36, v38
	v_add_f32_e32 v38, v40, v36
	v_sub_f32_e32 v40, v40, v38
	v_mov_b32_e32 v39, 0x3c091de6
	v_add_f32_e32 v36, v36, v40
	v_mul_f32_e32 v41, v38, v38
	v_fmac_f32_e32 v39, 0x3ab42872, v38
	v_add_f32_e32 v40, v36, v36
	v_fma_f32 v42, v38, v38, -v41
	v_fma_f32 v39, v38, v39, v24
	v_fmac_f32_e32 v42, v38, v40
	v_fma_f32 v39, v38, v39, v25
	v_add_f32_e32 v40, v41, v42
	v_fma_f32 v39, v38, v39, v26
	v_sub_f32_e32 v41, v40, v41
	v_sub_f32_e32 v41, v42, v41
	v_mul_f32_e32 v42, v39, v40
	v_fma_f32 v40, v40, v39, -v42
	v_fmac_f32_e32 v40, v41, v39
	v_add_f32_e32 v39, v42, v40
	v_sub_f32_e32 v41, v39, v42
	v_sub_f32_e32 v40, v40, v41
	v_add_f32_e32 v41, v38, v39
	v_sub_f32_e32 v38, v41, v38
	v_sub_f32_e32 v38, v39, v38
	v_add_f32_e32 v36, v36, v40
	v_add_f32_e32 v36, v36, v38
	;; [unrolled: 1-line block ×3, first 2 shown]
	v_sub_f32_e32 v39, v38, v41
	v_sub_f32_e32 v36, v36, v39
	v_add_f32_e32 v39, 1.0, v38
	v_add_f32_e32 v40, -1.0, v39
	v_cvt_i32_f32_e32 v37, v37
	v_sub_f32_e32 v38, v38, v40
	v_add_f32_e32 v36, v36, v38
	v_add_f32_e32 v38, v39, v36
	v_ldexp_f32 v40, v38, v37
	v_rcp_f32_e32 v41, v40
	v_sub_f32_e32 v38, v38, v39
	v_sub_f32_e32 v36, v36, v38
	v_ldexp_f32 v36, v36, v37
	v_mul_f32_e32 v37, v40, v41
	v_fma_f32 v38, v41, v40, -v37
	v_fmac_f32_e32 v38, v41, v36
	v_add_f32_e32 v39, v37, v38
	v_sub_f32_e32 v42, 1.0, v39
	v_sub_f32_e32 v43, 1.0, v42
	v_sub_f32_e32 v37, v39, v37
	v_sub_f32_e32 v43, v43, v39
	;; [unrolled: 1-line block ×3, first 2 shown]
	v_add_f32_e32 v37, v37, v43
	v_add_f32_e32 v38, v42, v37
	v_mul_f32_e32 v39, v41, v38
	v_mul_f32_e32 v43, v40, v39
	v_fma_f32 v44, v39, v40, -v43
	v_fmac_f32_e32 v44, v39, v36
	v_sub_f32_e32 v42, v42, v38
	v_add_f32_e32 v37, v37, v42
	v_add_f32_e32 v42, v43, v44
	v_sub_f32_e32 v45, v38, v42
	v_sub_f32_e32 v38, v38, v45
	;; [unrolled: 1-line block ×4, first 2 shown]
	v_add_f32_e32 v37, v37, v38
	v_sub_f32_e32 v38, v43, v44
	v_add_f32_e32 v37, v38, v37
	v_add_f32_e32 v37, v45, v37
	;; [unrolled: 1-line block ×3, first 2 shown]
	v_mul_f32_e32 v37, v41, v37
	v_sub_f32_e32 v41, v38, v41
	v_sub_f32_e32 v39, v39, v41
	v_add_f32_e32 v37, v39, v37
	v_add_f32_e32 v39, v38, v37
	v_sub_f32_e32 v38, v39, v38
	v_sub_f32_e32 v37, v37, v38
	v_ldexp_f32 v38, v39, -2
	v_sub_f32_e32 v39, v40, v38
	v_sub_f32_e32 v40, v40, v39
	;; [unrolled: 1-line block ×3, first 2 shown]
	v_ldexp_f32 v37, v37, -2
	v_add_f32_e32 v36, v36, v38
	v_sub_f32_e32 v36, v36, v37
	v_add_f32_e32 v36, v39, v36
	v_cmp_ngt_f32_e64 vcc, |v10|, s59
	v_cndmask_b32_e32 v36, v33, v36, vcc
	v_cmp_lt_f32_e64 s[10:11], |v10|, s60
	v_cndmask_b32_e64 v36, v36, |v10|, s[10:11]
	v_bfi_b32 v10, s43, v36, v10
	v_fma_f32 v36, v10, v10, 1.0
	v_mul_f32_e32 v37, 0x4f800000, v36
	v_cmp_gt_f32_e32 vcc, s61, v36
	v_cndmask_b32_e32 v36, v36, v37, vcc
	v_sqrt_f32_e32 v37, v36
	v_xor_b32_e32 v1, v35, v1
	v_xor_b32_e32 v1, v1, v11
	v_fma_f32 v11, v1, v1, 1.0
	v_add_u32_e32 v35, -1, v37
	v_fma_f32 v38, -v35, v37, v36
	v_cmp_ge_f32_e64 s[10:11], 0, v38
	v_add_u32_e32 v38, 1, v37
	v_cndmask_b32_e64 v35, v37, v35, s[10:11]
	v_fma_f32 v37, -v38, v37, v36
	v_cmp_lt_f32_e64 s[10:11], 0, v37
	v_cndmask_b32_e64 v35, v35, v38, s[10:11]
	v_mul_f32_e32 v37, 0x37800000, v35
	v_cndmask_b32_e32 v35, v35, v37, vcc
	v_cmp_class_f32_e32 vcc, v36, v27
	v_cndmask_b32_e32 v35, v35, v36, vcc
	v_mul_f32_e32 v36, v10, v11
	v_mul_f32_e32 v11, v35, v11
	v_fma_f32 v36, v10, v36, 1.0
	v_mul_f32_e32 v10, v10, v11
	v_div_scale_f32 v11, s[10:11], v36, v36, v10
	v_div_scale_f32 v35, vcc, v10, v36, v10
	v_div_scale_f32 v37, s[10:11], v36, v36, v1
	v_div_scale_f32 v38, s[10:11], v1, v36, v1
	v_rcp_f32_e32 v39, v11
	v_fma_f32 v40, -v11, v39, 1.0
	v_fmac_f32_e32 v39, v40, v39
	v_mul_f32_e32 v40, v35, v39
	v_fma_f32 v41, -v11, v40, v35
	v_fmac_f32_e32 v40, v41, v39
	v_rcp_f32_e32 v41, v37
	v_fma_f32 v11, -v11, v40, v35
	v_div_fmas_f32 v11, v11, v39, v40
	s_mov_b64 vcc, s[10:11]
	v_fma_f32 v35, -v37, v41, 1.0
	v_fmac_f32_e32 v41, v35, v41
	v_mul_f32_e32 v35, v38, v41
	v_fma_f32 v39, -v37, v35, v38
	v_fmac_f32_e32 v35, v39, v41
	v_fma_f32 v37, -v37, v35, v38
	v_div_fmas_f32 v35, v37, v41, v35
	v_div_fixup_f32 v10, v11, v36, v10
	v_div_fixup_f32 v11, v35, v36, v1
                                        ; implicit-def: $vgpr35
.LBB162_58:                             ;   in Loop: Header=BB162_4 Depth=1
	s_andn2_saveexec_b64 s[34:35], s[34:35]
	s_cbranch_execz .LBB162_68
; %bb.59:                               ;   in Loop: Header=BB162_4 Depth=1
	v_lshrrev_b32_e32 v1, 23, v35
	v_and_b32_e32 v36, 0x7fffff, v35
	v_cmp_nlt_f32_e64 s[36:37], |v11|, s47
	v_add_u32_e32 v39, 0xffffff88, v1
	v_or_b32_e32 v36, 0x800000, v36
                                        ; implicit-def: $vgpr37
                                        ; implicit-def: $vgpr38
	s_and_saveexec_b64 s[10:11], s[36:37]
	s_xor_b64 s[38:39], exec, s[10:11]
	s_cbranch_execz .LBB162_61
; %bb.60:                               ;   in Loop: Header=BB162_4 Depth=1
	v_mad_u64_u32 v[37:38], s[10:11], v36, s48, 0
	v_cmp_lt_u32_e32 vcc, 63, v39
	v_mov_b32_e32 v1, v38
	v_mad_u64_u32 v[40:41], s[10:11], v36, s49, v[1:2]
	v_mov_b32_e32 v1, v41
	v_mad_u64_u32 v[41:42], s[10:11], v36, s50, v[1:2]
	;; [unrolled: 2-line block ×3, first 2 shown]
	v_cndmask_b32_e32 v1, 0, v31, vcc
	v_add_u32_e32 v38, v1, v39
	v_mov_b32_e32 v1, v43
	v_mad_u64_u32 v[43:44], s[10:11], v36, s52, v[1:2]
	v_cmp_lt_u32_e64 s[10:11], 31, v38
	v_cndmask_b32_e64 v1, 0, v32, s[10:11]
	v_add_u32_e32 v38, v1, v38
	v_mov_b32_e32 v1, v44
	v_mad_u64_u32 v[44:45], s[12:13], v36, s53, v[1:2]
	v_cmp_lt_u32_e64 s[12:13], 31, v38
	v_cndmask_b32_e64 v1, 0, v32, s[12:13]
	v_add_u32_e32 v38, v1, v38
	v_mov_b32_e32 v1, v45
	v_mad_u64_u32 v[45:46], s[14:15], v36, s54, v[1:2]
	v_cndmask_b32_e32 v1, v43, v41, vcc
	v_cndmask_b32_e32 v47, v44, v42, vcc
	;; [unrolled: 1-line block ×4, first 2 shown]
	v_cndmask_b32_e64 v48, v47, v1, s[10:11]
	v_cndmask_b32_e64 v45, v43, v47, s[10:11]
	;; [unrolled: 1-line block ×5, first 2 shown]
	v_sub_u32_e32 v45, 32, v38
	v_cmp_eq_u32_e64 s[14:15], 0, v38
	v_cndmask_b32_e32 v38, v42, v40, vcc
	v_cndmask_b32_e64 v1, v1, v38, s[10:11]
	v_alignbit_b32 v46, v43, v44, v45
	v_cndmask_b32_e64 v40, v48, v1, s[12:13]
	v_cndmask_b32_e64 v43, v46, v43, s[14:15]
	v_alignbit_b32 v42, v44, v40, v45
	v_cndmask_b32_e32 v37, v41, v37, vcc
	v_cndmask_b32_e64 v42, v42, v44, s[14:15]
	v_bfe_u32 v47, v43, 29, 1
	v_cndmask_b32_e64 v37, v38, v37, s[10:11]
	v_alignbit_b32 v44, v43, v42, 30
	v_sub_u32_e32 v48, 0, v47
	v_cndmask_b32_e64 v1, v1, v37, s[12:13]
	v_xor_b32_e32 v44, v44, v48
	v_alignbit_b32 v37, v40, v1, v45
	v_cndmask_b32_e64 v37, v37, v40, s[14:15]
	v_ffbh_u32_e32 v40, v44
	v_alignbit_b32 v38, v42, v37, 30
	v_min_u32_e32 v40, 32, v40
	v_alignbit_b32 v1, v37, v1, 30
	v_xor_b32_e32 v38, v38, v48
	v_sub_u32_e32 v41, 31, v40
	v_xor_b32_e32 v1, v1, v48
	v_alignbit_b32 v42, v44, v38, v41
	v_alignbit_b32 v1, v38, v1, v41
	;; [unrolled: 1-line block ×3, first 2 shown]
	v_ffbh_u32_e32 v38, v37
	v_min_u32_e32 v38, 32, v38
	v_lshrrev_b32_e32 v46, 29, v43
	v_not_b32_e32 v41, v38
	v_alignbit_b32 v1, v37, v1, v41
	v_lshlrev_b32_e32 v37, 31, v46
	v_or_b32_e32 v41, 0x33000000, v37
	v_add_lshl_u32 v38, v38, v40, 23
	v_lshrrev_b32_e32 v1, 9, v1
	v_sub_u32_e32 v38, v41, v38
	v_or_b32_e32 v37, 0.5, v37
	v_lshlrev_b32_e32 v40, 23, v40
	v_or_b32_e32 v1, v38, v1
	v_lshrrev_b32_e32 v38, 9, v42
	v_sub_u32_e32 v37, v37, v40
	v_or_b32_e32 v37, v38, v37
	v_mul_f32_e32 v38, 0x3fc90fda, v37
	v_fma_f32 v40, v37, s55, -v38
	v_fmac_f32_e32 v40, 0x33a22168, v37
	v_fmac_f32_e32 v40, 0x3fc90fda, v1
	v_lshrrev_b32_e32 v1, 30, v43
	v_add_f32_e32 v38, v38, v40
	v_add_u32_e32 v37, v47, v1
	s_andn2_saveexec_b64 s[10:11], s[38:39]
	s_branch .LBB162_62
.LBB162_61:                             ;   in Loop: Header=BB162_4 Depth=1
	s_andn2_saveexec_b64 s[10:11], s[38:39]
.LBB162_62:                             ;   in Loop: Header=BB162_4 Depth=1
	v_mul_f32_e64 v1, |v11|, s56
	v_rndne_f32_e32 v1, v1
	v_cvt_i32_f32_e32 v37, v1
	v_fma_f32 v38, v1, s57, |v11|
	v_fmac_f32_e32 v38, 0xb3a22168, v1
	v_fmac_f32_e32 v38, 0xa7c234c4, v1
; %bb.63:                               ;   in Loop: Header=BB162_4 Depth=1
	s_or_b64 exec, exec, s[10:11]
                                        ; implicit-def: $vgpr1
                                        ; implicit-def: $vgpr40
	s_and_saveexec_b64 s[10:11], s[36:37]
	s_xor_b64 s[36:37], exec, s[10:11]
	s_cbranch_execz .LBB162_65
; %bb.64:                               ;   in Loop: Header=BB162_4 Depth=1
	v_mad_u64_u32 v[40:41], s[10:11], v36, s48, 0
	v_cmp_lt_u32_e32 vcc, 63, v39
	v_mov_b32_e32 v1, v41
	v_mad_u64_u32 v[41:42], s[10:11], v36, s49, v[1:2]
	v_mov_b32_e32 v1, v42
	v_mad_u64_u32 v[42:43], s[10:11], v36, s50, v[1:2]
	;; [unrolled: 2-line block ×3, first 2 shown]
	v_cndmask_b32_e32 v1, 0, v31, vcc
	v_add_u32_e32 v39, v1, v39
	v_mov_b32_e32 v1, v44
	v_mad_u64_u32 v[44:45], s[10:11], v36, s52, v[1:2]
	v_cmp_lt_u32_e64 s[10:11], 31, v39
	v_cndmask_b32_e64 v1, 0, v32, s[10:11]
	v_add_u32_e32 v39, v1, v39
	v_mov_b32_e32 v1, v45
	v_mad_u64_u32 v[45:46], s[12:13], v36, s53, v[1:2]
	v_cmp_lt_u32_e64 s[12:13], 31, v39
	v_cndmask_b32_e64 v1, 0, v32, s[12:13]
	v_add_u32_e32 v39, v1, v39
	v_mov_b32_e32 v1, v46
	v_mad_u64_u32 v[46:47], s[14:15], v36, s54, v[1:2]
	v_cndmask_b32_e32 v1, v44, v42, vcc
	v_cndmask_b32_e32 v36, v45, v43, vcc
	;; [unrolled: 1-line block ×4, first 2 shown]
	v_cndmask_b32_e64 v48, v36, v1, s[10:11]
	v_cndmask_b32_e64 v36, v44, v36, s[10:11]
	;; [unrolled: 1-line block ×3, first 2 shown]
	v_cndmask_b32_e32 v41, v43, v41, vcc
	v_cndmask_b32_e64 v44, v44, v36, s[12:13]
	v_cndmask_b32_e64 v36, v36, v48, s[12:13]
	v_sub_u32_e32 v45, 32, v39
	v_cndmask_b32_e64 v1, v1, v41, s[10:11]
	v_alignbit_b32 v46, v44, v36, v45
	v_cmp_eq_u32_e64 s[14:15], 0, v39
	v_cndmask_b32_e64 v43, v48, v1, s[12:13]
	v_cndmask_b32_e64 v39, v46, v44, s[14:15]
	v_alignbit_b32 v44, v36, v43, v45
	v_cndmask_b32_e32 v40, v42, v40, vcc
	v_cndmask_b32_e64 v36, v44, v36, s[14:15]
	v_bfe_u32 v47, v39, 29, 1
	v_cndmask_b32_e64 v40, v41, v40, s[10:11]
	v_alignbit_b32 v44, v39, v36, 30
	v_sub_u32_e32 v48, 0, v47
	v_cndmask_b32_e64 v1, v1, v40, s[12:13]
	v_xor_b32_e32 v44, v44, v48
	v_alignbit_b32 v40, v43, v1, v45
	v_cndmask_b32_e64 v40, v40, v43, s[14:15]
	v_ffbh_u32_e32 v41, v44
	v_alignbit_b32 v36, v36, v40, 30
	v_min_u32_e32 v41, 32, v41
	v_alignbit_b32 v1, v40, v1, 30
	v_xor_b32_e32 v36, v36, v48
	v_sub_u32_e32 v42, 31, v41
	v_xor_b32_e32 v1, v1, v48
	v_alignbit_b32 v43, v44, v36, v42
	v_alignbit_b32 v1, v36, v1, v42
	;; [unrolled: 1-line block ×3, first 2 shown]
	v_ffbh_u32_e32 v40, v36
	v_min_u32_e32 v40, 32, v40
	v_lshrrev_b32_e32 v46, 29, v39
	v_not_b32_e32 v42, v40
	v_alignbit_b32 v1, v36, v1, v42
	v_lshlrev_b32_e32 v36, 31, v46
	v_or_b32_e32 v42, 0x33000000, v36
	v_add_lshl_u32 v40, v40, v41, 23
	v_lshrrev_b32_e32 v1, 9, v1
	v_sub_u32_e32 v40, v42, v40
	v_or_b32_e32 v36, 0.5, v36
	v_lshlrev_b32_e32 v41, 23, v41
	v_or_b32_e32 v1, v40, v1
	v_lshrrev_b32_e32 v40, 9, v43
	v_sub_u32_e32 v36, v36, v41
	v_or_b32_e32 v36, v40, v36
	v_mul_f32_e32 v40, 0x3fc90fda, v36
	v_fma_f32 v41, v36, s55, -v40
	v_fmac_f32_e32 v41, 0x33a22168, v36
	v_fmac_f32_e32 v41, 0x3fc90fda, v1
	v_lshrrev_b32_e32 v1, 30, v39
	v_add_f32_e32 v40, v40, v41
	v_add_u32_e32 v1, v47, v1
	s_andn2_saveexec_b64 s[10:11], s[36:37]
	s_cbranch_execnz .LBB162_66
	s_branch .LBB162_67
.LBB162_65:                             ;   in Loop: Header=BB162_4 Depth=1
	s_andn2_saveexec_b64 s[10:11], s[36:37]
.LBB162_66:                             ;   in Loop: Header=BB162_4 Depth=1
	v_mul_f32_e64 v1, |v11|, s56
	v_rndne_f32_e32 v36, v1
	v_cvt_i32_f32_e32 v1, v36
	v_fma_f32 v40, v36, s57, |v11|
	v_fmac_f32_e32 v40, 0xb3a22168, v36
	v_fmac_f32_e32 v40, 0xa7c234c4, v36
.LBB162_67:                             ;   in Loop: Header=BB162_4 Depth=1
	s_or_b64 exec, exec, s[10:11]
	v_mul_f32_e32 v36, v38, v38
	v_mov_b32_e32 v39, 0x3c0881c4
	v_fmac_f32_e32 v39, 0xb94c1982, v36
	v_fma_f32 v39, v36, v39, v28
	v_mul_f32_e32 v39, v36, v39
	v_fmac_f32_e32 v38, v38, v39
	v_mov_b32_e32 v39, 0xbab64f3b
	v_fmac_f32_e32 v39, 0x37d75334, v36
	v_fma_f32 v39, v36, v39, v29
	v_fma_f32 v39, v36, v39, v30
	v_fma_f32 v36, v36, v39, 1.0
	v_and_b32_e32 v39, 1, v37
	v_lshlrev_b32_e32 v37, 30, v37
	v_and_b32_e32 v37, 0x80000000, v37
	v_cmp_eq_u32_e32 vcc, 0, v39
	v_xor_b32_e32 v35, v35, v37
	v_mul_f32_e64 v37, |v10|, s62
	v_cndmask_b32_e32 v36, v36, v38, vcc
	v_rndne_f32_e32 v38, v37
	v_sub_f32_e32 v39, v37, v38
	v_fma_f32 v37, |v10|, s62, -v37
	v_fma_f32 v37, |v10|, s63, v37
	v_add_f32_e32 v37, v39, v37
	v_exp_f32_e32 v37, v37
	v_cvt_i32_f32_e32 v38, v38
	v_xor_b32_e32 v35, v35, v36
	v_xor_b32_e32 v11, v35, v11
	v_mul_f32_e32 v36, v40, v40
	v_ldexp_f32 v35, v37, v38
	v_mov_b32_e32 v37, 0x3c0881c4
	v_fmac_f32_e32 v37, 0xb94c1982, v36
	v_fma_f32 v37, v36, v37, v28
	v_mul_f32_e32 v37, v36, v37
	v_fmac_f32_e32 v40, v40, v37
	v_mov_b32_e32 v37, 0xbab64f3b
	v_fmac_f32_e32 v37, 0x37d75334, v36
	v_fma_f32 v37, v36, v37, v29
	v_cmp_ngt_f32_e64 vcc, |v10|, s64
	v_fma_f32 v37, v36, v37, v30
	v_cndmask_b32_e32 v35, 0, v35, vcc
	v_cmp_nlt_f32_e64 vcc, |v10|, s65
	v_fma_f32 v36, v36, v37, 1.0
	v_and_b32_e32 v37, 1, v1
	v_cndmask_b32_e32 v35, v33, v35, vcc
	v_cmp_eq_u32_e32 vcc, 0, v37
	v_lshlrev_b32_e32 v1, 30, v1
	v_cndmask_b32_e64 v36, -v40, v36, vcc
	v_and_b32_e32 v1, 0x80000000, v1
	v_mul_f32_e32 v11, 4.0, v11
	v_xor_b32_e32 v1, v1, v36
	v_mul_f32_e32 v1, v11, v1
	v_mul_f32_e32 v1, v35, v1
	v_bfi_b32 v10, s43, 1.0, v10
	v_mul_f32_e32 v11, v35, v1
.LBB162_68:                             ;   in Loop: Header=BB162_4 Depth=1
	s_or_b64 exec, exec, s[34:35]
.LBB162_69:                             ;   in Loop: Header=BB162_4 Depth=1
	s_andn2_saveexec_b64 s[10:11], s[30:31]
; %bb.70:                               ;   in Loop: Header=BB162_4 Depth=1
	v_sub_f32_e32 v11, v11, v11
	v_mov_b32_e32 v10, v11
; %bb.71:                               ;   in Loop: Header=BB162_4 Depth=1
	s_or_b64 exec, exec, s[10:11]
.LBB162_72:                             ;   in Loop: Header=BB162_4 Depth=1
	s_andn2_saveexec_b64 s[28:29], s[28:29]
	s_cbranch_execz .LBB162_88
; %bb.73:                               ;   in Loop: Header=BB162_4 Depth=1
	v_and_b32_e32 v1, 0x7fffff, v10
	v_cmp_ne_u32_e32 vcc, 0, v1
	s_and_saveexec_b64 s[10:11], vcc
	s_xor_b64 s[10:11], exec, s[10:11]
; %bb.74:                               ;   in Loop: Header=BB162_4 Depth=1
	v_mul_f32_e32 v1, v11, v10
	v_cmp_eq_f32_e32 vcc, 0, v11
	v_cndmask_b32_e32 v11, v1, v11, vcc
; %bb.75:                               ;   in Loop: Header=BB162_4 Depth=1
	s_andn2_saveexec_b64 s[30:31], s[10:11]
	s_cbranch_execz .LBB162_87
; %bb.76:                               ;   in Loop: Header=BB162_4 Depth=1
	v_cmp_neq_f32_e64 s[10:11], |v11|, s44
	s_and_saveexec_b64 s[34:35], s[10:11]
	s_cbranch_execz .LBB162_86
; %bb.77:                               ;   in Loop: Header=BB162_4 Depth=1
	v_and_b32_e32 v35, 0x7fffffff, v11
	v_lshrrev_b32_e32 v1, 23, v35
	v_and_b32_e32 v36, 0x7fffff, v35
	v_cmp_nlt_f32_e64 s[36:37], |v11|, s47
	v_add_u32_e32 v39, 0xffffff88, v1
	v_or_b32_e32 v36, 0x800000, v36
                                        ; implicit-def: $vgpr37
                                        ; implicit-def: $vgpr38
	s_and_saveexec_b64 s[10:11], s[36:37]
	s_xor_b64 s[38:39], exec, s[10:11]
	s_cbranch_execz .LBB162_79
; %bb.78:                               ;   in Loop: Header=BB162_4 Depth=1
	v_mad_u64_u32 v[37:38], s[10:11], v36, s48, 0
	v_cmp_lt_u32_e32 vcc, 63, v39
	v_mov_b32_e32 v1, v38
	v_mad_u64_u32 v[40:41], s[10:11], v36, s49, v[1:2]
	v_mov_b32_e32 v1, v41
	v_mad_u64_u32 v[41:42], s[10:11], v36, s50, v[1:2]
	;; [unrolled: 2-line block ×3, first 2 shown]
	v_cndmask_b32_e32 v1, 0, v31, vcc
	v_add_u32_e32 v38, v1, v39
	v_mov_b32_e32 v1, v43
	v_mad_u64_u32 v[43:44], s[10:11], v36, s52, v[1:2]
	v_cmp_lt_u32_e64 s[10:11], 31, v38
	v_cndmask_b32_e64 v1, 0, v32, s[10:11]
	v_add_u32_e32 v38, v1, v38
	v_mov_b32_e32 v1, v44
	v_mad_u64_u32 v[44:45], s[12:13], v36, s53, v[1:2]
	v_cmp_lt_u32_e64 s[12:13], 31, v38
	v_cndmask_b32_e64 v1, 0, v32, s[12:13]
	v_add_u32_e32 v38, v1, v38
	v_mov_b32_e32 v1, v45
	v_mad_u64_u32 v[45:46], s[14:15], v36, s54, v[1:2]
	v_cndmask_b32_e32 v1, v43, v41, vcc
	v_cndmask_b32_e32 v47, v44, v42, vcc
	;; [unrolled: 1-line block ×4, first 2 shown]
	v_cndmask_b32_e64 v48, v47, v1, s[10:11]
	v_cndmask_b32_e64 v45, v43, v47, s[10:11]
	;; [unrolled: 1-line block ×5, first 2 shown]
	v_sub_u32_e32 v45, 32, v38
	v_cmp_eq_u32_e64 s[14:15], 0, v38
	v_cndmask_b32_e32 v38, v42, v40, vcc
	v_cndmask_b32_e64 v1, v1, v38, s[10:11]
	v_alignbit_b32 v46, v43, v44, v45
	v_cndmask_b32_e64 v40, v48, v1, s[12:13]
	v_cndmask_b32_e64 v43, v46, v43, s[14:15]
	v_alignbit_b32 v42, v44, v40, v45
	v_cndmask_b32_e32 v37, v41, v37, vcc
	v_cndmask_b32_e64 v42, v42, v44, s[14:15]
	v_bfe_u32 v47, v43, 29, 1
	v_cndmask_b32_e64 v37, v38, v37, s[10:11]
	v_alignbit_b32 v44, v43, v42, 30
	v_sub_u32_e32 v48, 0, v47
	v_cndmask_b32_e64 v1, v1, v37, s[12:13]
	v_xor_b32_e32 v44, v44, v48
	v_alignbit_b32 v37, v40, v1, v45
	v_cndmask_b32_e64 v37, v37, v40, s[14:15]
	v_ffbh_u32_e32 v40, v44
	v_alignbit_b32 v38, v42, v37, 30
	v_min_u32_e32 v40, 32, v40
	v_alignbit_b32 v1, v37, v1, 30
	v_xor_b32_e32 v38, v38, v48
	v_sub_u32_e32 v41, 31, v40
	v_xor_b32_e32 v1, v1, v48
	v_alignbit_b32 v42, v44, v38, v41
	v_alignbit_b32 v1, v38, v1, v41
	;; [unrolled: 1-line block ×3, first 2 shown]
	v_ffbh_u32_e32 v38, v37
	v_min_u32_e32 v38, 32, v38
	v_lshrrev_b32_e32 v46, 29, v43
	v_not_b32_e32 v41, v38
	v_alignbit_b32 v1, v37, v1, v41
	v_lshlrev_b32_e32 v37, 31, v46
	v_or_b32_e32 v41, 0x33000000, v37
	v_add_lshl_u32 v38, v38, v40, 23
	v_lshrrev_b32_e32 v1, 9, v1
	v_sub_u32_e32 v38, v41, v38
	v_or_b32_e32 v37, 0.5, v37
	v_lshlrev_b32_e32 v40, 23, v40
	v_or_b32_e32 v1, v38, v1
	v_lshrrev_b32_e32 v38, 9, v42
	v_sub_u32_e32 v37, v37, v40
	v_or_b32_e32 v37, v38, v37
	v_mul_f32_e32 v38, 0x3fc90fda, v37
	v_fma_f32 v40, v37, s55, -v38
	v_fmac_f32_e32 v40, 0x33a22168, v37
	v_fmac_f32_e32 v40, 0x3fc90fda, v1
	v_lshrrev_b32_e32 v1, 30, v43
	v_add_f32_e32 v38, v38, v40
	v_add_u32_e32 v37, v47, v1
.LBB162_79:                             ;   in Loop: Header=BB162_4 Depth=1
	s_or_saveexec_b64 s[10:11], s[38:39]
	v_mul_f32_e64 v1, |v11|, s56
	v_rndne_f32_e32 v41, v1
	s_xor_b64 exec, exec, s[10:11]
; %bb.80:                               ;   in Loop: Header=BB162_4 Depth=1
	v_cvt_i32_f32_e32 v37, v41
	v_fma_f32 v38, v41, s57, |v11|
	v_fmac_f32_e32 v38, 0xb3a22168, v41
	v_fmac_f32_e32 v38, 0xa7c234c4, v41
; %bb.81:                               ;   in Loop: Header=BB162_4 Depth=1
	s_or_b64 exec, exec, s[10:11]
                                        ; implicit-def: $vgpr1
                                        ; implicit-def: $vgpr40
	s_and_saveexec_b64 s[10:11], s[36:37]
	s_xor_b64 s[36:37], exec, s[10:11]
	s_cbranch_execz .LBB162_83
; %bb.82:                               ;   in Loop: Header=BB162_4 Depth=1
	v_mad_u64_u32 v[40:41], s[10:11], v36, s48, 0
	v_cmp_lt_u32_e32 vcc, 63, v39
	v_mov_b32_e32 v1, v41
	v_mad_u64_u32 v[41:42], s[10:11], v36, s49, v[1:2]
	v_mov_b32_e32 v1, v42
	v_mad_u64_u32 v[42:43], s[10:11], v36, s50, v[1:2]
	;; [unrolled: 2-line block ×3, first 2 shown]
	v_cndmask_b32_e32 v1, 0, v31, vcc
	v_add_u32_e32 v39, v1, v39
	v_mov_b32_e32 v1, v44
	v_mad_u64_u32 v[44:45], s[10:11], v36, s52, v[1:2]
	v_cmp_lt_u32_e64 s[10:11], 31, v39
	v_cndmask_b32_e64 v1, 0, v32, s[10:11]
	v_add_u32_e32 v39, v1, v39
	v_mov_b32_e32 v1, v45
	v_mad_u64_u32 v[45:46], s[12:13], v36, s53, v[1:2]
	v_cmp_lt_u32_e64 s[12:13], 31, v39
	v_cndmask_b32_e64 v1, 0, v32, s[12:13]
	v_add_u32_e32 v39, v1, v39
	v_mov_b32_e32 v1, v46
	v_mad_u64_u32 v[46:47], s[14:15], v36, s54, v[1:2]
	v_cndmask_b32_e32 v1, v44, v42, vcc
	v_cndmask_b32_e32 v36, v45, v43, vcc
	v_cndmask_b32_e32 v44, v46, v44, vcc
	v_cndmask_b32_e32 v45, v47, v45, vcc
	v_cndmask_b32_e64 v48, v36, v1, s[10:11]
	v_cndmask_b32_e64 v36, v44, v36, s[10:11]
	;; [unrolled: 1-line block ×3, first 2 shown]
	v_cndmask_b32_e32 v41, v43, v41, vcc
	v_cndmask_b32_e64 v44, v44, v36, s[12:13]
	v_cndmask_b32_e64 v36, v36, v48, s[12:13]
	v_sub_u32_e32 v45, 32, v39
	v_cndmask_b32_e64 v1, v1, v41, s[10:11]
	v_alignbit_b32 v46, v44, v36, v45
	v_cmp_eq_u32_e64 s[14:15], 0, v39
	v_cndmask_b32_e64 v43, v48, v1, s[12:13]
	v_cndmask_b32_e64 v39, v46, v44, s[14:15]
	v_alignbit_b32 v44, v36, v43, v45
	v_cndmask_b32_e32 v40, v42, v40, vcc
	v_cndmask_b32_e64 v36, v44, v36, s[14:15]
	v_bfe_u32 v47, v39, 29, 1
	v_cndmask_b32_e64 v40, v41, v40, s[10:11]
	v_alignbit_b32 v44, v39, v36, 30
	v_sub_u32_e32 v48, 0, v47
	v_cndmask_b32_e64 v1, v1, v40, s[12:13]
	v_xor_b32_e32 v44, v44, v48
	v_alignbit_b32 v40, v43, v1, v45
	v_cndmask_b32_e64 v40, v40, v43, s[14:15]
	v_ffbh_u32_e32 v41, v44
	v_alignbit_b32 v36, v36, v40, 30
	v_min_u32_e32 v41, 32, v41
	v_alignbit_b32 v1, v40, v1, 30
	v_xor_b32_e32 v36, v36, v48
	v_sub_u32_e32 v42, 31, v41
	v_xor_b32_e32 v1, v1, v48
	v_alignbit_b32 v43, v44, v36, v42
	v_alignbit_b32 v1, v36, v1, v42
	v_alignbit_b32 v36, v43, v1, 9
	v_ffbh_u32_e32 v40, v36
	v_min_u32_e32 v40, 32, v40
	v_lshrrev_b32_e32 v46, 29, v39
	v_not_b32_e32 v42, v40
	v_alignbit_b32 v1, v36, v1, v42
	v_lshlrev_b32_e32 v36, 31, v46
	v_or_b32_e32 v42, 0x33000000, v36
	v_add_lshl_u32 v40, v40, v41, 23
	v_lshrrev_b32_e32 v1, 9, v1
	v_sub_u32_e32 v40, v42, v40
	v_or_b32_e32 v36, 0.5, v36
	v_lshlrev_b32_e32 v41, 23, v41
	v_or_b32_e32 v1, v40, v1
	v_lshrrev_b32_e32 v40, 9, v43
	v_sub_u32_e32 v36, v36, v41
	v_or_b32_e32 v36, v40, v36
	v_mul_f32_e32 v40, 0x3fc90fda, v36
	v_fma_f32 v41, v36, s55, -v40
	v_fmac_f32_e32 v41, 0x33a22168, v36
	v_fmac_f32_e32 v41, 0x3fc90fda, v1
	v_lshrrev_b32_e32 v1, 30, v39
	v_add_f32_e32 v40, v40, v41
	v_add_u32_e32 v1, v47, v1
                                        ; implicit-def: $vgpr41
	s_andn2_saveexec_b64 s[10:11], s[36:37]
	s_cbranch_execnz .LBB162_84
	s_branch .LBB162_85
.LBB162_83:                             ;   in Loop: Header=BB162_4 Depth=1
	s_andn2_saveexec_b64 s[10:11], s[36:37]
.LBB162_84:                             ;   in Loop: Header=BB162_4 Depth=1
	v_cvt_i32_f32_e32 v1, v41
	v_fma_f32 v40, v41, s57, |v11|
	v_fmac_f32_e32 v40, 0xb3a22168, v41
	v_fmac_f32_e32 v40, 0xa7c234c4, v41
.LBB162_85:                             ;   in Loop: Header=BB162_4 Depth=1
	s_or_b64 exec, exec, s[10:11]
	v_mul_f32_e32 v36, v38, v38
	v_mov_b32_e32 v39, 0x3c0881c4
	v_fmac_f32_e32 v39, 0xb94c1982, v36
	v_fma_f32 v39, v36, v39, v28
	v_mul_f32_e32 v39, v36, v39
	v_fmac_f32_e32 v38, v38, v39
	v_mov_b32_e32 v39, 0xbab64f3b
	v_fmac_f32_e32 v39, 0x37d75334, v36
	v_fma_f32 v39, v36, v39, v29
	v_fma_f32 v39, v36, v39, v30
	v_fma_f32 v36, v36, v39, 1.0
	v_and_b32_e32 v39, 1, v37
	v_lshlrev_b32_e32 v37, 30, v37
	v_cmp_eq_u32_e32 vcc, 0, v39
	v_and_b32_e32 v37, 0x80000000, v37
	v_cndmask_b32_e32 v36, v36, v38, vcc
	v_xor_b32_e32 v35, v35, v37
	v_xor_b32_e32 v35, v35, v36
	v_mul_f32_e32 v36, v40, v40
	v_mov_b32_e32 v37, 0x3c0881c4
	v_fmac_f32_e32 v37, 0xb94c1982, v36
	v_fma_f32 v37, v36, v37, v28
	v_mul_f32_e32 v37, v36, v37
	v_fmac_f32_e32 v40, v40, v37
	v_mov_b32_e32 v37, 0xbab64f3b
	v_fmac_f32_e32 v37, 0x37d75334, v36
	v_fma_f32 v37, v36, v37, v29
	v_fma_f32 v37, v36, v37, v30
	v_fma_f32 v36, v36, v37, 1.0
	v_and_b32_e32 v37, 1, v1
	v_cmp_eq_u32_e32 vcc, 0, v37
	v_lshlrev_b32_e32 v1, 30, v1
	v_cndmask_b32_e64 v36, -v40, v36, vcc
	v_and_b32_e32 v1, 0x80000000, v1
	v_xor_b32_e32 v35, v35, v11
	v_xor_b32_e32 v1, v1, v36
	v_mul_f32_e32 v1, v35, v1
	v_cmp_class_f32_e64 vcc, v11, s45
	v_cndmask_b32_e32 v11, v34, v1, vcc
.LBB162_86:                             ;   in Loop: Header=BB162_4 Depth=1
	s_or_b64 exec, exec, s[34:35]
	v_add_u32_e32 v10, -2.0, v10
	v_bfi_b32 v11, s43, 0, v11
.LBB162_87:                             ;   in Loop: Header=BB162_4 Depth=1
	s_or_b64 exec, exec, s[30:31]
.LBB162_88:                             ;   in Loop: Header=BB162_4 Depth=1
	s_or_b64 exec, exec, s[28:29]
	v_and_b32_e32 v1, 0x7fffffff, v6
	v_cmp_gt_u32_e32 vcc, s44, v1
	s_and_saveexec_b64 s[10:11], vcc
	s_xor_b64 s[28:29], exec, s[10:11]
	s_cbranch_execz .LBB162_110
; %bb.89:                               ;   in Loop: Header=BB162_4 Depth=1
	v_cmp_class_f32_e64 s[10:11], v7, s45
	s_and_saveexec_b64 s[12:13], s[10:11]
	s_xor_b64 s[30:31], exec, s[12:13]
	s_cbranch_execz .LBB162_107
; %bb.90:                               ;   in Loop: Header=BB162_4 Depth=1
	v_and_b32_e32 v35, 0x7fffffff, v7
	v_cmp_gt_u32_e32 vcc, s46, v1
	s_and_saveexec_b64 s[10:11], vcc
	s_xor_b64 s[34:35], exec, s[10:11]
	s_cbranch_execz .LBB162_96
; %bb.91:                               ;   in Loop: Header=BB162_4 Depth=1
	v_cmp_nlt_f32_e64 s[10:11], |v7|, s47
                                        ; implicit-def: $vgpr36
                                        ; implicit-def: $vgpr1
	s_and_saveexec_b64 s[12:13], s[10:11]
	s_xor_b64 s[36:37], exec, s[12:13]
	s_cbranch_execz .LBB162_93
; %bb.92:                               ;   in Loop: Header=BB162_4 Depth=1
	v_and_b32_e32 v1, 0x7fffff, v35
	v_or_b32_e32 v43, 0x800000, v1
	v_mad_u64_u32 v[36:37], s[10:11], v43, s48, 0
	v_mov_b32_e32 v1, v37
	v_mad_u64_u32 v[37:38], s[10:11], v43, s49, v[1:2]
	v_mov_b32_e32 v1, v38
	;; [unrolled: 2-line block ×3, first 2 shown]
	v_mad_u64_u32 v[39:40], s[10:11], v43, s51, v[1:2]
	v_lshrrev_b32_e32 v1, 23, v35
	v_add_u32_e32 v42, 0xffffff88, v1
	v_mov_b32_e32 v1, v40
	v_mad_u64_u32 v[40:41], s[10:11], v43, s52, v[1:2]
	v_cmp_lt_u32_e32 vcc, 63, v42
	v_cndmask_b32_e32 v1, 0, v31, vcc
	v_add_u32_e32 v44, v1, v42
	v_mov_b32_e32 v1, v41
	v_mad_u64_u32 v[41:42], s[10:11], v43, s53, v[1:2]
	v_cmp_lt_u32_e64 s[10:11], 31, v44
	v_cndmask_b32_e64 v1, 0, v32, s[10:11]
	v_add_u32_e32 v44, v1, v44
	v_mov_b32_e32 v1, v42
	v_mad_u64_u32 v[42:43], s[12:13], v43, s54, v[1:2]
	v_cmp_lt_u32_e64 s[12:13], 31, v44
	v_cndmask_b32_e64 v1, 0, v32, s[12:13]
	v_add_u32_e32 v1, v1, v44
	v_cndmask_b32_e32 v44, v41, v39, vcc
	v_cndmask_b32_e32 v42, v42, v40, vcc
	;; [unrolled: 1-line block ×4, first 2 shown]
	v_cndmask_b32_e64 v43, v42, v44, s[10:11]
	v_cndmask_b32_e64 v41, v41, v42, s[10:11]
	;; [unrolled: 1-line block ×3, first 2 shown]
	v_sub_u32_e32 v44, 32, v1
	v_cmp_eq_u32_e64 s[14:15], 0, v1
	v_cndmask_b32_e32 v1, v39, v37, vcc
	v_cndmask_b32_e64 v41, v41, v43, s[12:13]
	v_cndmask_b32_e64 v43, v43, v42, s[12:13]
	;; [unrolled: 1-line block ×3, first 2 shown]
	v_alignbit_b32 v45, v41, v43, v44
	v_cndmask_b32_e64 v39, v42, v37, s[12:13]
	v_cndmask_b32_e64 v41, v45, v41, s[14:15]
	v_alignbit_b32 v40, v43, v39, v44
	v_cndmask_b32_e32 v36, v38, v36, vcc
	v_cndmask_b32_e64 v40, v40, v43, s[14:15]
	v_bfe_u32 v45, v41, 29, 1
	v_cndmask_b32_e64 v1, v1, v36, s[10:11]
	v_alignbit_b32 v42, v41, v40, 30
	v_sub_u32_e32 v46, 0, v45
	v_cndmask_b32_e64 v1, v37, v1, s[12:13]
	v_xor_b32_e32 v42, v42, v46
	v_alignbit_b32 v36, v39, v1, v44
	v_cndmask_b32_e64 v36, v36, v39, s[14:15]
	v_ffbh_u32_e32 v38, v42
	v_alignbit_b32 v37, v40, v36, 30
	v_min_u32_e32 v38, 32, v38
	v_alignbit_b32 v1, v36, v1, 30
	v_xor_b32_e32 v37, v37, v46
	v_sub_u32_e32 v39, 31, v38
	v_xor_b32_e32 v1, v1, v46
	v_alignbit_b32 v40, v42, v37, v39
	v_alignbit_b32 v1, v37, v1, v39
	;; [unrolled: 1-line block ×3, first 2 shown]
	v_ffbh_u32_e32 v37, v36
	v_min_u32_e32 v37, 32, v37
	v_lshrrev_b32_e32 v43, 29, v41
	v_not_b32_e32 v39, v37
	v_alignbit_b32 v1, v36, v1, v39
	v_lshlrev_b32_e32 v36, 31, v43
	v_or_b32_e32 v39, 0x33000000, v36
	v_add_lshl_u32 v37, v37, v38, 23
	v_lshrrev_b32_e32 v1, 9, v1
	v_sub_u32_e32 v37, v39, v37
	v_or_b32_e32 v36, 0.5, v36
	v_lshlrev_b32_e32 v38, 23, v38
	v_or_b32_e32 v1, v37, v1
	v_lshrrev_b32_e32 v37, 9, v40
	v_sub_u32_e32 v36, v36, v38
	v_or_b32_e32 v36, v37, v36
	v_mul_f32_e32 v37, 0x3fc90fda, v36
	v_fma_f32 v38, v36, s55, -v37
	v_fmac_f32_e32 v38, 0x33a22168, v36
	v_fmac_f32_e32 v38, 0x3fc90fda, v1
	v_lshrrev_b32_e32 v36, 30, v41
	v_add_f32_e32 v1, v37, v38
	v_add_u32_e32 v36, v45, v36
.LBB162_93:                             ;   in Loop: Header=BB162_4 Depth=1
	s_andn2_saveexec_b64 s[10:11], s[36:37]
; %bb.94:                               ;   in Loop: Header=BB162_4 Depth=1
	v_mul_f32_e64 v1, |v7|, s56
	v_rndne_f32_e32 v37, v1
	v_cvt_i32_f32_e32 v36, v37
	v_fma_f32 v1, v37, s57, |v7|
	v_fmac_f32_e32 v1, 0xb3a22168, v37
	v_fmac_f32_e32 v1, 0xa7c234c4, v37
; %bb.95:                               ;   in Loop: Header=BB162_4 Depth=1
	s_or_b64 exec, exec, s[10:11]
	v_mul_f32_e32 v37, v1, v1
	v_mov_b32_e32 v38, 0xbf039337
	v_fmac_f32_e32 v38, 0x3c971480, v37
	v_fma_f32 v38, v37, v38, v23
	v_rcp_f32_e32 v38, v38
	v_mov_b32_e32 v39, 0x3ec54587
	v_fmac_f32_e32 v39, 0xbc8cedd3, v37
	v_and_b32_e32 v36, 1, v36
	v_mul_f32_e32 v38, v39, v38
	v_mul_f32_e32 v37, v37, v38
	v_fma_f32 v38, v37, v1, v1
	v_rcp_f32_e32 v39, v38
	v_sub_f32_e32 v40, v38, v1
	v_fma_f32 v1, v37, v1, -v40
	v_cmp_eq_u32_e32 vcc, 0, v36
	v_fma_f32 v37, v38, -v39, 1.0
	v_fma_f32 v1, v1, -v39, v37
	v_add_f32_e64 v36, |v6|, s58
	v_fma_f32 v1, v1, -v39, -v39
	v_sub_f32_e64 v37, v36, |v6|
	v_cndmask_b32_e32 v1, v1, v38, vcc
	v_sub_f32_e32 v38, v37, v36
	v_add_f32_e64 v38, |v6|, v38
	v_add_f32_e32 v37, 0x3f317218, v37
	v_sub_f32_e32 v37, v38, v37
	v_add_f32_e32 v37, 0x3102e308, v37
	v_add_f32_e32 v38, v36, v37
	v_sub_f32_e32 v36, v36, v38
	v_add_f32_e32 v36, v37, v36
	v_mul_f32_e32 v37, 0x3fb8aa3b, v38
	v_rndne_f32_e32 v37, v37
	v_fmac_f32_e32 v38, 0xbf317200, v37
	v_add_f32_e32 v39, v36, v38
	v_sub_f32_e32 v38, v38, v39
	v_add_f32_e32 v36, v36, v38
	v_mul_f32_e32 v38, 0x35bfbc00, v37
	v_sub_f32_e32 v40, v39, v38
	v_sub_f32_e32 v39, v39, v40
	;; [unrolled: 1-line block ×3, first 2 shown]
	v_add_f32_e32 v36, v36, v38
	v_add_f32_e32 v38, v40, v36
	v_sub_f32_e32 v39, v40, v38
	v_add_f32_e32 v36, v36, v39
	v_mul_f32_e32 v39, 0x2ea39ef3, v37
	v_sub_f32_e32 v40, v38, v39
	v_sub_f32_e32 v38, v38, v40
	;; [unrolled: 1-line block ×3, first 2 shown]
	v_add_f32_e32 v36, v36, v38
	v_add_f32_e32 v38, v40, v36
	v_sub_f32_e32 v40, v40, v38
	v_mov_b32_e32 v39, 0x3c091de6
	v_add_f32_e32 v36, v36, v40
	v_mul_f32_e32 v41, v38, v38
	v_fmac_f32_e32 v39, 0x3ab42872, v38
	v_add_f32_e32 v40, v36, v36
	v_fma_f32 v42, v38, v38, -v41
	v_fma_f32 v39, v38, v39, v24
	v_fmac_f32_e32 v42, v38, v40
	v_fma_f32 v39, v38, v39, v25
	v_add_f32_e32 v40, v41, v42
	v_fma_f32 v39, v38, v39, v26
	v_sub_f32_e32 v41, v40, v41
	v_sub_f32_e32 v41, v42, v41
	v_mul_f32_e32 v42, v39, v40
	v_fma_f32 v40, v40, v39, -v42
	v_fmac_f32_e32 v40, v41, v39
	v_add_f32_e32 v39, v42, v40
	v_sub_f32_e32 v41, v39, v42
	v_sub_f32_e32 v40, v40, v41
	v_add_f32_e32 v41, v38, v39
	v_sub_f32_e32 v38, v41, v38
	v_sub_f32_e32 v38, v39, v38
	v_add_f32_e32 v36, v36, v40
	v_add_f32_e32 v36, v36, v38
	;; [unrolled: 1-line block ×3, first 2 shown]
	v_sub_f32_e32 v39, v38, v41
	v_sub_f32_e32 v36, v36, v39
	v_add_f32_e32 v39, 1.0, v38
	v_add_f32_e32 v40, -1.0, v39
	v_cvt_i32_f32_e32 v37, v37
	v_sub_f32_e32 v38, v38, v40
	v_add_f32_e32 v36, v36, v38
	v_add_f32_e32 v38, v39, v36
	v_ldexp_f32 v40, v38, v37
	v_rcp_f32_e32 v41, v40
	v_sub_f32_e32 v38, v38, v39
	v_sub_f32_e32 v36, v36, v38
	v_ldexp_f32 v36, v36, v37
	v_mul_f32_e32 v37, v40, v41
	v_fma_f32 v38, v41, v40, -v37
	v_fmac_f32_e32 v38, v41, v36
	v_add_f32_e32 v39, v37, v38
	v_sub_f32_e32 v42, 1.0, v39
	v_sub_f32_e32 v43, 1.0, v42
	v_sub_f32_e32 v37, v39, v37
	v_sub_f32_e32 v43, v43, v39
	;; [unrolled: 1-line block ×3, first 2 shown]
	v_add_f32_e32 v37, v37, v43
	v_add_f32_e32 v38, v42, v37
	v_mul_f32_e32 v39, v41, v38
	v_mul_f32_e32 v43, v40, v39
	v_fma_f32 v44, v39, v40, -v43
	v_fmac_f32_e32 v44, v39, v36
	v_sub_f32_e32 v42, v42, v38
	v_add_f32_e32 v37, v37, v42
	v_add_f32_e32 v42, v43, v44
	v_sub_f32_e32 v45, v38, v42
	v_sub_f32_e32 v38, v38, v45
	;; [unrolled: 1-line block ×4, first 2 shown]
	v_add_f32_e32 v37, v37, v38
	v_sub_f32_e32 v38, v43, v44
	v_add_f32_e32 v37, v38, v37
	v_add_f32_e32 v37, v45, v37
	;; [unrolled: 1-line block ×3, first 2 shown]
	v_mul_f32_e32 v37, v41, v37
	v_sub_f32_e32 v41, v38, v41
	v_sub_f32_e32 v39, v39, v41
	v_add_f32_e32 v37, v39, v37
	v_add_f32_e32 v39, v38, v37
	v_sub_f32_e32 v38, v39, v38
	v_sub_f32_e32 v37, v37, v38
	v_ldexp_f32 v38, v39, -2
	v_sub_f32_e32 v39, v40, v38
	v_sub_f32_e32 v40, v40, v39
	;; [unrolled: 1-line block ×3, first 2 shown]
	v_ldexp_f32 v37, v37, -2
	v_add_f32_e32 v36, v36, v38
	v_sub_f32_e32 v36, v36, v37
	v_add_f32_e32 v36, v39, v36
	v_cmp_ngt_f32_e64 vcc, |v6|, s59
	v_cndmask_b32_e32 v36, v33, v36, vcc
	v_cmp_lt_f32_e64 s[10:11], |v6|, s60
	v_cndmask_b32_e64 v36, v36, |v6|, s[10:11]
	v_bfi_b32 v6, s43, v36, v6
	v_fma_f32 v36, v6, v6, 1.0
	v_mul_f32_e32 v37, 0x4f800000, v36
	v_cmp_gt_f32_e32 vcc, s61, v36
	v_cndmask_b32_e32 v36, v36, v37, vcc
	v_sqrt_f32_e32 v37, v36
	v_xor_b32_e32 v1, v35, v1
	v_xor_b32_e32 v1, v1, v7
	v_fma_f32 v7, v1, v1, 1.0
	v_add_u32_e32 v35, -1, v37
	v_fma_f32 v38, -v35, v37, v36
	v_cmp_ge_f32_e64 s[10:11], 0, v38
	v_add_u32_e32 v38, 1, v37
	v_cndmask_b32_e64 v35, v37, v35, s[10:11]
	v_fma_f32 v37, -v38, v37, v36
	v_cmp_lt_f32_e64 s[10:11], 0, v37
	v_cndmask_b32_e64 v35, v35, v38, s[10:11]
	v_mul_f32_e32 v37, 0x37800000, v35
	v_cndmask_b32_e32 v35, v35, v37, vcc
	v_cmp_class_f32_e32 vcc, v36, v27
	v_cndmask_b32_e32 v35, v35, v36, vcc
	v_mul_f32_e32 v36, v6, v7
	v_mul_f32_e32 v7, v35, v7
	v_fma_f32 v36, v6, v36, 1.0
	v_mul_f32_e32 v6, v6, v7
	v_div_scale_f32 v7, s[10:11], v36, v36, v6
	v_div_scale_f32 v35, vcc, v6, v36, v6
	v_div_scale_f32 v37, s[10:11], v36, v36, v1
	v_div_scale_f32 v38, s[10:11], v1, v36, v1
	v_rcp_f32_e32 v39, v7
	v_fma_f32 v40, -v7, v39, 1.0
	v_fmac_f32_e32 v39, v40, v39
	v_mul_f32_e32 v40, v35, v39
	v_fma_f32 v41, -v7, v40, v35
	v_fmac_f32_e32 v40, v41, v39
	v_rcp_f32_e32 v41, v37
	v_fma_f32 v7, -v7, v40, v35
	v_div_fmas_f32 v7, v7, v39, v40
	s_mov_b64 vcc, s[10:11]
	v_fma_f32 v35, -v37, v41, 1.0
	v_fmac_f32_e32 v41, v35, v41
	v_mul_f32_e32 v35, v38, v41
	v_fma_f32 v39, -v37, v35, v38
	v_fmac_f32_e32 v35, v39, v41
	v_fma_f32 v37, -v37, v35, v38
	v_div_fmas_f32 v35, v37, v41, v35
	v_div_fixup_f32 v6, v7, v36, v6
	v_div_fixup_f32 v7, v35, v36, v1
                                        ; implicit-def: $vgpr35
.LBB162_96:                             ;   in Loop: Header=BB162_4 Depth=1
	s_andn2_saveexec_b64 s[34:35], s[34:35]
	s_cbranch_execz .LBB162_106
; %bb.97:                               ;   in Loop: Header=BB162_4 Depth=1
	v_lshrrev_b32_e32 v1, 23, v35
	v_and_b32_e32 v36, 0x7fffff, v35
	v_cmp_nlt_f32_e64 s[36:37], |v7|, s47
	v_add_u32_e32 v39, 0xffffff88, v1
	v_or_b32_e32 v36, 0x800000, v36
                                        ; implicit-def: $vgpr37
                                        ; implicit-def: $vgpr38
	s_and_saveexec_b64 s[10:11], s[36:37]
	s_xor_b64 s[38:39], exec, s[10:11]
	s_cbranch_execz .LBB162_99
; %bb.98:                               ;   in Loop: Header=BB162_4 Depth=1
	v_mad_u64_u32 v[37:38], s[10:11], v36, s48, 0
	v_cmp_lt_u32_e32 vcc, 63, v39
	v_mov_b32_e32 v1, v38
	v_mad_u64_u32 v[40:41], s[10:11], v36, s49, v[1:2]
	v_mov_b32_e32 v1, v41
	v_mad_u64_u32 v[41:42], s[10:11], v36, s50, v[1:2]
	;; [unrolled: 2-line block ×3, first 2 shown]
	v_cndmask_b32_e32 v1, 0, v31, vcc
	v_add_u32_e32 v38, v1, v39
	v_mov_b32_e32 v1, v43
	v_mad_u64_u32 v[43:44], s[10:11], v36, s52, v[1:2]
	v_cmp_lt_u32_e64 s[10:11], 31, v38
	v_cndmask_b32_e64 v1, 0, v32, s[10:11]
	v_add_u32_e32 v38, v1, v38
	v_mov_b32_e32 v1, v44
	v_mad_u64_u32 v[44:45], s[12:13], v36, s53, v[1:2]
	v_cmp_lt_u32_e64 s[12:13], 31, v38
	v_cndmask_b32_e64 v1, 0, v32, s[12:13]
	v_add_u32_e32 v38, v1, v38
	v_mov_b32_e32 v1, v45
	v_mad_u64_u32 v[45:46], s[14:15], v36, s54, v[1:2]
	v_cndmask_b32_e32 v1, v43, v41, vcc
	v_cndmask_b32_e32 v47, v44, v42, vcc
	v_cndmask_b32_e32 v43, v45, v43, vcc
	v_cndmask_b32_e32 v44, v46, v44, vcc
	v_cndmask_b32_e64 v48, v47, v1, s[10:11]
	v_cndmask_b32_e64 v45, v43, v47, s[10:11]
	;; [unrolled: 1-line block ×5, first 2 shown]
	v_sub_u32_e32 v45, 32, v38
	v_cmp_eq_u32_e64 s[14:15], 0, v38
	v_cndmask_b32_e32 v38, v42, v40, vcc
	v_cndmask_b32_e64 v1, v1, v38, s[10:11]
	v_alignbit_b32 v46, v43, v44, v45
	v_cndmask_b32_e64 v40, v48, v1, s[12:13]
	v_cndmask_b32_e64 v43, v46, v43, s[14:15]
	v_alignbit_b32 v42, v44, v40, v45
	v_cndmask_b32_e32 v37, v41, v37, vcc
	v_cndmask_b32_e64 v42, v42, v44, s[14:15]
	v_bfe_u32 v47, v43, 29, 1
	v_cndmask_b32_e64 v37, v38, v37, s[10:11]
	v_alignbit_b32 v44, v43, v42, 30
	v_sub_u32_e32 v48, 0, v47
	v_cndmask_b32_e64 v1, v1, v37, s[12:13]
	v_xor_b32_e32 v44, v44, v48
	v_alignbit_b32 v37, v40, v1, v45
	v_cndmask_b32_e64 v37, v37, v40, s[14:15]
	v_ffbh_u32_e32 v40, v44
	v_alignbit_b32 v38, v42, v37, 30
	v_min_u32_e32 v40, 32, v40
	v_alignbit_b32 v1, v37, v1, 30
	v_xor_b32_e32 v38, v38, v48
	v_sub_u32_e32 v41, 31, v40
	v_xor_b32_e32 v1, v1, v48
	v_alignbit_b32 v42, v44, v38, v41
	v_alignbit_b32 v1, v38, v1, v41
	;; [unrolled: 1-line block ×3, first 2 shown]
	v_ffbh_u32_e32 v38, v37
	v_min_u32_e32 v38, 32, v38
	v_lshrrev_b32_e32 v46, 29, v43
	v_not_b32_e32 v41, v38
	v_alignbit_b32 v1, v37, v1, v41
	v_lshlrev_b32_e32 v37, 31, v46
	v_or_b32_e32 v41, 0x33000000, v37
	v_add_lshl_u32 v38, v38, v40, 23
	v_lshrrev_b32_e32 v1, 9, v1
	v_sub_u32_e32 v38, v41, v38
	v_or_b32_e32 v37, 0.5, v37
	v_lshlrev_b32_e32 v40, 23, v40
	v_or_b32_e32 v1, v38, v1
	v_lshrrev_b32_e32 v38, 9, v42
	v_sub_u32_e32 v37, v37, v40
	v_or_b32_e32 v37, v38, v37
	v_mul_f32_e32 v38, 0x3fc90fda, v37
	v_fma_f32 v40, v37, s55, -v38
	v_fmac_f32_e32 v40, 0x33a22168, v37
	v_fmac_f32_e32 v40, 0x3fc90fda, v1
	v_lshrrev_b32_e32 v1, 30, v43
	v_add_f32_e32 v38, v38, v40
	v_add_u32_e32 v37, v47, v1
	s_andn2_saveexec_b64 s[10:11], s[38:39]
	s_branch .LBB162_100
.LBB162_99:                             ;   in Loop: Header=BB162_4 Depth=1
	s_andn2_saveexec_b64 s[10:11], s[38:39]
.LBB162_100:                            ;   in Loop: Header=BB162_4 Depth=1
	v_mul_f32_e64 v1, |v7|, s56
	v_rndne_f32_e32 v1, v1
	v_cvt_i32_f32_e32 v37, v1
	v_fma_f32 v38, v1, s57, |v7|
	v_fmac_f32_e32 v38, 0xb3a22168, v1
	v_fmac_f32_e32 v38, 0xa7c234c4, v1
; %bb.101:                              ;   in Loop: Header=BB162_4 Depth=1
	s_or_b64 exec, exec, s[10:11]
                                        ; implicit-def: $vgpr1
                                        ; implicit-def: $vgpr40
	s_and_saveexec_b64 s[10:11], s[36:37]
	s_xor_b64 s[36:37], exec, s[10:11]
	s_cbranch_execz .LBB162_103
; %bb.102:                              ;   in Loop: Header=BB162_4 Depth=1
	v_mad_u64_u32 v[40:41], s[10:11], v36, s48, 0
	v_cmp_lt_u32_e32 vcc, 63, v39
	v_mov_b32_e32 v1, v41
	v_mad_u64_u32 v[41:42], s[10:11], v36, s49, v[1:2]
	v_mov_b32_e32 v1, v42
	v_mad_u64_u32 v[42:43], s[10:11], v36, s50, v[1:2]
	;; [unrolled: 2-line block ×3, first 2 shown]
	v_cndmask_b32_e32 v1, 0, v31, vcc
	v_add_u32_e32 v39, v1, v39
	v_mov_b32_e32 v1, v44
	v_mad_u64_u32 v[44:45], s[10:11], v36, s52, v[1:2]
	v_cmp_lt_u32_e64 s[10:11], 31, v39
	v_cndmask_b32_e64 v1, 0, v32, s[10:11]
	v_add_u32_e32 v39, v1, v39
	v_mov_b32_e32 v1, v45
	v_mad_u64_u32 v[45:46], s[12:13], v36, s53, v[1:2]
	v_cmp_lt_u32_e64 s[12:13], 31, v39
	v_cndmask_b32_e64 v1, 0, v32, s[12:13]
	v_add_u32_e32 v39, v1, v39
	v_mov_b32_e32 v1, v46
	v_mad_u64_u32 v[46:47], s[14:15], v36, s54, v[1:2]
	v_cndmask_b32_e32 v1, v44, v42, vcc
	v_cndmask_b32_e32 v36, v45, v43, vcc
	;; [unrolled: 1-line block ×4, first 2 shown]
	v_cndmask_b32_e64 v48, v36, v1, s[10:11]
	v_cndmask_b32_e64 v36, v44, v36, s[10:11]
	;; [unrolled: 1-line block ×3, first 2 shown]
	v_cndmask_b32_e32 v41, v43, v41, vcc
	v_cndmask_b32_e64 v44, v44, v36, s[12:13]
	v_cndmask_b32_e64 v36, v36, v48, s[12:13]
	v_sub_u32_e32 v45, 32, v39
	v_cndmask_b32_e64 v1, v1, v41, s[10:11]
	v_alignbit_b32 v46, v44, v36, v45
	v_cmp_eq_u32_e64 s[14:15], 0, v39
	v_cndmask_b32_e64 v43, v48, v1, s[12:13]
	v_cndmask_b32_e64 v39, v46, v44, s[14:15]
	v_alignbit_b32 v44, v36, v43, v45
	v_cndmask_b32_e32 v40, v42, v40, vcc
	v_cndmask_b32_e64 v36, v44, v36, s[14:15]
	v_bfe_u32 v47, v39, 29, 1
	v_cndmask_b32_e64 v40, v41, v40, s[10:11]
	v_alignbit_b32 v44, v39, v36, 30
	v_sub_u32_e32 v48, 0, v47
	v_cndmask_b32_e64 v1, v1, v40, s[12:13]
	v_xor_b32_e32 v44, v44, v48
	v_alignbit_b32 v40, v43, v1, v45
	v_cndmask_b32_e64 v40, v40, v43, s[14:15]
	v_ffbh_u32_e32 v41, v44
	v_alignbit_b32 v36, v36, v40, 30
	v_min_u32_e32 v41, 32, v41
	v_alignbit_b32 v1, v40, v1, 30
	v_xor_b32_e32 v36, v36, v48
	v_sub_u32_e32 v42, 31, v41
	v_xor_b32_e32 v1, v1, v48
	v_alignbit_b32 v43, v44, v36, v42
	v_alignbit_b32 v1, v36, v1, v42
	;; [unrolled: 1-line block ×3, first 2 shown]
	v_ffbh_u32_e32 v40, v36
	v_min_u32_e32 v40, 32, v40
	v_lshrrev_b32_e32 v46, 29, v39
	v_not_b32_e32 v42, v40
	v_alignbit_b32 v1, v36, v1, v42
	v_lshlrev_b32_e32 v36, 31, v46
	v_or_b32_e32 v42, 0x33000000, v36
	v_add_lshl_u32 v40, v40, v41, 23
	v_lshrrev_b32_e32 v1, 9, v1
	v_sub_u32_e32 v40, v42, v40
	v_or_b32_e32 v36, 0.5, v36
	v_lshlrev_b32_e32 v41, 23, v41
	v_or_b32_e32 v1, v40, v1
	v_lshrrev_b32_e32 v40, 9, v43
	v_sub_u32_e32 v36, v36, v41
	v_or_b32_e32 v36, v40, v36
	v_mul_f32_e32 v40, 0x3fc90fda, v36
	v_fma_f32 v41, v36, s55, -v40
	v_fmac_f32_e32 v41, 0x33a22168, v36
	v_fmac_f32_e32 v41, 0x3fc90fda, v1
	v_lshrrev_b32_e32 v1, 30, v39
	v_add_f32_e32 v40, v40, v41
	v_add_u32_e32 v1, v47, v1
	s_andn2_saveexec_b64 s[10:11], s[36:37]
	s_cbranch_execnz .LBB162_104
	s_branch .LBB162_105
.LBB162_103:                            ;   in Loop: Header=BB162_4 Depth=1
	s_andn2_saveexec_b64 s[10:11], s[36:37]
.LBB162_104:                            ;   in Loop: Header=BB162_4 Depth=1
	v_mul_f32_e64 v1, |v7|, s56
	v_rndne_f32_e32 v36, v1
	v_cvt_i32_f32_e32 v1, v36
	v_fma_f32 v40, v36, s57, |v7|
	v_fmac_f32_e32 v40, 0xb3a22168, v36
	v_fmac_f32_e32 v40, 0xa7c234c4, v36
.LBB162_105:                            ;   in Loop: Header=BB162_4 Depth=1
	s_or_b64 exec, exec, s[10:11]
	v_mul_f32_e32 v36, v38, v38
	v_mov_b32_e32 v39, 0x3c0881c4
	v_fmac_f32_e32 v39, 0xb94c1982, v36
	v_fma_f32 v39, v36, v39, v28
	v_mul_f32_e32 v39, v36, v39
	v_fmac_f32_e32 v38, v38, v39
	v_mov_b32_e32 v39, 0xbab64f3b
	v_fmac_f32_e32 v39, 0x37d75334, v36
	v_fma_f32 v39, v36, v39, v29
	v_fma_f32 v39, v36, v39, v30
	v_fma_f32 v36, v36, v39, 1.0
	v_and_b32_e32 v39, 1, v37
	v_lshlrev_b32_e32 v37, 30, v37
	v_and_b32_e32 v37, 0x80000000, v37
	v_cmp_eq_u32_e32 vcc, 0, v39
	v_xor_b32_e32 v35, v35, v37
	v_mul_f32_e64 v37, |v6|, s62
	v_cndmask_b32_e32 v36, v36, v38, vcc
	v_rndne_f32_e32 v38, v37
	v_sub_f32_e32 v39, v37, v38
	v_fma_f32 v37, |v6|, s62, -v37
	v_fma_f32 v37, |v6|, s63, v37
	v_add_f32_e32 v37, v39, v37
	v_exp_f32_e32 v37, v37
	v_cvt_i32_f32_e32 v38, v38
	v_xor_b32_e32 v35, v35, v36
	v_xor_b32_e32 v7, v35, v7
	v_mul_f32_e32 v36, v40, v40
	v_ldexp_f32 v35, v37, v38
	v_mov_b32_e32 v37, 0x3c0881c4
	v_fmac_f32_e32 v37, 0xb94c1982, v36
	v_fma_f32 v37, v36, v37, v28
	v_mul_f32_e32 v37, v36, v37
	v_fmac_f32_e32 v40, v40, v37
	v_mov_b32_e32 v37, 0xbab64f3b
	v_fmac_f32_e32 v37, 0x37d75334, v36
	v_fma_f32 v37, v36, v37, v29
	v_cmp_ngt_f32_e64 vcc, |v6|, s64
	v_fma_f32 v37, v36, v37, v30
	v_cndmask_b32_e32 v35, 0, v35, vcc
	v_cmp_nlt_f32_e64 vcc, |v6|, s65
	v_fma_f32 v36, v36, v37, 1.0
	v_and_b32_e32 v37, 1, v1
	v_cndmask_b32_e32 v35, v33, v35, vcc
	v_cmp_eq_u32_e32 vcc, 0, v37
	v_lshlrev_b32_e32 v1, 30, v1
	v_cndmask_b32_e64 v36, -v40, v36, vcc
	v_and_b32_e32 v1, 0x80000000, v1
	v_mul_f32_e32 v7, 4.0, v7
	v_xor_b32_e32 v1, v1, v36
	v_mul_f32_e32 v1, v7, v1
	v_mul_f32_e32 v1, v35, v1
	v_bfi_b32 v6, s43, 1.0, v6
	v_mul_f32_e32 v7, v35, v1
.LBB162_106:                            ;   in Loop: Header=BB162_4 Depth=1
	s_or_b64 exec, exec, s[34:35]
.LBB162_107:                            ;   in Loop: Header=BB162_4 Depth=1
	s_andn2_saveexec_b64 s[10:11], s[30:31]
; %bb.108:                              ;   in Loop: Header=BB162_4 Depth=1
	v_sub_f32_e32 v7, v7, v7
	v_mov_b32_e32 v6, v7
; %bb.109:                              ;   in Loop: Header=BB162_4 Depth=1
	s_or_b64 exec, exec, s[10:11]
.LBB162_110:                            ;   in Loop: Header=BB162_4 Depth=1
	s_andn2_saveexec_b64 s[28:29], s[28:29]
	s_cbranch_execz .LBB162_126
; %bb.111:                              ;   in Loop: Header=BB162_4 Depth=1
	v_and_b32_e32 v1, 0x7fffff, v6
	v_cmp_ne_u32_e32 vcc, 0, v1
	s_and_saveexec_b64 s[10:11], vcc
	s_xor_b64 s[10:11], exec, s[10:11]
; %bb.112:                              ;   in Loop: Header=BB162_4 Depth=1
	v_mul_f32_e32 v1, v7, v6
	v_cmp_eq_f32_e32 vcc, 0, v7
	v_cndmask_b32_e32 v7, v1, v7, vcc
; %bb.113:                              ;   in Loop: Header=BB162_4 Depth=1
	s_andn2_saveexec_b64 s[30:31], s[10:11]
	s_cbranch_execz .LBB162_125
; %bb.114:                              ;   in Loop: Header=BB162_4 Depth=1
	v_cmp_neq_f32_e64 s[10:11], |v7|, s44
	s_and_saveexec_b64 s[34:35], s[10:11]
	s_cbranch_execz .LBB162_124
; %bb.115:                              ;   in Loop: Header=BB162_4 Depth=1
	v_and_b32_e32 v35, 0x7fffffff, v7
	v_lshrrev_b32_e32 v1, 23, v35
	v_and_b32_e32 v36, 0x7fffff, v35
	v_cmp_nlt_f32_e64 s[36:37], |v7|, s47
	v_add_u32_e32 v39, 0xffffff88, v1
	v_or_b32_e32 v36, 0x800000, v36
                                        ; implicit-def: $vgpr37
                                        ; implicit-def: $vgpr38
	s_and_saveexec_b64 s[10:11], s[36:37]
	s_xor_b64 s[38:39], exec, s[10:11]
	s_cbranch_execz .LBB162_117
; %bb.116:                              ;   in Loop: Header=BB162_4 Depth=1
	v_mad_u64_u32 v[37:38], s[10:11], v36, s48, 0
	v_cmp_lt_u32_e32 vcc, 63, v39
	v_mov_b32_e32 v1, v38
	v_mad_u64_u32 v[40:41], s[10:11], v36, s49, v[1:2]
	v_mov_b32_e32 v1, v41
	v_mad_u64_u32 v[41:42], s[10:11], v36, s50, v[1:2]
	;; [unrolled: 2-line block ×3, first 2 shown]
	v_cndmask_b32_e32 v1, 0, v31, vcc
	v_add_u32_e32 v38, v1, v39
	v_mov_b32_e32 v1, v43
	v_mad_u64_u32 v[43:44], s[10:11], v36, s52, v[1:2]
	v_cmp_lt_u32_e64 s[10:11], 31, v38
	v_cndmask_b32_e64 v1, 0, v32, s[10:11]
	v_add_u32_e32 v38, v1, v38
	v_mov_b32_e32 v1, v44
	v_mad_u64_u32 v[44:45], s[12:13], v36, s53, v[1:2]
	v_cmp_lt_u32_e64 s[12:13], 31, v38
	v_cndmask_b32_e64 v1, 0, v32, s[12:13]
	v_add_u32_e32 v38, v1, v38
	v_mov_b32_e32 v1, v45
	v_mad_u64_u32 v[45:46], s[14:15], v36, s54, v[1:2]
	v_cndmask_b32_e32 v1, v43, v41, vcc
	v_cndmask_b32_e32 v47, v44, v42, vcc
	;; [unrolled: 1-line block ×4, first 2 shown]
	v_cndmask_b32_e64 v48, v47, v1, s[10:11]
	v_cndmask_b32_e64 v45, v43, v47, s[10:11]
	;; [unrolled: 1-line block ×5, first 2 shown]
	v_sub_u32_e32 v45, 32, v38
	v_cmp_eq_u32_e64 s[14:15], 0, v38
	v_cndmask_b32_e32 v38, v42, v40, vcc
	v_cndmask_b32_e64 v1, v1, v38, s[10:11]
	v_alignbit_b32 v46, v43, v44, v45
	v_cndmask_b32_e64 v40, v48, v1, s[12:13]
	v_cndmask_b32_e64 v43, v46, v43, s[14:15]
	v_alignbit_b32 v42, v44, v40, v45
	v_cndmask_b32_e32 v37, v41, v37, vcc
	v_cndmask_b32_e64 v42, v42, v44, s[14:15]
	v_bfe_u32 v47, v43, 29, 1
	v_cndmask_b32_e64 v37, v38, v37, s[10:11]
	v_alignbit_b32 v44, v43, v42, 30
	v_sub_u32_e32 v48, 0, v47
	v_cndmask_b32_e64 v1, v1, v37, s[12:13]
	v_xor_b32_e32 v44, v44, v48
	v_alignbit_b32 v37, v40, v1, v45
	v_cndmask_b32_e64 v37, v37, v40, s[14:15]
	v_ffbh_u32_e32 v40, v44
	v_alignbit_b32 v38, v42, v37, 30
	v_min_u32_e32 v40, 32, v40
	v_alignbit_b32 v1, v37, v1, 30
	v_xor_b32_e32 v38, v38, v48
	v_sub_u32_e32 v41, 31, v40
	v_xor_b32_e32 v1, v1, v48
	v_alignbit_b32 v42, v44, v38, v41
	v_alignbit_b32 v1, v38, v1, v41
	;; [unrolled: 1-line block ×3, first 2 shown]
	v_ffbh_u32_e32 v38, v37
	v_min_u32_e32 v38, 32, v38
	v_lshrrev_b32_e32 v46, 29, v43
	v_not_b32_e32 v41, v38
	v_alignbit_b32 v1, v37, v1, v41
	v_lshlrev_b32_e32 v37, 31, v46
	v_or_b32_e32 v41, 0x33000000, v37
	v_add_lshl_u32 v38, v38, v40, 23
	v_lshrrev_b32_e32 v1, 9, v1
	v_sub_u32_e32 v38, v41, v38
	v_or_b32_e32 v37, 0.5, v37
	v_lshlrev_b32_e32 v40, 23, v40
	v_or_b32_e32 v1, v38, v1
	v_lshrrev_b32_e32 v38, 9, v42
	v_sub_u32_e32 v37, v37, v40
	v_or_b32_e32 v37, v38, v37
	v_mul_f32_e32 v38, 0x3fc90fda, v37
	v_fma_f32 v40, v37, s55, -v38
	v_fmac_f32_e32 v40, 0x33a22168, v37
	v_fmac_f32_e32 v40, 0x3fc90fda, v1
	v_lshrrev_b32_e32 v1, 30, v43
	v_add_f32_e32 v38, v38, v40
	v_add_u32_e32 v37, v47, v1
.LBB162_117:                            ;   in Loop: Header=BB162_4 Depth=1
	s_or_saveexec_b64 s[10:11], s[38:39]
	v_mul_f32_e64 v1, |v7|, s56
	v_rndne_f32_e32 v41, v1
	s_xor_b64 exec, exec, s[10:11]
; %bb.118:                              ;   in Loop: Header=BB162_4 Depth=1
	v_cvt_i32_f32_e32 v37, v41
	v_fma_f32 v38, v41, s57, |v7|
	v_fmac_f32_e32 v38, 0xb3a22168, v41
	v_fmac_f32_e32 v38, 0xa7c234c4, v41
; %bb.119:                              ;   in Loop: Header=BB162_4 Depth=1
	s_or_b64 exec, exec, s[10:11]
                                        ; implicit-def: $vgpr1
                                        ; implicit-def: $vgpr40
	s_and_saveexec_b64 s[10:11], s[36:37]
	s_xor_b64 s[36:37], exec, s[10:11]
	s_cbranch_execz .LBB162_121
; %bb.120:                              ;   in Loop: Header=BB162_4 Depth=1
	v_mad_u64_u32 v[40:41], s[10:11], v36, s48, 0
	v_cmp_lt_u32_e32 vcc, 63, v39
	v_mov_b32_e32 v1, v41
	v_mad_u64_u32 v[41:42], s[10:11], v36, s49, v[1:2]
	v_mov_b32_e32 v1, v42
	v_mad_u64_u32 v[42:43], s[10:11], v36, s50, v[1:2]
	;; [unrolled: 2-line block ×3, first 2 shown]
	v_cndmask_b32_e32 v1, 0, v31, vcc
	v_add_u32_e32 v39, v1, v39
	v_mov_b32_e32 v1, v44
	v_mad_u64_u32 v[44:45], s[10:11], v36, s52, v[1:2]
	v_cmp_lt_u32_e64 s[10:11], 31, v39
	v_cndmask_b32_e64 v1, 0, v32, s[10:11]
	v_add_u32_e32 v39, v1, v39
	v_mov_b32_e32 v1, v45
	v_mad_u64_u32 v[45:46], s[12:13], v36, s53, v[1:2]
	v_cmp_lt_u32_e64 s[12:13], 31, v39
	v_cndmask_b32_e64 v1, 0, v32, s[12:13]
	v_add_u32_e32 v39, v1, v39
	v_mov_b32_e32 v1, v46
	v_mad_u64_u32 v[46:47], s[14:15], v36, s54, v[1:2]
	v_cndmask_b32_e32 v1, v44, v42, vcc
	v_cndmask_b32_e32 v36, v45, v43, vcc
	;; [unrolled: 1-line block ×4, first 2 shown]
	v_cndmask_b32_e64 v48, v36, v1, s[10:11]
	v_cndmask_b32_e64 v36, v44, v36, s[10:11]
	;; [unrolled: 1-line block ×3, first 2 shown]
	v_cndmask_b32_e32 v41, v43, v41, vcc
	v_cndmask_b32_e64 v44, v44, v36, s[12:13]
	v_cndmask_b32_e64 v36, v36, v48, s[12:13]
	v_sub_u32_e32 v45, 32, v39
	v_cndmask_b32_e64 v1, v1, v41, s[10:11]
	v_alignbit_b32 v46, v44, v36, v45
	v_cmp_eq_u32_e64 s[14:15], 0, v39
	v_cndmask_b32_e64 v43, v48, v1, s[12:13]
	v_cndmask_b32_e64 v39, v46, v44, s[14:15]
	v_alignbit_b32 v44, v36, v43, v45
	v_cndmask_b32_e32 v40, v42, v40, vcc
	v_cndmask_b32_e64 v36, v44, v36, s[14:15]
	v_bfe_u32 v47, v39, 29, 1
	v_cndmask_b32_e64 v40, v41, v40, s[10:11]
	v_alignbit_b32 v44, v39, v36, 30
	v_sub_u32_e32 v48, 0, v47
	v_cndmask_b32_e64 v1, v1, v40, s[12:13]
	v_xor_b32_e32 v44, v44, v48
	v_alignbit_b32 v40, v43, v1, v45
	v_cndmask_b32_e64 v40, v40, v43, s[14:15]
	v_ffbh_u32_e32 v41, v44
	v_alignbit_b32 v36, v36, v40, 30
	v_min_u32_e32 v41, 32, v41
	v_alignbit_b32 v1, v40, v1, 30
	v_xor_b32_e32 v36, v36, v48
	v_sub_u32_e32 v42, 31, v41
	v_xor_b32_e32 v1, v1, v48
	v_alignbit_b32 v43, v44, v36, v42
	v_alignbit_b32 v1, v36, v1, v42
	v_alignbit_b32 v36, v43, v1, 9
	v_ffbh_u32_e32 v40, v36
	v_min_u32_e32 v40, 32, v40
	v_lshrrev_b32_e32 v46, 29, v39
	v_not_b32_e32 v42, v40
	v_alignbit_b32 v1, v36, v1, v42
	v_lshlrev_b32_e32 v36, 31, v46
	v_or_b32_e32 v42, 0x33000000, v36
	v_add_lshl_u32 v40, v40, v41, 23
	v_lshrrev_b32_e32 v1, 9, v1
	v_sub_u32_e32 v40, v42, v40
	v_or_b32_e32 v36, 0.5, v36
	v_lshlrev_b32_e32 v41, 23, v41
	v_or_b32_e32 v1, v40, v1
	v_lshrrev_b32_e32 v40, 9, v43
	v_sub_u32_e32 v36, v36, v41
	v_or_b32_e32 v36, v40, v36
	v_mul_f32_e32 v40, 0x3fc90fda, v36
	v_fma_f32 v41, v36, s55, -v40
	v_fmac_f32_e32 v41, 0x33a22168, v36
	v_fmac_f32_e32 v41, 0x3fc90fda, v1
	v_lshrrev_b32_e32 v1, 30, v39
	v_add_f32_e32 v40, v40, v41
	v_add_u32_e32 v1, v47, v1
                                        ; implicit-def: $vgpr41
	s_andn2_saveexec_b64 s[10:11], s[36:37]
	s_cbranch_execnz .LBB162_122
	s_branch .LBB162_123
.LBB162_121:                            ;   in Loop: Header=BB162_4 Depth=1
	s_andn2_saveexec_b64 s[10:11], s[36:37]
.LBB162_122:                            ;   in Loop: Header=BB162_4 Depth=1
	v_cvt_i32_f32_e32 v1, v41
	v_fma_f32 v40, v41, s57, |v7|
	v_fmac_f32_e32 v40, 0xb3a22168, v41
	v_fmac_f32_e32 v40, 0xa7c234c4, v41
.LBB162_123:                            ;   in Loop: Header=BB162_4 Depth=1
	s_or_b64 exec, exec, s[10:11]
	v_mul_f32_e32 v36, v38, v38
	v_mov_b32_e32 v39, 0x3c0881c4
	v_fmac_f32_e32 v39, 0xb94c1982, v36
	v_fma_f32 v39, v36, v39, v28
	v_mul_f32_e32 v39, v36, v39
	v_fmac_f32_e32 v38, v38, v39
	v_mov_b32_e32 v39, 0xbab64f3b
	v_fmac_f32_e32 v39, 0x37d75334, v36
	v_fma_f32 v39, v36, v39, v29
	v_fma_f32 v39, v36, v39, v30
	v_fma_f32 v36, v36, v39, 1.0
	v_and_b32_e32 v39, 1, v37
	v_lshlrev_b32_e32 v37, 30, v37
	v_cmp_eq_u32_e32 vcc, 0, v39
	v_and_b32_e32 v37, 0x80000000, v37
	v_cndmask_b32_e32 v36, v36, v38, vcc
	v_xor_b32_e32 v35, v35, v37
	v_xor_b32_e32 v35, v35, v36
	v_mul_f32_e32 v36, v40, v40
	v_mov_b32_e32 v37, 0x3c0881c4
	v_fmac_f32_e32 v37, 0xb94c1982, v36
	v_fma_f32 v37, v36, v37, v28
	v_mul_f32_e32 v37, v36, v37
	v_fmac_f32_e32 v40, v40, v37
	v_mov_b32_e32 v37, 0xbab64f3b
	v_fmac_f32_e32 v37, 0x37d75334, v36
	v_fma_f32 v37, v36, v37, v29
	v_fma_f32 v37, v36, v37, v30
	v_fma_f32 v36, v36, v37, 1.0
	v_and_b32_e32 v37, 1, v1
	v_cmp_eq_u32_e32 vcc, 0, v37
	v_lshlrev_b32_e32 v1, 30, v1
	v_cndmask_b32_e64 v36, -v40, v36, vcc
	v_and_b32_e32 v1, 0x80000000, v1
	v_xor_b32_e32 v35, v35, v7
	v_xor_b32_e32 v1, v1, v36
	v_mul_f32_e32 v1, v35, v1
	v_cmp_class_f32_e64 vcc, v7, s45
	v_cndmask_b32_e32 v7, v34, v1, vcc
.LBB162_124:                            ;   in Loop: Header=BB162_4 Depth=1
	s_or_b64 exec, exec, s[34:35]
	v_add_u32_e32 v6, -2.0, v6
	v_bfi_b32 v7, s43, 0, v7
.LBB162_125:                            ;   in Loop: Header=BB162_4 Depth=1
	s_or_b64 exec, exec, s[30:31]
.LBB162_126:                            ;   in Loop: Header=BB162_4 Depth=1
	s_or_b64 exec, exec, s[28:29]
	v_and_b32_e32 v1, 0x7fffffff, v12
	v_cmp_gt_u32_e32 vcc, s44, v1
	s_and_saveexec_b64 s[10:11], vcc
	s_xor_b64 s[28:29], exec, s[10:11]
	s_cbranch_execz .LBB162_137
; %bb.127:                              ;   in Loop: Header=BB162_4 Depth=1
	v_cmp_class_f32_e64 s[10:11], v13, s45
	s_and_saveexec_b64 s[12:13], s[10:11]
	s_xor_b64 s[30:31], exec, s[12:13]
	s_cbranch_execz .LBB162_164
; %bb.128:                              ;   in Loop: Header=BB162_4 Depth=1
	v_and_b32_e32 v35, 0x7fffffff, v13
	v_cmp_gt_u32_e32 vcc, s46, v1
	s_and_saveexec_b64 s[10:11], vcc
	s_xor_b64 s[34:35], exec, s[10:11]
	s_cbranch_execz .LBB162_134
; %bb.129:                              ;   in Loop: Header=BB162_4 Depth=1
	v_cmp_nlt_f32_e64 s[10:11], |v13|, s47
                                        ; implicit-def: $vgpr36
                                        ; implicit-def: $vgpr1
	s_and_saveexec_b64 s[12:13], s[10:11]
	s_xor_b64 s[36:37], exec, s[12:13]
	s_cbranch_execz .LBB162_131
; %bb.130:                              ;   in Loop: Header=BB162_4 Depth=1
	v_and_b32_e32 v1, 0x7fffff, v35
	v_or_b32_e32 v43, 0x800000, v1
	v_mad_u64_u32 v[36:37], s[10:11], v43, s48, 0
	v_mov_b32_e32 v1, v37
	v_mad_u64_u32 v[37:38], s[10:11], v43, s49, v[1:2]
	v_mov_b32_e32 v1, v38
	;; [unrolled: 2-line block ×3, first 2 shown]
	v_mad_u64_u32 v[39:40], s[10:11], v43, s51, v[1:2]
	v_lshrrev_b32_e32 v1, 23, v35
	v_add_u32_e32 v42, 0xffffff88, v1
	v_mov_b32_e32 v1, v40
	v_mad_u64_u32 v[40:41], s[10:11], v43, s52, v[1:2]
	v_cmp_lt_u32_e32 vcc, 63, v42
	v_cndmask_b32_e32 v1, 0, v31, vcc
	v_add_u32_e32 v44, v1, v42
	v_mov_b32_e32 v1, v41
	v_mad_u64_u32 v[41:42], s[10:11], v43, s53, v[1:2]
	v_cmp_lt_u32_e64 s[10:11], 31, v44
	v_cndmask_b32_e64 v1, 0, v32, s[10:11]
	v_add_u32_e32 v44, v1, v44
	v_mov_b32_e32 v1, v42
	v_mad_u64_u32 v[42:43], s[12:13], v43, s54, v[1:2]
	v_cmp_lt_u32_e64 s[12:13], 31, v44
	v_cndmask_b32_e64 v1, 0, v32, s[12:13]
	v_add_u32_e32 v1, v1, v44
	v_cndmask_b32_e32 v44, v41, v39, vcc
	v_cndmask_b32_e32 v42, v42, v40, vcc
	v_cndmask_b32_e32 v41, v43, v41, vcc
	v_cndmask_b32_e32 v40, v40, v38, vcc
	v_cndmask_b32_e64 v43, v42, v44, s[10:11]
	v_cndmask_b32_e64 v41, v41, v42, s[10:11]
	;; [unrolled: 1-line block ×3, first 2 shown]
	v_sub_u32_e32 v44, 32, v1
	v_cmp_eq_u32_e64 s[14:15], 0, v1
	v_cndmask_b32_e32 v1, v39, v37, vcc
	v_cndmask_b32_e64 v41, v41, v43, s[12:13]
	v_cndmask_b32_e64 v43, v43, v42, s[12:13]
	;; [unrolled: 1-line block ×3, first 2 shown]
	v_alignbit_b32 v45, v41, v43, v44
	v_cndmask_b32_e64 v39, v42, v37, s[12:13]
	v_cndmask_b32_e64 v41, v45, v41, s[14:15]
	v_alignbit_b32 v40, v43, v39, v44
	v_cndmask_b32_e32 v36, v38, v36, vcc
	v_cndmask_b32_e64 v40, v40, v43, s[14:15]
	v_bfe_u32 v45, v41, 29, 1
	v_cndmask_b32_e64 v1, v1, v36, s[10:11]
	v_alignbit_b32 v42, v41, v40, 30
	v_sub_u32_e32 v46, 0, v45
	v_cndmask_b32_e64 v1, v37, v1, s[12:13]
	v_xor_b32_e32 v42, v42, v46
	v_alignbit_b32 v36, v39, v1, v44
	v_cndmask_b32_e64 v36, v36, v39, s[14:15]
	v_ffbh_u32_e32 v38, v42
	v_alignbit_b32 v37, v40, v36, 30
	v_min_u32_e32 v38, 32, v38
	v_alignbit_b32 v1, v36, v1, 30
	v_xor_b32_e32 v37, v37, v46
	v_sub_u32_e32 v39, 31, v38
	v_xor_b32_e32 v1, v1, v46
	v_alignbit_b32 v40, v42, v37, v39
	v_alignbit_b32 v1, v37, v1, v39
	v_alignbit_b32 v36, v40, v1, 9
	v_ffbh_u32_e32 v37, v36
	v_min_u32_e32 v37, 32, v37
	v_lshrrev_b32_e32 v43, 29, v41
	v_not_b32_e32 v39, v37
	v_alignbit_b32 v1, v36, v1, v39
	v_lshlrev_b32_e32 v36, 31, v43
	v_or_b32_e32 v39, 0x33000000, v36
	v_add_lshl_u32 v37, v37, v38, 23
	v_lshrrev_b32_e32 v1, 9, v1
	v_sub_u32_e32 v37, v39, v37
	v_or_b32_e32 v36, 0.5, v36
	v_lshlrev_b32_e32 v38, 23, v38
	v_or_b32_e32 v1, v37, v1
	v_lshrrev_b32_e32 v37, 9, v40
	v_sub_u32_e32 v36, v36, v38
	v_or_b32_e32 v36, v37, v36
	v_mul_f32_e32 v37, 0x3fc90fda, v36
	v_fma_f32 v38, v36, s55, -v37
	v_fmac_f32_e32 v38, 0x33a22168, v36
	v_fmac_f32_e32 v38, 0x3fc90fda, v1
	v_lshrrev_b32_e32 v36, 30, v41
	v_add_f32_e32 v1, v37, v38
	v_add_u32_e32 v36, v45, v36
.LBB162_131:                            ;   in Loop: Header=BB162_4 Depth=1
	s_andn2_saveexec_b64 s[10:11], s[36:37]
; %bb.132:                              ;   in Loop: Header=BB162_4 Depth=1
	v_mul_f32_e64 v1, |v13|, s56
	v_rndne_f32_e32 v37, v1
	v_cvt_i32_f32_e32 v36, v37
	v_fma_f32 v1, v37, s57, |v13|
	v_fmac_f32_e32 v1, 0xb3a22168, v37
	v_fmac_f32_e32 v1, 0xa7c234c4, v37
; %bb.133:                              ;   in Loop: Header=BB162_4 Depth=1
	s_or_b64 exec, exec, s[10:11]
	v_mul_f32_e32 v37, v1, v1
	v_mov_b32_e32 v38, 0xbf039337
	v_fmac_f32_e32 v38, 0x3c971480, v37
	v_fma_f32 v38, v37, v38, v23
	v_rcp_f32_e32 v38, v38
	v_mov_b32_e32 v39, 0x3ec54587
	v_fmac_f32_e32 v39, 0xbc8cedd3, v37
	v_and_b32_e32 v36, 1, v36
	v_mul_f32_e32 v38, v39, v38
	v_mul_f32_e32 v37, v37, v38
	v_fma_f32 v38, v37, v1, v1
	v_rcp_f32_e32 v39, v38
	v_sub_f32_e32 v40, v38, v1
	v_fma_f32 v1, v37, v1, -v40
	v_cmp_eq_u32_e32 vcc, 0, v36
	v_fma_f32 v37, v38, -v39, 1.0
	v_fma_f32 v1, v1, -v39, v37
	v_add_f32_e64 v36, |v12|, s58
	v_fma_f32 v1, v1, -v39, -v39
	v_sub_f32_e64 v37, v36, |v12|
	v_cndmask_b32_e32 v1, v1, v38, vcc
	v_sub_f32_e32 v38, v37, v36
	v_add_f32_e64 v38, |v12|, v38
	v_add_f32_e32 v37, 0x3f317218, v37
	v_sub_f32_e32 v37, v38, v37
	v_add_f32_e32 v37, 0x3102e308, v37
	v_add_f32_e32 v38, v36, v37
	v_sub_f32_e32 v36, v36, v38
	v_add_f32_e32 v36, v37, v36
	v_mul_f32_e32 v37, 0x3fb8aa3b, v38
	v_rndne_f32_e32 v37, v37
	v_fmac_f32_e32 v38, 0xbf317200, v37
	v_add_f32_e32 v39, v36, v38
	v_sub_f32_e32 v38, v38, v39
	v_add_f32_e32 v36, v36, v38
	v_mul_f32_e32 v38, 0x35bfbc00, v37
	v_sub_f32_e32 v40, v39, v38
	v_sub_f32_e32 v39, v39, v40
	;; [unrolled: 1-line block ×3, first 2 shown]
	v_add_f32_e32 v36, v36, v38
	v_add_f32_e32 v38, v40, v36
	v_sub_f32_e32 v39, v40, v38
	v_add_f32_e32 v36, v36, v39
	v_mul_f32_e32 v39, 0x2ea39ef3, v37
	v_sub_f32_e32 v40, v38, v39
	v_sub_f32_e32 v38, v38, v40
	;; [unrolled: 1-line block ×3, first 2 shown]
	v_add_f32_e32 v36, v36, v38
	v_add_f32_e32 v38, v40, v36
	v_sub_f32_e32 v40, v40, v38
	v_mov_b32_e32 v39, 0x3c091de6
	v_add_f32_e32 v36, v36, v40
	v_mul_f32_e32 v41, v38, v38
	v_fmac_f32_e32 v39, 0x3ab42872, v38
	v_add_f32_e32 v40, v36, v36
	v_fma_f32 v42, v38, v38, -v41
	v_fma_f32 v39, v38, v39, v24
	v_fmac_f32_e32 v42, v38, v40
	v_fma_f32 v39, v38, v39, v25
	v_add_f32_e32 v40, v41, v42
	v_fma_f32 v39, v38, v39, v26
	v_sub_f32_e32 v41, v40, v41
	v_sub_f32_e32 v41, v42, v41
	v_mul_f32_e32 v42, v39, v40
	v_fma_f32 v40, v40, v39, -v42
	v_fmac_f32_e32 v40, v41, v39
	v_add_f32_e32 v39, v42, v40
	v_sub_f32_e32 v41, v39, v42
	v_sub_f32_e32 v40, v40, v41
	v_add_f32_e32 v41, v38, v39
	v_sub_f32_e32 v38, v41, v38
	v_sub_f32_e32 v38, v39, v38
	v_add_f32_e32 v36, v36, v40
	v_add_f32_e32 v36, v36, v38
	;; [unrolled: 1-line block ×3, first 2 shown]
	v_sub_f32_e32 v39, v38, v41
	v_sub_f32_e32 v36, v36, v39
	v_add_f32_e32 v39, 1.0, v38
	v_add_f32_e32 v40, -1.0, v39
	v_cvt_i32_f32_e32 v37, v37
	v_sub_f32_e32 v38, v38, v40
	v_add_f32_e32 v36, v36, v38
	v_add_f32_e32 v38, v39, v36
	v_ldexp_f32 v40, v38, v37
	v_rcp_f32_e32 v41, v40
	v_sub_f32_e32 v38, v38, v39
	v_sub_f32_e32 v36, v36, v38
	v_ldexp_f32 v36, v36, v37
	v_mul_f32_e32 v37, v40, v41
	v_fma_f32 v38, v41, v40, -v37
	v_fmac_f32_e32 v38, v41, v36
	v_add_f32_e32 v39, v37, v38
	v_sub_f32_e32 v42, 1.0, v39
	v_sub_f32_e32 v43, 1.0, v42
	v_sub_f32_e32 v37, v39, v37
	v_sub_f32_e32 v43, v43, v39
	;; [unrolled: 1-line block ×3, first 2 shown]
	v_add_f32_e32 v37, v37, v43
	v_add_f32_e32 v38, v42, v37
	v_mul_f32_e32 v39, v41, v38
	v_mul_f32_e32 v43, v40, v39
	v_fma_f32 v44, v39, v40, -v43
	v_fmac_f32_e32 v44, v39, v36
	v_sub_f32_e32 v42, v42, v38
	v_add_f32_e32 v37, v37, v42
	v_add_f32_e32 v42, v43, v44
	v_sub_f32_e32 v45, v38, v42
	v_sub_f32_e32 v38, v38, v45
	v_sub_f32_e32 v43, v42, v43
	v_sub_f32_e32 v38, v38, v42
	v_add_f32_e32 v37, v37, v38
	v_sub_f32_e32 v38, v43, v44
	v_add_f32_e32 v37, v38, v37
	v_add_f32_e32 v37, v45, v37
	;; [unrolled: 1-line block ×3, first 2 shown]
	v_mul_f32_e32 v37, v41, v37
	v_sub_f32_e32 v41, v38, v41
	v_sub_f32_e32 v39, v39, v41
	v_add_f32_e32 v37, v39, v37
	v_add_f32_e32 v39, v38, v37
	v_sub_f32_e32 v38, v39, v38
	v_sub_f32_e32 v37, v37, v38
	v_ldexp_f32 v38, v39, -2
	v_sub_f32_e32 v39, v40, v38
	v_sub_f32_e32 v40, v40, v39
	;; [unrolled: 1-line block ×3, first 2 shown]
	v_ldexp_f32 v37, v37, -2
	v_add_f32_e32 v36, v36, v38
	v_sub_f32_e32 v36, v36, v37
	v_add_f32_e32 v36, v39, v36
	v_cmp_ngt_f32_e64 vcc, |v12|, s59
	v_cndmask_b32_e32 v36, v33, v36, vcc
	v_cmp_lt_f32_e64 s[10:11], |v12|, s60
	v_cndmask_b32_e64 v36, v36, |v12|, s[10:11]
	v_bfi_b32 v12, s43, v36, v12
	v_fma_f32 v36, v12, v12, 1.0
	v_mul_f32_e32 v37, 0x4f800000, v36
	v_cmp_gt_f32_e32 vcc, s61, v36
	v_cndmask_b32_e32 v36, v36, v37, vcc
	v_sqrt_f32_e32 v37, v36
	v_xor_b32_e32 v1, v35, v1
	v_xor_b32_e32 v1, v1, v13
	v_fma_f32 v13, v1, v1, 1.0
	v_add_u32_e32 v35, -1, v37
	v_fma_f32 v38, -v35, v37, v36
	v_cmp_ge_f32_e64 s[10:11], 0, v38
	v_add_u32_e32 v38, 1, v37
	v_cndmask_b32_e64 v35, v37, v35, s[10:11]
	v_fma_f32 v37, -v38, v37, v36
	v_cmp_lt_f32_e64 s[10:11], 0, v37
	v_cndmask_b32_e64 v35, v35, v38, s[10:11]
	v_mul_f32_e32 v37, 0x37800000, v35
	v_cndmask_b32_e32 v35, v35, v37, vcc
	v_cmp_class_f32_e32 vcc, v36, v27
	v_cndmask_b32_e32 v35, v35, v36, vcc
	v_mul_f32_e32 v36, v12, v13
	v_mul_f32_e32 v13, v35, v13
	v_fma_f32 v36, v12, v36, 1.0
	v_mul_f32_e32 v12, v12, v13
	v_div_scale_f32 v13, s[10:11], v36, v36, v12
	v_div_scale_f32 v35, vcc, v12, v36, v12
	v_div_scale_f32 v37, s[10:11], v36, v36, v1
	v_div_scale_f32 v38, s[10:11], v1, v36, v1
	v_rcp_f32_e32 v39, v13
	v_fma_f32 v40, -v13, v39, 1.0
	v_fmac_f32_e32 v39, v40, v39
	v_mul_f32_e32 v40, v35, v39
	v_fma_f32 v41, -v13, v40, v35
	v_fmac_f32_e32 v40, v41, v39
	v_rcp_f32_e32 v41, v37
	v_fma_f32 v13, -v13, v40, v35
	v_div_fmas_f32 v13, v13, v39, v40
	s_mov_b64 vcc, s[10:11]
	v_fma_f32 v35, -v37, v41, 1.0
	v_fmac_f32_e32 v41, v35, v41
	v_mul_f32_e32 v35, v38, v41
	v_fma_f32 v39, -v37, v35, v38
	v_fmac_f32_e32 v35, v39, v41
	v_fma_f32 v37, -v37, v35, v38
	v_div_fmas_f32 v35, v37, v41, v35
	v_div_fixup_f32 v12, v13, v36, v12
	v_div_fixup_f32 v13, v35, v36, v1
                                        ; implicit-def: $vgpr35
.LBB162_134:                            ;   in Loop: Header=BB162_4 Depth=1
	s_andn2_saveexec_b64 s[34:35], s[34:35]
	s_cbranch_execz .LBB162_163
; %bb.135:                              ;   in Loop: Header=BB162_4 Depth=1
	v_lshrrev_b32_e32 v1, 23, v35
	v_and_b32_e32 v36, 0x7fffff, v35
	v_cmp_nlt_f32_e64 s[36:37], |v13|, s47
	v_add_u32_e32 v39, 0xffffff88, v1
	v_or_b32_e32 v36, 0x800000, v36
                                        ; implicit-def: $vgpr37
                                        ; implicit-def: $vgpr38
	s_and_saveexec_b64 s[10:11], s[36:37]
	s_xor_b64 s[38:39], exec, s[10:11]
	s_cbranch_execz .LBB162_148
; %bb.136:                              ;   in Loop: Header=BB162_4 Depth=1
	v_mad_u64_u32 v[37:38], s[10:11], v36, s48, 0
	v_cmp_lt_u32_e32 vcc, 63, v39
	v_mov_b32_e32 v1, v38
	v_mad_u64_u32 v[40:41], s[10:11], v36, s49, v[1:2]
	v_mov_b32_e32 v1, v41
	v_mad_u64_u32 v[41:42], s[10:11], v36, s50, v[1:2]
	;; [unrolled: 2-line block ×3, first 2 shown]
	v_cndmask_b32_e32 v1, 0, v31, vcc
	v_add_u32_e32 v38, v1, v39
	v_mov_b32_e32 v1, v43
	v_mad_u64_u32 v[43:44], s[10:11], v36, s52, v[1:2]
	v_cmp_lt_u32_e64 s[10:11], 31, v38
	v_cndmask_b32_e64 v1, 0, v32, s[10:11]
	v_add_u32_e32 v38, v1, v38
	v_mov_b32_e32 v1, v44
	v_mad_u64_u32 v[44:45], s[12:13], v36, s53, v[1:2]
	v_cmp_lt_u32_e64 s[12:13], 31, v38
	v_cndmask_b32_e64 v1, 0, v32, s[12:13]
	v_add_u32_e32 v38, v1, v38
	v_mov_b32_e32 v1, v45
	v_mad_u64_u32 v[45:46], s[14:15], v36, s54, v[1:2]
	v_cndmask_b32_e32 v1, v43, v41, vcc
	v_cndmask_b32_e32 v47, v44, v42, vcc
	;; [unrolled: 1-line block ×4, first 2 shown]
	v_cndmask_b32_e64 v48, v47, v1, s[10:11]
	v_cndmask_b32_e64 v45, v43, v47, s[10:11]
	;; [unrolled: 1-line block ×5, first 2 shown]
	v_sub_u32_e32 v45, 32, v38
	v_cmp_eq_u32_e64 s[14:15], 0, v38
	v_cndmask_b32_e32 v38, v42, v40, vcc
	v_cndmask_b32_e64 v1, v1, v38, s[10:11]
	v_alignbit_b32 v46, v43, v44, v45
	v_cndmask_b32_e64 v40, v48, v1, s[12:13]
	v_cndmask_b32_e64 v43, v46, v43, s[14:15]
	v_alignbit_b32 v42, v44, v40, v45
	v_cndmask_b32_e32 v37, v41, v37, vcc
	v_cndmask_b32_e64 v42, v42, v44, s[14:15]
	v_bfe_u32 v47, v43, 29, 1
	v_cndmask_b32_e64 v37, v38, v37, s[10:11]
	v_alignbit_b32 v44, v43, v42, 30
	v_sub_u32_e32 v48, 0, v47
	v_cndmask_b32_e64 v1, v1, v37, s[12:13]
	v_xor_b32_e32 v44, v44, v48
	v_alignbit_b32 v37, v40, v1, v45
	v_cndmask_b32_e64 v37, v37, v40, s[14:15]
	v_ffbh_u32_e32 v40, v44
	v_alignbit_b32 v38, v42, v37, 30
	v_min_u32_e32 v40, 32, v40
	v_alignbit_b32 v1, v37, v1, 30
	v_xor_b32_e32 v38, v38, v48
	v_sub_u32_e32 v41, 31, v40
	v_xor_b32_e32 v1, v1, v48
	v_alignbit_b32 v42, v44, v38, v41
	v_alignbit_b32 v1, v38, v1, v41
	;; [unrolled: 1-line block ×3, first 2 shown]
	v_ffbh_u32_e32 v38, v37
	v_min_u32_e32 v38, 32, v38
	v_lshrrev_b32_e32 v46, 29, v43
	v_not_b32_e32 v41, v38
	v_alignbit_b32 v1, v37, v1, v41
	v_lshlrev_b32_e32 v37, 31, v46
	v_or_b32_e32 v41, 0x33000000, v37
	v_add_lshl_u32 v38, v38, v40, 23
	v_lshrrev_b32_e32 v1, 9, v1
	v_sub_u32_e32 v38, v41, v38
	v_or_b32_e32 v37, 0.5, v37
	v_lshlrev_b32_e32 v40, 23, v40
	v_or_b32_e32 v1, v38, v1
	v_lshrrev_b32_e32 v38, 9, v42
	v_sub_u32_e32 v37, v37, v40
	v_or_b32_e32 v37, v38, v37
	v_mul_f32_e32 v38, 0x3fc90fda, v37
	v_fma_f32 v40, v37, s55, -v38
	v_fmac_f32_e32 v40, 0x33a22168, v37
	v_fmac_f32_e32 v40, 0x3fc90fda, v1
	v_lshrrev_b32_e32 v1, 30, v43
	v_add_f32_e32 v38, v38, v40
	v_add_u32_e32 v37, v47, v1
	s_andn2_saveexec_b64 s[10:11], s[38:39]
	s_branch .LBB162_149
.LBB162_137:                            ;   in Loop: Header=BB162_4 Depth=1
	s_andn2_saveexec_b64 s[28:29], s[28:29]
	s_cbranch_execz .LBB162_167
.LBB162_138:                            ;   in Loop: Header=BB162_4 Depth=1
	v_and_b32_e32 v1, 0x7fffff, v12
	v_cmp_ne_u32_e32 vcc, 0, v1
	s_and_saveexec_b64 s[10:11], vcc
	s_xor_b64 s[10:11], exec, s[10:11]
; %bb.139:                              ;   in Loop: Header=BB162_4 Depth=1
	v_mul_f32_e32 v1, v13, v12
	v_cmp_eq_f32_e32 vcc, 0, v13
	v_cndmask_b32_e32 v13, v1, v13, vcc
; %bb.140:                              ;   in Loop: Header=BB162_4 Depth=1
	s_andn2_saveexec_b64 s[30:31], s[10:11]
	s_cbranch_execz .LBB162_156
; %bb.141:                              ;   in Loop: Header=BB162_4 Depth=1
	v_cmp_neq_f32_e64 s[10:11], |v13|, s44
	s_and_saveexec_b64 s[34:35], s[10:11]
	s_cbranch_execz .LBB162_155
; %bb.142:                              ;   in Loop: Header=BB162_4 Depth=1
	v_and_b32_e32 v35, 0x7fffffff, v13
	v_lshrrev_b32_e32 v1, 23, v35
	v_and_b32_e32 v36, 0x7fffff, v35
	v_cmp_nlt_f32_e64 s[36:37], |v13|, s47
	v_add_u32_e32 v39, 0xffffff88, v1
	v_or_b32_e32 v36, 0x800000, v36
                                        ; implicit-def: $vgpr37
                                        ; implicit-def: $vgpr38
	s_and_saveexec_b64 s[10:11], s[36:37]
	s_xor_b64 s[38:39], exec, s[10:11]
	s_cbranch_execz .LBB162_144
; %bb.143:                              ;   in Loop: Header=BB162_4 Depth=1
	v_mad_u64_u32 v[37:38], s[10:11], v36, s48, 0
	v_cmp_lt_u32_e32 vcc, 63, v39
	v_mov_b32_e32 v1, v38
	v_mad_u64_u32 v[40:41], s[10:11], v36, s49, v[1:2]
	v_mov_b32_e32 v1, v41
	v_mad_u64_u32 v[41:42], s[10:11], v36, s50, v[1:2]
	;; [unrolled: 2-line block ×3, first 2 shown]
	v_cndmask_b32_e32 v1, 0, v31, vcc
	v_add_u32_e32 v38, v1, v39
	v_mov_b32_e32 v1, v43
	v_mad_u64_u32 v[43:44], s[10:11], v36, s52, v[1:2]
	v_cmp_lt_u32_e64 s[10:11], 31, v38
	v_cndmask_b32_e64 v1, 0, v32, s[10:11]
	v_add_u32_e32 v38, v1, v38
	v_mov_b32_e32 v1, v44
	v_mad_u64_u32 v[44:45], s[12:13], v36, s53, v[1:2]
	v_cmp_lt_u32_e64 s[12:13], 31, v38
	v_cndmask_b32_e64 v1, 0, v32, s[12:13]
	v_add_u32_e32 v38, v1, v38
	v_mov_b32_e32 v1, v45
	v_mad_u64_u32 v[45:46], s[14:15], v36, s54, v[1:2]
	v_cndmask_b32_e32 v1, v43, v41, vcc
	v_cndmask_b32_e32 v47, v44, v42, vcc
	;; [unrolled: 1-line block ×4, first 2 shown]
	v_cndmask_b32_e64 v48, v47, v1, s[10:11]
	v_cndmask_b32_e64 v45, v43, v47, s[10:11]
	;; [unrolled: 1-line block ×5, first 2 shown]
	v_sub_u32_e32 v45, 32, v38
	v_cmp_eq_u32_e64 s[14:15], 0, v38
	v_cndmask_b32_e32 v38, v42, v40, vcc
	v_cndmask_b32_e64 v1, v1, v38, s[10:11]
	v_alignbit_b32 v46, v43, v44, v45
	v_cndmask_b32_e64 v40, v48, v1, s[12:13]
	v_cndmask_b32_e64 v43, v46, v43, s[14:15]
	v_alignbit_b32 v42, v44, v40, v45
	v_cndmask_b32_e32 v37, v41, v37, vcc
	v_cndmask_b32_e64 v42, v42, v44, s[14:15]
	v_bfe_u32 v47, v43, 29, 1
	v_cndmask_b32_e64 v37, v38, v37, s[10:11]
	v_alignbit_b32 v44, v43, v42, 30
	v_sub_u32_e32 v48, 0, v47
	v_cndmask_b32_e64 v1, v1, v37, s[12:13]
	v_xor_b32_e32 v44, v44, v48
	v_alignbit_b32 v37, v40, v1, v45
	v_cndmask_b32_e64 v37, v37, v40, s[14:15]
	v_ffbh_u32_e32 v40, v44
	v_alignbit_b32 v38, v42, v37, 30
	v_min_u32_e32 v40, 32, v40
	v_alignbit_b32 v1, v37, v1, 30
	v_xor_b32_e32 v38, v38, v48
	v_sub_u32_e32 v41, 31, v40
	v_xor_b32_e32 v1, v1, v48
	v_alignbit_b32 v42, v44, v38, v41
	v_alignbit_b32 v1, v38, v1, v41
	;; [unrolled: 1-line block ×3, first 2 shown]
	v_ffbh_u32_e32 v38, v37
	v_min_u32_e32 v38, 32, v38
	v_lshrrev_b32_e32 v46, 29, v43
	v_not_b32_e32 v41, v38
	v_alignbit_b32 v1, v37, v1, v41
	v_lshlrev_b32_e32 v37, 31, v46
	v_or_b32_e32 v41, 0x33000000, v37
	v_add_lshl_u32 v38, v38, v40, 23
	v_lshrrev_b32_e32 v1, 9, v1
	v_sub_u32_e32 v38, v41, v38
	v_or_b32_e32 v37, 0.5, v37
	v_lshlrev_b32_e32 v40, 23, v40
	v_or_b32_e32 v1, v38, v1
	v_lshrrev_b32_e32 v38, 9, v42
	v_sub_u32_e32 v37, v37, v40
	v_or_b32_e32 v37, v38, v37
	v_mul_f32_e32 v38, 0x3fc90fda, v37
	v_fma_f32 v40, v37, s55, -v38
	v_fmac_f32_e32 v40, 0x33a22168, v37
	v_fmac_f32_e32 v40, 0x3fc90fda, v1
	v_lshrrev_b32_e32 v1, 30, v43
	v_add_f32_e32 v38, v38, v40
	v_add_u32_e32 v37, v47, v1
.LBB162_144:                            ;   in Loop: Header=BB162_4 Depth=1
	s_or_saveexec_b64 s[10:11], s[38:39]
	v_mul_f32_e64 v1, |v13|, s56
	v_rndne_f32_e32 v41, v1
	s_xor_b64 exec, exec, s[10:11]
; %bb.145:                              ;   in Loop: Header=BB162_4 Depth=1
	v_cvt_i32_f32_e32 v37, v41
	v_fma_f32 v38, v41, s57, |v13|
	v_fmac_f32_e32 v38, 0xb3a22168, v41
	v_fmac_f32_e32 v38, 0xa7c234c4, v41
; %bb.146:                              ;   in Loop: Header=BB162_4 Depth=1
	s_or_b64 exec, exec, s[10:11]
                                        ; implicit-def: $vgpr1
                                        ; implicit-def: $vgpr40
	s_and_saveexec_b64 s[10:11], s[36:37]
	s_xor_b64 s[36:37], exec, s[10:11]
	s_cbranch_execz .LBB162_152
; %bb.147:                              ;   in Loop: Header=BB162_4 Depth=1
	v_mad_u64_u32 v[40:41], s[10:11], v36, s48, 0
	v_cmp_lt_u32_e32 vcc, 63, v39
	v_mov_b32_e32 v1, v41
	v_mad_u64_u32 v[41:42], s[10:11], v36, s49, v[1:2]
	v_mov_b32_e32 v1, v42
	v_mad_u64_u32 v[42:43], s[10:11], v36, s50, v[1:2]
	;; [unrolled: 2-line block ×3, first 2 shown]
	v_cndmask_b32_e32 v1, 0, v31, vcc
	v_add_u32_e32 v39, v1, v39
	v_mov_b32_e32 v1, v44
	v_mad_u64_u32 v[44:45], s[10:11], v36, s52, v[1:2]
	v_cmp_lt_u32_e64 s[10:11], 31, v39
	v_cndmask_b32_e64 v1, 0, v32, s[10:11]
	v_add_u32_e32 v39, v1, v39
	v_mov_b32_e32 v1, v45
	v_mad_u64_u32 v[45:46], s[12:13], v36, s53, v[1:2]
	v_cmp_lt_u32_e64 s[12:13], 31, v39
	v_cndmask_b32_e64 v1, 0, v32, s[12:13]
	v_add_u32_e32 v39, v1, v39
	v_mov_b32_e32 v1, v46
	v_mad_u64_u32 v[46:47], s[14:15], v36, s54, v[1:2]
	v_cndmask_b32_e32 v1, v44, v42, vcc
	v_cndmask_b32_e32 v36, v45, v43, vcc
	;; [unrolled: 1-line block ×4, first 2 shown]
	v_cndmask_b32_e64 v48, v36, v1, s[10:11]
	v_cndmask_b32_e64 v36, v44, v36, s[10:11]
	v_cndmask_b32_e64 v44, v45, v44, s[10:11]
	v_cndmask_b32_e32 v41, v43, v41, vcc
	v_cndmask_b32_e64 v44, v44, v36, s[12:13]
	v_cndmask_b32_e64 v36, v36, v48, s[12:13]
	v_sub_u32_e32 v45, 32, v39
	v_cndmask_b32_e64 v1, v1, v41, s[10:11]
	v_alignbit_b32 v46, v44, v36, v45
	v_cmp_eq_u32_e64 s[14:15], 0, v39
	v_cndmask_b32_e64 v43, v48, v1, s[12:13]
	v_cndmask_b32_e64 v39, v46, v44, s[14:15]
	v_alignbit_b32 v44, v36, v43, v45
	v_cndmask_b32_e32 v40, v42, v40, vcc
	v_cndmask_b32_e64 v36, v44, v36, s[14:15]
	v_bfe_u32 v47, v39, 29, 1
	v_cndmask_b32_e64 v40, v41, v40, s[10:11]
	v_alignbit_b32 v44, v39, v36, 30
	v_sub_u32_e32 v48, 0, v47
	v_cndmask_b32_e64 v1, v1, v40, s[12:13]
	v_xor_b32_e32 v44, v44, v48
	v_alignbit_b32 v40, v43, v1, v45
	v_cndmask_b32_e64 v40, v40, v43, s[14:15]
	v_ffbh_u32_e32 v41, v44
	v_alignbit_b32 v36, v36, v40, 30
	v_min_u32_e32 v41, 32, v41
	v_alignbit_b32 v1, v40, v1, 30
	v_xor_b32_e32 v36, v36, v48
	v_sub_u32_e32 v42, 31, v41
	v_xor_b32_e32 v1, v1, v48
	v_alignbit_b32 v43, v44, v36, v42
	v_alignbit_b32 v1, v36, v1, v42
	;; [unrolled: 1-line block ×3, first 2 shown]
	v_ffbh_u32_e32 v40, v36
	v_min_u32_e32 v40, 32, v40
	v_lshrrev_b32_e32 v46, 29, v39
	v_not_b32_e32 v42, v40
	v_alignbit_b32 v1, v36, v1, v42
	v_lshlrev_b32_e32 v36, 31, v46
	v_or_b32_e32 v42, 0x33000000, v36
	v_add_lshl_u32 v40, v40, v41, 23
	v_lshrrev_b32_e32 v1, 9, v1
	v_sub_u32_e32 v40, v42, v40
	v_or_b32_e32 v36, 0.5, v36
	v_lshlrev_b32_e32 v41, 23, v41
	v_or_b32_e32 v1, v40, v1
	v_lshrrev_b32_e32 v40, 9, v43
	v_sub_u32_e32 v36, v36, v41
	v_or_b32_e32 v36, v40, v36
	v_mul_f32_e32 v40, 0x3fc90fda, v36
	v_fma_f32 v41, v36, s55, -v40
	v_fmac_f32_e32 v41, 0x33a22168, v36
	v_fmac_f32_e32 v41, 0x3fc90fda, v1
	v_lshrrev_b32_e32 v1, 30, v39
	v_add_f32_e32 v40, v40, v41
	v_add_u32_e32 v1, v47, v1
                                        ; implicit-def: $vgpr41
	s_andn2_saveexec_b64 s[10:11], s[36:37]
	s_cbranch_execnz .LBB162_153
	s_branch .LBB162_154
.LBB162_148:                            ;   in Loop: Header=BB162_4 Depth=1
	s_andn2_saveexec_b64 s[10:11], s[38:39]
.LBB162_149:                            ;   in Loop: Header=BB162_4 Depth=1
	v_mul_f32_e64 v1, |v13|, s56
	v_rndne_f32_e32 v1, v1
	v_cvt_i32_f32_e32 v37, v1
	v_fma_f32 v38, v1, s57, |v13|
	v_fmac_f32_e32 v38, 0xb3a22168, v1
	v_fmac_f32_e32 v38, 0xa7c234c4, v1
; %bb.150:                              ;   in Loop: Header=BB162_4 Depth=1
	s_or_b64 exec, exec, s[10:11]
                                        ; implicit-def: $vgpr1
                                        ; implicit-def: $vgpr40
	s_and_saveexec_b64 s[10:11], s[36:37]
	s_xor_b64 s[36:37], exec, s[10:11]
	s_cbranch_execz .LBB162_160
; %bb.151:                              ;   in Loop: Header=BB162_4 Depth=1
	v_mad_u64_u32 v[40:41], s[10:11], v36, s48, 0
	v_cmp_lt_u32_e32 vcc, 63, v39
	v_mov_b32_e32 v1, v41
	v_mad_u64_u32 v[41:42], s[10:11], v36, s49, v[1:2]
	v_mov_b32_e32 v1, v42
	v_mad_u64_u32 v[42:43], s[10:11], v36, s50, v[1:2]
	;; [unrolled: 2-line block ×3, first 2 shown]
	v_cndmask_b32_e32 v1, 0, v31, vcc
	v_add_u32_e32 v39, v1, v39
	v_mov_b32_e32 v1, v44
	v_mad_u64_u32 v[44:45], s[10:11], v36, s52, v[1:2]
	v_cmp_lt_u32_e64 s[10:11], 31, v39
	v_cndmask_b32_e64 v1, 0, v32, s[10:11]
	v_add_u32_e32 v39, v1, v39
	v_mov_b32_e32 v1, v45
	v_mad_u64_u32 v[45:46], s[12:13], v36, s53, v[1:2]
	v_cmp_lt_u32_e64 s[12:13], 31, v39
	v_cndmask_b32_e64 v1, 0, v32, s[12:13]
	v_add_u32_e32 v39, v1, v39
	v_mov_b32_e32 v1, v46
	v_mad_u64_u32 v[46:47], s[14:15], v36, s54, v[1:2]
	v_cndmask_b32_e32 v1, v44, v42, vcc
	v_cndmask_b32_e32 v36, v45, v43, vcc
	;; [unrolled: 1-line block ×4, first 2 shown]
	v_cndmask_b32_e64 v48, v36, v1, s[10:11]
	v_cndmask_b32_e64 v36, v44, v36, s[10:11]
	v_cndmask_b32_e64 v44, v45, v44, s[10:11]
	v_cndmask_b32_e32 v41, v43, v41, vcc
	v_cndmask_b32_e64 v44, v44, v36, s[12:13]
	v_cndmask_b32_e64 v36, v36, v48, s[12:13]
	v_sub_u32_e32 v45, 32, v39
	v_cndmask_b32_e64 v1, v1, v41, s[10:11]
	v_alignbit_b32 v46, v44, v36, v45
	v_cmp_eq_u32_e64 s[14:15], 0, v39
	v_cndmask_b32_e64 v43, v48, v1, s[12:13]
	v_cndmask_b32_e64 v39, v46, v44, s[14:15]
	v_alignbit_b32 v44, v36, v43, v45
	v_cndmask_b32_e32 v40, v42, v40, vcc
	v_cndmask_b32_e64 v36, v44, v36, s[14:15]
	v_bfe_u32 v47, v39, 29, 1
	v_cndmask_b32_e64 v40, v41, v40, s[10:11]
	v_alignbit_b32 v44, v39, v36, 30
	v_sub_u32_e32 v48, 0, v47
	v_cndmask_b32_e64 v1, v1, v40, s[12:13]
	v_xor_b32_e32 v44, v44, v48
	v_alignbit_b32 v40, v43, v1, v45
	v_cndmask_b32_e64 v40, v40, v43, s[14:15]
	v_ffbh_u32_e32 v41, v44
	v_alignbit_b32 v36, v36, v40, 30
	v_min_u32_e32 v41, 32, v41
	v_alignbit_b32 v1, v40, v1, 30
	v_xor_b32_e32 v36, v36, v48
	v_sub_u32_e32 v42, 31, v41
	v_xor_b32_e32 v1, v1, v48
	v_alignbit_b32 v43, v44, v36, v42
	v_alignbit_b32 v1, v36, v1, v42
	v_alignbit_b32 v36, v43, v1, 9
	v_ffbh_u32_e32 v40, v36
	v_min_u32_e32 v40, 32, v40
	v_lshrrev_b32_e32 v46, 29, v39
	v_not_b32_e32 v42, v40
	v_alignbit_b32 v1, v36, v1, v42
	v_lshlrev_b32_e32 v36, 31, v46
	v_or_b32_e32 v42, 0x33000000, v36
	v_add_lshl_u32 v40, v40, v41, 23
	v_lshrrev_b32_e32 v1, 9, v1
	v_sub_u32_e32 v40, v42, v40
	v_or_b32_e32 v36, 0.5, v36
	v_lshlrev_b32_e32 v41, 23, v41
	v_or_b32_e32 v1, v40, v1
	v_lshrrev_b32_e32 v40, 9, v43
	v_sub_u32_e32 v36, v36, v41
	v_or_b32_e32 v36, v40, v36
	v_mul_f32_e32 v40, 0x3fc90fda, v36
	v_fma_f32 v41, v36, s55, -v40
	v_fmac_f32_e32 v41, 0x33a22168, v36
	v_fmac_f32_e32 v41, 0x3fc90fda, v1
	v_lshrrev_b32_e32 v1, 30, v39
	v_add_f32_e32 v40, v40, v41
	v_add_u32_e32 v1, v47, v1
	s_andn2_saveexec_b64 s[10:11], s[36:37]
	s_cbranch_execnz .LBB162_161
	s_branch .LBB162_162
.LBB162_152:                            ;   in Loop: Header=BB162_4 Depth=1
	s_andn2_saveexec_b64 s[10:11], s[36:37]
.LBB162_153:                            ;   in Loop: Header=BB162_4 Depth=1
	v_cvt_i32_f32_e32 v1, v41
	v_fma_f32 v40, v41, s57, |v13|
	v_fmac_f32_e32 v40, 0xb3a22168, v41
	v_fmac_f32_e32 v40, 0xa7c234c4, v41
.LBB162_154:                            ;   in Loop: Header=BB162_4 Depth=1
	s_or_b64 exec, exec, s[10:11]
	v_mul_f32_e32 v36, v38, v38
	v_mov_b32_e32 v39, 0x3c0881c4
	v_fmac_f32_e32 v39, 0xb94c1982, v36
	v_fma_f32 v39, v36, v39, v28
	v_mul_f32_e32 v39, v36, v39
	v_fmac_f32_e32 v38, v38, v39
	v_mov_b32_e32 v39, 0xbab64f3b
	v_fmac_f32_e32 v39, 0x37d75334, v36
	v_fma_f32 v39, v36, v39, v29
	v_fma_f32 v39, v36, v39, v30
	v_fma_f32 v36, v36, v39, 1.0
	v_and_b32_e32 v39, 1, v37
	v_lshlrev_b32_e32 v37, 30, v37
	v_cmp_eq_u32_e32 vcc, 0, v39
	v_and_b32_e32 v37, 0x80000000, v37
	v_cndmask_b32_e32 v36, v36, v38, vcc
	v_xor_b32_e32 v35, v35, v37
	v_xor_b32_e32 v35, v35, v36
	v_mul_f32_e32 v36, v40, v40
	v_mov_b32_e32 v37, 0x3c0881c4
	v_fmac_f32_e32 v37, 0xb94c1982, v36
	v_fma_f32 v37, v36, v37, v28
	v_mul_f32_e32 v37, v36, v37
	v_fmac_f32_e32 v40, v40, v37
	v_mov_b32_e32 v37, 0xbab64f3b
	v_fmac_f32_e32 v37, 0x37d75334, v36
	v_fma_f32 v37, v36, v37, v29
	v_fma_f32 v37, v36, v37, v30
	v_fma_f32 v36, v36, v37, 1.0
	v_and_b32_e32 v37, 1, v1
	v_cmp_eq_u32_e32 vcc, 0, v37
	v_lshlrev_b32_e32 v1, 30, v1
	v_cndmask_b32_e64 v36, -v40, v36, vcc
	v_and_b32_e32 v1, 0x80000000, v1
	v_xor_b32_e32 v35, v35, v13
	v_xor_b32_e32 v1, v1, v36
	v_mul_f32_e32 v1, v35, v1
	v_cmp_class_f32_e64 vcc, v13, s45
	v_cndmask_b32_e32 v13, v34, v1, vcc
.LBB162_155:                            ;   in Loop: Header=BB162_4 Depth=1
	s_or_b64 exec, exec, s[34:35]
	v_add_u32_e32 v12, -2.0, v12
	v_bfi_b32 v13, s43, 0, v13
.LBB162_156:                            ;   in Loop: Header=BB162_4 Depth=1
	s_or_b64 exec, exec, s[30:31]
	s_or_b64 exec, exec, s[28:29]
	s_and_saveexec_b64 s[10:11], s[0:1]
	s_xor_b64 s[0:1], exec, s[10:11]
	s_cbranch_execnz .LBB162_168
.LBB162_157:                            ;   in Loop: Header=BB162_4 Depth=1
	s_or_b64 exec, exec, s[0:1]
	s_and_saveexec_b64 s[0:1], s[2:3]
	s_cbranch_execz .LBB162_169
.LBB162_158:                            ;   in Loop: Header=BB162_4 Depth=1
	v_mov_b32_e32 v1, s40
	v_add_co_u32_e32 v8, vcc, s33, v18
	v_addc_co_u32_e32 v9, vcc, 0, v1, vcc
	global_store_dwordx2 v[8:9], v[10:11], off
	s_or_b64 exec, exec, s[0:1]
	s_and_saveexec_b64 s[0:1], s[6:7]
	s_cbranch_execnz .LBB162_170
.LBB162_159:                            ;   in Loop: Header=BB162_4 Depth=1
	s_or_b64 exec, exec, s[0:1]
	s_and_saveexec_b64 s[0:1], s[8:9]
	s_cbranch_execz .LBB162_3
	s_branch .LBB162_171
.LBB162_160:                            ;   in Loop: Header=BB162_4 Depth=1
	s_andn2_saveexec_b64 s[10:11], s[36:37]
.LBB162_161:                            ;   in Loop: Header=BB162_4 Depth=1
	v_mul_f32_e64 v1, |v13|, s56
	v_rndne_f32_e32 v36, v1
	v_cvt_i32_f32_e32 v1, v36
	v_fma_f32 v40, v36, s57, |v13|
	v_fmac_f32_e32 v40, 0xb3a22168, v36
	v_fmac_f32_e32 v40, 0xa7c234c4, v36
.LBB162_162:                            ;   in Loop: Header=BB162_4 Depth=1
	s_or_b64 exec, exec, s[10:11]
	v_mul_f32_e32 v36, v38, v38
	v_mov_b32_e32 v39, 0x3c0881c4
	v_fmac_f32_e32 v39, 0xb94c1982, v36
	v_fma_f32 v39, v36, v39, v28
	v_mul_f32_e32 v39, v36, v39
	v_fmac_f32_e32 v38, v38, v39
	v_mov_b32_e32 v39, 0xbab64f3b
	v_fmac_f32_e32 v39, 0x37d75334, v36
	v_fma_f32 v39, v36, v39, v29
	v_fma_f32 v39, v36, v39, v30
	v_fma_f32 v36, v36, v39, 1.0
	v_and_b32_e32 v39, 1, v37
	v_lshlrev_b32_e32 v37, 30, v37
	v_and_b32_e32 v37, 0x80000000, v37
	v_cmp_eq_u32_e32 vcc, 0, v39
	v_xor_b32_e32 v35, v35, v37
	v_mul_f32_e64 v37, |v12|, s62
	v_cndmask_b32_e32 v36, v36, v38, vcc
	v_rndne_f32_e32 v38, v37
	v_sub_f32_e32 v39, v37, v38
	v_fma_f32 v37, |v12|, s62, -v37
	v_fma_f32 v37, |v12|, s63, v37
	v_add_f32_e32 v37, v39, v37
	v_exp_f32_e32 v37, v37
	v_cvt_i32_f32_e32 v38, v38
	v_xor_b32_e32 v35, v35, v36
	v_xor_b32_e32 v13, v35, v13
	v_mul_f32_e32 v36, v40, v40
	v_ldexp_f32 v35, v37, v38
	v_mov_b32_e32 v37, 0x3c0881c4
	v_fmac_f32_e32 v37, 0xb94c1982, v36
	v_fma_f32 v37, v36, v37, v28
	v_mul_f32_e32 v37, v36, v37
	v_fmac_f32_e32 v40, v40, v37
	v_mov_b32_e32 v37, 0xbab64f3b
	v_fmac_f32_e32 v37, 0x37d75334, v36
	v_fma_f32 v37, v36, v37, v29
	v_cmp_ngt_f32_e64 vcc, |v12|, s64
	v_fma_f32 v37, v36, v37, v30
	v_cndmask_b32_e32 v35, 0, v35, vcc
	v_cmp_nlt_f32_e64 vcc, |v12|, s65
	v_fma_f32 v36, v36, v37, 1.0
	v_and_b32_e32 v37, 1, v1
	v_cndmask_b32_e32 v35, v33, v35, vcc
	v_cmp_eq_u32_e32 vcc, 0, v37
	v_lshlrev_b32_e32 v1, 30, v1
	v_cndmask_b32_e64 v36, -v40, v36, vcc
	v_and_b32_e32 v1, 0x80000000, v1
	v_mul_f32_e32 v13, 4.0, v13
	v_xor_b32_e32 v1, v1, v36
	v_mul_f32_e32 v1, v13, v1
	v_mul_f32_e32 v1, v35, v1
	v_bfi_b32 v12, s43, 1.0, v12
	v_mul_f32_e32 v13, v35, v1
.LBB162_163:                            ;   in Loop: Header=BB162_4 Depth=1
	s_or_b64 exec, exec, s[34:35]
.LBB162_164:                            ;   in Loop: Header=BB162_4 Depth=1
	s_andn2_saveexec_b64 s[10:11], s[30:31]
; %bb.165:                              ;   in Loop: Header=BB162_4 Depth=1
	v_sub_f32_e32 v13, v13, v13
	v_mov_b32_e32 v12, v13
; %bb.166:                              ;   in Loop: Header=BB162_4 Depth=1
	s_or_b64 exec, exec, s[10:11]
	s_andn2_saveexec_b64 s[28:29], s[28:29]
	s_cbranch_execnz .LBB162_138
.LBB162_167:                            ;   in Loop: Header=BB162_4 Depth=1
	s_or_b64 exec, exec, s[28:29]
	s_and_saveexec_b64 s[10:11], s[0:1]
	s_xor_b64 s[0:1], exec, s[10:11]
	s_cbranch_execz .LBB162_157
.LBB162_168:                            ;   in Loop: Header=BB162_4 Depth=1
	v_mov_b32_e32 v1, s40
	v_add_co_u32_e32 v35, vcc, s33, v3
	v_addc_co_u32_e32 v36, vcc, 0, v1, vcc
	global_store_dwordx2 v[35:36], v[8:9], off
	s_or_b64 exec, exec, s[0:1]
	s_and_saveexec_b64 s[0:1], s[2:3]
	s_cbranch_execnz .LBB162_158
.LBB162_169:                            ;   in Loop: Header=BB162_4 Depth=1
	s_or_b64 exec, exec, s[0:1]
	s_and_saveexec_b64 s[0:1], s[6:7]
	s_cbranch_execz .LBB162_159
.LBB162_170:                            ;   in Loop: Header=BB162_4 Depth=1
	v_mov_b32_e32 v1, s40
	v_add_co_u32_e32 v8, vcc, s33, v20
	v_addc_co_u32_e32 v9, vcc, v1, v19, vcc
	global_store_dwordx2 v[8:9], v[6:7], off offset:-4
	s_or_b64 exec, exec, s[0:1]
	s_and_saveexec_b64 s[0:1], s[8:9]
	s_cbranch_execz .LBB162_3
.LBB162_171:                            ;   in Loop: Header=BB162_4 Depth=1
	v_mov_b32_e32 v1, s40
	v_add_co_u32_e32 v6, vcc, s33, v4
	v_addc_co_u32_e32 v7, vcc, v1, v5, vcc
	global_store_dwordx2 v[6:7], v[12:13], off offset:-4
	s_branch .LBB162_3
.LBB162_172:
	s_cbranch_execz .LBB162_174
	s_branch .LBB162_329
.LBB162_173:
.LBB162_174:
	v_mov_b32_e32 v1, 0x10000
	v_mov_b32_e32 v2, 0
	v_cmp_lt_i64_e32 vcc, s[20:21], v[1:2]
	v_mov_b32_e32 v15, 0
	s_and_b64 s[0:1], vcc, exec
	s_cselect_b32 s7, s21, 0
	s_cselect_b32 s6, s20, 0x10000
	v_lshlrev_b32_e32 v14, 2, v0
	v_cmp_gt_i64_e32 vcc, s[6:7], v[14:15]
	s_and_saveexec_b64 s[0:1], vcc
	s_cbranch_execz .LBB162_329
; %bb.175:
	s_load_dword s0, s[4:5], 0xd3c
	v_lshlrev_b32_e32 v2, 5, v0
	v_mov_b32_e32 v1, v15
	s_mov_b64 s[8:9], 0
	s_brev_b32 s22, -2
	s_waitcnt lgkmcnt(0)
	s_and_b32 s20, s0, 0xffff
	s_add_u32 s0, s16, s18
	s_addc_u32 s1, s17, s19
	v_mov_b32_e32 v3, s1
	v_add_co_u32_e32 v16, vcc, s0, v2
	v_addc_co_u32_e32 v17, vcc, 0, v3, vcc
	s_lshl_b32 s21, s20, 5
	s_mov_b32 s23, 0x7f800000
	s_movk_i32 s24, 0x1f8
	s_mov_b32 s25, 0x41300000
	s_brev_b32 s26, 18
	s_mov_b32 s27, 0xfe5163ab
	s_mov_b32 s28, 0x3c439041
	;; [unrolled: 1-line block ×10, first 2 shown]
	v_mov_b32_e32 v18, 0x3f93f425
	s_mov_b32 s38, 0xbf317218
	v_mov_b32_e32 v19, 0x3d2aadcc
	v_mov_b32_e32 v20, 0x3e2aaa47
	;; [unrolled: 1-line block ×3, first 2 shown]
	s_mov_b32 s39, 0x42b2d4fc
	s_mov_b32 s40, 0x39800000
	;; [unrolled: 1-line block ×3, first 2 shown]
	v_mov_b32_e32 v22, 0x260
	v_mov_b32_e32 v23, 0xbe2aaa9d
	;; [unrolled: 1-line block ×4, first 2 shown]
	s_mov_b32 s42, 0xbfb8aa3b
	s_mov_b32 s43, 0xb2a5705f
	;; [unrolled: 1-line block ×4, first 2 shown]
	v_not_b32_e32 v26, 63
	v_not_b32_e32 v27, 31
	v_mov_b32_e32 v28, 0x7f800000
	v_mov_b32_e32 v29, 0x7fc00000
	s_branch .LBB162_180
.LBB162_176:                            ;   in Loop: Header=BB162_180 Depth=1
	s_or_b64 exec, exec, s[0:1]
	v_mul_f32_e32 v3, v13, v13
	v_mov_b32_e32 v30, 0x3c0881c4
	v_fmac_f32_e32 v30, 0xb94c1982, v3
	v_fma_f32 v30, v3, v30, v23
	v_mul_f32_e32 v30, v3, v30
	v_fmac_f32_e32 v13, v13, v30
	v_mov_b32_e32 v30, 0xbab64f3b
	v_fmac_f32_e32 v30, 0x37d75334, v3
	v_fma_f32 v30, v3, v30, v24
	v_fma_f32 v30, v3, v30, v25
	v_fma_f32 v3, v3, v30, 1.0
	v_and_b32_e32 v30, 1, v12
	v_lshlrev_b32_e32 v12, 30, v12
	v_cmp_eq_u32_e32 vcc, 0, v30
	v_and_b32_e32 v12, 0x80000000, v12
	v_cndmask_b32_e32 v3, v3, v13, vcc
	v_xor_b32_e32 v2, v2, v12
	v_xor_b32_e32 v2, v2, v3
	v_mul_f32_e32 v3, v31, v31
	v_mov_b32_e32 v12, 0x3c0881c4
	v_fmac_f32_e32 v12, 0xb94c1982, v3
	v_fma_f32 v12, v3, v12, v23
	v_mul_f32_e32 v12, v3, v12
	v_fmac_f32_e32 v31, v31, v12
	v_mov_b32_e32 v12, 0xbab64f3b
	v_fmac_f32_e32 v12, 0x37d75334, v3
	v_fma_f32 v12, v3, v12, v24
	v_fma_f32 v12, v3, v12, v25
	v_fma_f32 v3, v3, v12, 1.0
	v_and_b32_e32 v12, 1, v14
	v_cmp_eq_u32_e32 vcc, 0, v12
	v_lshlrev_b32_e32 v12, 30, v14
	v_cndmask_b32_e64 v3, -v31, v3, vcc
	v_and_b32_e32 v12, 0x80000000, v12
	v_xor_b32_e32 v2, v2, v5
	v_xor_b32_e32 v3, v12, v3
	v_mul_f32_e32 v2, v2, v3
	v_cmp_class_f32_e64 vcc, v5, s24
	v_cndmask_b32_e32 v5, v29, v2, vcc
.LBB162_177:                            ;   in Loop: Header=BB162_180 Depth=1
	s_or_b64 exec, exec, s[14:15]
	v_add_u32_e32 v4, -2.0, v4
	v_bfi_b32 v13, s22, 0, v5
.LBB162_178:                            ;   in Loop: Header=BB162_180 Depth=1
	s_or_b64 exec, exec, s[12:13]
	v_mov_b32_e32 v12, v4
.LBB162_179:                            ;   in Loop: Header=BB162_180 Depth=1
	s_or_b64 exec, exec, s[10:11]
	v_add_co_u32_e32 v0, vcc, s20, v0
	v_addc_co_u32_e32 v1, vcc, 0, v1, vcc
	v_lshlrev_b64 v[2:3], 2, v[0:1]
	global_store_dwordx4 v[16:17], v[6:9], off
	v_cmp_le_i64_e32 vcc, s[6:7], v[2:3]
	global_store_dwordx4 v[16:17], v[10:13], off offset:16
	s_or_b64 s[8:9], vcc, s[8:9]
	v_add_co_u32_e32 v16, vcc, s21, v16
	v_addc_co_u32_e32 v17, vcc, 0, v17, vcc
	s_andn2_b64 exec, exec, s[8:9]
	s_cbranch_execz .LBB162_329
.LBB162_180:                            ; =>This Inner Loop Header: Depth=1
	global_load_dwordx4 v[10:13], v[16:17], off
	global_load_dwordx4 v[2:5], v[16:17], off offset:16
                                        ; implicit-def: $vgpr7
	s_waitcnt vmcnt(1)
	v_and_b32_e32 v6, 0x7fffffff, v10
	v_cmp_gt_u32_e32 vcc, s23, v6
	s_and_saveexec_b64 s[0:1], vcc
	s_xor_b64 s[10:11], exec, s[0:1]
	s_cbranch_execz .LBB162_202
; %bb.181:                              ;   in Loop: Header=BB162_180 Depth=1
	v_cmp_class_f32_e64 s[0:1], v11, s24
                                        ; implicit-def: $vgpr7
	s_and_saveexec_b64 s[2:3], s[0:1]
	s_xor_b64 s[12:13], exec, s[2:3]
	s_cbranch_execz .LBB162_199
; %bb.182:                              ;   in Loop: Header=BB162_180 Depth=1
	v_and_b32_e32 v8, 0x7fffffff, v11
	v_cmp_gt_u32_e32 vcc, s25, v6
                                        ; implicit-def: $vgpr7
	s_and_saveexec_b64 s[0:1], vcc
	s_xor_b64 s[14:15], exec, s[0:1]
	s_cbranch_execz .LBB162_188
; %bb.183:                              ;   in Loop: Header=BB162_180 Depth=1
	v_cmp_nlt_f32_e64 s[0:1], |v11|, s26
                                        ; implicit-def: $vgpr7
                                        ; implicit-def: $vgpr6
	s_and_saveexec_b64 s[2:3], s[0:1]
	s_xor_b64 s[16:17], exec, s[2:3]
	s_cbranch_execz .LBB162_185
; %bb.184:                              ;   in Loop: Header=BB162_180 Depth=1
	v_and_b32_e32 v6, 0x7fffff, v8
	v_or_b32_e32 v9, 0x800000, v6
	v_mad_u64_u32 v[6:7], s[0:1], v9, s27, 0
	v_mov_b32_e32 v14, v7
	v_mad_u64_u32 v[30:31], s[0:1], v9, s28, v[14:15]
	v_lshrrev_b32_e32 v7, 23, v8
	v_add_u32_e32 v7, 0xffffff88, v7
	v_mov_b32_e32 v14, v31
	v_mad_u64_u32 v[31:32], s[0:1], v9, s29, v[14:15]
	v_cmp_lt_u32_e32 vcc, 63, v7
	v_mov_b32_e32 v14, v32
	v_mad_u64_u32 v[32:33], s[0:1], v9, s30, v[14:15]
	v_cndmask_b32_e32 v6, v31, v6, vcc
	v_mov_b32_e32 v14, v33
	v_mad_u64_u32 v[33:34], s[0:1], v9, s31, v[14:15]
	v_cndmask_b32_e32 v14, 0, v26, vcc
	v_add_u32_e32 v7, v14, v7
	v_mov_b32_e32 v14, v34
	v_mad_u64_u32 v[34:35], s[0:1], v9, s33, v[14:15]
	v_cmp_lt_u32_e64 s[0:1], 31, v7
	v_cndmask_b32_e64 v14, 0, v27, s[0:1]
	v_add_u32_e32 v7, v14, v7
	v_mov_b32_e32 v14, v35
	v_mad_u64_u32 v[35:36], s[2:3], v9, s34, v[14:15]
	v_cmp_lt_u32_e64 s[2:3], 31, v7
	v_cndmask_b32_e64 v9, 0, v27, s[2:3]
	v_add_u32_e32 v7, v9, v7
	v_cndmask_b32_e32 v9, v34, v32, vcc
	v_cndmask_b32_e32 v14, v35, v33, vcc
	;; [unrolled: 1-line block ×4, first 2 shown]
	v_cndmask_b32_e64 v35, v14, v9, s[0:1]
	v_cndmask_b32_e64 v14, v34, v14, s[0:1]
	;; [unrolled: 1-line block ×5, first 2 shown]
	v_sub_u32_e32 v35, 32, v7
	v_alignbit_b32 v36, v14, v34, v35
	v_cmp_eq_u32_e64 s[4:5], 0, v7
	v_cndmask_b32_e64 v7, v36, v14, s[4:5]
	v_cndmask_b32_e32 v14, v32, v30, vcc
	v_cndmask_b32_e64 v30, v33, v14, s[0:1]
	v_cndmask_b32_e64 v9, v9, v30, s[2:3]
	v_alignbit_b32 v32, v34, v9, v35
	v_cndmask_b32_e64 v32, v32, v34, s[4:5]
	v_bfe_u32 v36, v7, 29, 1
	v_cndmask_b32_e64 v6, v14, v6, s[0:1]
	v_alignbit_b32 v33, v7, v32, 30
	v_sub_u32_e32 v37, 0, v36
	v_cndmask_b32_e64 v6, v30, v6, s[2:3]
	v_xor_b32_e32 v33, v33, v37
	v_alignbit_b32 v14, v9, v6, v35
	v_cndmask_b32_e64 v9, v14, v9, s[4:5]
	v_ffbh_u32_e32 v30, v33
	v_alignbit_b32 v14, v32, v9, 30
	v_min_u32_e32 v30, 32, v30
	v_alignbit_b32 v6, v9, v6, 30
	v_xor_b32_e32 v14, v14, v37
	v_sub_u32_e32 v31, 31, v30
	v_xor_b32_e32 v6, v6, v37
	v_alignbit_b32 v32, v33, v14, v31
	v_alignbit_b32 v6, v14, v6, v31
	;; [unrolled: 1-line block ×3, first 2 shown]
	v_ffbh_u32_e32 v14, v9
	v_min_u32_e32 v14, 32, v14
	v_lshrrev_b32_e32 v34, 29, v7
	v_not_b32_e32 v31, v14
	v_alignbit_b32 v6, v9, v6, v31
	v_lshlrev_b32_e32 v9, 31, v34
	v_or_b32_e32 v31, 0x33000000, v9
	v_add_lshl_u32 v14, v14, v30, 23
	v_lshrrev_b32_e32 v6, 9, v6
	v_sub_u32_e32 v14, v31, v14
	v_or_b32_e32 v9, 0.5, v9
	v_lshlrev_b32_e32 v30, 23, v30
	v_or_b32_e32 v6, v14, v6
	v_lshrrev_b32_e32 v14, 9, v32
	v_sub_u32_e32 v9, v9, v30
	v_or_b32_e32 v9, v14, v9
	v_mul_f32_e32 v14, 0x3fc90fda, v9
	v_fma_f32 v30, v9, s35, -v14
	v_fmac_f32_e32 v30, 0x33a22168, v9
	v_fmac_f32_e32 v30, 0x3fc90fda, v6
	v_lshrrev_b32_e32 v7, 30, v7
	v_add_f32_e32 v6, v14, v30
	v_add_u32_e32 v7, v36, v7
.LBB162_185:                            ;   in Loop: Header=BB162_180 Depth=1
	s_andn2_saveexec_b64 s[0:1], s[16:17]
; %bb.186:                              ;   in Loop: Header=BB162_180 Depth=1
	v_mul_f32_e64 v6, |v11|, s36
	v_rndne_f32_e32 v9, v6
	v_cvt_i32_f32_e32 v7, v9
	v_fma_f32 v6, v9, s37, |v11|
	v_fmac_f32_e32 v6, 0xb3a22168, v9
	v_fmac_f32_e32 v6, 0xa7c234c4, v9
; %bb.187:                              ;   in Loop: Header=BB162_180 Depth=1
	s_or_b64 exec, exec, s[0:1]
	v_mul_f32_e32 v9, v6, v6
	v_mov_b32_e32 v14, 0xbf039337
	v_fmac_f32_e32 v14, 0x3c971480, v9
	v_fma_f32 v14, v9, v14, v18
	v_rcp_f32_e32 v14, v14
	v_mov_b32_e32 v30, 0x3ec54587
	v_fmac_f32_e32 v30, 0xbc8cedd3, v9
	v_and_b32_e32 v7, 1, v7
	v_mul_f32_e32 v14, v30, v14
	v_mul_f32_e32 v9, v9, v14
	v_fma_f32 v14, v9, v6, v6
	v_rcp_f32_e32 v30, v14
	v_sub_f32_e32 v31, v14, v6
	v_fma_f32 v6, v9, v6, -v31
	v_cmp_eq_u32_e32 vcc, 0, v7
	v_fma_f32 v9, v14, -v30, 1.0
	v_fma_f32 v6, v6, -v30, v9
	v_add_f32_e64 v7, |v10|, s38
	v_fma_f32 v6, v6, -v30, -v30
	v_sub_f32_e64 v9, v7, |v10|
	v_cndmask_b32_e32 v6, v6, v14, vcc
	v_sub_f32_e32 v14, v9, v7
	v_add_f32_e64 v14, |v10|, v14
	v_add_f32_e32 v9, 0x3f317218, v9
	v_sub_f32_e32 v9, v14, v9
	v_add_f32_e32 v9, 0x3102e308, v9
	v_add_f32_e32 v14, v7, v9
	v_sub_f32_e32 v7, v7, v14
	v_add_f32_e32 v7, v9, v7
	v_mul_f32_e32 v9, 0x3fb8aa3b, v14
	v_rndne_f32_e32 v9, v9
	v_fmac_f32_e32 v14, 0xbf317200, v9
	v_add_f32_e32 v30, v7, v14
	v_sub_f32_e32 v14, v14, v30
	v_add_f32_e32 v7, v7, v14
	v_mul_f32_e32 v14, 0x35bfbc00, v9
	v_sub_f32_e32 v31, v30, v14
	v_sub_f32_e32 v30, v30, v31
	;; [unrolled: 1-line block ×3, first 2 shown]
	v_add_f32_e32 v7, v7, v14
	v_add_f32_e32 v14, v31, v7
	v_sub_f32_e32 v30, v31, v14
	v_add_f32_e32 v7, v7, v30
	v_mul_f32_e32 v30, 0x2ea39ef3, v9
	v_sub_f32_e32 v31, v14, v30
	v_sub_f32_e32 v14, v14, v31
	;; [unrolled: 1-line block ×3, first 2 shown]
	v_add_f32_e32 v7, v7, v14
	v_add_f32_e32 v14, v31, v7
	v_sub_f32_e32 v31, v31, v14
	v_mov_b32_e32 v30, 0x3c091de6
	v_add_f32_e32 v7, v7, v31
	v_mul_f32_e32 v32, v14, v14
	v_fmac_f32_e32 v30, 0x3ab42872, v14
	v_add_f32_e32 v31, v7, v7
	v_fma_f32 v33, v14, v14, -v32
	v_fma_f32 v30, v14, v30, v19
	v_fmac_f32_e32 v33, v14, v31
	v_fma_f32 v30, v14, v30, v20
	v_add_f32_e32 v31, v32, v33
	v_fma_f32 v30, v14, v30, v21
	v_sub_f32_e32 v32, v31, v32
	v_sub_f32_e32 v32, v33, v32
	v_mul_f32_e32 v33, v30, v31
	v_fma_f32 v31, v31, v30, -v33
	v_fmac_f32_e32 v31, v32, v30
	v_add_f32_e32 v30, v33, v31
	v_sub_f32_e32 v32, v30, v33
	v_sub_f32_e32 v31, v31, v32
	v_add_f32_e32 v32, v14, v30
	v_sub_f32_e32 v14, v32, v14
	v_sub_f32_e32 v14, v30, v14
	v_add_f32_e32 v7, v7, v31
	v_add_f32_e32 v7, v7, v14
	;; [unrolled: 1-line block ×3, first 2 shown]
	v_sub_f32_e32 v30, v14, v32
	v_sub_f32_e32 v7, v7, v30
	v_add_f32_e32 v30, 1.0, v14
	v_add_f32_e32 v31, -1.0, v30
	v_cvt_i32_f32_e32 v9, v9
	v_sub_f32_e32 v14, v14, v31
	v_add_f32_e32 v7, v7, v14
	v_add_f32_e32 v14, v30, v7
	v_ldexp_f32 v31, v14, v9
	v_rcp_f32_e32 v32, v31
	v_sub_f32_e32 v14, v14, v30
	v_sub_f32_e32 v7, v7, v14
	v_ldexp_f32 v7, v7, v9
	v_mul_f32_e32 v9, v31, v32
	v_fma_f32 v14, v32, v31, -v9
	v_fmac_f32_e32 v14, v32, v7
	v_add_f32_e32 v30, v9, v14
	v_sub_f32_e32 v33, 1.0, v30
	v_sub_f32_e32 v34, 1.0, v33
	v_sub_f32_e32 v9, v30, v9
	v_sub_f32_e32 v34, v34, v30
	;; [unrolled: 1-line block ×3, first 2 shown]
	v_add_f32_e32 v9, v9, v34
	v_add_f32_e32 v14, v33, v9
	v_mul_f32_e32 v30, v32, v14
	v_mul_f32_e32 v34, v31, v30
	v_fma_f32 v35, v30, v31, -v34
	v_fmac_f32_e32 v35, v30, v7
	v_sub_f32_e32 v33, v33, v14
	v_add_f32_e32 v9, v9, v33
	v_add_f32_e32 v33, v34, v35
	v_sub_f32_e32 v36, v14, v33
	v_sub_f32_e32 v14, v14, v36
	;; [unrolled: 1-line block ×4, first 2 shown]
	v_add_f32_e32 v9, v9, v14
	v_sub_f32_e32 v14, v34, v35
	v_add_f32_e32 v9, v14, v9
	v_add_f32_e32 v9, v36, v9
	;; [unrolled: 1-line block ×3, first 2 shown]
	v_mul_f32_e32 v9, v32, v9
	v_sub_f32_e32 v32, v14, v32
	v_sub_f32_e32 v30, v30, v32
	v_add_f32_e32 v9, v30, v9
	v_add_f32_e32 v30, v14, v9
	v_sub_f32_e32 v14, v30, v14
	v_sub_f32_e32 v9, v9, v14
	v_ldexp_f32 v14, v30, -2
	v_sub_f32_e32 v30, v31, v14
	v_sub_f32_e32 v31, v31, v30
	;; [unrolled: 1-line block ×3, first 2 shown]
	v_ldexp_f32 v9, v9, -2
	v_add_f32_e32 v7, v7, v14
	v_sub_f32_e32 v7, v7, v9
	v_add_f32_e32 v7, v30, v7
	v_cmp_ngt_f32_e64 vcc, |v10|, s39
	v_cndmask_b32_e32 v7, v28, v7, vcc
	v_cmp_lt_f32_e64 s[0:1], |v10|, s40
	v_cndmask_b32_e64 v7, v7, |v10|, s[0:1]
	v_bfi_b32 v7, s22, v7, v10
	v_fma_f32 v9, v7, v7, 1.0
	v_mul_f32_e32 v14, 0x4f800000, v9
	v_cmp_gt_f32_e32 vcc, s41, v9
	v_cndmask_b32_e32 v9, v9, v14, vcc
	v_sqrt_f32_e32 v14, v9
	v_xor_b32_e32 v6, v8, v6
	v_xor_b32_e32 v8, v6, v11
	v_fma_f32 v6, v8, v8, 1.0
	v_add_u32_e32 v30, -1, v14
	v_fma_f32 v31, -v30, v14, v9
	v_cmp_ge_f32_e64 s[0:1], 0, v31
	v_add_u32_e32 v31, 1, v14
	v_cndmask_b32_e64 v30, v14, v30, s[0:1]
	v_fma_f32 v14, -v31, v14, v9
	v_cmp_lt_f32_e64 s[0:1], 0, v14
	v_cndmask_b32_e64 v14, v30, v31, s[0:1]
	v_mul_f32_e32 v30, 0x37800000, v14
	v_cndmask_b32_e32 v14, v14, v30, vcc
	v_cmp_class_f32_e32 vcc, v9, v22
	v_cndmask_b32_e32 v9, v14, v9, vcc
	v_mul_f32_e32 v14, v7, v6
	v_mul_f32_e32 v6, v9, v6
	v_fma_f32 v14, v7, v14, 1.0
	v_mul_f32_e32 v6, v7, v6
	v_div_scale_f32 v7, s[0:1], v14, v14, v6
	v_div_scale_f32 v9, vcc, v6, v14, v6
	v_div_scale_f32 v30, s[0:1], v14, v14, v8
	v_div_scale_f32 v31, s[0:1], v8, v14, v8
	v_rcp_f32_e32 v32, v7
	v_fma_f32 v33, -v7, v32, 1.0
	v_fmac_f32_e32 v32, v33, v32
	v_mul_f32_e32 v33, v9, v32
	v_fma_f32 v34, -v7, v33, v9
	v_fmac_f32_e32 v33, v34, v32
	v_rcp_f32_e32 v34, v30
	v_fma_f32 v7, -v7, v33, v9
	v_div_fmas_f32 v7, v7, v32, v33
	s_mov_b64 vcc, s[0:1]
	v_fma_f32 v9, -v30, v34, 1.0
	v_fmac_f32_e32 v34, v9, v34
	v_mul_f32_e32 v9, v31, v34
	v_fma_f32 v32, -v30, v9, v31
	v_fmac_f32_e32 v9, v32, v34
	v_fma_f32 v30, -v30, v9, v31
	v_div_fmas_f32 v9, v30, v34, v9
	v_div_fixup_f32 v6, v7, v14, v6
	v_div_fixup_f32 v7, v9, v14, v8
                                        ; implicit-def: $vgpr8
.LBB162_188:                            ;   in Loop: Header=BB162_180 Depth=1
	s_andn2_saveexec_b64 s[14:15], s[14:15]
	s_cbranch_execz .LBB162_191
; %bb.189:                              ;   in Loop: Header=BB162_180 Depth=1
	v_lshrrev_b32_e32 v6, 23, v8
	v_and_b32_e32 v7, 0x7fffff, v8
	v_cmp_nlt_f32_e64 s[16:17], |v11|, s26
	v_add_u32_e32 v30, 0xffffff88, v6
	v_or_b32_e32 v6, 0x800000, v7
                                        ; implicit-def: $vgpr7
                                        ; implicit-def: $vgpr9
	s_and_saveexec_b64 s[0:1], s[16:17]
	s_xor_b64 s[18:19], exec, s[0:1]
	s_cbranch_execz .LBB162_192
; %bb.190:                              ;   in Loop: Header=BB162_180 Depth=1
	v_mad_u64_u32 v[31:32], s[0:1], v6, s27, 0
	v_cmp_lt_u32_e32 vcc, 63, v30
	v_cndmask_b32_e32 v7, 0, v26, vcc
	v_mov_b32_e32 v14, v32
	v_mad_u64_u32 v[32:33], s[0:1], v6, s28, v[14:15]
	v_add_u32_e32 v7, v7, v30
	v_mov_b32_e32 v14, v33
	v_mad_u64_u32 v[33:34], s[0:1], v6, s29, v[14:15]
	v_mov_b32_e32 v14, v34
	v_mad_u64_u32 v[34:35], s[0:1], v6, s30, v[14:15]
	v_cndmask_b32_e32 v31, v33, v31, vcc
	v_mov_b32_e32 v14, v35
	v_mad_u64_u32 v[35:36], s[0:1], v6, s31, v[14:15]
	v_cmp_lt_u32_e64 s[0:1], 31, v7
	v_cndmask_b32_e64 v9, 0, v27, s[0:1]
	v_mov_b32_e32 v14, v36
	v_mad_u64_u32 v[36:37], s[2:3], v6, s33, v[14:15]
	v_add_u32_e32 v7, v9, v7
	v_cmp_lt_u32_e64 s[2:3], 31, v7
	v_mov_b32_e32 v14, v37
	v_mad_u64_u32 v[37:38], s[4:5], v6, s34, v[14:15]
	v_cndmask_b32_e64 v9, 0, v27, s[2:3]
	v_add_u32_e32 v7, v9, v7
	v_cndmask_b32_e32 v9, v35, v33, vcc
	v_cndmask_b32_e32 v14, v36, v34, vcc
	;; [unrolled: 1-line block ×4, first 2 shown]
	v_cndmask_b32_e64 v39, v14, v9, s[0:1]
	v_cndmask_b32_e64 v14, v35, v14, s[0:1]
	v_cndmask_b32_e64 v35, v36, v35, s[0:1]
	v_cndmask_b32_e32 v32, v34, v32, vcc
	v_cndmask_b32_e64 v35, v35, v14, s[2:3]
	v_cndmask_b32_e64 v14, v14, v39, s[2:3]
	v_sub_u32_e32 v36, 32, v7
	v_cndmask_b32_e64 v9, v9, v32, s[0:1]
	v_alignbit_b32 v37, v35, v14, v36
	v_cmp_eq_u32_e64 s[4:5], 0, v7
	v_cndmask_b32_e64 v34, v39, v9, s[2:3]
	v_cndmask_b32_e64 v7, v37, v35, s[4:5]
	v_alignbit_b32 v35, v14, v34, v36
	v_cndmask_b32_e64 v14, v35, v14, s[4:5]
	v_bfe_u32 v38, v7, 29, 1
	v_cndmask_b32_e64 v31, v32, v31, s[0:1]
	v_alignbit_b32 v35, v7, v14, 30
	v_sub_u32_e32 v39, 0, v38
	v_cndmask_b32_e64 v9, v9, v31, s[2:3]
	v_xor_b32_e32 v35, v35, v39
	v_alignbit_b32 v31, v34, v9, v36
	v_cndmask_b32_e64 v31, v31, v34, s[4:5]
	v_ffbh_u32_e32 v32, v35
	v_alignbit_b32 v14, v14, v31, 30
	v_min_u32_e32 v32, 32, v32
	v_alignbit_b32 v9, v31, v9, 30
	v_xor_b32_e32 v14, v14, v39
	v_sub_u32_e32 v33, 31, v32
	v_xor_b32_e32 v9, v9, v39
	v_alignbit_b32 v34, v35, v14, v33
	v_alignbit_b32 v9, v14, v9, v33
	;; [unrolled: 1-line block ×3, first 2 shown]
	v_ffbh_u32_e32 v31, v14
	v_min_u32_e32 v31, 32, v31
	v_lshrrev_b32_e32 v37, 29, v7
	v_not_b32_e32 v33, v31
	v_alignbit_b32 v9, v14, v9, v33
	v_lshlrev_b32_e32 v14, 31, v37
	v_or_b32_e32 v33, 0x33000000, v14
	v_add_lshl_u32 v31, v31, v32, 23
	v_lshrrev_b32_e32 v9, 9, v9
	v_sub_u32_e32 v31, v33, v31
	v_or_b32_e32 v14, 0.5, v14
	v_lshlrev_b32_e32 v32, 23, v32
	v_or_b32_e32 v9, v31, v9
	v_lshrrev_b32_e32 v31, 9, v34
	v_sub_u32_e32 v14, v14, v32
	v_or_b32_e32 v14, v31, v14
	v_mul_f32_e32 v31, 0x3fc90fda, v14
	v_fma_f32 v32, v14, s35, -v31
	v_fmac_f32_e32 v32, 0x33a22168, v14
	v_fmac_f32_e32 v32, 0x3fc90fda, v9
	v_lshrrev_b32_e32 v7, 30, v7
	v_add_f32_e32 v9, v31, v32
	v_add_u32_e32 v7, v38, v7
	s_andn2_saveexec_b64 s[0:1], s[18:19]
	s_branch .LBB162_193
.LBB162_191:                            ;   in Loop: Header=BB162_180 Depth=1
	s_or_b64 exec, exec, s[14:15]
	s_andn2_saveexec_b64 s[0:1], s[12:13]
	s_cbranch_execnz .LBB162_200
	s_branch .LBB162_201
.LBB162_192:                            ;   in Loop: Header=BB162_180 Depth=1
	s_andn2_saveexec_b64 s[0:1], s[18:19]
.LBB162_193:                            ;   in Loop: Header=BB162_180 Depth=1
	v_mul_f32_e64 v7, |v11|, s36
	v_rndne_f32_e32 v14, v7
	v_cvt_i32_f32_e32 v7, v14
	v_fma_f32 v9, v14, s37, |v11|
	v_fmac_f32_e32 v9, 0xb3a22168, v14
	v_fmac_f32_e32 v9, 0xa7c234c4, v14
; %bb.194:                              ;   in Loop: Header=BB162_180 Depth=1
	s_or_b64 exec, exec, s[0:1]
                                        ; implicit-def: $vgpr14
                                        ; implicit-def: $vgpr31
	s_and_saveexec_b64 s[0:1], s[16:17]
	s_xor_b64 s[16:17], exec, s[0:1]
	s_cbranch_execz .LBB162_196
; %bb.195:                              ;   in Loop: Header=BB162_180 Depth=1
	v_mad_u64_u32 v[31:32], s[0:1], v6, s27, 0
	v_cmp_lt_u32_e32 vcc, 63, v30
	v_mov_b32_e32 v14, v32
	v_mad_u64_u32 v[32:33], s[0:1], v6, s28, v[14:15]
	v_mov_b32_e32 v14, v33
	v_mad_u64_u32 v[33:34], s[0:1], v6, s29, v[14:15]
	;; [unrolled: 2-line block ×3, first 2 shown]
	v_cndmask_b32_e32 v14, 0, v26, vcc
	v_add_u32_e32 v30, v14, v30
	v_mov_b32_e32 v14, v35
	v_mad_u64_u32 v[35:36], s[0:1], v6, s31, v[14:15]
	v_cmp_lt_u32_e64 s[0:1], 31, v30
	v_cndmask_b32_e64 v14, 0, v27, s[0:1]
	v_add_u32_e32 v30, v14, v30
	v_mov_b32_e32 v14, v36
	v_mad_u64_u32 v[36:37], s[2:3], v6, s33, v[14:15]
	v_cmp_lt_u32_e64 s[2:3], 31, v30
	v_cndmask_b32_e64 v14, 0, v27, s[2:3]
	v_add_u32_e32 v30, v14, v30
	v_mov_b32_e32 v14, v37
	v_mad_u64_u32 v[37:38], s[4:5], v6, s34, v[14:15]
	v_cndmask_b32_e32 v6, v35, v33, vcc
	v_cndmask_b32_e32 v14, v36, v34, vcc
	;; [unrolled: 1-line block ×4, first 2 shown]
	v_cndmask_b32_e64 v39, v14, v6, s[0:1]
	v_cndmask_b32_e64 v14, v35, v14, s[0:1]
	;; [unrolled: 1-line block ×3, first 2 shown]
	v_cndmask_b32_e32 v32, v34, v32, vcc
	v_cndmask_b32_e64 v35, v35, v14, s[2:3]
	v_cndmask_b32_e64 v14, v14, v39, s[2:3]
	v_sub_u32_e32 v36, 32, v30
	v_cndmask_b32_e64 v6, v6, v32, s[0:1]
	v_alignbit_b32 v37, v35, v14, v36
	v_cmp_eq_u32_e64 s[4:5], 0, v30
	v_cndmask_b32_e64 v34, v39, v6, s[2:3]
	v_cndmask_b32_e64 v30, v37, v35, s[4:5]
	v_alignbit_b32 v35, v14, v34, v36
	v_cndmask_b32_e32 v31, v33, v31, vcc
	v_cndmask_b32_e64 v14, v35, v14, s[4:5]
	v_bfe_u32 v38, v30, 29, 1
	v_cndmask_b32_e64 v31, v32, v31, s[0:1]
	v_alignbit_b32 v35, v30, v14, 30
	v_sub_u32_e32 v39, 0, v38
	v_cndmask_b32_e64 v6, v6, v31, s[2:3]
	v_xor_b32_e32 v35, v35, v39
	v_alignbit_b32 v31, v34, v6, v36
	v_cndmask_b32_e64 v31, v31, v34, s[4:5]
	v_ffbh_u32_e32 v32, v35
	v_alignbit_b32 v14, v14, v31, 30
	v_min_u32_e32 v32, 32, v32
	v_alignbit_b32 v6, v31, v6, 30
	v_xor_b32_e32 v14, v14, v39
	v_sub_u32_e32 v33, 31, v32
	v_xor_b32_e32 v6, v6, v39
	v_alignbit_b32 v34, v35, v14, v33
	v_alignbit_b32 v6, v14, v6, v33
	;; [unrolled: 1-line block ×3, first 2 shown]
	v_ffbh_u32_e32 v31, v14
	v_min_u32_e32 v31, 32, v31
	v_lshrrev_b32_e32 v37, 29, v30
	v_not_b32_e32 v33, v31
	v_alignbit_b32 v6, v14, v6, v33
	v_lshlrev_b32_e32 v14, 31, v37
	v_or_b32_e32 v33, 0x33000000, v14
	v_add_lshl_u32 v31, v31, v32, 23
	v_lshrrev_b32_e32 v6, 9, v6
	v_sub_u32_e32 v31, v33, v31
	v_or_b32_e32 v14, 0.5, v14
	v_lshlrev_b32_e32 v32, 23, v32
	v_or_b32_e32 v6, v31, v6
	v_lshrrev_b32_e32 v31, 9, v34
	v_sub_u32_e32 v14, v14, v32
	v_or_b32_e32 v14, v31, v14
	v_mul_f32_e32 v31, 0x3fc90fda, v14
	v_fma_f32 v32, v14, s35, -v31
	v_fmac_f32_e32 v32, 0x33a22168, v14
	v_fmac_f32_e32 v32, 0x3fc90fda, v6
	v_lshrrev_b32_e32 v6, 30, v30
	v_add_f32_e32 v31, v31, v32
	v_add_u32_e32 v14, v38, v6
	s_andn2_saveexec_b64 s[0:1], s[16:17]
	s_cbranch_execnz .LBB162_197
	s_branch .LBB162_198
.LBB162_196:                            ;   in Loop: Header=BB162_180 Depth=1
	s_andn2_saveexec_b64 s[0:1], s[16:17]
.LBB162_197:                            ;   in Loop: Header=BB162_180 Depth=1
	v_mul_f32_e64 v6, |v11|, s36
	v_rndne_f32_e32 v6, v6
	v_cvt_i32_f32_e32 v14, v6
	v_fma_f32 v31, v6, s37, |v11|
	v_fmac_f32_e32 v31, 0xb3a22168, v6
	v_fmac_f32_e32 v31, 0xa7c234c4, v6
.LBB162_198:                            ;   in Loop: Header=BB162_180 Depth=1
	s_or_b64 exec, exec, s[0:1]
	v_mul_f32_e32 v6, v9, v9
	v_mov_b32_e32 v30, 0x3c0881c4
	v_fmac_f32_e32 v30, 0xb94c1982, v6
	v_fma_f32 v30, v6, v30, v23
	v_mul_f32_e32 v30, v6, v30
	v_fmac_f32_e32 v9, v9, v30
	v_mov_b32_e32 v30, 0xbab64f3b
	v_fmac_f32_e32 v30, 0x37d75334, v6
	v_fma_f32 v30, v6, v30, v24
	v_fma_f32 v30, v6, v30, v25
	v_fma_f32 v6, v6, v30, 1.0
	v_and_b32_e32 v30, 1, v7
	v_lshlrev_b32_e32 v7, 30, v7
	v_and_b32_e32 v7, 0x80000000, v7
	v_cmp_eq_u32_e32 vcc, 0, v30
	v_xor_b32_e32 v7, v8, v7
	v_mul_f32_e64 v8, |v10|, s42
	v_cndmask_b32_e32 v6, v6, v9, vcc
	v_rndne_f32_e32 v9, v8
	v_sub_f32_e32 v30, v8, v9
	v_fma_f32 v8, |v10|, s42, -v8
	v_fma_f32 v8, |v10|, s43, v8
	v_add_f32_e32 v8, v30, v8
	v_exp_f32_e32 v8, v8
	v_cvt_i32_f32_e32 v9, v9
	v_xor_b32_e32 v6, v7, v6
	v_xor_b32_e32 v6, v6, v11
	v_mul_f32_e32 v7, 4.0, v6
	v_ldexp_f32 v6, v8, v9
	v_mul_f32_e32 v9, v31, v31
	v_mov_b32_e32 v30, 0x3c0881c4
	v_fmac_f32_e32 v30, 0xb94c1982, v9
	v_fma_f32 v30, v9, v30, v23
	v_mul_f32_e32 v30, v9, v30
	v_fmac_f32_e32 v31, v31, v30
	v_mov_b32_e32 v30, 0xbab64f3b
	v_fmac_f32_e32 v30, 0x37d75334, v9
	v_fma_f32 v30, v9, v30, v24
	v_cmp_ngt_f32_e64 vcc, |v10|, s44
	v_fma_f32 v30, v9, v30, v25
	v_cndmask_b32_e32 v6, 0, v6, vcc
	v_cmp_nlt_f32_e64 vcc, |v10|, s45
	v_fma_f32 v9, v9, v30, 1.0
	v_and_b32_e32 v30, 1, v14
	v_cndmask_b32_e32 v8, v28, v6, vcc
	v_cmp_eq_u32_e32 vcc, 0, v30
	v_lshlrev_b32_e32 v14, 30, v14
	v_cndmask_b32_e64 v9, -v31, v9, vcc
	v_and_b32_e32 v14, 0x80000000, v14
	v_xor_b32_e32 v9, v14, v9
	v_mul_f32_e32 v7, v7, v9
	v_mul_f32_e32 v7, v8, v7
	v_bfi_b32 v6, s22, 1.0, v10
	v_mul_f32_e32 v7, v8, v7
	s_or_b64 exec, exec, s[14:15]
.LBB162_199:                            ;   in Loop: Header=BB162_180 Depth=1
	s_andn2_saveexec_b64 s[0:1], s[12:13]
.LBB162_200:                            ;   in Loop: Header=BB162_180 Depth=1
	v_sub_f32_e32 v7, v11, v11
	v_mov_b32_e32 v6, v7
.LBB162_201:                            ;   in Loop: Header=BB162_180 Depth=1
	s_or_b64 exec, exec, s[0:1]
.LBB162_202:                            ;   in Loop: Header=BB162_180 Depth=1
	s_andn2_saveexec_b64 s[10:11], s[10:11]
	s_cbranch_execz .LBB162_218
; %bb.203:                              ;   in Loop: Header=BB162_180 Depth=1
	v_and_b32_e32 v6, 0x7fffff, v10
	v_cmp_ne_u32_e32 vcc, 0, v6
                                        ; implicit-def: $vgpr7
	s_and_saveexec_b64 s[0:1], vcc
	s_xor_b64 s[0:1], exec, s[0:1]
; %bb.204:                              ;   in Loop: Header=BB162_180 Depth=1
	v_mul_f32_e32 v6, v10, v11
	v_cmp_eq_f32_e32 vcc, 0, v11
	v_cndmask_b32_e32 v7, v6, v11, vcc
; %bb.205:                              ;   in Loop: Header=BB162_180 Depth=1
	s_andn2_saveexec_b64 s[12:13], s[0:1]
	s_cbranch_execz .LBB162_217
; %bb.206:                              ;   in Loop: Header=BB162_180 Depth=1
	v_cmp_neq_f32_e64 s[0:1], |v11|, s23
	s_and_saveexec_b64 s[14:15], s[0:1]
	s_cbranch_execz .LBB162_216
; %bb.207:                              ;   in Loop: Header=BB162_180 Depth=1
	v_and_b32_e32 v6, 0x7fffffff, v11
	v_lshrrev_b32_e32 v7, 23, v6
	v_and_b32_e32 v8, 0x7fffff, v6
	v_cmp_nlt_f32_e64 s[16:17], |v11|, s26
	v_add_u32_e32 v30, 0xffffff88, v7
	v_or_b32_e32 v8, 0x800000, v8
                                        ; implicit-def: $vgpr7
                                        ; implicit-def: $vgpr9
	s_and_saveexec_b64 s[0:1], s[16:17]
	s_xor_b64 s[18:19], exec, s[0:1]
	s_cbranch_execz .LBB162_209
; %bb.208:                              ;   in Loop: Header=BB162_180 Depth=1
	v_mad_u64_u32 v[31:32], s[0:1], v8, s27, 0
	v_cmp_lt_u32_e32 vcc, 63, v30
	v_cndmask_b32_e32 v7, 0, v26, vcc
	v_mov_b32_e32 v14, v32
	v_mad_u64_u32 v[32:33], s[0:1], v8, s28, v[14:15]
	v_add_u32_e32 v7, v7, v30
	v_mov_b32_e32 v14, v33
	v_mad_u64_u32 v[33:34], s[0:1], v8, s29, v[14:15]
	v_mov_b32_e32 v14, v34
	v_mad_u64_u32 v[34:35], s[0:1], v8, s30, v[14:15]
	v_cndmask_b32_e32 v31, v33, v31, vcc
	v_mov_b32_e32 v14, v35
	v_mad_u64_u32 v[35:36], s[0:1], v8, s31, v[14:15]
	v_cmp_lt_u32_e64 s[0:1], 31, v7
	v_cndmask_b32_e64 v9, 0, v27, s[0:1]
	v_mov_b32_e32 v14, v36
	v_mad_u64_u32 v[36:37], s[2:3], v8, s33, v[14:15]
	v_add_u32_e32 v7, v9, v7
	v_cmp_lt_u32_e64 s[2:3], 31, v7
	v_mov_b32_e32 v14, v37
	v_mad_u64_u32 v[37:38], s[4:5], v8, s34, v[14:15]
	v_cndmask_b32_e64 v9, 0, v27, s[2:3]
	v_add_u32_e32 v7, v9, v7
	v_cndmask_b32_e32 v9, v35, v33, vcc
	v_cndmask_b32_e32 v14, v36, v34, vcc
	;; [unrolled: 1-line block ×4, first 2 shown]
	v_cndmask_b32_e64 v39, v14, v9, s[0:1]
	v_cndmask_b32_e64 v14, v35, v14, s[0:1]
	;; [unrolled: 1-line block ×3, first 2 shown]
	v_cndmask_b32_e32 v32, v34, v32, vcc
	v_cndmask_b32_e64 v35, v35, v14, s[2:3]
	v_cndmask_b32_e64 v14, v14, v39, s[2:3]
	v_sub_u32_e32 v36, 32, v7
	v_cndmask_b32_e64 v9, v9, v32, s[0:1]
	v_alignbit_b32 v37, v35, v14, v36
	v_cmp_eq_u32_e64 s[4:5], 0, v7
	v_cndmask_b32_e64 v34, v39, v9, s[2:3]
	v_cndmask_b32_e64 v7, v37, v35, s[4:5]
	v_alignbit_b32 v35, v14, v34, v36
	v_cndmask_b32_e64 v14, v35, v14, s[4:5]
	v_bfe_u32 v38, v7, 29, 1
	v_cndmask_b32_e64 v31, v32, v31, s[0:1]
	v_alignbit_b32 v35, v7, v14, 30
	v_sub_u32_e32 v39, 0, v38
	v_cndmask_b32_e64 v9, v9, v31, s[2:3]
	v_xor_b32_e32 v35, v35, v39
	v_alignbit_b32 v31, v34, v9, v36
	v_cndmask_b32_e64 v31, v31, v34, s[4:5]
	v_ffbh_u32_e32 v32, v35
	v_alignbit_b32 v14, v14, v31, 30
	v_min_u32_e32 v32, 32, v32
	v_alignbit_b32 v9, v31, v9, 30
	v_xor_b32_e32 v14, v14, v39
	v_sub_u32_e32 v33, 31, v32
	v_xor_b32_e32 v9, v9, v39
	v_alignbit_b32 v34, v35, v14, v33
	v_alignbit_b32 v9, v14, v9, v33
	;; [unrolled: 1-line block ×3, first 2 shown]
	v_ffbh_u32_e32 v31, v14
	v_min_u32_e32 v31, 32, v31
	v_lshrrev_b32_e32 v37, 29, v7
	v_not_b32_e32 v33, v31
	v_alignbit_b32 v9, v14, v9, v33
	v_lshlrev_b32_e32 v14, 31, v37
	v_or_b32_e32 v33, 0x33000000, v14
	v_add_lshl_u32 v31, v31, v32, 23
	v_lshrrev_b32_e32 v9, 9, v9
	v_sub_u32_e32 v31, v33, v31
	v_or_b32_e32 v14, 0.5, v14
	v_lshlrev_b32_e32 v32, 23, v32
	v_or_b32_e32 v9, v31, v9
	v_lshrrev_b32_e32 v31, 9, v34
	v_sub_u32_e32 v14, v14, v32
	v_or_b32_e32 v14, v31, v14
	v_mul_f32_e32 v31, 0x3fc90fda, v14
	v_fma_f32 v32, v14, s35, -v31
	v_fmac_f32_e32 v32, 0x33a22168, v14
	v_fmac_f32_e32 v32, 0x3fc90fda, v9
	v_lshrrev_b32_e32 v7, 30, v7
	v_add_f32_e32 v9, v31, v32
	v_add_u32_e32 v7, v38, v7
.LBB162_209:                            ;   in Loop: Header=BB162_180 Depth=1
	s_or_saveexec_b64 s[0:1], s[18:19]
	v_mul_f32_e64 v14, |v11|, s36
	v_rndne_f32_e32 v32, v14
	s_xor_b64 exec, exec, s[0:1]
; %bb.210:                              ;   in Loop: Header=BB162_180 Depth=1
	v_cvt_i32_f32_e32 v7, v32
	v_fma_f32 v9, v32, s37, |v11|
	v_fmac_f32_e32 v9, 0xb3a22168, v32
	v_fmac_f32_e32 v9, 0xa7c234c4, v32
; %bb.211:                              ;   in Loop: Header=BB162_180 Depth=1
	s_or_b64 exec, exec, s[0:1]
                                        ; implicit-def: $vgpr14
                                        ; implicit-def: $vgpr31
	s_and_saveexec_b64 s[0:1], s[16:17]
	s_xor_b64 s[16:17], exec, s[0:1]
	s_cbranch_execz .LBB162_213
; %bb.212:                              ;   in Loop: Header=BB162_180 Depth=1
	v_mad_u64_u32 v[31:32], s[0:1], v8, s27, 0
	v_cmp_lt_u32_e32 vcc, 63, v30
	v_mov_b32_e32 v14, v32
	v_mad_u64_u32 v[32:33], s[0:1], v8, s28, v[14:15]
	v_mov_b32_e32 v14, v33
	v_mad_u64_u32 v[33:34], s[0:1], v8, s29, v[14:15]
	;; [unrolled: 2-line block ×3, first 2 shown]
	v_cndmask_b32_e32 v14, 0, v26, vcc
	v_add_u32_e32 v30, v14, v30
	v_mov_b32_e32 v14, v35
	v_mad_u64_u32 v[35:36], s[0:1], v8, s31, v[14:15]
	v_cmp_lt_u32_e64 s[0:1], 31, v30
	v_cndmask_b32_e64 v14, 0, v27, s[0:1]
	v_add_u32_e32 v30, v14, v30
	v_mov_b32_e32 v14, v36
	v_mad_u64_u32 v[36:37], s[2:3], v8, s33, v[14:15]
	v_cmp_lt_u32_e64 s[2:3], 31, v30
	v_cndmask_b32_e64 v14, 0, v27, s[2:3]
	v_add_u32_e32 v30, v14, v30
	v_mov_b32_e32 v14, v37
	v_mad_u64_u32 v[37:38], s[4:5], v8, s34, v[14:15]
	v_cndmask_b32_e32 v8, v35, v33, vcc
	v_cndmask_b32_e32 v14, v36, v34, vcc
	;; [unrolled: 1-line block ×4, first 2 shown]
	v_cndmask_b32_e64 v39, v14, v8, s[0:1]
	v_cndmask_b32_e64 v14, v35, v14, s[0:1]
	;; [unrolled: 1-line block ×3, first 2 shown]
	v_cndmask_b32_e32 v32, v34, v32, vcc
	v_cndmask_b32_e64 v35, v35, v14, s[2:3]
	v_cndmask_b32_e64 v14, v14, v39, s[2:3]
	v_sub_u32_e32 v36, 32, v30
	v_cndmask_b32_e64 v8, v8, v32, s[0:1]
	v_alignbit_b32 v37, v35, v14, v36
	v_cmp_eq_u32_e64 s[4:5], 0, v30
	v_cndmask_b32_e64 v34, v39, v8, s[2:3]
	v_cndmask_b32_e64 v30, v37, v35, s[4:5]
	v_alignbit_b32 v35, v14, v34, v36
	v_cndmask_b32_e32 v31, v33, v31, vcc
	v_cndmask_b32_e64 v14, v35, v14, s[4:5]
	v_bfe_u32 v38, v30, 29, 1
	v_cndmask_b32_e64 v31, v32, v31, s[0:1]
	v_alignbit_b32 v35, v30, v14, 30
	v_sub_u32_e32 v39, 0, v38
	v_cndmask_b32_e64 v8, v8, v31, s[2:3]
	v_xor_b32_e32 v35, v35, v39
	v_alignbit_b32 v31, v34, v8, v36
	v_cndmask_b32_e64 v31, v31, v34, s[4:5]
	v_ffbh_u32_e32 v32, v35
	v_alignbit_b32 v14, v14, v31, 30
	v_min_u32_e32 v32, 32, v32
	v_alignbit_b32 v8, v31, v8, 30
	v_xor_b32_e32 v14, v14, v39
	v_sub_u32_e32 v33, 31, v32
	v_xor_b32_e32 v8, v8, v39
	v_alignbit_b32 v34, v35, v14, v33
	v_alignbit_b32 v8, v14, v8, v33
	;; [unrolled: 1-line block ×3, first 2 shown]
	v_ffbh_u32_e32 v31, v14
	v_min_u32_e32 v31, 32, v31
	v_lshrrev_b32_e32 v37, 29, v30
	v_not_b32_e32 v33, v31
	v_alignbit_b32 v8, v14, v8, v33
	v_lshlrev_b32_e32 v14, 31, v37
	v_or_b32_e32 v33, 0x33000000, v14
	v_add_lshl_u32 v31, v31, v32, 23
	v_lshrrev_b32_e32 v8, 9, v8
	v_sub_u32_e32 v31, v33, v31
	v_or_b32_e32 v14, 0.5, v14
	v_lshlrev_b32_e32 v32, 23, v32
	v_or_b32_e32 v8, v31, v8
	v_lshrrev_b32_e32 v31, 9, v34
	v_sub_u32_e32 v14, v14, v32
	v_or_b32_e32 v14, v31, v14
	v_mul_f32_e32 v31, 0x3fc90fda, v14
	v_fma_f32 v32, v14, s35, -v31
	v_fmac_f32_e32 v32, 0x33a22168, v14
	v_fmac_f32_e32 v32, 0x3fc90fda, v8
	v_lshrrev_b32_e32 v8, 30, v30
	v_add_f32_e32 v31, v31, v32
	v_add_u32_e32 v14, v38, v8
                                        ; implicit-def: $vgpr32
	s_andn2_saveexec_b64 s[0:1], s[16:17]
	s_cbranch_execnz .LBB162_214
	s_branch .LBB162_215
.LBB162_213:                            ;   in Loop: Header=BB162_180 Depth=1
	s_andn2_saveexec_b64 s[0:1], s[16:17]
.LBB162_214:                            ;   in Loop: Header=BB162_180 Depth=1
	v_cvt_i32_f32_e32 v14, v32
	v_fma_f32 v31, v32, s37, |v11|
	v_fmac_f32_e32 v31, 0xb3a22168, v32
	v_fmac_f32_e32 v31, 0xa7c234c4, v32
.LBB162_215:                            ;   in Loop: Header=BB162_180 Depth=1
	s_or_b64 exec, exec, s[0:1]
	v_mul_f32_e32 v8, v9, v9
	v_mov_b32_e32 v30, 0x3c0881c4
	v_fmac_f32_e32 v30, 0xb94c1982, v8
	v_fma_f32 v30, v8, v30, v23
	v_mul_f32_e32 v30, v8, v30
	v_fmac_f32_e32 v9, v9, v30
	v_mov_b32_e32 v30, 0xbab64f3b
	v_fmac_f32_e32 v30, 0x37d75334, v8
	v_fma_f32 v30, v8, v30, v24
	v_fma_f32 v30, v8, v30, v25
	v_fma_f32 v8, v8, v30, 1.0
	v_and_b32_e32 v30, 1, v7
	v_lshlrev_b32_e32 v7, 30, v7
	v_cmp_eq_u32_e32 vcc, 0, v30
	v_and_b32_e32 v7, 0x80000000, v7
	v_cndmask_b32_e32 v8, v8, v9, vcc
	v_xor_b32_e32 v6, v6, v7
	v_xor_b32_e32 v6, v6, v8
	v_mul_f32_e32 v7, v31, v31
	v_mov_b32_e32 v8, 0x3c0881c4
	v_fmac_f32_e32 v8, 0xb94c1982, v7
	v_fma_f32 v8, v7, v8, v23
	v_mul_f32_e32 v8, v7, v8
	v_fmac_f32_e32 v31, v31, v8
	v_mov_b32_e32 v8, 0xbab64f3b
	v_fmac_f32_e32 v8, 0x37d75334, v7
	v_fma_f32 v8, v7, v8, v24
	v_fma_f32 v8, v7, v8, v25
	v_fma_f32 v7, v7, v8, 1.0
	v_and_b32_e32 v8, 1, v14
	v_cmp_eq_u32_e32 vcc, 0, v8
	v_lshlrev_b32_e32 v8, 30, v14
	v_cndmask_b32_e64 v7, -v31, v7, vcc
	v_and_b32_e32 v8, 0x80000000, v8
	v_xor_b32_e32 v6, v6, v11
	v_xor_b32_e32 v7, v8, v7
	v_mul_f32_e32 v6, v6, v7
	v_cmp_class_f32_e64 vcc, v11, s24
	v_cndmask_b32_e32 v11, v29, v6, vcc
.LBB162_216:                            ;   in Loop: Header=BB162_180 Depth=1
	s_or_b64 exec, exec, s[14:15]
	v_add_u32_e32 v10, -2.0, v10
	v_bfi_b32 v7, s22, 0, v11
.LBB162_217:                            ;   in Loop: Header=BB162_180 Depth=1
	s_or_b64 exec, exec, s[12:13]
	v_mov_b32_e32 v6, v10
.LBB162_218:                            ;   in Loop: Header=BB162_180 Depth=1
	s_or_b64 exec, exec, s[10:11]
	v_and_b32_e32 v8, 0x7fffffff, v12
	v_cmp_gt_u32_e32 vcc, s23, v8
	s_and_saveexec_b64 s[0:1], vcc
	s_xor_b64 s[10:11], exec, s[0:1]
	s_cbranch_execz .LBB162_240
; %bb.219:                              ;   in Loop: Header=BB162_180 Depth=1
	v_cmp_class_f32_e64 s[0:1], v13, s24
	s_and_saveexec_b64 s[2:3], s[0:1]
	s_xor_b64 s[12:13], exec, s[2:3]
	s_cbranch_execz .LBB162_237
; %bb.220:                              ;   in Loop: Header=BB162_180 Depth=1
	v_and_b32_e32 v10, 0x7fffffff, v13
	v_cmp_gt_u32_e32 vcc, s25, v8
	s_and_saveexec_b64 s[0:1], vcc
	s_xor_b64 s[14:15], exec, s[0:1]
	s_cbranch_execz .LBB162_226
; %bb.221:                              ;   in Loop: Header=BB162_180 Depth=1
	v_cmp_nlt_f32_e64 s[0:1], |v13|, s26
                                        ; implicit-def: $vgpr9
                                        ; implicit-def: $vgpr8
	s_and_saveexec_b64 s[2:3], s[0:1]
	s_xor_b64 s[16:17], exec, s[2:3]
	s_cbranch_execz .LBB162_223
; %bb.222:                              ;   in Loop: Header=BB162_180 Depth=1
	v_and_b32_e32 v8, 0x7fffff, v10
	v_or_b32_e32 v11, 0x800000, v8
	v_mad_u64_u32 v[8:9], s[0:1], v11, s27, 0
	v_mov_b32_e32 v14, v9
	v_mad_u64_u32 v[30:31], s[0:1], v11, s28, v[14:15]
	v_lshrrev_b32_e32 v9, 23, v10
	v_add_u32_e32 v9, 0xffffff88, v9
	v_mov_b32_e32 v14, v31
	v_mad_u64_u32 v[31:32], s[0:1], v11, s29, v[14:15]
	v_cmp_lt_u32_e32 vcc, 63, v9
	v_mov_b32_e32 v14, v32
	v_mad_u64_u32 v[32:33], s[0:1], v11, s30, v[14:15]
	v_cndmask_b32_e32 v8, v31, v8, vcc
	v_mov_b32_e32 v14, v33
	v_mad_u64_u32 v[33:34], s[0:1], v11, s31, v[14:15]
	v_cndmask_b32_e32 v14, 0, v26, vcc
	v_add_u32_e32 v9, v14, v9
	v_mov_b32_e32 v14, v34
	v_mad_u64_u32 v[34:35], s[0:1], v11, s33, v[14:15]
	v_cmp_lt_u32_e64 s[0:1], 31, v9
	v_cndmask_b32_e64 v14, 0, v27, s[0:1]
	v_add_u32_e32 v9, v14, v9
	v_mov_b32_e32 v14, v35
	v_mad_u64_u32 v[35:36], s[2:3], v11, s34, v[14:15]
	v_cmp_lt_u32_e64 s[2:3], 31, v9
	v_cndmask_b32_e64 v11, 0, v27, s[2:3]
	v_add_u32_e32 v9, v11, v9
	v_cndmask_b32_e32 v11, v34, v32, vcc
	v_cndmask_b32_e32 v14, v35, v33, vcc
	;; [unrolled: 1-line block ×4, first 2 shown]
	v_cndmask_b32_e64 v35, v14, v11, s[0:1]
	v_cndmask_b32_e64 v14, v34, v14, s[0:1]
	;; [unrolled: 1-line block ×5, first 2 shown]
	v_sub_u32_e32 v35, 32, v9
	v_alignbit_b32 v36, v14, v34, v35
	v_cmp_eq_u32_e64 s[4:5], 0, v9
	v_cndmask_b32_e64 v9, v36, v14, s[4:5]
	v_cndmask_b32_e32 v14, v32, v30, vcc
	v_cndmask_b32_e64 v30, v33, v14, s[0:1]
	v_cndmask_b32_e64 v11, v11, v30, s[2:3]
	v_alignbit_b32 v32, v34, v11, v35
	v_cndmask_b32_e64 v32, v32, v34, s[4:5]
	v_bfe_u32 v36, v9, 29, 1
	v_cndmask_b32_e64 v8, v14, v8, s[0:1]
	v_alignbit_b32 v33, v9, v32, 30
	v_sub_u32_e32 v37, 0, v36
	v_cndmask_b32_e64 v8, v30, v8, s[2:3]
	v_xor_b32_e32 v33, v33, v37
	v_alignbit_b32 v14, v11, v8, v35
	v_cndmask_b32_e64 v11, v14, v11, s[4:5]
	v_ffbh_u32_e32 v30, v33
	v_alignbit_b32 v14, v32, v11, 30
	v_min_u32_e32 v30, 32, v30
	v_alignbit_b32 v8, v11, v8, 30
	v_xor_b32_e32 v14, v14, v37
	v_sub_u32_e32 v31, 31, v30
	v_xor_b32_e32 v8, v8, v37
	v_alignbit_b32 v32, v33, v14, v31
	v_alignbit_b32 v8, v14, v8, v31
	;; [unrolled: 1-line block ×3, first 2 shown]
	v_ffbh_u32_e32 v14, v11
	v_min_u32_e32 v14, 32, v14
	v_lshrrev_b32_e32 v34, 29, v9
	v_not_b32_e32 v31, v14
	v_alignbit_b32 v8, v11, v8, v31
	v_lshlrev_b32_e32 v11, 31, v34
	v_or_b32_e32 v31, 0x33000000, v11
	v_add_lshl_u32 v14, v14, v30, 23
	v_lshrrev_b32_e32 v8, 9, v8
	v_sub_u32_e32 v14, v31, v14
	v_or_b32_e32 v11, 0.5, v11
	v_lshlrev_b32_e32 v30, 23, v30
	v_or_b32_e32 v8, v14, v8
	v_lshrrev_b32_e32 v14, 9, v32
	v_sub_u32_e32 v11, v11, v30
	v_or_b32_e32 v11, v14, v11
	v_mul_f32_e32 v14, 0x3fc90fda, v11
	v_fma_f32 v30, v11, s35, -v14
	v_fmac_f32_e32 v30, 0x33a22168, v11
	v_fmac_f32_e32 v30, 0x3fc90fda, v8
	v_lshrrev_b32_e32 v9, 30, v9
	v_add_f32_e32 v8, v14, v30
	v_add_u32_e32 v9, v36, v9
.LBB162_223:                            ;   in Loop: Header=BB162_180 Depth=1
	s_andn2_saveexec_b64 s[0:1], s[16:17]
; %bb.224:                              ;   in Loop: Header=BB162_180 Depth=1
	v_mul_f32_e64 v8, |v13|, s36
	v_rndne_f32_e32 v11, v8
	v_cvt_i32_f32_e32 v9, v11
	v_fma_f32 v8, v11, s37, |v13|
	v_fmac_f32_e32 v8, 0xb3a22168, v11
	v_fmac_f32_e32 v8, 0xa7c234c4, v11
; %bb.225:                              ;   in Loop: Header=BB162_180 Depth=1
	s_or_b64 exec, exec, s[0:1]
	v_mul_f32_e32 v11, v8, v8
	v_mov_b32_e32 v14, 0xbf039337
	v_fmac_f32_e32 v14, 0x3c971480, v11
	v_fma_f32 v14, v11, v14, v18
	v_rcp_f32_e32 v14, v14
	v_mov_b32_e32 v30, 0x3ec54587
	v_fmac_f32_e32 v30, 0xbc8cedd3, v11
	v_and_b32_e32 v9, 1, v9
	v_mul_f32_e32 v14, v30, v14
	v_mul_f32_e32 v11, v11, v14
	v_fma_f32 v14, v11, v8, v8
	v_rcp_f32_e32 v30, v14
	v_sub_f32_e32 v31, v14, v8
	v_fma_f32 v8, v11, v8, -v31
	v_cmp_eq_u32_e32 vcc, 0, v9
	v_fma_f32 v11, v14, -v30, 1.0
	v_fma_f32 v8, v8, -v30, v11
	v_add_f32_e64 v9, |v12|, s38
	v_fma_f32 v8, v8, -v30, -v30
	v_sub_f32_e64 v11, v9, |v12|
	v_cndmask_b32_e32 v8, v8, v14, vcc
	v_sub_f32_e32 v14, v11, v9
	v_add_f32_e64 v14, |v12|, v14
	v_add_f32_e32 v11, 0x3f317218, v11
	v_sub_f32_e32 v11, v14, v11
	v_add_f32_e32 v11, 0x3102e308, v11
	v_add_f32_e32 v14, v9, v11
	v_sub_f32_e32 v9, v9, v14
	v_add_f32_e32 v9, v11, v9
	v_mul_f32_e32 v11, 0x3fb8aa3b, v14
	v_rndne_f32_e32 v11, v11
	v_fmac_f32_e32 v14, 0xbf317200, v11
	v_add_f32_e32 v30, v9, v14
	v_sub_f32_e32 v14, v14, v30
	v_add_f32_e32 v9, v9, v14
	v_mul_f32_e32 v14, 0x35bfbc00, v11
	v_sub_f32_e32 v31, v30, v14
	v_sub_f32_e32 v30, v30, v31
	;; [unrolled: 1-line block ×3, first 2 shown]
	v_add_f32_e32 v9, v9, v14
	v_add_f32_e32 v14, v31, v9
	v_sub_f32_e32 v30, v31, v14
	v_add_f32_e32 v9, v9, v30
	v_mul_f32_e32 v30, 0x2ea39ef3, v11
	v_sub_f32_e32 v31, v14, v30
	v_sub_f32_e32 v14, v14, v31
	;; [unrolled: 1-line block ×3, first 2 shown]
	v_add_f32_e32 v9, v9, v14
	v_add_f32_e32 v14, v31, v9
	v_sub_f32_e32 v31, v31, v14
	v_mov_b32_e32 v30, 0x3c091de6
	v_add_f32_e32 v9, v9, v31
	v_mul_f32_e32 v32, v14, v14
	v_fmac_f32_e32 v30, 0x3ab42872, v14
	v_add_f32_e32 v31, v9, v9
	v_fma_f32 v33, v14, v14, -v32
	v_fma_f32 v30, v14, v30, v19
	v_fmac_f32_e32 v33, v14, v31
	v_fma_f32 v30, v14, v30, v20
	v_add_f32_e32 v31, v32, v33
	v_fma_f32 v30, v14, v30, v21
	v_sub_f32_e32 v32, v31, v32
	v_sub_f32_e32 v32, v33, v32
	v_mul_f32_e32 v33, v30, v31
	v_fma_f32 v31, v31, v30, -v33
	v_fmac_f32_e32 v31, v32, v30
	v_add_f32_e32 v30, v33, v31
	v_sub_f32_e32 v32, v30, v33
	v_sub_f32_e32 v31, v31, v32
	v_add_f32_e32 v32, v14, v30
	v_sub_f32_e32 v14, v32, v14
	v_sub_f32_e32 v14, v30, v14
	v_add_f32_e32 v9, v9, v31
	v_add_f32_e32 v9, v9, v14
	;; [unrolled: 1-line block ×3, first 2 shown]
	v_sub_f32_e32 v30, v14, v32
	v_sub_f32_e32 v9, v9, v30
	v_add_f32_e32 v30, 1.0, v14
	v_add_f32_e32 v31, -1.0, v30
	v_cvt_i32_f32_e32 v11, v11
	v_sub_f32_e32 v14, v14, v31
	v_add_f32_e32 v9, v9, v14
	v_add_f32_e32 v14, v30, v9
	v_ldexp_f32 v31, v14, v11
	v_rcp_f32_e32 v32, v31
	v_sub_f32_e32 v14, v14, v30
	v_sub_f32_e32 v9, v9, v14
	v_ldexp_f32 v9, v9, v11
	v_mul_f32_e32 v11, v31, v32
	v_fma_f32 v14, v32, v31, -v11
	v_fmac_f32_e32 v14, v32, v9
	v_add_f32_e32 v30, v11, v14
	v_sub_f32_e32 v33, 1.0, v30
	v_sub_f32_e32 v34, 1.0, v33
	v_sub_f32_e32 v11, v30, v11
	v_sub_f32_e32 v34, v34, v30
	;; [unrolled: 1-line block ×3, first 2 shown]
	v_add_f32_e32 v11, v11, v34
	v_add_f32_e32 v14, v33, v11
	v_mul_f32_e32 v30, v32, v14
	v_mul_f32_e32 v34, v31, v30
	v_fma_f32 v35, v30, v31, -v34
	v_fmac_f32_e32 v35, v30, v9
	v_sub_f32_e32 v33, v33, v14
	v_add_f32_e32 v11, v11, v33
	v_add_f32_e32 v33, v34, v35
	v_sub_f32_e32 v36, v14, v33
	v_sub_f32_e32 v14, v14, v36
	;; [unrolled: 1-line block ×4, first 2 shown]
	v_add_f32_e32 v11, v11, v14
	v_sub_f32_e32 v14, v34, v35
	v_add_f32_e32 v11, v14, v11
	v_add_f32_e32 v11, v36, v11
	v_add_f32_e32 v14, v32, v30
	v_mul_f32_e32 v11, v32, v11
	v_sub_f32_e32 v32, v14, v32
	v_sub_f32_e32 v30, v30, v32
	v_add_f32_e32 v11, v30, v11
	v_add_f32_e32 v30, v14, v11
	v_sub_f32_e32 v14, v30, v14
	v_sub_f32_e32 v11, v11, v14
	v_ldexp_f32 v14, v30, -2
	v_sub_f32_e32 v30, v31, v14
	v_sub_f32_e32 v31, v31, v30
	;; [unrolled: 1-line block ×3, first 2 shown]
	v_ldexp_f32 v11, v11, -2
	v_add_f32_e32 v9, v9, v14
	v_sub_f32_e32 v9, v9, v11
	v_add_f32_e32 v9, v30, v9
	v_cmp_ngt_f32_e64 vcc, |v12|, s39
	v_cndmask_b32_e32 v9, v28, v9, vcc
	v_cmp_lt_f32_e64 s[0:1], |v12|, s40
	v_cndmask_b32_e64 v9, v9, |v12|, s[0:1]
	v_bfi_b32 v9, s22, v9, v12
	v_fma_f32 v11, v9, v9, 1.0
	v_mul_f32_e32 v12, 0x4f800000, v11
	v_cmp_gt_f32_e32 vcc, s41, v11
	v_cndmask_b32_e32 v11, v11, v12, vcc
	v_sqrt_f32_e32 v12, v11
	v_xor_b32_e32 v8, v10, v8
	v_xor_b32_e32 v10, v8, v13
	v_fma_f32 v8, v10, v10, 1.0
	v_add_u32_e32 v13, -1, v12
	v_fma_f32 v14, -v13, v12, v11
	v_cmp_ge_f32_e64 s[0:1], 0, v14
	v_add_u32_e32 v14, 1, v12
	v_cndmask_b32_e64 v13, v12, v13, s[0:1]
	v_fma_f32 v12, -v14, v12, v11
	v_cmp_lt_f32_e64 s[0:1], 0, v12
	v_cndmask_b32_e64 v12, v13, v14, s[0:1]
	v_mul_f32_e32 v13, 0x37800000, v12
	v_cndmask_b32_e32 v12, v12, v13, vcc
	v_cmp_class_f32_e32 vcc, v11, v22
	v_cndmask_b32_e32 v11, v12, v11, vcc
	v_mul_f32_e32 v12, v9, v8
	v_mul_f32_e32 v8, v11, v8
	v_fma_f32 v12, v9, v12, 1.0
	v_mul_f32_e32 v8, v9, v8
	v_div_scale_f32 v9, s[0:1], v12, v12, v8
	v_div_scale_f32 v11, vcc, v8, v12, v8
	v_div_scale_f32 v13, s[0:1], v12, v12, v10
	v_div_scale_f32 v14, s[0:1], v10, v12, v10
	v_rcp_f32_e32 v30, v9
	v_fma_f32 v31, -v9, v30, 1.0
	v_fmac_f32_e32 v30, v31, v30
	v_mul_f32_e32 v31, v11, v30
	v_fma_f32 v32, -v9, v31, v11
	v_fmac_f32_e32 v31, v32, v30
	v_rcp_f32_e32 v32, v13
	v_fma_f32 v9, -v9, v31, v11
	v_div_fmas_f32 v9, v9, v30, v31
	s_mov_b64 vcc, s[0:1]
	v_fma_f32 v11, -v13, v32, 1.0
	v_fmac_f32_e32 v32, v11, v32
	v_mul_f32_e32 v11, v14, v32
	v_fma_f32 v30, -v13, v11, v14
	v_fmac_f32_e32 v11, v30, v32
	v_fma_f32 v13, -v13, v11, v14
	v_div_fmas_f32 v11, v13, v32, v11
	v_div_fixup_f32 v8, v9, v12, v8
	v_div_fixup_f32 v9, v11, v12, v10
                                        ; implicit-def: $vgpr10_vgpr11_vgpr12_vgpr13
                                        ; implicit-def: $vgpr10
.LBB162_226:                            ;   in Loop: Header=BB162_180 Depth=1
	s_andn2_saveexec_b64 s[14:15], s[14:15]
	s_cbranch_execz .LBB162_236
; %bb.227:                              ;   in Loop: Header=BB162_180 Depth=1
	v_lshrrev_b32_e32 v8, 23, v10
	v_and_b32_e32 v9, 0x7fffff, v10
	v_cmp_nlt_f32_e64 s[16:17], |v13|, s26
	v_add_u32_e32 v30, 0xffffff88, v8
	v_or_b32_e32 v8, 0x800000, v9
                                        ; implicit-def: $vgpr9
                                        ; implicit-def: $vgpr11
	s_and_saveexec_b64 s[0:1], s[16:17]
	s_xor_b64 s[18:19], exec, s[0:1]
	s_cbranch_execz .LBB162_229
; %bb.228:                              ;   in Loop: Header=BB162_180 Depth=1
	v_mad_u64_u32 v[31:32], s[0:1], v8, s27, 0
	v_cmp_lt_u32_e32 vcc, 63, v30
	v_cndmask_b32_e32 v9, 0, v26, vcc
	v_mov_b32_e32 v14, v32
	v_mad_u64_u32 v[32:33], s[0:1], v8, s28, v[14:15]
	v_add_u32_e32 v9, v9, v30
	v_mov_b32_e32 v14, v33
	v_mad_u64_u32 v[33:34], s[0:1], v8, s29, v[14:15]
	v_mov_b32_e32 v14, v34
	v_mad_u64_u32 v[34:35], s[0:1], v8, s30, v[14:15]
	v_cndmask_b32_e32 v31, v33, v31, vcc
	v_mov_b32_e32 v14, v35
	v_mad_u64_u32 v[35:36], s[0:1], v8, s31, v[14:15]
	v_cmp_lt_u32_e64 s[0:1], 31, v9
	v_cndmask_b32_e64 v11, 0, v27, s[0:1]
	v_mov_b32_e32 v14, v36
	v_mad_u64_u32 v[36:37], s[2:3], v8, s33, v[14:15]
	v_add_u32_e32 v9, v11, v9
	v_cmp_lt_u32_e64 s[2:3], 31, v9
	v_mov_b32_e32 v14, v37
	v_mad_u64_u32 v[37:38], s[4:5], v8, s34, v[14:15]
	v_cndmask_b32_e64 v11, 0, v27, s[2:3]
	v_add_u32_e32 v9, v11, v9
	v_cndmask_b32_e32 v11, v35, v33, vcc
	v_cndmask_b32_e32 v14, v36, v34, vcc
	;; [unrolled: 1-line block ×4, first 2 shown]
	v_cndmask_b32_e64 v39, v14, v11, s[0:1]
	v_cndmask_b32_e64 v14, v35, v14, s[0:1]
	;; [unrolled: 1-line block ×3, first 2 shown]
	v_cndmask_b32_e32 v32, v34, v32, vcc
	v_cndmask_b32_e64 v35, v35, v14, s[2:3]
	v_cndmask_b32_e64 v14, v14, v39, s[2:3]
	v_sub_u32_e32 v36, 32, v9
	v_cndmask_b32_e64 v11, v11, v32, s[0:1]
	v_alignbit_b32 v37, v35, v14, v36
	v_cmp_eq_u32_e64 s[4:5], 0, v9
	v_cndmask_b32_e64 v34, v39, v11, s[2:3]
	v_cndmask_b32_e64 v9, v37, v35, s[4:5]
	v_alignbit_b32 v35, v14, v34, v36
	v_cndmask_b32_e64 v14, v35, v14, s[4:5]
	v_bfe_u32 v38, v9, 29, 1
	v_cndmask_b32_e64 v31, v32, v31, s[0:1]
	v_alignbit_b32 v35, v9, v14, 30
	v_sub_u32_e32 v39, 0, v38
	v_cndmask_b32_e64 v11, v11, v31, s[2:3]
	v_xor_b32_e32 v35, v35, v39
	v_alignbit_b32 v31, v34, v11, v36
	v_cndmask_b32_e64 v31, v31, v34, s[4:5]
	v_ffbh_u32_e32 v32, v35
	v_alignbit_b32 v14, v14, v31, 30
	v_min_u32_e32 v32, 32, v32
	v_alignbit_b32 v11, v31, v11, 30
	v_xor_b32_e32 v14, v14, v39
	v_sub_u32_e32 v33, 31, v32
	v_xor_b32_e32 v11, v11, v39
	v_alignbit_b32 v34, v35, v14, v33
	v_alignbit_b32 v11, v14, v11, v33
	;; [unrolled: 1-line block ×3, first 2 shown]
	v_ffbh_u32_e32 v31, v14
	v_min_u32_e32 v31, 32, v31
	v_lshrrev_b32_e32 v37, 29, v9
	v_not_b32_e32 v33, v31
	v_alignbit_b32 v11, v14, v11, v33
	v_lshlrev_b32_e32 v14, 31, v37
	v_or_b32_e32 v33, 0x33000000, v14
	v_add_lshl_u32 v31, v31, v32, 23
	v_lshrrev_b32_e32 v11, 9, v11
	v_sub_u32_e32 v31, v33, v31
	v_or_b32_e32 v14, 0.5, v14
	v_lshlrev_b32_e32 v32, 23, v32
	v_or_b32_e32 v11, v31, v11
	v_lshrrev_b32_e32 v31, 9, v34
	v_sub_u32_e32 v14, v14, v32
	v_or_b32_e32 v14, v31, v14
	v_mul_f32_e32 v31, 0x3fc90fda, v14
	v_fma_f32 v32, v14, s35, -v31
	v_fmac_f32_e32 v32, 0x33a22168, v14
	v_fmac_f32_e32 v32, 0x3fc90fda, v11
	v_lshrrev_b32_e32 v9, 30, v9
	v_add_f32_e32 v11, v31, v32
	v_add_u32_e32 v9, v38, v9
	s_andn2_saveexec_b64 s[0:1], s[18:19]
	s_branch .LBB162_230
.LBB162_229:                            ;   in Loop: Header=BB162_180 Depth=1
	s_andn2_saveexec_b64 s[0:1], s[18:19]
.LBB162_230:                            ;   in Loop: Header=BB162_180 Depth=1
	v_mul_f32_e64 v9, |v13|, s36
	v_rndne_f32_e32 v14, v9
	v_cvt_i32_f32_e32 v9, v14
	v_fma_f32 v11, v14, s37, |v13|
	v_fmac_f32_e32 v11, 0xb3a22168, v14
	v_fmac_f32_e32 v11, 0xa7c234c4, v14
; %bb.231:                              ;   in Loop: Header=BB162_180 Depth=1
	s_or_b64 exec, exec, s[0:1]
                                        ; implicit-def: $vgpr14
                                        ; implicit-def: $vgpr31
	s_and_saveexec_b64 s[0:1], s[16:17]
	s_xor_b64 s[16:17], exec, s[0:1]
	s_cbranch_execz .LBB162_233
; %bb.232:                              ;   in Loop: Header=BB162_180 Depth=1
	v_mad_u64_u32 v[31:32], s[0:1], v8, s27, 0
	v_cmp_lt_u32_e32 vcc, 63, v30
	v_mov_b32_e32 v14, v32
	v_mad_u64_u32 v[32:33], s[0:1], v8, s28, v[14:15]
	v_mov_b32_e32 v14, v33
	v_mad_u64_u32 v[33:34], s[0:1], v8, s29, v[14:15]
	;; [unrolled: 2-line block ×3, first 2 shown]
	v_cndmask_b32_e32 v14, 0, v26, vcc
	v_add_u32_e32 v30, v14, v30
	v_mov_b32_e32 v14, v35
	v_mad_u64_u32 v[35:36], s[0:1], v8, s31, v[14:15]
	v_cmp_lt_u32_e64 s[0:1], 31, v30
	v_cndmask_b32_e64 v14, 0, v27, s[0:1]
	v_add_u32_e32 v30, v14, v30
	v_mov_b32_e32 v14, v36
	v_mad_u64_u32 v[36:37], s[2:3], v8, s33, v[14:15]
	v_cmp_lt_u32_e64 s[2:3], 31, v30
	v_cndmask_b32_e64 v14, 0, v27, s[2:3]
	v_add_u32_e32 v30, v14, v30
	v_mov_b32_e32 v14, v37
	v_mad_u64_u32 v[37:38], s[4:5], v8, s34, v[14:15]
	v_cndmask_b32_e32 v8, v35, v33, vcc
	v_cndmask_b32_e32 v14, v36, v34, vcc
	;; [unrolled: 1-line block ×4, first 2 shown]
	v_cndmask_b32_e64 v39, v14, v8, s[0:1]
	v_cndmask_b32_e64 v14, v35, v14, s[0:1]
	;; [unrolled: 1-line block ×3, first 2 shown]
	v_cndmask_b32_e32 v32, v34, v32, vcc
	v_cndmask_b32_e64 v35, v35, v14, s[2:3]
	v_cndmask_b32_e64 v14, v14, v39, s[2:3]
	v_sub_u32_e32 v36, 32, v30
	v_cndmask_b32_e64 v8, v8, v32, s[0:1]
	v_alignbit_b32 v37, v35, v14, v36
	v_cmp_eq_u32_e64 s[4:5], 0, v30
	v_cndmask_b32_e64 v34, v39, v8, s[2:3]
	v_cndmask_b32_e64 v30, v37, v35, s[4:5]
	v_alignbit_b32 v35, v14, v34, v36
	v_cndmask_b32_e32 v31, v33, v31, vcc
	v_cndmask_b32_e64 v14, v35, v14, s[4:5]
	v_bfe_u32 v38, v30, 29, 1
	v_cndmask_b32_e64 v31, v32, v31, s[0:1]
	v_alignbit_b32 v35, v30, v14, 30
	v_sub_u32_e32 v39, 0, v38
	v_cndmask_b32_e64 v8, v8, v31, s[2:3]
	v_xor_b32_e32 v35, v35, v39
	v_alignbit_b32 v31, v34, v8, v36
	v_cndmask_b32_e64 v31, v31, v34, s[4:5]
	v_ffbh_u32_e32 v32, v35
	v_alignbit_b32 v14, v14, v31, 30
	v_min_u32_e32 v32, 32, v32
	v_alignbit_b32 v8, v31, v8, 30
	v_xor_b32_e32 v14, v14, v39
	v_sub_u32_e32 v33, 31, v32
	v_xor_b32_e32 v8, v8, v39
	v_alignbit_b32 v34, v35, v14, v33
	v_alignbit_b32 v8, v14, v8, v33
	;; [unrolled: 1-line block ×3, first 2 shown]
	v_ffbh_u32_e32 v31, v14
	v_min_u32_e32 v31, 32, v31
	v_lshrrev_b32_e32 v37, 29, v30
	v_not_b32_e32 v33, v31
	v_alignbit_b32 v8, v14, v8, v33
	v_lshlrev_b32_e32 v14, 31, v37
	v_or_b32_e32 v33, 0x33000000, v14
	v_add_lshl_u32 v31, v31, v32, 23
	v_lshrrev_b32_e32 v8, 9, v8
	v_sub_u32_e32 v31, v33, v31
	v_or_b32_e32 v14, 0.5, v14
	v_lshlrev_b32_e32 v32, 23, v32
	v_or_b32_e32 v8, v31, v8
	v_lshrrev_b32_e32 v31, 9, v34
	v_sub_u32_e32 v14, v14, v32
	v_or_b32_e32 v14, v31, v14
	v_mul_f32_e32 v31, 0x3fc90fda, v14
	v_fma_f32 v32, v14, s35, -v31
	v_fmac_f32_e32 v32, 0x33a22168, v14
	v_fmac_f32_e32 v32, 0x3fc90fda, v8
	v_lshrrev_b32_e32 v8, 30, v30
	v_add_f32_e32 v31, v31, v32
	v_add_u32_e32 v14, v38, v8
	s_andn2_saveexec_b64 s[0:1], s[16:17]
	s_cbranch_execnz .LBB162_234
	s_branch .LBB162_235
.LBB162_233:                            ;   in Loop: Header=BB162_180 Depth=1
	s_andn2_saveexec_b64 s[0:1], s[16:17]
.LBB162_234:                            ;   in Loop: Header=BB162_180 Depth=1
	v_mul_f32_e64 v8, |v13|, s36
	v_rndne_f32_e32 v8, v8
	v_cvt_i32_f32_e32 v14, v8
	v_fma_f32 v31, v8, s37, |v13|
	v_fmac_f32_e32 v31, 0xb3a22168, v8
	v_fmac_f32_e32 v31, 0xa7c234c4, v8
.LBB162_235:                            ;   in Loop: Header=BB162_180 Depth=1
	s_or_b64 exec, exec, s[0:1]
	v_mul_f32_e32 v8, v11, v11
	v_mov_b32_e32 v30, 0x3c0881c4
	v_fmac_f32_e32 v30, 0xb94c1982, v8
	v_fma_f32 v30, v8, v30, v23
	v_mul_f32_e32 v30, v8, v30
	v_fmac_f32_e32 v11, v11, v30
	v_mov_b32_e32 v30, 0xbab64f3b
	v_fmac_f32_e32 v30, 0x37d75334, v8
	v_fma_f32 v30, v8, v30, v24
	v_fma_f32 v30, v8, v30, v25
	v_fma_f32 v8, v8, v30, 1.0
	v_and_b32_e32 v30, 1, v9
	v_lshlrev_b32_e32 v9, 30, v9
	v_and_b32_e32 v9, 0x80000000, v9
	v_cmp_eq_u32_e32 vcc, 0, v30
	v_xor_b32_e32 v9, v10, v9
	v_mul_f32_e64 v10, |v12|, s42
	v_cndmask_b32_e32 v8, v8, v11, vcc
	v_rndne_f32_e32 v11, v10
	v_sub_f32_e32 v30, v10, v11
	v_fma_f32 v10, |v12|, s42, -v10
	v_fma_f32 v10, |v12|, s43, v10
	v_add_f32_e32 v10, v30, v10
	v_exp_f32_e32 v10, v10
	v_cvt_i32_f32_e32 v11, v11
	v_xor_b32_e32 v8, v9, v8
	v_xor_b32_e32 v8, v8, v13
	v_mul_f32_e32 v9, 4.0, v8
	v_ldexp_f32 v8, v10, v11
	v_cmp_ngt_f32_e64 vcc, |v12|, s44
	v_cndmask_b32_e32 v8, 0, v8, vcc
	v_cmp_nlt_f32_e64 vcc, |v12|, s45
	v_cndmask_b32_e32 v10, v28, v8, vcc
	v_bfi_b32 v8, s22, 1.0, v12
	v_mul_f32_e32 v11, v31, v31
	v_mov_b32_e32 v12, 0x3c0881c4
	v_fmac_f32_e32 v12, 0xb94c1982, v11
	v_fma_f32 v12, v11, v12, v23
	v_mul_f32_e32 v12, v11, v12
	v_fmac_f32_e32 v31, v31, v12
	v_mov_b32_e32 v12, 0xbab64f3b
	v_fmac_f32_e32 v12, 0x37d75334, v11
	v_fma_f32 v12, v11, v12, v24
	v_fma_f32 v12, v11, v12, v25
	v_fma_f32 v11, v11, v12, 1.0
	v_and_b32_e32 v12, 1, v14
	v_cmp_eq_u32_e32 vcc, 0, v12
	v_lshlrev_b32_e32 v12, 30, v14
	v_cndmask_b32_e64 v11, -v31, v11, vcc
	v_and_b32_e32 v12, 0x80000000, v12
	v_xor_b32_e32 v11, v12, v11
	v_mul_f32_e32 v9, v9, v11
	v_mul_f32_e32 v9, v10, v9
	;; [unrolled: 1-line block ×3, first 2 shown]
.LBB162_236:                            ;   in Loop: Header=BB162_180 Depth=1
	s_or_b64 exec, exec, s[14:15]
                                        ; implicit-def: $vgpr10_vgpr11_vgpr12_vgpr13
.LBB162_237:                            ;   in Loop: Header=BB162_180 Depth=1
	s_andn2_saveexec_b64 s[0:1], s[12:13]
; %bb.238:                              ;   in Loop: Header=BB162_180 Depth=1
	v_sub_f32_e32 v9, v13, v13
	v_mov_b32_e32 v8, v9
; %bb.239:                              ;   in Loop: Header=BB162_180 Depth=1
	s_or_b64 exec, exec, s[0:1]
                                        ; implicit-def: $vgpr12
.LBB162_240:                            ;   in Loop: Header=BB162_180 Depth=1
	s_andn2_saveexec_b64 s[10:11], s[10:11]
	s_cbranch_execz .LBB162_256
; %bb.241:                              ;   in Loop: Header=BB162_180 Depth=1
	v_and_b32_e32 v8, 0x7fffff, v12
	v_cmp_ne_u32_e32 vcc, 0, v8
	s_and_saveexec_b64 s[0:1], vcc
	s_xor_b64 s[0:1], exec, s[0:1]
; %bb.242:                              ;   in Loop: Header=BB162_180 Depth=1
	v_mul_f32_e32 v8, v12, v13
	v_cmp_eq_f32_e32 vcc, 0, v13
	v_cndmask_b32_e32 v9, v8, v13, vcc
; %bb.243:                              ;   in Loop: Header=BB162_180 Depth=1
	s_andn2_saveexec_b64 s[12:13], s[0:1]
	s_cbranch_execz .LBB162_255
; %bb.244:                              ;   in Loop: Header=BB162_180 Depth=1
	v_cmp_neq_f32_e64 s[0:1], |v13|, s23
	s_and_saveexec_b64 s[14:15], s[0:1]
	s_cbranch_execz .LBB162_254
; %bb.245:                              ;   in Loop: Header=BB162_180 Depth=1
	v_and_b32_e32 v8, 0x7fffffff, v13
	v_lshrrev_b32_e32 v9, 23, v8
	v_and_b32_e32 v10, 0x7fffff, v8
	v_cmp_nlt_f32_e64 s[16:17], |v13|, s26
	v_add_u32_e32 v30, 0xffffff88, v9
	v_or_b32_e32 v9, 0x800000, v10
                                        ; implicit-def: $vgpr10
                                        ; implicit-def: $vgpr11
	s_and_saveexec_b64 s[0:1], s[16:17]
	s_xor_b64 s[18:19], exec, s[0:1]
	s_cbranch_execz .LBB162_247
; %bb.246:                              ;   in Loop: Header=BB162_180 Depth=1
	v_mad_u64_u32 v[10:11], s[0:1], v9, s27, 0
	v_cmp_lt_u32_e32 vcc, 63, v30
	v_mov_b32_e32 v14, v11
	v_mad_u64_u32 v[31:32], s[0:1], v9, s28, v[14:15]
	v_cndmask_b32_e32 v11, 0, v26, vcc
	v_add_u32_e32 v11, v11, v30
	v_mov_b32_e32 v14, v32
	v_mad_u64_u32 v[32:33], s[0:1], v9, s29, v[14:15]
	v_mov_b32_e32 v14, v33
	v_mad_u64_u32 v[33:34], s[0:1], v9, s30, v[14:15]
	v_cndmask_b32_e32 v10, v32, v10, vcc
	v_mov_b32_e32 v14, v34
	v_mad_u64_u32 v[34:35], s[0:1], v9, s31, v[14:15]
	v_cmp_lt_u32_e64 s[0:1], 31, v11
	v_cndmask_b32_e64 v14, 0, v27, s[0:1]
	v_add_u32_e32 v11, v14, v11
	v_mov_b32_e32 v14, v35
	v_mad_u64_u32 v[35:36], s[2:3], v9, s33, v[14:15]
	v_cmp_lt_u32_e64 s[2:3], 31, v11
	v_cndmask_b32_e64 v14, 0, v27, s[2:3]
	v_add_u32_e32 v11, v14, v11
	v_mov_b32_e32 v14, v36
	v_mad_u64_u32 v[36:37], s[4:5], v9, s34, v[14:15]
	v_cndmask_b32_e32 v14, v34, v32, vcc
	v_cndmask_b32_e32 v38, v35, v33, vcc
	;; [unrolled: 1-line block ×4, first 2 shown]
	v_cndmask_b32_e64 v39, v38, v14, s[0:1]
	v_cndmask_b32_e64 v36, v34, v38, s[0:1]
	;; [unrolled: 1-line block ×5, first 2 shown]
	v_sub_u32_e32 v36, 32, v11
	v_cmp_eq_u32_e64 s[4:5], 0, v11
	v_cndmask_b32_e32 v11, v33, v31, vcc
	v_cndmask_b32_e64 v14, v14, v11, s[0:1]
	v_alignbit_b32 v37, v34, v35, v36
	v_cndmask_b32_e64 v31, v39, v14, s[2:3]
	v_cndmask_b32_e64 v34, v37, v34, s[4:5]
	v_alignbit_b32 v33, v35, v31, v36
	v_cndmask_b32_e64 v33, v33, v35, s[4:5]
	v_bfe_u32 v38, v34, 29, 1
	v_cndmask_b32_e64 v10, v11, v10, s[0:1]
	v_alignbit_b32 v35, v34, v33, 30
	v_sub_u32_e32 v39, 0, v38
	v_cndmask_b32_e64 v10, v14, v10, s[2:3]
	v_xor_b32_e32 v35, v35, v39
	v_alignbit_b32 v11, v31, v10, v36
	v_cndmask_b32_e64 v11, v11, v31, s[4:5]
	v_ffbh_u32_e32 v31, v35
	v_alignbit_b32 v14, v33, v11, 30
	v_min_u32_e32 v31, 32, v31
	v_alignbit_b32 v10, v11, v10, 30
	v_xor_b32_e32 v14, v14, v39
	v_sub_u32_e32 v32, 31, v31
	v_xor_b32_e32 v10, v10, v39
	v_alignbit_b32 v33, v35, v14, v32
	v_alignbit_b32 v10, v14, v10, v32
	;; [unrolled: 1-line block ×3, first 2 shown]
	v_ffbh_u32_e32 v14, v11
	v_min_u32_e32 v14, 32, v14
	v_lshrrev_b32_e32 v37, 29, v34
	v_not_b32_e32 v32, v14
	v_alignbit_b32 v10, v11, v10, v32
	v_lshlrev_b32_e32 v11, 31, v37
	v_or_b32_e32 v32, 0x33000000, v11
	v_add_lshl_u32 v14, v14, v31, 23
	v_lshrrev_b32_e32 v10, 9, v10
	v_sub_u32_e32 v14, v32, v14
	v_or_b32_e32 v11, 0.5, v11
	v_lshlrev_b32_e32 v31, 23, v31
	v_or_b32_e32 v10, v14, v10
	v_lshrrev_b32_e32 v14, 9, v33
	v_sub_u32_e32 v11, v11, v31
	v_or_b32_e32 v11, v14, v11
	v_mul_f32_e32 v14, 0x3fc90fda, v11
	v_fma_f32 v31, v11, s35, -v14
	v_fmac_f32_e32 v31, 0x33a22168, v11
	v_fmac_f32_e32 v31, 0x3fc90fda, v10
	v_lshrrev_b32_e32 v10, 30, v34
	v_add_f32_e32 v11, v14, v31
	v_add_u32_e32 v10, v38, v10
.LBB162_247:                            ;   in Loop: Header=BB162_180 Depth=1
	s_or_saveexec_b64 s[0:1], s[18:19]
	v_mul_f32_e64 v14, |v13|, s36
	v_rndne_f32_e32 v32, v14
	s_xor_b64 exec, exec, s[0:1]
; %bb.248:                              ;   in Loop: Header=BB162_180 Depth=1
	v_cvt_i32_f32_e32 v10, v32
	v_fma_f32 v11, v32, s37, |v13|
	v_fmac_f32_e32 v11, 0xb3a22168, v32
	v_fmac_f32_e32 v11, 0xa7c234c4, v32
; %bb.249:                              ;   in Loop: Header=BB162_180 Depth=1
	s_or_b64 exec, exec, s[0:1]
                                        ; implicit-def: $vgpr14
                                        ; implicit-def: $vgpr31
	s_and_saveexec_b64 s[0:1], s[16:17]
	s_xor_b64 s[16:17], exec, s[0:1]
	s_cbranch_execz .LBB162_251
; %bb.250:                              ;   in Loop: Header=BB162_180 Depth=1
	v_mad_u64_u32 v[31:32], s[0:1], v9, s27, 0
	v_cmp_lt_u32_e32 vcc, 63, v30
	v_mov_b32_e32 v14, v32
	v_mad_u64_u32 v[32:33], s[0:1], v9, s28, v[14:15]
	v_mov_b32_e32 v14, v33
	v_mad_u64_u32 v[33:34], s[0:1], v9, s29, v[14:15]
	;; [unrolled: 2-line block ×3, first 2 shown]
	v_cndmask_b32_e32 v14, 0, v26, vcc
	v_add_u32_e32 v30, v14, v30
	v_mov_b32_e32 v14, v35
	v_mad_u64_u32 v[35:36], s[0:1], v9, s31, v[14:15]
	v_cmp_lt_u32_e64 s[0:1], 31, v30
	v_cndmask_b32_e64 v14, 0, v27, s[0:1]
	v_add_u32_e32 v30, v14, v30
	v_mov_b32_e32 v14, v36
	v_mad_u64_u32 v[36:37], s[2:3], v9, s33, v[14:15]
	v_cmp_lt_u32_e64 s[2:3], 31, v30
	v_cndmask_b32_e64 v14, 0, v27, s[2:3]
	v_add_u32_e32 v30, v14, v30
	v_mov_b32_e32 v14, v37
	v_mad_u64_u32 v[37:38], s[4:5], v9, s34, v[14:15]
	v_cndmask_b32_e32 v9, v35, v33, vcc
	v_cndmask_b32_e32 v14, v36, v34, vcc
	;; [unrolled: 1-line block ×4, first 2 shown]
	v_cndmask_b32_e64 v39, v14, v9, s[0:1]
	v_cndmask_b32_e64 v14, v35, v14, s[0:1]
	;; [unrolled: 1-line block ×3, first 2 shown]
	v_cndmask_b32_e32 v32, v34, v32, vcc
	v_cndmask_b32_e64 v35, v35, v14, s[2:3]
	v_cndmask_b32_e64 v14, v14, v39, s[2:3]
	v_sub_u32_e32 v36, 32, v30
	v_cndmask_b32_e64 v9, v9, v32, s[0:1]
	v_alignbit_b32 v37, v35, v14, v36
	v_cmp_eq_u32_e64 s[4:5], 0, v30
	v_cndmask_b32_e64 v34, v39, v9, s[2:3]
	v_cndmask_b32_e64 v30, v37, v35, s[4:5]
	v_alignbit_b32 v35, v14, v34, v36
	v_cndmask_b32_e32 v31, v33, v31, vcc
	v_cndmask_b32_e64 v14, v35, v14, s[4:5]
	v_bfe_u32 v38, v30, 29, 1
	v_cndmask_b32_e64 v31, v32, v31, s[0:1]
	v_alignbit_b32 v35, v30, v14, 30
	v_sub_u32_e32 v39, 0, v38
	v_cndmask_b32_e64 v9, v9, v31, s[2:3]
	v_xor_b32_e32 v35, v35, v39
	v_alignbit_b32 v31, v34, v9, v36
	v_cndmask_b32_e64 v31, v31, v34, s[4:5]
	v_ffbh_u32_e32 v32, v35
	v_alignbit_b32 v14, v14, v31, 30
	v_min_u32_e32 v32, 32, v32
	v_alignbit_b32 v9, v31, v9, 30
	v_xor_b32_e32 v14, v14, v39
	v_sub_u32_e32 v33, 31, v32
	v_xor_b32_e32 v9, v9, v39
	v_alignbit_b32 v34, v35, v14, v33
	v_alignbit_b32 v9, v14, v9, v33
	;; [unrolled: 1-line block ×3, first 2 shown]
	v_ffbh_u32_e32 v31, v14
	v_min_u32_e32 v31, 32, v31
	v_lshrrev_b32_e32 v37, 29, v30
	v_not_b32_e32 v33, v31
	v_alignbit_b32 v9, v14, v9, v33
	v_lshlrev_b32_e32 v14, 31, v37
	v_or_b32_e32 v33, 0x33000000, v14
	v_add_lshl_u32 v31, v31, v32, 23
	v_lshrrev_b32_e32 v9, 9, v9
	v_sub_u32_e32 v31, v33, v31
	v_or_b32_e32 v14, 0.5, v14
	v_lshlrev_b32_e32 v32, 23, v32
	v_or_b32_e32 v9, v31, v9
	v_lshrrev_b32_e32 v31, 9, v34
	v_sub_u32_e32 v14, v14, v32
	v_or_b32_e32 v14, v31, v14
	v_mul_f32_e32 v31, 0x3fc90fda, v14
	v_fma_f32 v32, v14, s35, -v31
	v_fmac_f32_e32 v32, 0x33a22168, v14
	v_fmac_f32_e32 v32, 0x3fc90fda, v9
	v_lshrrev_b32_e32 v9, 30, v30
	v_add_f32_e32 v31, v31, v32
	v_add_u32_e32 v14, v38, v9
                                        ; implicit-def: $vgpr32
	s_andn2_saveexec_b64 s[0:1], s[16:17]
	s_cbranch_execnz .LBB162_252
	s_branch .LBB162_253
.LBB162_251:                            ;   in Loop: Header=BB162_180 Depth=1
	s_andn2_saveexec_b64 s[0:1], s[16:17]
.LBB162_252:                            ;   in Loop: Header=BB162_180 Depth=1
	v_cvt_i32_f32_e32 v14, v32
	v_fma_f32 v31, v32, s37, |v13|
	v_fmac_f32_e32 v31, 0xb3a22168, v32
	v_fmac_f32_e32 v31, 0xa7c234c4, v32
.LBB162_253:                            ;   in Loop: Header=BB162_180 Depth=1
	s_or_b64 exec, exec, s[0:1]
	v_mul_f32_e32 v9, v11, v11
	v_mov_b32_e32 v30, 0x3c0881c4
	v_fmac_f32_e32 v30, 0xb94c1982, v9
	v_fma_f32 v30, v9, v30, v23
	v_mul_f32_e32 v30, v9, v30
	v_fmac_f32_e32 v11, v11, v30
	v_mov_b32_e32 v30, 0xbab64f3b
	v_fmac_f32_e32 v30, 0x37d75334, v9
	v_fma_f32 v30, v9, v30, v24
	v_fma_f32 v30, v9, v30, v25
	v_fma_f32 v9, v9, v30, 1.0
	v_and_b32_e32 v30, 1, v10
	v_lshlrev_b32_e32 v10, 30, v10
	v_cmp_eq_u32_e32 vcc, 0, v30
	v_and_b32_e32 v10, 0x80000000, v10
	v_cndmask_b32_e32 v9, v9, v11, vcc
	v_xor_b32_e32 v8, v8, v10
	v_xor_b32_e32 v8, v8, v9
	v_mul_f32_e32 v9, v31, v31
	v_mov_b32_e32 v10, 0x3c0881c4
	v_fmac_f32_e32 v10, 0xb94c1982, v9
	v_fma_f32 v10, v9, v10, v23
	v_mul_f32_e32 v10, v9, v10
	v_fmac_f32_e32 v31, v31, v10
	v_mov_b32_e32 v10, 0xbab64f3b
	v_fmac_f32_e32 v10, 0x37d75334, v9
	v_fma_f32 v10, v9, v10, v24
	v_fma_f32 v10, v9, v10, v25
	v_fma_f32 v9, v9, v10, 1.0
	v_and_b32_e32 v10, 1, v14
	v_cmp_eq_u32_e32 vcc, 0, v10
	v_lshlrev_b32_e32 v10, 30, v14
	v_cndmask_b32_e64 v9, -v31, v9, vcc
	v_and_b32_e32 v10, 0x80000000, v10
	v_xor_b32_e32 v8, v8, v13
	v_xor_b32_e32 v9, v10, v9
	v_mul_f32_e32 v8, v8, v9
	v_cmp_class_f32_e64 vcc, v13, s24
	v_cndmask_b32_e32 v13, v29, v8, vcc
.LBB162_254:                            ;   in Loop: Header=BB162_180 Depth=1
	s_or_b64 exec, exec, s[14:15]
	v_add_u32_e32 v12, -2.0, v12
	v_bfi_b32 v9, s22, 0, v13
.LBB162_255:                            ;   in Loop: Header=BB162_180 Depth=1
	s_or_b64 exec, exec, s[12:13]
	v_mov_b32_e32 v8, v12
.LBB162_256:                            ;   in Loop: Header=BB162_180 Depth=1
	s_or_b64 exec, exec, s[10:11]
	s_waitcnt vmcnt(0)
	v_and_b32_e32 v10, 0x7fffffff, v2
	v_cmp_gt_u32_e32 vcc, s23, v10
                                        ; implicit-def: $vgpr11
	s_and_saveexec_b64 s[0:1], vcc
	s_xor_b64 s[10:11], exec, s[0:1]
	s_cbranch_execz .LBB162_278
; %bb.257:                              ;   in Loop: Header=BB162_180 Depth=1
	v_cmp_class_f32_e64 s[0:1], v3, s24
                                        ; implicit-def: $vgpr11
	s_and_saveexec_b64 s[2:3], s[0:1]
	s_xor_b64 s[12:13], exec, s[2:3]
	s_cbranch_execz .LBB162_275
; %bb.258:                              ;   in Loop: Header=BB162_180 Depth=1
	v_and_b32_e32 v12, 0x7fffffff, v3
	v_cmp_gt_u32_e32 vcc, s25, v10
                                        ; implicit-def: $vgpr11
	s_and_saveexec_b64 s[0:1], vcc
	s_xor_b64 s[14:15], exec, s[0:1]
	s_cbranch_execz .LBB162_264
; %bb.259:                              ;   in Loop: Header=BB162_180 Depth=1
	v_cmp_nlt_f32_e64 s[0:1], |v3|, s26
                                        ; implicit-def: $vgpr11
                                        ; implicit-def: $vgpr10
	s_and_saveexec_b64 s[2:3], s[0:1]
	s_xor_b64 s[16:17], exec, s[2:3]
	s_cbranch_execz .LBB162_261
; %bb.260:                              ;   in Loop: Header=BB162_180 Depth=1
	v_and_b32_e32 v10, 0x7fffff, v12
	v_or_b32_e32 v35, 0x800000, v10
	v_mad_u64_u32 v[10:11], s[0:1], v35, s27, 0
	v_mov_b32_e32 v14, v11
	v_mad_u64_u32 v[13:14], s[0:1], v35, s28, v[14:15]
	v_lshrrev_b32_e32 v11, 23, v12
	v_add_u32_e32 v11, 0xffffff88, v11
	v_mad_u64_u32 v[30:31], s[0:1], v35, s29, v[14:15]
	v_cmp_lt_u32_e32 vcc, 63, v11
	v_mov_b32_e32 v14, v31
	v_mad_u64_u32 v[31:32], s[0:1], v35, s30, v[14:15]
	v_cndmask_b32_e32 v10, v30, v10, vcc
	v_mov_b32_e32 v14, v32
	v_mad_u64_u32 v[32:33], s[0:1], v35, s31, v[14:15]
	v_cndmask_b32_e32 v14, 0, v26, vcc
	v_add_u32_e32 v11, v14, v11
	v_mov_b32_e32 v14, v33
	v_mad_u64_u32 v[33:34], s[0:1], v35, s33, v[14:15]
	v_cmp_lt_u32_e64 s[0:1], 31, v11
	v_cndmask_b32_e64 v14, 0, v27, s[0:1]
	v_add_u32_e32 v11, v14, v11
	v_mov_b32_e32 v14, v34
	v_mad_u64_u32 v[34:35], s[2:3], v35, s34, v[14:15]
	v_cmp_lt_u32_e64 s[2:3], 31, v11
	v_cndmask_b32_e64 v14, 0, v27, s[2:3]
	v_add_u32_e32 v11, v14, v11
	v_cndmask_b32_e32 v14, v33, v31, vcc
	v_cndmask_b32_e32 v34, v34, v32, vcc
	;; [unrolled: 1-line block ×4, first 2 shown]
	v_cndmask_b32_e64 v35, v34, v14, s[0:1]
	v_cndmask_b32_e64 v33, v33, v34, s[0:1]
	;; [unrolled: 1-line block ×3, first 2 shown]
	v_cndmask_b32_e32 v13, v31, v13, vcc
	v_cndmask_b32_e64 v33, v33, v35, s[2:3]
	v_cndmask_b32_e64 v34, v35, v14, s[2:3]
	v_sub_u32_e32 v35, 32, v11
	v_cndmask_b32_e64 v31, v32, v13, s[0:1]
	v_alignbit_b32 v36, v33, v34, v35
	v_cmp_eq_u32_e64 s[4:5], 0, v11
	v_cndmask_b32_e64 v14, v14, v31, s[2:3]
	v_cndmask_b32_e64 v11, v36, v33, s[4:5]
	v_alignbit_b32 v32, v34, v14, v35
	v_cndmask_b32_e64 v32, v32, v34, s[4:5]
	v_bfe_u32 v36, v11, 29, 1
	v_cndmask_b32_e64 v10, v13, v10, s[0:1]
	v_alignbit_b32 v33, v11, v32, 30
	v_sub_u32_e32 v37, 0, v36
	v_cndmask_b32_e64 v10, v31, v10, s[2:3]
	v_xor_b32_e32 v33, v33, v37
	v_alignbit_b32 v13, v14, v10, v35
	v_cndmask_b32_e64 v13, v13, v14, s[4:5]
	v_ffbh_u32_e32 v30, v33
	v_alignbit_b32 v14, v32, v13, 30
	v_min_u32_e32 v30, 32, v30
	v_alignbit_b32 v10, v13, v10, 30
	v_xor_b32_e32 v14, v14, v37
	v_sub_u32_e32 v31, 31, v30
	v_xor_b32_e32 v10, v10, v37
	v_alignbit_b32 v32, v33, v14, v31
	v_alignbit_b32 v10, v14, v10, v31
	;; [unrolled: 1-line block ×3, first 2 shown]
	v_ffbh_u32_e32 v14, v13
	v_min_u32_e32 v14, 32, v14
	v_lshrrev_b32_e32 v34, 29, v11
	v_not_b32_e32 v31, v14
	v_alignbit_b32 v10, v13, v10, v31
	v_lshlrev_b32_e32 v13, 31, v34
	v_or_b32_e32 v31, 0x33000000, v13
	v_add_lshl_u32 v14, v14, v30, 23
	v_lshrrev_b32_e32 v10, 9, v10
	v_sub_u32_e32 v14, v31, v14
	v_or_b32_e32 v13, 0.5, v13
	v_lshlrev_b32_e32 v30, 23, v30
	v_or_b32_e32 v10, v14, v10
	v_lshrrev_b32_e32 v14, 9, v32
	v_sub_u32_e32 v13, v13, v30
	v_or_b32_e32 v13, v14, v13
	v_mul_f32_e32 v14, 0x3fc90fda, v13
	v_fma_f32 v30, v13, s35, -v14
	v_fmac_f32_e32 v30, 0x33a22168, v13
	v_fmac_f32_e32 v30, 0x3fc90fda, v10
	v_lshrrev_b32_e32 v11, 30, v11
	v_add_f32_e32 v10, v14, v30
	v_add_u32_e32 v11, v36, v11
.LBB162_261:                            ;   in Loop: Header=BB162_180 Depth=1
	s_andn2_saveexec_b64 s[0:1], s[16:17]
; %bb.262:                              ;   in Loop: Header=BB162_180 Depth=1
	v_mul_f32_e64 v10, |v3|, s36
	v_rndne_f32_e32 v13, v10
	v_cvt_i32_f32_e32 v11, v13
	v_fma_f32 v10, v13, s37, |v3|
	v_fmac_f32_e32 v10, 0xb3a22168, v13
	v_fmac_f32_e32 v10, 0xa7c234c4, v13
; %bb.263:                              ;   in Loop: Header=BB162_180 Depth=1
	s_or_b64 exec, exec, s[0:1]
	v_mul_f32_e32 v13, v10, v10
	v_mov_b32_e32 v14, 0xbf039337
	v_fmac_f32_e32 v14, 0x3c971480, v13
	v_fma_f32 v14, v13, v14, v18
	v_rcp_f32_e32 v14, v14
	v_mov_b32_e32 v30, 0x3ec54587
	v_fmac_f32_e32 v30, 0xbc8cedd3, v13
	v_and_b32_e32 v11, 1, v11
	v_mul_f32_e32 v14, v30, v14
	v_mul_f32_e32 v13, v13, v14
	v_fma_f32 v14, v13, v10, v10
	v_rcp_f32_e32 v30, v14
	v_sub_f32_e32 v31, v14, v10
	v_fma_f32 v10, v13, v10, -v31
	v_cmp_eq_u32_e32 vcc, 0, v11
	v_fma_f32 v13, v14, -v30, 1.0
	v_fma_f32 v10, v10, -v30, v13
	v_add_f32_e64 v11, |v2|, s38
	v_fma_f32 v10, v10, -v30, -v30
	v_sub_f32_e64 v13, v11, |v2|
	v_cndmask_b32_e32 v10, v10, v14, vcc
	v_sub_f32_e32 v14, v13, v11
	v_add_f32_e64 v14, |v2|, v14
	v_add_f32_e32 v13, 0x3f317218, v13
	v_sub_f32_e32 v13, v14, v13
	v_add_f32_e32 v13, 0x3102e308, v13
	v_add_f32_e32 v14, v11, v13
	v_sub_f32_e32 v11, v11, v14
	v_add_f32_e32 v11, v13, v11
	v_mul_f32_e32 v13, 0x3fb8aa3b, v14
	v_rndne_f32_e32 v13, v13
	v_fmac_f32_e32 v14, 0xbf317200, v13
	v_add_f32_e32 v30, v11, v14
	v_sub_f32_e32 v14, v14, v30
	v_add_f32_e32 v11, v11, v14
	v_mul_f32_e32 v14, 0x35bfbc00, v13
	v_sub_f32_e32 v31, v30, v14
	v_sub_f32_e32 v30, v30, v31
	;; [unrolled: 1-line block ×3, first 2 shown]
	v_add_f32_e32 v11, v11, v14
	v_add_f32_e32 v14, v31, v11
	v_sub_f32_e32 v30, v31, v14
	v_add_f32_e32 v11, v11, v30
	v_mul_f32_e32 v30, 0x2ea39ef3, v13
	v_sub_f32_e32 v31, v14, v30
	v_sub_f32_e32 v14, v14, v31
	;; [unrolled: 1-line block ×3, first 2 shown]
	v_add_f32_e32 v11, v11, v14
	v_add_f32_e32 v14, v31, v11
	v_sub_f32_e32 v31, v31, v14
	v_mov_b32_e32 v30, 0x3c091de6
	v_add_f32_e32 v11, v11, v31
	v_mul_f32_e32 v32, v14, v14
	v_fmac_f32_e32 v30, 0x3ab42872, v14
	v_add_f32_e32 v31, v11, v11
	v_fma_f32 v33, v14, v14, -v32
	v_fma_f32 v30, v14, v30, v19
	v_fmac_f32_e32 v33, v14, v31
	v_fma_f32 v30, v14, v30, v20
	v_add_f32_e32 v31, v32, v33
	v_fma_f32 v30, v14, v30, v21
	v_sub_f32_e32 v32, v31, v32
	v_sub_f32_e32 v32, v33, v32
	v_mul_f32_e32 v33, v30, v31
	v_fma_f32 v31, v31, v30, -v33
	v_fmac_f32_e32 v31, v32, v30
	v_add_f32_e32 v30, v33, v31
	v_sub_f32_e32 v32, v30, v33
	v_sub_f32_e32 v31, v31, v32
	v_add_f32_e32 v32, v14, v30
	v_sub_f32_e32 v14, v32, v14
	v_sub_f32_e32 v14, v30, v14
	v_add_f32_e32 v11, v11, v31
	v_add_f32_e32 v11, v11, v14
	;; [unrolled: 1-line block ×3, first 2 shown]
	v_sub_f32_e32 v30, v14, v32
	v_sub_f32_e32 v11, v11, v30
	v_add_f32_e32 v30, 1.0, v14
	v_add_f32_e32 v31, -1.0, v30
	v_cvt_i32_f32_e32 v13, v13
	v_sub_f32_e32 v14, v14, v31
	v_add_f32_e32 v11, v11, v14
	v_add_f32_e32 v14, v30, v11
	v_ldexp_f32 v31, v14, v13
	v_rcp_f32_e32 v32, v31
	v_sub_f32_e32 v14, v14, v30
	v_sub_f32_e32 v11, v11, v14
	v_ldexp_f32 v11, v11, v13
	v_mul_f32_e32 v13, v31, v32
	v_fma_f32 v14, v32, v31, -v13
	v_fmac_f32_e32 v14, v32, v11
	v_add_f32_e32 v30, v13, v14
	v_sub_f32_e32 v33, 1.0, v30
	v_sub_f32_e32 v34, 1.0, v33
	v_sub_f32_e32 v13, v30, v13
	v_sub_f32_e32 v34, v34, v30
	;; [unrolled: 1-line block ×3, first 2 shown]
	v_add_f32_e32 v13, v13, v34
	v_add_f32_e32 v14, v33, v13
	v_mul_f32_e32 v30, v32, v14
	v_mul_f32_e32 v34, v31, v30
	v_fma_f32 v35, v30, v31, -v34
	v_fmac_f32_e32 v35, v30, v11
	v_sub_f32_e32 v33, v33, v14
	v_add_f32_e32 v13, v13, v33
	v_add_f32_e32 v33, v34, v35
	v_sub_f32_e32 v36, v14, v33
	v_sub_f32_e32 v14, v14, v36
	v_sub_f32_e32 v34, v33, v34
	v_sub_f32_e32 v14, v14, v33
	v_add_f32_e32 v13, v13, v14
	v_sub_f32_e32 v14, v34, v35
	v_add_f32_e32 v13, v14, v13
	v_add_f32_e32 v13, v36, v13
	;; [unrolled: 1-line block ×3, first 2 shown]
	v_mul_f32_e32 v13, v32, v13
	v_sub_f32_e32 v32, v14, v32
	v_sub_f32_e32 v30, v30, v32
	v_add_f32_e32 v13, v30, v13
	v_add_f32_e32 v30, v14, v13
	v_sub_f32_e32 v14, v30, v14
	v_sub_f32_e32 v13, v13, v14
	v_ldexp_f32 v14, v30, -2
	v_sub_f32_e32 v30, v31, v14
	v_sub_f32_e32 v31, v31, v30
	;; [unrolled: 1-line block ×3, first 2 shown]
	v_ldexp_f32 v13, v13, -2
	v_add_f32_e32 v11, v11, v14
	v_sub_f32_e32 v11, v11, v13
	v_add_f32_e32 v11, v30, v11
	v_cmp_ngt_f32_e64 vcc, |v2|, s39
	v_cndmask_b32_e32 v11, v28, v11, vcc
	v_cmp_lt_f32_e64 s[0:1], |v2|, s40
	v_cndmask_b32_e64 v11, v11, |v2|, s[0:1]
	v_bfi_b32 v11, s22, v11, v2
	v_fma_f32 v13, v11, v11, 1.0
	v_mul_f32_e32 v14, 0x4f800000, v13
	v_cmp_gt_f32_e32 vcc, s41, v13
	v_cndmask_b32_e32 v13, v13, v14, vcc
	v_sqrt_f32_e32 v14, v13
	v_xor_b32_e32 v10, v12, v10
	v_xor_b32_e32 v12, v10, v3
	v_fma_f32 v10, v12, v12, 1.0
	v_add_u32_e32 v30, -1, v14
	v_fma_f32 v31, -v30, v14, v13
	v_cmp_ge_f32_e64 s[0:1], 0, v31
	v_add_u32_e32 v31, 1, v14
	v_cndmask_b32_e64 v30, v14, v30, s[0:1]
	v_fma_f32 v14, -v31, v14, v13
	v_cmp_lt_f32_e64 s[0:1], 0, v14
	v_cndmask_b32_e64 v14, v30, v31, s[0:1]
	v_mul_f32_e32 v30, 0x37800000, v14
	v_cndmask_b32_e32 v14, v14, v30, vcc
	v_cmp_class_f32_e32 vcc, v13, v22
	v_cndmask_b32_e32 v13, v14, v13, vcc
	v_mul_f32_e32 v14, v11, v10
	v_mul_f32_e32 v10, v13, v10
	v_fma_f32 v14, v11, v14, 1.0
	v_mul_f32_e32 v10, v11, v10
	v_div_scale_f32 v11, s[0:1], v14, v14, v10
	v_div_scale_f32 v13, vcc, v10, v14, v10
	v_div_scale_f32 v30, s[0:1], v14, v14, v12
	v_div_scale_f32 v31, s[0:1], v12, v14, v12
	v_rcp_f32_e32 v32, v11
	v_fma_f32 v33, -v11, v32, 1.0
	v_fmac_f32_e32 v32, v33, v32
	v_mul_f32_e32 v33, v13, v32
	v_fma_f32 v34, -v11, v33, v13
	v_fmac_f32_e32 v33, v34, v32
	v_rcp_f32_e32 v34, v30
	v_fma_f32 v11, -v11, v33, v13
	v_div_fmas_f32 v11, v11, v32, v33
	s_mov_b64 vcc, s[0:1]
	v_fma_f32 v13, -v30, v34, 1.0
	v_fmac_f32_e32 v34, v13, v34
	v_mul_f32_e32 v13, v31, v34
	v_fma_f32 v32, -v30, v13, v31
	v_fmac_f32_e32 v13, v32, v34
	v_fma_f32 v30, -v30, v13, v31
	v_div_fmas_f32 v13, v30, v34, v13
	v_div_fixup_f32 v10, v11, v14, v10
	v_div_fixup_f32 v11, v13, v14, v12
                                        ; implicit-def: $vgpr12
.LBB162_264:                            ;   in Loop: Header=BB162_180 Depth=1
	s_andn2_saveexec_b64 s[14:15], s[14:15]
	s_cbranch_execz .LBB162_274
; %bb.265:                              ;   in Loop: Header=BB162_180 Depth=1
	v_lshrrev_b32_e32 v10, 23, v12
	v_and_b32_e32 v11, 0x7fffff, v12
	v_cmp_nlt_f32_e64 s[16:17], |v3|, s26
	v_add_u32_e32 v30, 0xffffff88, v10
	v_or_b32_e32 v10, 0x800000, v11
                                        ; implicit-def: $vgpr11
                                        ; implicit-def: $vgpr13
	s_and_saveexec_b64 s[0:1], s[16:17]
	s_xor_b64 s[18:19], exec, s[0:1]
	s_cbranch_execz .LBB162_267
; %bb.266:                              ;   in Loop: Header=BB162_180 Depth=1
	v_mad_u64_u32 v[13:14], s[0:1], v10, s27, 0
	v_cmp_lt_u32_e32 vcc, 63, v30
	v_cndmask_b32_e32 v11, 0, v26, vcc
	v_mad_u64_u32 v[31:32], s[0:1], v10, s28, v[14:15]
	v_add_u32_e32 v11, v11, v30
	v_mov_b32_e32 v14, v32
	v_mad_u64_u32 v[32:33], s[0:1], v10, s29, v[14:15]
	v_mov_b32_e32 v14, v33
	v_mad_u64_u32 v[33:34], s[0:1], v10, s30, v[14:15]
	v_cndmask_b32_e32 v13, v32, v13, vcc
	v_mov_b32_e32 v14, v34
	v_mad_u64_u32 v[34:35], s[0:1], v10, s31, v[14:15]
	v_cmp_lt_u32_e64 s[0:1], 31, v11
	v_cndmask_b32_e64 v14, 0, v27, s[0:1]
	v_add_u32_e32 v11, v14, v11
	v_mov_b32_e32 v14, v35
	v_mad_u64_u32 v[35:36], s[2:3], v10, s33, v[14:15]
	v_cmp_lt_u32_e64 s[2:3], 31, v11
	v_cndmask_b32_e64 v14, 0, v27, s[2:3]
	v_add_u32_e32 v11, v14, v11
	v_mov_b32_e32 v14, v36
	v_mad_u64_u32 v[36:37], s[4:5], v10, s34, v[14:15]
	v_cndmask_b32_e32 v14, v34, v32, vcc
	v_cndmask_b32_e32 v38, v35, v33, vcc
	;; [unrolled: 1-line block ×4, first 2 shown]
	v_cndmask_b32_e64 v39, v38, v14, s[0:1]
	v_cndmask_b32_e64 v36, v34, v38, s[0:1]
	;; [unrolled: 1-line block ×3, first 2 shown]
	v_cndmask_b32_e32 v31, v33, v31, vcc
	v_cndmask_b32_e64 v34, v34, v36, s[2:3]
	v_cndmask_b32_e64 v35, v36, v39, s[2:3]
	v_sub_u32_e32 v36, 32, v11
	v_cndmask_b32_e64 v14, v14, v31, s[0:1]
	v_alignbit_b32 v37, v34, v35, v36
	v_cmp_eq_u32_e64 s[4:5], 0, v11
	v_cndmask_b32_e64 v33, v39, v14, s[2:3]
	v_cndmask_b32_e64 v11, v37, v34, s[4:5]
	v_alignbit_b32 v34, v35, v33, v36
	v_cndmask_b32_e64 v34, v34, v35, s[4:5]
	v_bfe_u32 v38, v11, 29, 1
	v_cndmask_b32_e64 v13, v31, v13, s[0:1]
	v_alignbit_b32 v35, v11, v34, 30
	v_sub_u32_e32 v39, 0, v38
	v_cndmask_b32_e64 v13, v14, v13, s[2:3]
	v_xor_b32_e32 v35, v35, v39
	v_alignbit_b32 v14, v33, v13, v36
	v_cndmask_b32_e64 v14, v14, v33, s[4:5]
	v_ffbh_u32_e32 v32, v35
	v_alignbit_b32 v31, v34, v14, 30
	v_min_u32_e32 v32, 32, v32
	v_alignbit_b32 v13, v14, v13, 30
	v_xor_b32_e32 v31, v31, v39
	v_sub_u32_e32 v33, 31, v32
	v_xor_b32_e32 v13, v13, v39
	v_alignbit_b32 v34, v35, v31, v33
	v_alignbit_b32 v13, v31, v13, v33
	v_alignbit_b32 v14, v34, v13, 9
	v_ffbh_u32_e32 v31, v14
	v_min_u32_e32 v31, 32, v31
	v_lshrrev_b32_e32 v37, 29, v11
	v_not_b32_e32 v33, v31
	v_alignbit_b32 v13, v14, v13, v33
	v_lshlrev_b32_e32 v14, 31, v37
	v_or_b32_e32 v33, 0x33000000, v14
	v_add_lshl_u32 v31, v31, v32, 23
	v_lshrrev_b32_e32 v13, 9, v13
	v_sub_u32_e32 v31, v33, v31
	v_or_b32_e32 v14, 0.5, v14
	v_lshlrev_b32_e32 v32, 23, v32
	v_or_b32_e32 v13, v31, v13
	v_lshrrev_b32_e32 v31, 9, v34
	v_sub_u32_e32 v14, v14, v32
	v_or_b32_e32 v14, v31, v14
	v_mul_f32_e32 v31, 0x3fc90fda, v14
	v_fma_f32 v32, v14, s35, -v31
	v_fmac_f32_e32 v32, 0x33a22168, v14
	v_fmac_f32_e32 v32, 0x3fc90fda, v13
	v_lshrrev_b32_e32 v11, 30, v11
	v_add_f32_e32 v13, v31, v32
	v_add_u32_e32 v11, v38, v11
	s_andn2_saveexec_b64 s[0:1], s[18:19]
	s_branch .LBB162_268
.LBB162_267:                            ;   in Loop: Header=BB162_180 Depth=1
	s_andn2_saveexec_b64 s[0:1], s[18:19]
.LBB162_268:                            ;   in Loop: Header=BB162_180 Depth=1
	v_mul_f32_e64 v11, |v3|, s36
	v_rndne_f32_e32 v14, v11
	v_cvt_i32_f32_e32 v11, v14
	v_fma_f32 v13, v14, s37, |v3|
	v_fmac_f32_e32 v13, 0xb3a22168, v14
	v_fmac_f32_e32 v13, 0xa7c234c4, v14
; %bb.269:                              ;   in Loop: Header=BB162_180 Depth=1
	s_or_b64 exec, exec, s[0:1]
                                        ; implicit-def: $vgpr14
                                        ; implicit-def: $vgpr31
	s_and_saveexec_b64 s[0:1], s[16:17]
	s_xor_b64 s[16:17], exec, s[0:1]
	s_cbranch_execz .LBB162_271
; %bb.270:                              ;   in Loop: Header=BB162_180 Depth=1
	v_mad_u64_u32 v[31:32], s[0:1], v10, s27, 0
	v_cmp_lt_u32_e32 vcc, 63, v30
	v_mov_b32_e32 v14, v32
	v_mad_u64_u32 v[32:33], s[0:1], v10, s28, v[14:15]
	v_mov_b32_e32 v14, v33
	v_mad_u64_u32 v[33:34], s[0:1], v10, s29, v[14:15]
	;; [unrolled: 2-line block ×3, first 2 shown]
	v_cndmask_b32_e32 v14, 0, v26, vcc
	v_add_u32_e32 v30, v14, v30
	v_mov_b32_e32 v14, v35
	v_mad_u64_u32 v[35:36], s[0:1], v10, s31, v[14:15]
	v_cmp_lt_u32_e64 s[0:1], 31, v30
	v_cndmask_b32_e64 v14, 0, v27, s[0:1]
	v_add_u32_e32 v30, v14, v30
	v_mov_b32_e32 v14, v36
	v_mad_u64_u32 v[36:37], s[2:3], v10, s33, v[14:15]
	v_cmp_lt_u32_e64 s[2:3], 31, v30
	v_cndmask_b32_e64 v14, 0, v27, s[2:3]
	v_add_u32_e32 v30, v14, v30
	v_mov_b32_e32 v14, v37
	v_mad_u64_u32 v[37:38], s[4:5], v10, s34, v[14:15]
	v_cndmask_b32_e32 v10, v35, v33, vcc
	v_cndmask_b32_e32 v14, v36, v34, vcc
	;; [unrolled: 1-line block ×4, first 2 shown]
	v_cndmask_b32_e64 v39, v14, v10, s[0:1]
	v_cndmask_b32_e64 v14, v35, v14, s[0:1]
	;; [unrolled: 1-line block ×3, first 2 shown]
	v_cndmask_b32_e32 v32, v34, v32, vcc
	v_cndmask_b32_e64 v35, v35, v14, s[2:3]
	v_cndmask_b32_e64 v14, v14, v39, s[2:3]
	v_sub_u32_e32 v36, 32, v30
	v_cndmask_b32_e64 v10, v10, v32, s[0:1]
	v_alignbit_b32 v37, v35, v14, v36
	v_cmp_eq_u32_e64 s[4:5], 0, v30
	v_cndmask_b32_e64 v34, v39, v10, s[2:3]
	v_cndmask_b32_e64 v30, v37, v35, s[4:5]
	v_alignbit_b32 v35, v14, v34, v36
	v_cndmask_b32_e32 v31, v33, v31, vcc
	v_cndmask_b32_e64 v14, v35, v14, s[4:5]
	v_bfe_u32 v38, v30, 29, 1
	v_cndmask_b32_e64 v31, v32, v31, s[0:1]
	v_alignbit_b32 v35, v30, v14, 30
	v_sub_u32_e32 v39, 0, v38
	v_cndmask_b32_e64 v10, v10, v31, s[2:3]
	v_xor_b32_e32 v35, v35, v39
	v_alignbit_b32 v31, v34, v10, v36
	v_cndmask_b32_e64 v31, v31, v34, s[4:5]
	v_ffbh_u32_e32 v32, v35
	v_alignbit_b32 v14, v14, v31, 30
	v_min_u32_e32 v32, 32, v32
	v_alignbit_b32 v10, v31, v10, 30
	v_xor_b32_e32 v14, v14, v39
	v_sub_u32_e32 v33, 31, v32
	v_xor_b32_e32 v10, v10, v39
	v_alignbit_b32 v34, v35, v14, v33
	v_alignbit_b32 v10, v14, v10, v33
	;; [unrolled: 1-line block ×3, first 2 shown]
	v_ffbh_u32_e32 v31, v14
	v_min_u32_e32 v31, 32, v31
	v_lshrrev_b32_e32 v37, 29, v30
	v_not_b32_e32 v33, v31
	v_alignbit_b32 v10, v14, v10, v33
	v_lshlrev_b32_e32 v14, 31, v37
	v_or_b32_e32 v33, 0x33000000, v14
	v_add_lshl_u32 v31, v31, v32, 23
	v_lshrrev_b32_e32 v10, 9, v10
	v_sub_u32_e32 v31, v33, v31
	v_or_b32_e32 v14, 0.5, v14
	v_lshlrev_b32_e32 v32, 23, v32
	v_or_b32_e32 v10, v31, v10
	v_lshrrev_b32_e32 v31, 9, v34
	v_sub_u32_e32 v14, v14, v32
	v_or_b32_e32 v14, v31, v14
	v_mul_f32_e32 v31, 0x3fc90fda, v14
	v_fma_f32 v32, v14, s35, -v31
	v_fmac_f32_e32 v32, 0x33a22168, v14
	v_fmac_f32_e32 v32, 0x3fc90fda, v10
	v_lshrrev_b32_e32 v10, 30, v30
	v_add_f32_e32 v31, v31, v32
	v_add_u32_e32 v14, v38, v10
	s_andn2_saveexec_b64 s[0:1], s[16:17]
	s_cbranch_execnz .LBB162_272
	s_branch .LBB162_273
.LBB162_271:                            ;   in Loop: Header=BB162_180 Depth=1
	s_andn2_saveexec_b64 s[0:1], s[16:17]
.LBB162_272:                            ;   in Loop: Header=BB162_180 Depth=1
	v_mul_f32_e64 v10, |v3|, s36
	v_rndne_f32_e32 v10, v10
	v_cvt_i32_f32_e32 v14, v10
	v_fma_f32 v31, v10, s37, |v3|
	v_fmac_f32_e32 v31, 0xb3a22168, v10
	v_fmac_f32_e32 v31, 0xa7c234c4, v10
.LBB162_273:                            ;   in Loop: Header=BB162_180 Depth=1
	s_or_b64 exec, exec, s[0:1]
	v_mul_f32_e32 v10, v13, v13
	v_mov_b32_e32 v30, 0x3c0881c4
	v_fmac_f32_e32 v30, 0xb94c1982, v10
	v_fma_f32 v30, v10, v30, v23
	v_mul_f32_e32 v30, v10, v30
	v_fmac_f32_e32 v13, v13, v30
	v_mov_b32_e32 v30, 0xbab64f3b
	v_fmac_f32_e32 v30, 0x37d75334, v10
	v_fma_f32 v30, v10, v30, v24
	v_fma_f32 v30, v10, v30, v25
	v_fma_f32 v10, v10, v30, 1.0
	v_and_b32_e32 v30, 1, v11
	v_lshlrev_b32_e32 v11, 30, v11
	v_and_b32_e32 v11, 0x80000000, v11
	v_cmp_eq_u32_e32 vcc, 0, v30
	v_xor_b32_e32 v11, v12, v11
	v_mul_f32_e64 v12, |v2|, s42
	v_cndmask_b32_e32 v10, v10, v13, vcc
	v_rndne_f32_e32 v13, v12
	v_sub_f32_e32 v30, v12, v13
	v_fma_f32 v12, |v2|, s42, -v12
	v_fma_f32 v12, |v2|, s43, v12
	v_add_f32_e32 v12, v30, v12
	v_exp_f32_e32 v12, v12
	v_cvt_i32_f32_e32 v13, v13
	v_xor_b32_e32 v10, v11, v10
	v_xor_b32_e32 v10, v10, v3
	v_mul_f32_e32 v11, 4.0, v10
	v_ldexp_f32 v10, v12, v13
	v_mul_f32_e32 v13, v31, v31
	v_mov_b32_e32 v30, 0x3c0881c4
	v_fmac_f32_e32 v30, 0xb94c1982, v13
	v_fma_f32 v30, v13, v30, v23
	v_mul_f32_e32 v30, v13, v30
	v_fmac_f32_e32 v31, v31, v30
	v_mov_b32_e32 v30, 0xbab64f3b
	v_fmac_f32_e32 v30, 0x37d75334, v13
	v_fma_f32 v30, v13, v30, v24
	v_cmp_ngt_f32_e64 vcc, |v2|, s44
	v_fma_f32 v30, v13, v30, v25
	v_cndmask_b32_e32 v10, 0, v10, vcc
	v_cmp_nlt_f32_e64 vcc, |v2|, s45
	v_fma_f32 v13, v13, v30, 1.0
	v_and_b32_e32 v30, 1, v14
	v_cndmask_b32_e32 v12, v28, v10, vcc
	v_cmp_eq_u32_e32 vcc, 0, v30
	v_lshlrev_b32_e32 v14, 30, v14
	v_cndmask_b32_e64 v13, -v31, v13, vcc
	v_and_b32_e32 v14, 0x80000000, v14
	v_xor_b32_e32 v13, v14, v13
	v_mul_f32_e32 v11, v11, v13
	v_mul_f32_e32 v11, v12, v11
	v_bfi_b32 v10, s22, 1.0, v2
	v_mul_f32_e32 v11, v12, v11
.LBB162_274:                            ;   in Loop: Header=BB162_180 Depth=1
	s_or_b64 exec, exec, s[14:15]
.LBB162_275:                            ;   in Loop: Header=BB162_180 Depth=1
	s_andn2_saveexec_b64 s[0:1], s[12:13]
; %bb.276:                              ;   in Loop: Header=BB162_180 Depth=1
	v_sub_f32_e32 v11, v3, v3
	v_mov_b32_e32 v10, v11
; %bb.277:                              ;   in Loop: Header=BB162_180 Depth=1
	s_or_b64 exec, exec, s[0:1]
.LBB162_278:                            ;   in Loop: Header=BB162_180 Depth=1
	s_andn2_saveexec_b64 s[10:11], s[10:11]
	s_cbranch_execz .LBB162_294
; %bb.279:                              ;   in Loop: Header=BB162_180 Depth=1
	v_and_b32_e32 v10, 0x7fffff, v2
	v_cmp_ne_u32_e32 vcc, 0, v10
                                        ; implicit-def: $vgpr11
	s_and_saveexec_b64 s[0:1], vcc
	s_xor_b64 s[0:1], exec, s[0:1]
; %bb.280:                              ;   in Loop: Header=BB162_180 Depth=1
	v_mul_f32_e32 v10, v2, v3
	v_cmp_eq_f32_e32 vcc, 0, v3
	v_cndmask_b32_e32 v11, v10, v3, vcc
; %bb.281:                              ;   in Loop: Header=BB162_180 Depth=1
	s_andn2_saveexec_b64 s[12:13], s[0:1]
	s_cbranch_execz .LBB162_293
; %bb.282:                              ;   in Loop: Header=BB162_180 Depth=1
	v_cmp_neq_f32_e64 s[0:1], |v3|, s23
	s_and_saveexec_b64 s[14:15], s[0:1]
	s_cbranch_execz .LBB162_292
; %bb.283:                              ;   in Loop: Header=BB162_180 Depth=1
	v_and_b32_e32 v10, 0x7fffffff, v3
	v_lshrrev_b32_e32 v11, 23, v10
	v_and_b32_e32 v12, 0x7fffff, v10
	v_cmp_nlt_f32_e64 s[16:17], |v3|, s26
	v_add_u32_e32 v30, 0xffffff88, v11
	v_or_b32_e32 v11, 0x800000, v12
                                        ; implicit-def: $vgpr12
                                        ; implicit-def: $vgpr13
	s_and_saveexec_b64 s[0:1], s[16:17]
	s_xor_b64 s[18:19], exec, s[0:1]
	s_cbranch_execz .LBB162_285
; %bb.284:                              ;   in Loop: Header=BB162_180 Depth=1
	v_mad_u64_u32 v[12:13], s[0:1], v11, s27, 0
	v_cmp_lt_u32_e32 vcc, 63, v30
	v_mov_b32_e32 v14, v13
	v_mad_u64_u32 v[13:14], s[0:1], v11, s28, v[14:15]
	v_mad_u64_u32 v[31:32], s[0:1], v11, s29, v[14:15]
	v_mov_b32_e32 v14, v32
	v_mad_u64_u32 v[32:33], s[0:1], v11, s30, v[14:15]
	v_cndmask_b32_e32 v14, 0, v26, vcc
	v_add_u32_e32 v35, v14, v30
	v_mov_b32_e32 v14, v33
	v_mad_u64_u32 v[33:34], s[0:1], v11, s31, v[14:15]
	v_cmp_lt_u32_e64 s[0:1], 31, v35
	v_cndmask_b32_e64 v14, 0, v27, s[0:1]
	v_add_u32_e32 v36, v14, v35
	v_mov_b32_e32 v14, v34
	v_mad_u64_u32 v[34:35], s[2:3], v11, s33, v[14:15]
	v_cmp_lt_u32_e64 s[2:3], 31, v36
	v_cndmask_b32_e64 v14, 0, v27, s[2:3]
	v_add_u32_e32 v37, v14, v36
	v_mov_b32_e32 v14, v35
	v_mad_u64_u32 v[35:36], s[4:5], v11, s34, v[14:15]
	v_cndmask_b32_e32 v14, v33, v31, vcc
	v_cndmask_b32_e32 v38, v34, v32, vcc
	;; [unrolled: 1-line block ×4, first 2 shown]
	v_cndmask_b32_e64 v39, v38, v14, s[0:1]
	v_cndmask_b32_e64 v35, v33, v38, s[0:1]
	;; [unrolled: 1-line block ×3, first 2 shown]
	v_cndmask_b32_e32 v13, v32, v13, vcc
	v_cndmask_b32_e64 v33, v33, v35, s[2:3]
	v_cndmask_b32_e64 v34, v35, v39, s[2:3]
	v_sub_u32_e32 v35, 32, v37
	v_cndmask_b32_e64 v14, v14, v13, s[0:1]
	v_alignbit_b32 v36, v33, v34, v35
	v_cmp_eq_u32_e64 s[4:5], 0, v37
	v_cndmask_b32_e64 v32, v39, v14, s[2:3]
	v_cndmask_b32_e64 v33, v36, v33, s[4:5]
	v_alignbit_b32 v36, v34, v32, v35
	v_cndmask_b32_e32 v12, v31, v12, vcc
	v_cndmask_b32_e64 v34, v36, v34, s[4:5]
	v_bfe_u32 v38, v33, 29, 1
	v_cndmask_b32_e64 v12, v13, v12, s[0:1]
	v_alignbit_b32 v36, v33, v34, 30
	v_sub_u32_e32 v39, 0, v38
	v_cndmask_b32_e64 v12, v14, v12, s[2:3]
	v_xor_b32_e32 v36, v36, v39
	v_alignbit_b32 v13, v32, v12, v35
	v_cndmask_b32_e64 v13, v13, v32, s[4:5]
	v_ffbh_u32_e32 v31, v36
	v_alignbit_b32 v14, v34, v13, 30
	v_min_u32_e32 v31, 32, v31
	v_alignbit_b32 v12, v13, v12, 30
	v_xor_b32_e32 v14, v14, v39
	v_sub_u32_e32 v32, 31, v31
	v_xor_b32_e32 v12, v12, v39
	v_alignbit_b32 v34, v36, v14, v32
	v_alignbit_b32 v12, v14, v12, v32
	;; [unrolled: 1-line block ×3, first 2 shown]
	v_ffbh_u32_e32 v14, v13
	v_min_u32_e32 v14, 32, v14
	v_lshrrev_b32_e32 v37, 29, v33
	v_not_b32_e32 v32, v14
	v_alignbit_b32 v12, v13, v12, v32
	v_lshlrev_b32_e32 v13, 31, v37
	v_or_b32_e32 v32, 0x33000000, v13
	v_add_lshl_u32 v14, v14, v31, 23
	v_lshrrev_b32_e32 v12, 9, v12
	v_sub_u32_e32 v14, v32, v14
	v_or_b32_e32 v13, 0.5, v13
	v_lshlrev_b32_e32 v31, 23, v31
	v_or_b32_e32 v12, v14, v12
	v_lshrrev_b32_e32 v14, 9, v34
	v_sub_u32_e32 v13, v13, v31
	v_or_b32_e32 v13, v14, v13
	v_mul_f32_e32 v14, 0x3fc90fda, v13
	v_fma_f32 v31, v13, s35, -v14
	v_fmac_f32_e32 v31, 0x33a22168, v13
	v_fmac_f32_e32 v31, 0x3fc90fda, v12
	v_lshrrev_b32_e32 v12, 30, v33
	v_add_f32_e32 v13, v14, v31
	v_add_u32_e32 v12, v38, v12
.LBB162_285:                            ;   in Loop: Header=BB162_180 Depth=1
	s_or_saveexec_b64 s[0:1], s[18:19]
	v_mul_f32_e64 v14, |v3|, s36
	v_rndne_f32_e32 v32, v14
	s_xor_b64 exec, exec, s[0:1]
; %bb.286:                              ;   in Loop: Header=BB162_180 Depth=1
	v_cvt_i32_f32_e32 v12, v32
	v_fma_f32 v13, v32, s37, |v3|
	v_fmac_f32_e32 v13, 0xb3a22168, v32
	v_fmac_f32_e32 v13, 0xa7c234c4, v32
; %bb.287:                              ;   in Loop: Header=BB162_180 Depth=1
	s_or_b64 exec, exec, s[0:1]
                                        ; implicit-def: $vgpr14
                                        ; implicit-def: $vgpr31
	s_and_saveexec_b64 s[0:1], s[16:17]
	s_xor_b64 s[16:17], exec, s[0:1]
	s_cbranch_execz .LBB162_289
; %bb.288:                              ;   in Loop: Header=BB162_180 Depth=1
	v_mad_u64_u32 v[31:32], s[0:1], v11, s27, 0
	v_cmp_lt_u32_e32 vcc, 63, v30
	v_mov_b32_e32 v14, v32
	v_mad_u64_u32 v[32:33], s[0:1], v11, s28, v[14:15]
	v_mov_b32_e32 v14, v33
	v_mad_u64_u32 v[33:34], s[0:1], v11, s29, v[14:15]
	;; [unrolled: 2-line block ×3, first 2 shown]
	v_cndmask_b32_e32 v14, 0, v26, vcc
	v_add_u32_e32 v30, v14, v30
	v_mov_b32_e32 v14, v35
	v_mad_u64_u32 v[35:36], s[0:1], v11, s31, v[14:15]
	v_cmp_lt_u32_e64 s[0:1], 31, v30
	v_cndmask_b32_e64 v14, 0, v27, s[0:1]
	v_add_u32_e32 v30, v14, v30
	v_mov_b32_e32 v14, v36
	v_mad_u64_u32 v[36:37], s[2:3], v11, s33, v[14:15]
	v_cmp_lt_u32_e64 s[2:3], 31, v30
	v_cndmask_b32_e64 v14, 0, v27, s[2:3]
	v_add_u32_e32 v30, v14, v30
	v_mov_b32_e32 v14, v37
	v_mad_u64_u32 v[37:38], s[4:5], v11, s34, v[14:15]
	v_cndmask_b32_e32 v11, v35, v33, vcc
	v_cndmask_b32_e32 v14, v36, v34, vcc
	;; [unrolled: 1-line block ×4, first 2 shown]
	v_cndmask_b32_e64 v39, v14, v11, s[0:1]
	v_cndmask_b32_e64 v14, v35, v14, s[0:1]
	;; [unrolled: 1-line block ×3, first 2 shown]
	v_cndmask_b32_e32 v32, v34, v32, vcc
	v_cndmask_b32_e64 v35, v35, v14, s[2:3]
	v_cndmask_b32_e64 v14, v14, v39, s[2:3]
	v_sub_u32_e32 v36, 32, v30
	v_cndmask_b32_e64 v11, v11, v32, s[0:1]
	v_alignbit_b32 v37, v35, v14, v36
	v_cmp_eq_u32_e64 s[4:5], 0, v30
	v_cndmask_b32_e64 v34, v39, v11, s[2:3]
	v_cndmask_b32_e64 v30, v37, v35, s[4:5]
	v_alignbit_b32 v35, v14, v34, v36
	v_cndmask_b32_e32 v31, v33, v31, vcc
	v_cndmask_b32_e64 v14, v35, v14, s[4:5]
	v_bfe_u32 v38, v30, 29, 1
	v_cndmask_b32_e64 v31, v32, v31, s[0:1]
	v_alignbit_b32 v35, v30, v14, 30
	v_sub_u32_e32 v39, 0, v38
	v_cndmask_b32_e64 v11, v11, v31, s[2:3]
	v_xor_b32_e32 v35, v35, v39
	v_alignbit_b32 v31, v34, v11, v36
	v_cndmask_b32_e64 v31, v31, v34, s[4:5]
	v_ffbh_u32_e32 v32, v35
	v_alignbit_b32 v14, v14, v31, 30
	v_min_u32_e32 v32, 32, v32
	v_alignbit_b32 v11, v31, v11, 30
	v_xor_b32_e32 v14, v14, v39
	v_sub_u32_e32 v33, 31, v32
	v_xor_b32_e32 v11, v11, v39
	v_alignbit_b32 v34, v35, v14, v33
	v_alignbit_b32 v11, v14, v11, v33
	;; [unrolled: 1-line block ×3, first 2 shown]
	v_ffbh_u32_e32 v31, v14
	v_min_u32_e32 v31, 32, v31
	v_lshrrev_b32_e32 v37, 29, v30
	v_not_b32_e32 v33, v31
	v_alignbit_b32 v11, v14, v11, v33
	v_lshlrev_b32_e32 v14, 31, v37
	v_or_b32_e32 v33, 0x33000000, v14
	v_add_lshl_u32 v31, v31, v32, 23
	v_lshrrev_b32_e32 v11, 9, v11
	v_sub_u32_e32 v31, v33, v31
	v_or_b32_e32 v14, 0.5, v14
	v_lshlrev_b32_e32 v32, 23, v32
	v_or_b32_e32 v11, v31, v11
	v_lshrrev_b32_e32 v31, 9, v34
	v_sub_u32_e32 v14, v14, v32
	v_or_b32_e32 v14, v31, v14
	v_mul_f32_e32 v31, 0x3fc90fda, v14
	v_fma_f32 v32, v14, s35, -v31
	v_fmac_f32_e32 v32, 0x33a22168, v14
	v_fmac_f32_e32 v32, 0x3fc90fda, v11
	v_lshrrev_b32_e32 v11, 30, v30
	v_add_f32_e32 v31, v31, v32
	v_add_u32_e32 v14, v38, v11
                                        ; implicit-def: $vgpr32
	s_andn2_saveexec_b64 s[0:1], s[16:17]
	s_cbranch_execnz .LBB162_290
	s_branch .LBB162_291
.LBB162_289:                            ;   in Loop: Header=BB162_180 Depth=1
	s_andn2_saveexec_b64 s[0:1], s[16:17]
.LBB162_290:                            ;   in Loop: Header=BB162_180 Depth=1
	v_cvt_i32_f32_e32 v14, v32
	v_fma_f32 v31, v32, s37, |v3|
	v_fmac_f32_e32 v31, 0xb3a22168, v32
	v_fmac_f32_e32 v31, 0xa7c234c4, v32
.LBB162_291:                            ;   in Loop: Header=BB162_180 Depth=1
	s_or_b64 exec, exec, s[0:1]
	v_mul_f32_e32 v11, v13, v13
	v_mov_b32_e32 v30, 0x3c0881c4
	v_fmac_f32_e32 v30, 0xb94c1982, v11
	v_fma_f32 v30, v11, v30, v23
	v_mul_f32_e32 v30, v11, v30
	v_fmac_f32_e32 v13, v13, v30
	v_mov_b32_e32 v30, 0xbab64f3b
	v_fmac_f32_e32 v30, 0x37d75334, v11
	v_fma_f32 v30, v11, v30, v24
	v_fma_f32 v30, v11, v30, v25
	v_fma_f32 v11, v11, v30, 1.0
	v_and_b32_e32 v30, 1, v12
	v_lshlrev_b32_e32 v12, 30, v12
	v_cmp_eq_u32_e32 vcc, 0, v30
	v_and_b32_e32 v12, 0x80000000, v12
	v_cndmask_b32_e32 v11, v11, v13, vcc
	v_xor_b32_e32 v10, v10, v12
	v_xor_b32_e32 v10, v10, v11
	v_mul_f32_e32 v11, v31, v31
	v_mov_b32_e32 v12, 0x3c0881c4
	v_fmac_f32_e32 v12, 0xb94c1982, v11
	v_fma_f32 v12, v11, v12, v23
	v_mul_f32_e32 v12, v11, v12
	v_fmac_f32_e32 v31, v31, v12
	v_mov_b32_e32 v12, 0xbab64f3b
	v_fmac_f32_e32 v12, 0x37d75334, v11
	v_fma_f32 v12, v11, v12, v24
	v_fma_f32 v12, v11, v12, v25
	v_fma_f32 v11, v11, v12, 1.0
	v_and_b32_e32 v12, 1, v14
	v_cmp_eq_u32_e32 vcc, 0, v12
	v_lshlrev_b32_e32 v12, 30, v14
	v_cndmask_b32_e64 v11, -v31, v11, vcc
	v_and_b32_e32 v12, 0x80000000, v12
	v_xor_b32_e32 v10, v10, v3
	v_xor_b32_e32 v11, v12, v11
	v_mul_f32_e32 v10, v10, v11
	v_cmp_class_f32_e64 vcc, v3, s24
	v_cndmask_b32_e32 v3, v29, v10, vcc
.LBB162_292:                            ;   in Loop: Header=BB162_180 Depth=1
	s_or_b64 exec, exec, s[14:15]
	v_add_u32_e32 v2, -2.0, v2
	v_bfi_b32 v11, s22, 0, v3
.LBB162_293:                            ;   in Loop: Header=BB162_180 Depth=1
	s_or_b64 exec, exec, s[12:13]
	v_mov_b32_e32 v10, v2
.LBB162_294:                            ;   in Loop: Header=BB162_180 Depth=1
	s_or_b64 exec, exec, s[10:11]
	v_and_b32_e32 v3, 0x7fffffff, v4
	v_cmp_gt_u32_e32 vcc, s23, v3
	s_and_saveexec_b64 s[0:1], vcc
	s_xor_b64 s[10:11], exec, s[0:1]
	s_cbranch_execz .LBB162_316
; %bb.295:                              ;   in Loop: Header=BB162_180 Depth=1
	v_cmp_class_f32_e64 s[0:1], v5, s24
	s_and_saveexec_b64 s[2:3], s[0:1]
	s_xor_b64 s[12:13], exec, s[2:3]
	s_cbranch_execz .LBB162_313
; %bb.296:                              ;   in Loop: Header=BB162_180 Depth=1
	v_and_b32_e32 v2, 0x7fffffff, v5
	v_cmp_gt_u32_e32 vcc, s25, v3
	s_and_saveexec_b64 s[0:1], vcc
	s_xor_b64 s[14:15], exec, s[0:1]
	s_cbranch_execz .LBB162_302
; %bb.297:                              ;   in Loop: Header=BB162_180 Depth=1
	v_cmp_nlt_f32_e64 s[0:1], |v5|, s26
                                        ; implicit-def: $vgpr12
                                        ; implicit-def: $vgpr3
	s_and_saveexec_b64 s[2:3], s[0:1]
	s_xor_b64 s[16:17], exec, s[2:3]
	s_cbranch_execz .LBB162_299
; %bb.298:                              ;   in Loop: Header=BB162_180 Depth=1
	v_and_b32_e32 v3, 0x7fffff, v2
	v_or_b32_e32 v3, 0x800000, v3
	v_mad_u64_u32 v[12:13], s[0:1], v3, s27, 0
	v_mov_b32_e32 v14, v13
	v_mad_u64_u32 v[13:14], s[0:1], v3, s28, v[14:15]
	v_mad_u64_u32 v[30:31], s[0:1], v3, s29, v[14:15]
	v_mov_b32_e32 v14, v31
	v_mad_u64_u32 v[31:32], s[0:1], v3, s30, v[14:15]
	v_lshrrev_b32_e32 v14, 23, v2
	v_add_u32_e32 v34, 0xffffff88, v14
	v_mov_b32_e32 v14, v32
	v_mad_u64_u32 v[32:33], s[0:1], v3, s31, v[14:15]
	v_cmp_lt_u32_e32 vcc, 63, v34
	v_cndmask_b32_e32 v14, 0, v26, vcc
	v_add_u32_e32 v35, v14, v34
	v_mov_b32_e32 v14, v33
	v_mad_u64_u32 v[33:34], s[0:1], v3, s33, v[14:15]
	v_cmp_lt_u32_e64 s[0:1], 31, v35
	v_cndmask_b32_e64 v14, 0, v27, s[0:1]
	v_add_u32_e32 v36, v14, v35
	v_mov_b32_e32 v14, v34
	v_mad_u64_u32 v[34:35], s[2:3], v3, s34, v[14:15]
	v_cmp_lt_u32_e64 s[2:3], 31, v36
	v_cndmask_b32_e64 v3, 0, v27, s[2:3]
	v_cndmask_b32_e32 v14, v33, v31, vcc
	v_cndmask_b32_e32 v34, v34, v32, vcc
	;; [unrolled: 1-line block ×4, first 2 shown]
	v_add_u32_e32 v3, v3, v36
	v_cndmask_b32_e64 v35, v34, v14, s[0:1]
	v_cndmask_b32_e64 v33, v33, v34, s[0:1]
	;; [unrolled: 1-line block ×5, first 2 shown]
	v_sub_u32_e32 v35, 32, v3
	v_cmp_eq_u32_e64 s[4:5], 0, v3
	v_cndmask_b32_e32 v3, v31, v13, vcc
	v_cndmask_b32_e64 v13, v32, v3, s[0:1]
	v_alignbit_b32 v36, v33, v34, v35
	v_cndmask_b32_e64 v14, v14, v13, s[2:3]
	v_cndmask_b32_e64 v33, v36, v33, s[4:5]
	v_alignbit_b32 v31, v34, v14, v35
	v_cndmask_b32_e32 v12, v30, v12, vcc
	v_cndmask_b32_e64 v31, v31, v34, s[4:5]
	v_bfe_u32 v36, v33, 29, 1
	v_cndmask_b32_e64 v3, v3, v12, s[0:1]
	v_alignbit_b32 v32, v33, v31, 30
	v_sub_u32_e32 v37, 0, v36
	v_cndmask_b32_e64 v3, v13, v3, s[2:3]
	v_xor_b32_e32 v32, v32, v37
	v_alignbit_b32 v12, v14, v3, v35
	v_cndmask_b32_e64 v12, v12, v14, s[4:5]
	v_ffbh_u32_e32 v14, v32
	v_alignbit_b32 v13, v31, v12, 30
	v_min_u32_e32 v14, 32, v14
	v_alignbit_b32 v3, v12, v3, 30
	v_xor_b32_e32 v13, v13, v37
	v_sub_u32_e32 v30, 31, v14
	v_xor_b32_e32 v3, v3, v37
	v_alignbit_b32 v31, v32, v13, v30
	v_alignbit_b32 v3, v13, v3, v30
	;; [unrolled: 1-line block ×3, first 2 shown]
	v_ffbh_u32_e32 v13, v12
	v_min_u32_e32 v13, 32, v13
	v_lshrrev_b32_e32 v34, 29, v33
	v_not_b32_e32 v30, v13
	v_alignbit_b32 v3, v12, v3, v30
	v_lshlrev_b32_e32 v12, 31, v34
	v_or_b32_e32 v30, 0x33000000, v12
	v_add_lshl_u32 v13, v13, v14, 23
	v_lshrrev_b32_e32 v3, 9, v3
	v_sub_u32_e32 v13, v30, v13
	v_or_b32_e32 v12, 0.5, v12
	v_lshlrev_b32_e32 v14, 23, v14
	v_or_b32_e32 v3, v13, v3
	v_lshrrev_b32_e32 v13, 9, v31
	v_sub_u32_e32 v12, v12, v14
	v_or_b32_e32 v12, v13, v12
	v_mul_f32_e32 v13, 0x3fc90fda, v12
	v_fma_f32 v14, v12, s35, -v13
	v_fmac_f32_e32 v14, 0x33a22168, v12
	v_fmac_f32_e32 v14, 0x3fc90fda, v3
	v_lshrrev_b32_e32 v12, 30, v33
	v_add_f32_e32 v3, v13, v14
	v_add_u32_e32 v12, v36, v12
.LBB162_299:                            ;   in Loop: Header=BB162_180 Depth=1
	s_andn2_saveexec_b64 s[0:1], s[16:17]
; %bb.300:                              ;   in Loop: Header=BB162_180 Depth=1
	v_mul_f32_e64 v3, |v5|, s36
	v_rndne_f32_e32 v13, v3
	v_cvt_i32_f32_e32 v12, v13
	v_fma_f32 v3, v13, s37, |v5|
	v_fmac_f32_e32 v3, 0xb3a22168, v13
	v_fmac_f32_e32 v3, 0xa7c234c4, v13
; %bb.301:                              ;   in Loop: Header=BB162_180 Depth=1
	s_or_b64 exec, exec, s[0:1]
	v_mul_f32_e32 v13, v3, v3
	v_mov_b32_e32 v14, 0xbf039337
	v_fmac_f32_e32 v14, 0x3c971480, v13
	v_fma_f32 v14, v13, v14, v18
	v_rcp_f32_e32 v14, v14
	v_mov_b32_e32 v30, 0x3ec54587
	v_fmac_f32_e32 v30, 0xbc8cedd3, v13
	v_and_b32_e32 v12, 1, v12
	v_mul_f32_e32 v14, v30, v14
	v_mul_f32_e32 v13, v13, v14
	v_fma_f32 v14, v13, v3, v3
	v_rcp_f32_e32 v30, v14
	v_sub_f32_e32 v31, v14, v3
	v_fma_f32 v3, v13, v3, -v31
	v_cmp_eq_u32_e32 vcc, 0, v12
	v_fma_f32 v13, v14, -v30, 1.0
	v_fma_f32 v3, v3, -v30, v13
	v_add_f32_e64 v12, |v4|, s38
	v_fma_f32 v3, v3, -v30, -v30
	v_sub_f32_e64 v13, v12, |v4|
	v_cndmask_b32_e32 v3, v3, v14, vcc
	v_sub_f32_e32 v14, v13, v12
	v_add_f32_e64 v14, |v4|, v14
	v_add_f32_e32 v13, 0x3f317218, v13
	v_sub_f32_e32 v13, v14, v13
	v_add_f32_e32 v13, 0x3102e308, v13
	v_add_f32_e32 v14, v12, v13
	v_sub_f32_e32 v12, v12, v14
	v_add_f32_e32 v12, v13, v12
	v_mul_f32_e32 v13, 0x3fb8aa3b, v14
	v_rndne_f32_e32 v13, v13
	v_fmac_f32_e32 v14, 0xbf317200, v13
	v_add_f32_e32 v30, v12, v14
	v_sub_f32_e32 v14, v14, v30
	v_add_f32_e32 v12, v12, v14
	v_mul_f32_e32 v14, 0x35bfbc00, v13
	v_sub_f32_e32 v31, v30, v14
	v_sub_f32_e32 v30, v30, v31
	;; [unrolled: 1-line block ×3, first 2 shown]
	v_add_f32_e32 v12, v12, v14
	v_add_f32_e32 v14, v31, v12
	v_sub_f32_e32 v30, v31, v14
	v_add_f32_e32 v12, v12, v30
	v_mul_f32_e32 v30, 0x2ea39ef3, v13
	v_sub_f32_e32 v31, v14, v30
	v_sub_f32_e32 v14, v14, v31
	;; [unrolled: 1-line block ×3, first 2 shown]
	v_add_f32_e32 v12, v12, v14
	v_add_f32_e32 v14, v31, v12
	v_sub_f32_e32 v31, v31, v14
	v_mov_b32_e32 v30, 0x3c091de6
	v_add_f32_e32 v12, v12, v31
	v_mul_f32_e32 v32, v14, v14
	v_fmac_f32_e32 v30, 0x3ab42872, v14
	v_add_f32_e32 v31, v12, v12
	v_fma_f32 v33, v14, v14, -v32
	v_fma_f32 v30, v14, v30, v19
	v_fmac_f32_e32 v33, v14, v31
	v_fma_f32 v30, v14, v30, v20
	v_add_f32_e32 v31, v32, v33
	v_fma_f32 v30, v14, v30, v21
	v_sub_f32_e32 v32, v31, v32
	v_sub_f32_e32 v32, v33, v32
	v_mul_f32_e32 v33, v30, v31
	v_fma_f32 v31, v31, v30, -v33
	v_fmac_f32_e32 v31, v32, v30
	v_add_f32_e32 v30, v33, v31
	v_sub_f32_e32 v32, v30, v33
	v_sub_f32_e32 v31, v31, v32
	v_add_f32_e32 v32, v14, v30
	v_sub_f32_e32 v14, v32, v14
	v_sub_f32_e32 v14, v30, v14
	v_add_f32_e32 v12, v12, v31
	v_add_f32_e32 v12, v12, v14
	;; [unrolled: 1-line block ×3, first 2 shown]
	v_sub_f32_e32 v30, v14, v32
	v_sub_f32_e32 v12, v12, v30
	v_add_f32_e32 v30, 1.0, v14
	v_add_f32_e32 v31, -1.0, v30
	v_cvt_i32_f32_e32 v13, v13
	v_sub_f32_e32 v14, v14, v31
	v_add_f32_e32 v12, v12, v14
	v_add_f32_e32 v14, v30, v12
	v_ldexp_f32 v31, v14, v13
	v_rcp_f32_e32 v32, v31
	v_sub_f32_e32 v14, v14, v30
	v_sub_f32_e32 v12, v12, v14
	v_ldexp_f32 v12, v12, v13
	v_mul_f32_e32 v13, v31, v32
	v_fma_f32 v14, v32, v31, -v13
	v_fmac_f32_e32 v14, v32, v12
	v_add_f32_e32 v30, v13, v14
	v_sub_f32_e32 v33, 1.0, v30
	v_sub_f32_e32 v34, 1.0, v33
	v_sub_f32_e32 v13, v30, v13
	v_sub_f32_e32 v34, v34, v30
	;; [unrolled: 1-line block ×3, first 2 shown]
	v_add_f32_e32 v13, v13, v34
	v_add_f32_e32 v14, v33, v13
	v_mul_f32_e32 v30, v32, v14
	v_mul_f32_e32 v34, v31, v30
	v_fma_f32 v35, v30, v31, -v34
	v_fmac_f32_e32 v35, v30, v12
	v_sub_f32_e32 v33, v33, v14
	v_add_f32_e32 v13, v13, v33
	v_add_f32_e32 v33, v34, v35
	v_sub_f32_e32 v36, v14, v33
	v_sub_f32_e32 v14, v14, v36
	;; [unrolled: 1-line block ×4, first 2 shown]
	v_add_f32_e32 v13, v13, v14
	v_sub_f32_e32 v14, v34, v35
	v_add_f32_e32 v13, v14, v13
	v_add_f32_e32 v13, v36, v13
	;; [unrolled: 1-line block ×3, first 2 shown]
	v_mul_f32_e32 v13, v32, v13
	v_sub_f32_e32 v32, v14, v32
	v_sub_f32_e32 v30, v30, v32
	v_add_f32_e32 v13, v30, v13
	v_add_f32_e32 v30, v14, v13
	v_sub_f32_e32 v14, v30, v14
	v_sub_f32_e32 v13, v13, v14
	v_ldexp_f32 v14, v30, -2
	v_sub_f32_e32 v30, v31, v14
	v_sub_f32_e32 v31, v31, v30
	;; [unrolled: 1-line block ×3, first 2 shown]
	v_ldexp_f32 v13, v13, -2
	v_add_f32_e32 v12, v12, v14
	v_sub_f32_e32 v12, v12, v13
	v_add_f32_e32 v12, v30, v12
	v_cmp_ngt_f32_e64 vcc, |v4|, s39
	v_cndmask_b32_e32 v12, v28, v12, vcc
	v_cmp_lt_f32_e64 s[0:1], |v4|, s40
	v_cndmask_b32_e64 v12, v12, |v4|, s[0:1]
	v_bfi_b32 v4, s22, v12, v4
	v_fma_f32 v12, v4, v4, 1.0
	v_mul_f32_e32 v13, 0x4f800000, v12
	v_cmp_gt_f32_e32 vcc, s41, v12
	v_cndmask_b32_e32 v12, v12, v13, vcc
	v_sqrt_f32_e32 v13, v12
	v_xor_b32_e32 v2, v2, v3
	v_xor_b32_e32 v2, v2, v5
	v_fma_f32 v3, v2, v2, 1.0
	v_add_u32_e32 v5, -1, v13
	v_fma_f32 v14, -v5, v13, v12
	v_cmp_ge_f32_e64 s[0:1], 0, v14
	v_add_u32_e32 v14, 1, v13
	v_cndmask_b32_e64 v5, v13, v5, s[0:1]
	v_fma_f32 v13, -v14, v13, v12
	v_cmp_lt_f32_e64 s[0:1], 0, v13
	v_cndmask_b32_e64 v5, v5, v14, s[0:1]
	v_mul_f32_e32 v13, 0x37800000, v5
	v_cndmask_b32_e32 v5, v5, v13, vcc
	v_cmp_class_f32_e32 vcc, v12, v22
	v_cndmask_b32_e32 v5, v5, v12, vcc
	v_mul_f32_e32 v12, v4, v3
	v_mul_f32_e32 v3, v5, v3
	v_fma_f32 v13, v4, v12, 1.0
	v_mul_f32_e32 v3, v4, v3
	v_div_scale_f32 v4, s[0:1], v13, v13, v3
	v_div_scale_f32 v5, vcc, v3, v13, v3
	v_div_scale_f32 v12, s[0:1], v13, v13, v2
	v_div_scale_f32 v14, s[0:1], v2, v13, v2
	v_rcp_f32_e32 v30, v4
	v_fma_f32 v31, -v4, v30, 1.0
	v_fmac_f32_e32 v30, v31, v30
	v_mul_f32_e32 v31, v5, v30
	v_fma_f32 v32, -v4, v31, v5
	v_fmac_f32_e32 v31, v32, v30
	v_rcp_f32_e32 v32, v12
	v_fma_f32 v4, -v4, v31, v5
	v_div_fmas_f32 v4, v4, v30, v31
	s_mov_b64 vcc, s[0:1]
	v_fma_f32 v5, -v12, v32, 1.0
	v_fmac_f32_e32 v32, v5, v32
	v_mul_f32_e32 v5, v14, v32
	v_fma_f32 v30, -v12, v5, v14
	v_fmac_f32_e32 v5, v30, v32
	v_fma_f32 v12, -v12, v5, v14
	v_div_fmas_f32 v5, v12, v32, v5
	v_div_fixup_f32 v12, v4, v13, v3
	v_div_fixup_f32 v13, v5, v13, v2
                                        ; implicit-def: $vgpr2_vgpr3_vgpr4_vgpr5
                                        ; implicit-def: $vgpr2
.LBB162_302:                            ;   in Loop: Header=BB162_180 Depth=1
	s_andn2_saveexec_b64 s[14:15], s[14:15]
	s_cbranch_execz .LBB162_312
; %bb.303:                              ;   in Loop: Header=BB162_180 Depth=1
	v_lshrrev_b32_e32 v3, 23, v2
	v_and_b32_e32 v12, 0x7fffff, v2
	v_cmp_nlt_f32_e64 s[16:17], |v5|, s26
	v_add_u32_e32 v30, 0xffffff88, v3
	v_or_b32_e32 v3, 0x800000, v12
                                        ; implicit-def: $vgpr12
                                        ; implicit-def: $vgpr13
	s_and_saveexec_b64 s[0:1], s[16:17]
	s_xor_b64 s[18:19], exec, s[0:1]
	s_cbranch_execz .LBB162_305
; %bb.304:                              ;   in Loop: Header=BB162_180 Depth=1
	v_mad_u64_u32 v[12:13], s[0:1], v3, s27, 0
	v_cmp_lt_u32_e32 vcc, 63, v30
	v_mov_b32_e32 v14, v13
	v_mad_u64_u32 v[13:14], s[0:1], v3, s28, v[14:15]
	v_mad_u64_u32 v[31:32], s[0:1], v3, s29, v[14:15]
	v_mov_b32_e32 v14, v32
	v_mad_u64_u32 v[32:33], s[0:1], v3, s30, v[14:15]
	v_cndmask_b32_e32 v14, 0, v26, vcc
	v_add_u32_e32 v35, v14, v30
	v_mov_b32_e32 v14, v33
	v_mad_u64_u32 v[33:34], s[0:1], v3, s31, v[14:15]
	v_cmp_lt_u32_e64 s[0:1], 31, v35
	v_cndmask_b32_e64 v14, 0, v27, s[0:1]
	v_add_u32_e32 v36, v14, v35
	v_mov_b32_e32 v14, v34
	v_mad_u64_u32 v[34:35], s[2:3], v3, s33, v[14:15]
	v_cmp_lt_u32_e64 s[2:3], 31, v36
	v_cndmask_b32_e64 v14, 0, v27, s[2:3]
	v_add_u32_e32 v37, v14, v36
	v_mov_b32_e32 v14, v35
	v_mad_u64_u32 v[35:36], s[4:5], v3, s34, v[14:15]
	v_cndmask_b32_e32 v14, v33, v31, vcc
	v_cndmask_b32_e32 v38, v34, v32, vcc
	;; [unrolled: 1-line block ×4, first 2 shown]
	v_cndmask_b32_e64 v39, v38, v14, s[0:1]
	v_cndmask_b32_e64 v35, v33, v38, s[0:1]
	;; [unrolled: 1-line block ×3, first 2 shown]
	v_cndmask_b32_e32 v13, v32, v13, vcc
	v_cndmask_b32_e64 v33, v33, v35, s[2:3]
	v_cndmask_b32_e64 v34, v35, v39, s[2:3]
	v_sub_u32_e32 v35, 32, v37
	v_cndmask_b32_e64 v14, v14, v13, s[0:1]
	v_alignbit_b32 v36, v33, v34, v35
	v_cmp_eq_u32_e64 s[4:5], 0, v37
	v_cndmask_b32_e64 v32, v39, v14, s[2:3]
	v_cndmask_b32_e64 v33, v36, v33, s[4:5]
	v_alignbit_b32 v36, v34, v32, v35
	v_cndmask_b32_e32 v12, v31, v12, vcc
	v_cndmask_b32_e64 v34, v36, v34, s[4:5]
	v_bfe_u32 v38, v33, 29, 1
	v_cndmask_b32_e64 v12, v13, v12, s[0:1]
	v_alignbit_b32 v36, v33, v34, 30
	v_sub_u32_e32 v39, 0, v38
	v_cndmask_b32_e64 v12, v14, v12, s[2:3]
	v_xor_b32_e32 v36, v36, v39
	v_alignbit_b32 v13, v32, v12, v35
	v_cndmask_b32_e64 v13, v13, v32, s[4:5]
	v_ffbh_u32_e32 v31, v36
	v_alignbit_b32 v14, v34, v13, 30
	v_min_u32_e32 v31, 32, v31
	v_alignbit_b32 v12, v13, v12, 30
	v_xor_b32_e32 v14, v14, v39
	v_sub_u32_e32 v32, 31, v31
	v_xor_b32_e32 v12, v12, v39
	v_alignbit_b32 v34, v36, v14, v32
	v_alignbit_b32 v12, v14, v12, v32
	;; [unrolled: 1-line block ×3, first 2 shown]
	v_ffbh_u32_e32 v14, v13
	v_min_u32_e32 v14, 32, v14
	v_lshrrev_b32_e32 v37, 29, v33
	v_not_b32_e32 v32, v14
	v_alignbit_b32 v12, v13, v12, v32
	v_lshlrev_b32_e32 v13, 31, v37
	v_or_b32_e32 v32, 0x33000000, v13
	v_add_lshl_u32 v14, v14, v31, 23
	v_lshrrev_b32_e32 v12, 9, v12
	v_sub_u32_e32 v14, v32, v14
	v_or_b32_e32 v13, 0.5, v13
	v_lshlrev_b32_e32 v31, 23, v31
	v_or_b32_e32 v12, v14, v12
	v_lshrrev_b32_e32 v14, 9, v34
	v_sub_u32_e32 v13, v13, v31
	v_or_b32_e32 v13, v14, v13
	v_mul_f32_e32 v14, 0x3fc90fda, v13
	v_fma_f32 v31, v13, s35, -v14
	v_fmac_f32_e32 v31, 0x33a22168, v13
	v_fmac_f32_e32 v31, 0x3fc90fda, v12
	v_lshrrev_b32_e32 v12, 30, v33
	v_add_f32_e32 v13, v14, v31
	v_add_u32_e32 v12, v38, v12
	s_andn2_saveexec_b64 s[0:1], s[18:19]
	s_branch .LBB162_306
.LBB162_305:                            ;   in Loop: Header=BB162_180 Depth=1
	s_andn2_saveexec_b64 s[0:1], s[18:19]
.LBB162_306:                            ;   in Loop: Header=BB162_180 Depth=1
	v_mul_f32_e64 v12, |v5|, s36
	v_rndne_f32_e32 v14, v12
	v_cvt_i32_f32_e32 v12, v14
	v_fma_f32 v13, v14, s37, |v5|
	v_fmac_f32_e32 v13, 0xb3a22168, v14
	v_fmac_f32_e32 v13, 0xa7c234c4, v14
; %bb.307:                              ;   in Loop: Header=BB162_180 Depth=1
	s_or_b64 exec, exec, s[0:1]
                                        ; implicit-def: $vgpr14
                                        ; implicit-def: $vgpr31
	s_and_saveexec_b64 s[0:1], s[16:17]
	s_xor_b64 s[16:17], exec, s[0:1]
	s_cbranch_execz .LBB162_309
; %bb.308:                              ;   in Loop: Header=BB162_180 Depth=1
	v_mad_u64_u32 v[31:32], s[0:1], v3, s27, 0
	v_cmp_lt_u32_e32 vcc, 63, v30
	v_mov_b32_e32 v14, v32
	v_mad_u64_u32 v[32:33], s[0:1], v3, s28, v[14:15]
	v_mov_b32_e32 v14, v33
	v_mad_u64_u32 v[33:34], s[0:1], v3, s29, v[14:15]
	;; [unrolled: 2-line block ×3, first 2 shown]
	v_cndmask_b32_e32 v14, 0, v26, vcc
	v_add_u32_e32 v30, v14, v30
	v_mov_b32_e32 v14, v35
	v_mad_u64_u32 v[35:36], s[0:1], v3, s31, v[14:15]
	v_cmp_lt_u32_e64 s[0:1], 31, v30
	v_cndmask_b32_e64 v14, 0, v27, s[0:1]
	v_add_u32_e32 v30, v14, v30
	v_mov_b32_e32 v14, v36
	v_mad_u64_u32 v[36:37], s[2:3], v3, s33, v[14:15]
	v_cmp_lt_u32_e64 s[2:3], 31, v30
	v_cndmask_b32_e64 v14, 0, v27, s[2:3]
	v_add_u32_e32 v30, v14, v30
	v_mov_b32_e32 v14, v37
	v_mad_u64_u32 v[37:38], s[4:5], v3, s34, v[14:15]
	v_cndmask_b32_e32 v3, v35, v33, vcc
	v_cndmask_b32_e32 v14, v36, v34, vcc
	;; [unrolled: 1-line block ×4, first 2 shown]
	v_cndmask_b32_e64 v39, v14, v3, s[0:1]
	v_cndmask_b32_e64 v14, v35, v14, s[0:1]
	;; [unrolled: 1-line block ×3, first 2 shown]
	v_cndmask_b32_e32 v32, v34, v32, vcc
	v_cndmask_b32_e64 v35, v35, v14, s[2:3]
	v_cndmask_b32_e64 v14, v14, v39, s[2:3]
	v_sub_u32_e32 v36, 32, v30
	v_cndmask_b32_e64 v3, v3, v32, s[0:1]
	v_alignbit_b32 v37, v35, v14, v36
	v_cmp_eq_u32_e64 s[4:5], 0, v30
	v_cndmask_b32_e64 v34, v39, v3, s[2:3]
	v_cndmask_b32_e64 v30, v37, v35, s[4:5]
	v_alignbit_b32 v35, v14, v34, v36
	v_cndmask_b32_e32 v31, v33, v31, vcc
	v_cndmask_b32_e64 v14, v35, v14, s[4:5]
	v_bfe_u32 v38, v30, 29, 1
	v_cndmask_b32_e64 v31, v32, v31, s[0:1]
	v_alignbit_b32 v35, v30, v14, 30
	v_sub_u32_e32 v39, 0, v38
	v_cndmask_b32_e64 v3, v3, v31, s[2:3]
	v_xor_b32_e32 v35, v35, v39
	v_alignbit_b32 v31, v34, v3, v36
	v_cndmask_b32_e64 v31, v31, v34, s[4:5]
	v_ffbh_u32_e32 v32, v35
	v_alignbit_b32 v14, v14, v31, 30
	v_min_u32_e32 v32, 32, v32
	v_alignbit_b32 v3, v31, v3, 30
	v_xor_b32_e32 v14, v14, v39
	v_sub_u32_e32 v33, 31, v32
	v_xor_b32_e32 v3, v3, v39
	v_alignbit_b32 v34, v35, v14, v33
	v_alignbit_b32 v3, v14, v3, v33
	;; [unrolled: 1-line block ×3, first 2 shown]
	v_ffbh_u32_e32 v31, v14
	v_min_u32_e32 v31, 32, v31
	v_lshrrev_b32_e32 v37, 29, v30
	v_not_b32_e32 v33, v31
	v_alignbit_b32 v3, v14, v3, v33
	v_lshlrev_b32_e32 v14, 31, v37
	v_or_b32_e32 v33, 0x33000000, v14
	v_add_lshl_u32 v31, v31, v32, 23
	v_lshrrev_b32_e32 v3, 9, v3
	v_sub_u32_e32 v31, v33, v31
	v_or_b32_e32 v14, 0.5, v14
	v_lshlrev_b32_e32 v32, 23, v32
	v_or_b32_e32 v3, v31, v3
	v_lshrrev_b32_e32 v31, 9, v34
	v_sub_u32_e32 v14, v14, v32
	v_or_b32_e32 v14, v31, v14
	v_mul_f32_e32 v31, 0x3fc90fda, v14
	v_fma_f32 v32, v14, s35, -v31
	v_fmac_f32_e32 v32, 0x33a22168, v14
	v_fmac_f32_e32 v32, 0x3fc90fda, v3
	v_lshrrev_b32_e32 v3, 30, v30
	v_add_f32_e32 v31, v31, v32
	v_add_u32_e32 v14, v38, v3
	s_andn2_saveexec_b64 s[0:1], s[16:17]
	s_cbranch_execnz .LBB162_310
	s_branch .LBB162_311
.LBB162_309:                            ;   in Loop: Header=BB162_180 Depth=1
	s_andn2_saveexec_b64 s[0:1], s[16:17]
.LBB162_310:                            ;   in Loop: Header=BB162_180 Depth=1
	v_mul_f32_e64 v3, |v5|, s36
	v_rndne_f32_e32 v3, v3
	v_cvt_i32_f32_e32 v14, v3
	v_fma_f32 v31, v3, s37, |v5|
	v_fmac_f32_e32 v31, 0xb3a22168, v3
	v_fmac_f32_e32 v31, 0xa7c234c4, v3
.LBB162_311:                            ;   in Loop: Header=BB162_180 Depth=1
	s_or_b64 exec, exec, s[0:1]
	v_mul_f32_e32 v3, v13, v13
	v_mov_b32_e32 v30, 0x3c0881c4
	v_fmac_f32_e32 v30, 0xb94c1982, v3
	v_fma_f32 v30, v3, v30, v23
	v_mul_f32_e32 v30, v3, v30
	v_fmac_f32_e32 v13, v13, v30
	v_mov_b32_e32 v30, 0xbab64f3b
	v_fmac_f32_e32 v30, 0x37d75334, v3
	v_fma_f32 v30, v3, v30, v24
	v_fma_f32 v30, v3, v30, v25
	v_fma_f32 v3, v3, v30, 1.0
	v_and_b32_e32 v30, 1, v12
	v_lshlrev_b32_e32 v12, 30, v12
	v_and_b32_e32 v12, 0x80000000, v12
	v_cmp_eq_u32_e32 vcc, 0, v30
	v_xor_b32_e32 v2, v2, v12
	v_mul_f32_e64 v12, |v4|, s42
	v_cndmask_b32_e32 v3, v3, v13, vcc
	v_rndne_f32_e32 v13, v12
	v_sub_f32_e32 v30, v12, v13
	v_fma_f32 v12, |v4|, s42, -v12
	v_fma_f32 v12, |v4|, s43, v12
	v_add_f32_e32 v12, v30, v12
	v_exp_f32_e32 v12, v12
	v_cvt_i32_f32_e32 v13, v13
	v_xor_b32_e32 v2, v2, v3
	v_cmp_ngt_f32_e64 vcc, |v4|, s44
	v_xor_b32_e32 v2, v2, v5
	v_ldexp_f32 v3, v12, v13
	v_cndmask_b32_e32 v3, 0, v3, vcc
	v_cmp_nlt_f32_e64 vcc, |v4|, s45
	v_bfi_b32 v12, s22, 1.0, v4
	v_mul_f32_e32 v4, v31, v31
	v_mov_b32_e32 v5, 0x3c0881c4
	v_fmac_f32_e32 v5, 0xb94c1982, v4
	v_fma_f32 v5, v4, v5, v23
	v_mul_f32_e32 v5, v4, v5
	v_fmac_f32_e32 v31, v31, v5
	v_mov_b32_e32 v5, 0xbab64f3b
	v_fmac_f32_e32 v5, 0x37d75334, v4
	v_fma_f32 v5, v4, v5, v24
	v_fma_f32 v5, v4, v5, v25
	v_fma_f32 v4, v4, v5, 1.0
	v_and_b32_e32 v5, 1, v14
	v_cndmask_b32_e32 v3, v28, v3, vcc
	v_cmp_eq_u32_e32 vcc, 0, v5
	v_lshlrev_b32_e32 v5, 30, v14
	v_cndmask_b32_e64 v4, -v31, v4, vcc
	v_and_b32_e32 v5, 0x80000000, v5
	v_mul_f32_e32 v2, 4.0, v2
	v_xor_b32_e32 v4, v5, v4
	v_mul_f32_e32 v2, v2, v4
	v_mul_f32_e32 v2, v3, v2
	;; [unrolled: 1-line block ×3, first 2 shown]
.LBB162_312:                            ;   in Loop: Header=BB162_180 Depth=1
	s_or_b64 exec, exec, s[14:15]
                                        ; implicit-def: $vgpr2_vgpr3_vgpr4_vgpr5
.LBB162_313:                            ;   in Loop: Header=BB162_180 Depth=1
	s_andn2_saveexec_b64 s[0:1], s[12:13]
; %bb.314:                              ;   in Loop: Header=BB162_180 Depth=1
	v_sub_f32_e32 v13, v5, v5
	v_mov_b32_e32 v12, v13
; %bb.315:                              ;   in Loop: Header=BB162_180 Depth=1
	s_or_b64 exec, exec, s[0:1]
                                        ; implicit-def: $vgpr4
.LBB162_316:                            ;   in Loop: Header=BB162_180 Depth=1
	s_andn2_saveexec_b64 s[10:11], s[10:11]
	s_cbranch_execz .LBB162_179
; %bb.317:                              ;   in Loop: Header=BB162_180 Depth=1
	v_and_b32_e32 v2, 0x7fffff, v4
	v_cmp_ne_u32_e32 vcc, 0, v2
	s_and_saveexec_b64 s[0:1], vcc
	s_xor_b64 s[0:1], exec, s[0:1]
; %bb.318:                              ;   in Loop: Header=BB162_180 Depth=1
	v_mul_f32_e32 v2, v4, v5
	v_cmp_eq_f32_e32 vcc, 0, v5
	v_cndmask_b32_e32 v13, v2, v5, vcc
; %bb.319:                              ;   in Loop: Header=BB162_180 Depth=1
	s_andn2_saveexec_b64 s[12:13], s[0:1]
	s_cbranch_execz .LBB162_178
; %bb.320:                              ;   in Loop: Header=BB162_180 Depth=1
	v_cmp_neq_f32_e64 s[0:1], |v5|, s23
	s_and_saveexec_b64 s[14:15], s[0:1]
	s_cbranch_execz .LBB162_177
; %bb.321:                              ;   in Loop: Header=BB162_180 Depth=1
	v_and_b32_e32 v2, 0x7fffffff, v5
	v_lshrrev_b32_e32 v3, 23, v2
	v_and_b32_e32 v12, 0x7fffff, v2
	v_cmp_nlt_f32_e64 s[16:17], |v5|, s26
	v_add_u32_e32 v30, 0xffffff88, v3
	v_or_b32_e32 v3, 0x800000, v12
                                        ; implicit-def: $vgpr12
                                        ; implicit-def: $vgpr13
	s_and_saveexec_b64 s[0:1], s[16:17]
	s_xor_b64 s[18:19], exec, s[0:1]
	s_cbranch_execz .LBB162_323
; %bb.322:                              ;   in Loop: Header=BB162_180 Depth=1
	v_mad_u64_u32 v[12:13], s[0:1], v3, s27, 0
	v_cmp_lt_u32_e32 vcc, 63, v30
	v_mov_b32_e32 v14, v13
	v_mad_u64_u32 v[13:14], s[0:1], v3, s28, v[14:15]
	v_mad_u64_u32 v[31:32], s[0:1], v3, s29, v[14:15]
	v_mov_b32_e32 v14, v32
	v_mad_u64_u32 v[32:33], s[0:1], v3, s30, v[14:15]
	v_cndmask_b32_e32 v14, 0, v26, vcc
	v_add_u32_e32 v35, v14, v30
	v_mov_b32_e32 v14, v33
	v_mad_u64_u32 v[33:34], s[0:1], v3, s31, v[14:15]
	v_cmp_lt_u32_e64 s[0:1], 31, v35
	v_cndmask_b32_e64 v14, 0, v27, s[0:1]
	v_add_u32_e32 v36, v14, v35
	v_mov_b32_e32 v14, v34
	v_mad_u64_u32 v[34:35], s[2:3], v3, s33, v[14:15]
	v_cmp_lt_u32_e64 s[2:3], 31, v36
	v_cndmask_b32_e64 v14, 0, v27, s[2:3]
	v_add_u32_e32 v37, v14, v36
	v_mov_b32_e32 v14, v35
	v_mad_u64_u32 v[35:36], s[4:5], v3, s34, v[14:15]
	v_cndmask_b32_e32 v14, v33, v31, vcc
	v_cndmask_b32_e32 v38, v34, v32, vcc
	;; [unrolled: 1-line block ×4, first 2 shown]
	v_cndmask_b32_e64 v39, v38, v14, s[0:1]
	v_cndmask_b32_e64 v35, v33, v38, s[0:1]
	v_cndmask_b32_e64 v33, v34, v33, s[0:1]
	v_cndmask_b32_e32 v13, v32, v13, vcc
	v_cndmask_b32_e64 v33, v33, v35, s[2:3]
	v_cndmask_b32_e64 v34, v35, v39, s[2:3]
	v_sub_u32_e32 v35, 32, v37
	v_cndmask_b32_e64 v14, v14, v13, s[0:1]
	v_alignbit_b32 v36, v33, v34, v35
	v_cmp_eq_u32_e64 s[4:5], 0, v37
	v_cndmask_b32_e64 v32, v39, v14, s[2:3]
	v_cndmask_b32_e64 v33, v36, v33, s[4:5]
	v_alignbit_b32 v36, v34, v32, v35
	v_cndmask_b32_e32 v12, v31, v12, vcc
	v_cndmask_b32_e64 v34, v36, v34, s[4:5]
	v_bfe_u32 v38, v33, 29, 1
	v_cndmask_b32_e64 v12, v13, v12, s[0:1]
	v_alignbit_b32 v36, v33, v34, 30
	v_sub_u32_e32 v39, 0, v38
	v_cndmask_b32_e64 v12, v14, v12, s[2:3]
	v_xor_b32_e32 v36, v36, v39
	v_alignbit_b32 v13, v32, v12, v35
	v_cndmask_b32_e64 v13, v13, v32, s[4:5]
	v_ffbh_u32_e32 v31, v36
	v_alignbit_b32 v14, v34, v13, 30
	v_min_u32_e32 v31, 32, v31
	v_alignbit_b32 v12, v13, v12, 30
	v_xor_b32_e32 v14, v14, v39
	v_sub_u32_e32 v32, 31, v31
	v_xor_b32_e32 v12, v12, v39
	v_alignbit_b32 v34, v36, v14, v32
	v_alignbit_b32 v12, v14, v12, v32
	;; [unrolled: 1-line block ×3, first 2 shown]
	v_ffbh_u32_e32 v14, v13
	v_min_u32_e32 v14, 32, v14
	v_lshrrev_b32_e32 v37, 29, v33
	v_not_b32_e32 v32, v14
	v_alignbit_b32 v12, v13, v12, v32
	v_lshlrev_b32_e32 v13, 31, v37
	v_or_b32_e32 v32, 0x33000000, v13
	v_add_lshl_u32 v14, v14, v31, 23
	v_lshrrev_b32_e32 v12, 9, v12
	v_sub_u32_e32 v14, v32, v14
	v_or_b32_e32 v13, 0.5, v13
	v_lshlrev_b32_e32 v31, 23, v31
	v_or_b32_e32 v12, v14, v12
	v_lshrrev_b32_e32 v14, 9, v34
	v_sub_u32_e32 v13, v13, v31
	v_or_b32_e32 v13, v14, v13
	v_mul_f32_e32 v14, 0x3fc90fda, v13
	v_fma_f32 v31, v13, s35, -v14
	v_fmac_f32_e32 v31, 0x33a22168, v13
	v_fmac_f32_e32 v31, 0x3fc90fda, v12
	v_lshrrev_b32_e32 v12, 30, v33
	v_add_f32_e32 v13, v14, v31
	v_add_u32_e32 v12, v38, v12
.LBB162_323:                            ;   in Loop: Header=BB162_180 Depth=1
	s_or_saveexec_b64 s[0:1], s[18:19]
	v_mul_f32_e64 v14, |v5|, s36
	v_rndne_f32_e32 v32, v14
	s_xor_b64 exec, exec, s[0:1]
; %bb.324:                              ;   in Loop: Header=BB162_180 Depth=1
	v_cvt_i32_f32_e32 v12, v32
	v_fma_f32 v13, v32, s37, |v5|
	v_fmac_f32_e32 v13, 0xb3a22168, v32
	v_fmac_f32_e32 v13, 0xa7c234c4, v32
; %bb.325:                              ;   in Loop: Header=BB162_180 Depth=1
	s_or_b64 exec, exec, s[0:1]
                                        ; implicit-def: $vgpr14
                                        ; implicit-def: $vgpr31
	s_and_saveexec_b64 s[0:1], s[16:17]
	s_xor_b64 s[16:17], exec, s[0:1]
	s_cbranch_execz .LBB162_327
; %bb.326:                              ;   in Loop: Header=BB162_180 Depth=1
	v_mad_u64_u32 v[31:32], s[0:1], v3, s27, 0
	v_cmp_lt_u32_e32 vcc, 63, v30
	v_mov_b32_e32 v14, v32
	v_mad_u64_u32 v[32:33], s[0:1], v3, s28, v[14:15]
	v_mov_b32_e32 v14, v33
	v_mad_u64_u32 v[33:34], s[0:1], v3, s29, v[14:15]
	;; [unrolled: 2-line block ×3, first 2 shown]
	v_cndmask_b32_e32 v14, 0, v26, vcc
	v_add_u32_e32 v30, v14, v30
	v_mov_b32_e32 v14, v35
	v_mad_u64_u32 v[35:36], s[0:1], v3, s31, v[14:15]
	v_cmp_lt_u32_e64 s[0:1], 31, v30
	v_cndmask_b32_e64 v14, 0, v27, s[0:1]
	v_add_u32_e32 v30, v14, v30
	v_mov_b32_e32 v14, v36
	v_mad_u64_u32 v[36:37], s[2:3], v3, s33, v[14:15]
	v_cmp_lt_u32_e64 s[2:3], 31, v30
	v_cndmask_b32_e64 v14, 0, v27, s[2:3]
	v_add_u32_e32 v30, v14, v30
	v_mov_b32_e32 v14, v37
	v_mad_u64_u32 v[37:38], s[4:5], v3, s34, v[14:15]
	v_cndmask_b32_e32 v3, v35, v33, vcc
	v_cndmask_b32_e32 v14, v36, v34, vcc
	;; [unrolled: 1-line block ×4, first 2 shown]
	v_cndmask_b32_e64 v39, v14, v3, s[0:1]
	v_cndmask_b32_e64 v14, v35, v14, s[0:1]
	;; [unrolled: 1-line block ×3, first 2 shown]
	v_cndmask_b32_e32 v32, v34, v32, vcc
	v_cndmask_b32_e64 v35, v35, v14, s[2:3]
	v_cndmask_b32_e64 v14, v14, v39, s[2:3]
	v_sub_u32_e32 v36, 32, v30
	v_cndmask_b32_e64 v3, v3, v32, s[0:1]
	v_alignbit_b32 v37, v35, v14, v36
	v_cmp_eq_u32_e64 s[4:5], 0, v30
	v_cndmask_b32_e64 v34, v39, v3, s[2:3]
	v_cndmask_b32_e64 v30, v37, v35, s[4:5]
	v_alignbit_b32 v35, v14, v34, v36
	v_cndmask_b32_e32 v31, v33, v31, vcc
	v_cndmask_b32_e64 v14, v35, v14, s[4:5]
	v_bfe_u32 v38, v30, 29, 1
	v_cndmask_b32_e64 v31, v32, v31, s[0:1]
	v_alignbit_b32 v35, v30, v14, 30
	v_sub_u32_e32 v39, 0, v38
	v_cndmask_b32_e64 v3, v3, v31, s[2:3]
	v_xor_b32_e32 v35, v35, v39
	v_alignbit_b32 v31, v34, v3, v36
	v_cndmask_b32_e64 v31, v31, v34, s[4:5]
	v_ffbh_u32_e32 v32, v35
	v_alignbit_b32 v14, v14, v31, 30
	v_min_u32_e32 v32, 32, v32
	v_alignbit_b32 v3, v31, v3, 30
	v_xor_b32_e32 v14, v14, v39
	v_sub_u32_e32 v33, 31, v32
	v_xor_b32_e32 v3, v3, v39
	v_alignbit_b32 v34, v35, v14, v33
	v_alignbit_b32 v3, v14, v3, v33
	;; [unrolled: 1-line block ×3, first 2 shown]
	v_ffbh_u32_e32 v31, v14
	v_min_u32_e32 v31, 32, v31
	v_lshrrev_b32_e32 v37, 29, v30
	v_not_b32_e32 v33, v31
	v_alignbit_b32 v3, v14, v3, v33
	v_lshlrev_b32_e32 v14, 31, v37
	v_or_b32_e32 v33, 0x33000000, v14
	v_add_lshl_u32 v31, v31, v32, 23
	v_lshrrev_b32_e32 v3, 9, v3
	v_sub_u32_e32 v31, v33, v31
	v_or_b32_e32 v14, 0.5, v14
	v_lshlrev_b32_e32 v32, 23, v32
	v_or_b32_e32 v3, v31, v3
	v_lshrrev_b32_e32 v31, 9, v34
	v_sub_u32_e32 v14, v14, v32
	v_or_b32_e32 v14, v31, v14
	v_mul_f32_e32 v31, 0x3fc90fda, v14
	v_fma_f32 v32, v14, s35, -v31
	v_fmac_f32_e32 v32, 0x33a22168, v14
	v_fmac_f32_e32 v32, 0x3fc90fda, v3
	v_lshrrev_b32_e32 v3, 30, v30
	v_add_f32_e32 v31, v31, v32
	v_add_u32_e32 v14, v38, v3
                                        ; implicit-def: $vgpr32
	s_andn2_saveexec_b64 s[0:1], s[16:17]
	s_cbranch_execz .LBB162_176
	s_branch .LBB162_328
.LBB162_327:                            ;   in Loop: Header=BB162_180 Depth=1
	s_andn2_saveexec_b64 s[0:1], s[16:17]
	s_cbranch_execz .LBB162_176
.LBB162_328:                            ;   in Loop: Header=BB162_180 Depth=1
	v_cvt_i32_f32_e32 v14, v32
	v_fma_f32 v31, v32, s37, |v5|
	v_fmac_f32_e32 v31, 0xb3a22168, v32
	v_fmac_f32_e32 v31, 0xa7c234c4, v32
	s_branch .LBB162_176
.LBB162_329:
	s_endpgm
	.section	.rodata,"a",@progbits
	.p2align	6, 0x0
	.amdhsa_kernel _ZN2at6native12_GLOBAL__N_125multi_tensor_apply_kernelINS1_18TensorListMetadataILi1EEENS1_14UnaryOpFunctorIN3c107complexIfEELi1ELi1ELi0EEEJNS0_4TanhIS8_EEEEEvT_T0_DpT1_
		.amdhsa_group_segment_fixed_size 0
		.amdhsa_private_segment_fixed_size 0
		.amdhsa_kernarg_size 3632
		.amdhsa_user_sgpr_count 6
		.amdhsa_user_sgpr_private_segment_buffer 1
		.amdhsa_user_sgpr_dispatch_ptr 0
		.amdhsa_user_sgpr_queue_ptr 0
		.amdhsa_user_sgpr_kernarg_segment_ptr 1
		.amdhsa_user_sgpr_dispatch_id 0
		.amdhsa_user_sgpr_flat_scratch_init 0
		.amdhsa_user_sgpr_private_segment_size 0
		.amdhsa_uses_dynamic_stack 0
		.amdhsa_system_sgpr_private_segment_wavefront_offset 0
		.amdhsa_system_sgpr_workgroup_id_x 1
		.amdhsa_system_sgpr_workgroup_id_y 0
		.amdhsa_system_sgpr_workgroup_id_z 0
		.amdhsa_system_sgpr_workgroup_info 0
		.amdhsa_system_vgpr_workitem_id 0
		.amdhsa_next_free_vgpr 49
		.amdhsa_next_free_sgpr 66
		.amdhsa_reserve_vcc 1
		.amdhsa_reserve_flat_scratch 0
		.amdhsa_float_round_mode_32 0
		.amdhsa_float_round_mode_16_64 0
		.amdhsa_float_denorm_mode_32 3
		.amdhsa_float_denorm_mode_16_64 3
		.amdhsa_dx10_clamp 1
		.amdhsa_ieee_mode 1
		.amdhsa_fp16_overflow 0
		.amdhsa_exception_fp_ieee_invalid_op 0
		.amdhsa_exception_fp_denorm_src 0
		.amdhsa_exception_fp_ieee_div_zero 0
		.amdhsa_exception_fp_ieee_overflow 0
		.amdhsa_exception_fp_ieee_underflow 0
		.amdhsa_exception_fp_ieee_inexact 0
		.amdhsa_exception_int_div_zero 0
	.end_amdhsa_kernel
	.section	.text._ZN2at6native12_GLOBAL__N_125multi_tensor_apply_kernelINS1_18TensorListMetadataILi1EEENS1_14UnaryOpFunctorIN3c107complexIfEELi1ELi1ELi0EEEJNS0_4TanhIS8_EEEEEvT_T0_DpT1_,"axG",@progbits,_ZN2at6native12_GLOBAL__N_125multi_tensor_apply_kernelINS1_18TensorListMetadataILi1EEENS1_14UnaryOpFunctorIN3c107complexIfEELi1ELi1ELi0EEEJNS0_4TanhIS8_EEEEEvT_T0_DpT1_,comdat
.Lfunc_end162:
	.size	_ZN2at6native12_GLOBAL__N_125multi_tensor_apply_kernelINS1_18TensorListMetadataILi1EEENS1_14UnaryOpFunctorIN3c107complexIfEELi1ELi1ELi0EEEJNS0_4TanhIS8_EEEEEvT_T0_DpT1_, .Lfunc_end162-_ZN2at6native12_GLOBAL__N_125multi_tensor_apply_kernelINS1_18TensorListMetadataILi1EEENS1_14UnaryOpFunctorIN3c107complexIfEELi1ELi1ELi0EEEJNS0_4TanhIS8_EEEEEvT_T0_DpT1_
                                        ; -- End function
	.set _ZN2at6native12_GLOBAL__N_125multi_tensor_apply_kernelINS1_18TensorListMetadataILi1EEENS1_14UnaryOpFunctorIN3c107complexIfEELi1ELi1ELi0EEEJNS0_4TanhIS8_EEEEEvT_T0_DpT1_.num_vgpr, 49
	.set _ZN2at6native12_GLOBAL__N_125multi_tensor_apply_kernelINS1_18TensorListMetadataILi1EEENS1_14UnaryOpFunctorIN3c107complexIfEELi1ELi1ELi0EEEJNS0_4TanhIS8_EEEEEvT_T0_DpT1_.num_agpr, 0
	.set _ZN2at6native12_GLOBAL__N_125multi_tensor_apply_kernelINS1_18TensorListMetadataILi1EEENS1_14UnaryOpFunctorIN3c107complexIfEELi1ELi1ELi0EEEJNS0_4TanhIS8_EEEEEvT_T0_DpT1_.numbered_sgpr, 66
	.set _ZN2at6native12_GLOBAL__N_125multi_tensor_apply_kernelINS1_18TensorListMetadataILi1EEENS1_14UnaryOpFunctorIN3c107complexIfEELi1ELi1ELi0EEEJNS0_4TanhIS8_EEEEEvT_T0_DpT1_.num_named_barrier, 0
	.set _ZN2at6native12_GLOBAL__N_125multi_tensor_apply_kernelINS1_18TensorListMetadataILi1EEENS1_14UnaryOpFunctorIN3c107complexIfEELi1ELi1ELi0EEEJNS0_4TanhIS8_EEEEEvT_T0_DpT1_.private_seg_size, 0
	.set _ZN2at6native12_GLOBAL__N_125multi_tensor_apply_kernelINS1_18TensorListMetadataILi1EEENS1_14UnaryOpFunctorIN3c107complexIfEELi1ELi1ELi0EEEJNS0_4TanhIS8_EEEEEvT_T0_DpT1_.uses_vcc, 1
	.set _ZN2at6native12_GLOBAL__N_125multi_tensor_apply_kernelINS1_18TensorListMetadataILi1EEENS1_14UnaryOpFunctorIN3c107complexIfEELi1ELi1ELi0EEEJNS0_4TanhIS8_EEEEEvT_T0_DpT1_.uses_flat_scratch, 0
	.set _ZN2at6native12_GLOBAL__N_125multi_tensor_apply_kernelINS1_18TensorListMetadataILi1EEENS1_14UnaryOpFunctorIN3c107complexIfEELi1ELi1ELi0EEEJNS0_4TanhIS8_EEEEEvT_T0_DpT1_.has_dyn_sized_stack, 0
	.set _ZN2at6native12_GLOBAL__N_125multi_tensor_apply_kernelINS1_18TensorListMetadataILi1EEENS1_14UnaryOpFunctorIN3c107complexIfEELi1ELi1ELi0EEEJNS0_4TanhIS8_EEEEEvT_T0_DpT1_.has_recursion, 0
	.set _ZN2at6native12_GLOBAL__N_125multi_tensor_apply_kernelINS1_18TensorListMetadataILi1EEENS1_14UnaryOpFunctorIN3c107complexIfEELi1ELi1ELi0EEEJNS0_4TanhIS8_EEEEEvT_T0_DpT1_.has_indirect_call, 0
	.section	.AMDGPU.csdata,"",@progbits
; Kernel info:
; codeLenInByte = 38456
; TotalNumSgprs: 70
; NumVgprs: 49
; ScratchSize: 0
; MemoryBound: 1
; FloatMode: 240
; IeeeMode: 1
; LDSByteSize: 0 bytes/workgroup (compile time only)
; SGPRBlocks: 8
; VGPRBlocks: 12
; NumSGPRsForWavesPerEU: 70
; NumVGPRsForWavesPerEU: 49
; Occupancy: 4
; WaveLimiterHint : 0
; COMPUTE_PGM_RSRC2:SCRATCH_EN: 0
; COMPUTE_PGM_RSRC2:USER_SGPR: 6
; COMPUTE_PGM_RSRC2:TRAP_HANDLER: 0
; COMPUTE_PGM_RSRC2:TGID_X_EN: 1
; COMPUTE_PGM_RSRC2:TGID_Y_EN: 0
; COMPUTE_PGM_RSRC2:TGID_Z_EN: 0
; COMPUTE_PGM_RSRC2:TIDIG_COMP_CNT: 0
	.section	.text._ZN2at6native12_GLOBAL__N_125multi_tensor_apply_kernelINS1_18TensorListMetadataILi1EEENS1_14UnaryOpFunctorIN3c104HalfELi1ELi1ELi0EEEJNS0_4TanhIfEEEEEvT_T0_DpT1_,"axG",@progbits,_ZN2at6native12_GLOBAL__N_125multi_tensor_apply_kernelINS1_18TensorListMetadataILi1EEENS1_14UnaryOpFunctorIN3c104HalfELi1ELi1ELi0EEEJNS0_4TanhIfEEEEEvT_T0_DpT1_,comdat
	.globl	_ZN2at6native12_GLOBAL__N_125multi_tensor_apply_kernelINS1_18TensorListMetadataILi1EEENS1_14UnaryOpFunctorIN3c104HalfELi1ELi1ELi0EEEJNS0_4TanhIfEEEEEvT_T0_DpT1_ ; -- Begin function _ZN2at6native12_GLOBAL__N_125multi_tensor_apply_kernelINS1_18TensorListMetadataILi1EEENS1_14UnaryOpFunctorIN3c104HalfELi1ELi1ELi0EEEJNS0_4TanhIfEEEEEvT_T0_DpT1_
	.p2align	8
	.type	_ZN2at6native12_GLOBAL__N_125multi_tensor_apply_kernelINS1_18TensorListMetadataILi1EEENS1_14UnaryOpFunctorIN3c104HalfELi1ELi1ELi0EEEJNS0_4TanhIfEEEEEvT_T0_DpT1_,@function
_ZN2at6native12_GLOBAL__N_125multi_tensor_apply_kernelINS1_18TensorListMetadataILi1EEENS1_14UnaryOpFunctorIN3c104HalfELi1ELi1ELi0EEEJNS0_4TanhIfEEEEEvT_T0_DpT1_: ; @_ZN2at6native12_GLOBAL__N_125multi_tensor_apply_kernelINS1_18TensorListMetadataILi1EEENS1_14UnaryOpFunctorIN3c104HalfELi1ELi1ELi0EEEJNS0_4TanhIfEEEEEvT_T0_DpT1_
; %bb.0:
	v_mov_b32_e32 v1, s6
	global_load_ubyte v1, v1, s[4:5] offset:1760
	s_add_u32 s0, s4, s6
	s_mul_hi_u32 s1, s6, 3
	s_mul_i32 s6, s6, 3
	s_addc_u32 s2, s5, 0
	s_add_u32 s0, s0, s6
	s_addc_u32 s1, s2, s1
	s_load_dword s0, s[0:1], 0x820
	s_mov_b32 s7, 0
	s_waitcnt vmcnt(0)
	v_readfirstlane_b32 s1, v1
	s_lshl_b32 s1, s1, 3
	s_load_dwordx2 s[2:3], s[4:5], s1 offset:0x370
	s_load_dwordx2 s[10:11], s[4:5], s1 offset:0x0
	s_waitcnt lgkmcnt(0)
	s_ashr_i32 s1, s0, 31
	s_lshl_b64 s[12:13], s[0:1], 17
	s_lshl_b64 s[0:1], s[0:1], 16
	s_and_b32 s6, s10, 7
	s_sub_u32 s14, s2, s0
	s_subb_u32 s15, s3, s1
	s_and_b32 s0, s2, 3
	s_mov_b32 s1, s7
	s_or_b64 s[0:1], s[6:7], s[0:1]
	s_cmp_eq_u64 s[0:1], 0
	s_cbranch_scc1 .LBB163_37
; %bb.1:
	v_cmp_lt_i64_e64 s[0:1], s[14:15], 1
	s_and_b64 vcc, exec, s[0:1]
	s_cbranch_vccnz .LBB163_36
; %bb.2:
	v_mov_b32_e32 v1, 0x10000
	s_load_dword s2, s[4:5], 0xd3c
	v_mov_b32_e32 v2, 0
	v_cmp_lt_i64_e32 vcc, s[14:15], v[1:2]
	s_mov_b64 s[20:21], 0
	s_and_b64 s[0:1], vcc, exec
	v_cmp_lt_u64_e32 vcc, s[14:15], v[1:2]
	s_cselect_b32 s17, s15, 0
	s_cselect_b32 s16, s14, 0x10000
	s_waitcnt lgkmcnt(0)
	s_and_b32 s2, s2, 0xffff
	s_and_b64 s[0:1], vcc, exec
	s_cselect_b32 s19, s15, 0
	s_cselect_b32 s18, s14, 0x10000
	s_lshl_b32 s3, s2, 1
	s_lshl_b32 s24, s2, 2
	s_add_u32 s6, s10, s12
	v_lshlrev_b32_e32 v1, 1, v0
	s_addc_u32 s7, s11, s13
	v_mov_b32_e32 v2, s7
	v_add_co_u32_e32 v1, vcc, s6, v1
	s_mul_i32 s0, s2, 3
	v_addc_co_u32_e32 v2, vcc, 0, v2, vcc
	v_add_co_u32_e32 v5, vcc, s0, v0
	v_addc_co_u32_e64 v6, s[0:1], 0, 0, vcc
	v_add_co_u32_e32 v7, vcc, s3, v0
	v_addc_co_u32_e64 v8, s[0:1], 0, 0, vcc
	v_add_co_u32_e32 v9, vcc, s2, v0
	v_lshlrev_b32_e32 v3, 1, v9
	v_addc_co_u32_e64 v10, s[0:1], 0, 0, vcc
	v_mov_b32_e32 v4, s7
	v_add_co_u32_e32 v3, vcc, s6, v3
	s_lshl_b32 s25, s2, 3
	s_mul_i32 s26, s2, 6
	v_addc_co_u32_e32 v4, vcc, 0, v4, vcc
	s_mov_b32 s27, 0x3f200000
	s_mov_b32 s28, 0x3fb8aa3b
	;; [unrolled: 1-line block ×4, first 2 shown]
	v_mov_b32_e32 v11, 0xbd5c1c4e
	v_mov_b32_e32 v12, 0x3e088382
	;; [unrolled: 1-line block ×3, first 2 shown]
	s_movk_i32 s31, 0x7fff
	v_mov_b32_e32 v14, 0x7f800000
	s_branch .LBB163_4
.LBB163_3:                              ;   in Loop: Header=BB163_4 Depth=1
	s_or_b64 exec, exec, s[0:1]
	s_add_u32 s20, s20, s24
	v_add_co_u32_e32 v1, vcc, s25, v1
	v_mov_b32_e32 v15, s16
	s_addc_u32 s21, s21, 0
	v_addc_co_u32_e32 v2, vcc, 0, v2, vcc
	v_mov_b32_e32 v16, s17
	v_cmp_ge_i64_e32 vcc, s[20:21], v[15:16]
	v_add_co_u32_e64 v3, s[0:1], s25, v3
	v_addc_co_u32_e64 v4, s[0:1], 0, v4, s[0:1]
	s_cbranch_vccnz .LBB163_36
.LBB163_4:                              ; =>This Inner Loop Header: Depth=1
	v_mov_b32_e32 v16, s21
	v_add_co_u32_e32 v15, vcc, s20, v0
	v_addc_co_u32_e32 v16, vcc, 0, v16, vcc
	v_cmp_gt_u64_e32 vcc, s[18:19], v[15:16]
	v_mov_b32_e32 v15, 0
	s_and_saveexec_b64 s[0:1], vcc
	s_cbranch_execz .LBB163_6
; %bb.5:                                ;   in Loop: Header=BB163_4 Depth=1
	global_load_ushort v15, v[1:2], off
	s_waitcnt vmcnt(0)
	v_cvt_f32_f16_e32 v15, v15
.LBB163_6:                              ;   in Loop: Header=BB163_4 Depth=1
	s_or_b64 exec, exec, s[0:1]
	v_mov_b32_e32 v17, s21
	v_add_co_u32_e64 v16, s[0:1], s20, v9
	v_addc_co_u32_e64 v17, s[0:1], v10, v17, s[0:1]
	v_cmp_gt_u64_e64 s[0:1], s[18:19], v[16:17]
	v_mov_b32_e32 v16, 0
	v_mov_b32_e32 v17, 0
	s_and_saveexec_b64 s[2:3], s[0:1]
	s_cbranch_execz .LBB163_8
; %bb.7:                                ;   in Loop: Header=BB163_4 Depth=1
	global_load_ushort v17, v[3:4], off
	s_waitcnt vmcnt(0)
	v_cvt_f32_f16_e32 v17, v17
.LBB163_8:                              ;   in Loop: Header=BB163_4 Depth=1
	s_or_b64 exec, exec, s[2:3]
	v_mov_b32_e32 v19, s21
	v_add_co_u32_e64 v18, s[2:3], s20, v7
	v_addc_co_u32_e64 v19, s[2:3], v8, v19, s[2:3]
	v_cmp_gt_u64_e64 s[2:3], s[18:19], v[18:19]
	s_and_saveexec_b64 s[8:9], s[2:3]
	s_cbranch_execz .LBB163_10
; %bb.9:                                ;   in Loop: Header=BB163_4 Depth=1
	v_add_co_u32_e64 v18, s[6:7], s24, v1
	v_addc_co_u32_e64 v19, s[6:7], 0, v2, s[6:7]
	global_load_ushort v16, v[18:19], off
	s_waitcnt vmcnt(0)
	v_cvt_f32_f16_e32 v16, v16
.LBB163_10:                             ;   in Loop: Header=BB163_4 Depth=1
	s_or_b64 exec, exec, s[8:9]
	v_mov_b32_e32 v19, s21
	v_add_co_u32_e64 v18, s[6:7], s20, v5
	v_addc_co_u32_e64 v19, s[6:7], v6, v19, s[6:7]
	v_cmp_gt_u64_e64 s[6:7], s[18:19], v[18:19]
	v_mov_b32_e32 v18, 0
	s_and_saveexec_b64 s[22:23], s[6:7]
	s_cbranch_execz .LBB163_12
; %bb.11:                               ;   in Loop: Header=BB163_4 Depth=1
	v_add_co_u32_e64 v18, s[8:9], s26, v1
	v_addc_co_u32_e64 v19, s[8:9], 0, v2, s[8:9]
	global_load_ushort v18, v[18:19], off
	s_waitcnt vmcnt(0)
	v_cvt_f32_f16_e32 v18, v18
.LBB163_12:                             ;   in Loop: Header=BB163_4 Depth=1
	s_or_b64 exec, exec, s[22:23]
	v_cmp_nlt_f32_e64 s[8:9], |v15|, s27
                                        ; implicit-def: $vgpr19
	s_and_saveexec_b64 s[22:23], s[8:9]
	s_xor_b64 s[22:23], exec, s[22:23]
	s_cbranch_execz .LBB163_14
; %bb.13:                               ;   in Loop: Header=BB163_4 Depth=1
	v_add_f32_e64 v19, |v15|, |v15|
	v_mul_f32_e32 v20, 0x3fb8aa3b, v19
	v_rndne_f32_e32 v21, v20
	v_sub_f32_e32 v22, v20, v21
	v_fma_f32 v20, v19, s28, -v20
	v_fmac_f32_e32 v20, 0x32a5705f, v19
	v_add_f32_e32 v20, v22, v20
	v_cvt_i32_f32_e32 v21, v21
	v_exp_f32_e32 v20, v20
	v_cmp_ngt_f32_e64 s[8:9], s29, v19
	v_ldexp_f32 v20, v20, v21
	v_cndmask_b32_e64 v20, 0, v20, s[8:9]
	v_cmp_nlt_f32_e64 s[8:9], s30, v19
	v_cndmask_b32_e64 v19, v14, v20, s[8:9]
	v_add_f32_e32 v19, 1.0, v19
	v_rcp_f32_e32 v19, v19
	v_fma_f32 v19, v19, -2.0, 1.0
.LBB163_14:                             ;   in Loop: Header=BB163_4 Depth=1
	s_andn2_saveexec_b64 s[8:9], s[22:23]
; %bb.15:                               ;   in Loop: Header=BB163_4 Depth=1
	v_mul_f32_e32 v19, v15, v15
	v_mov_b32_e32 v20, 0x3ca908c9
	v_fmac_f32_e32 v20, 0xbbbac73d, v19
	v_fma_f32 v20, v19, v20, v11
	v_fma_f32 v20, v19, v20, v12
	;; [unrolled: 1-line block ×3, first 2 shown]
	v_mul_f32_e64 v20, |v15|, v20
	v_fma_f32 v19, v19, v20, |v15|
; %bb.16:                               ;   in Loop: Header=BB163_4 Depth=1
	s_or_b64 exec, exec, s[8:9]
	v_cmp_nlt_f32_e64 s[8:9], |v17|, s27
                                        ; implicit-def: $vgpr20
	s_and_saveexec_b64 s[22:23], s[8:9]
	s_xor_b64 s[22:23], exec, s[22:23]
	s_cbranch_execz .LBB163_18
; %bb.17:                               ;   in Loop: Header=BB163_4 Depth=1
	v_add_f32_e64 v20, |v17|, |v17|
	v_mul_f32_e32 v21, 0x3fb8aa3b, v20
	v_rndne_f32_e32 v22, v21
	v_sub_f32_e32 v23, v21, v22
	v_fma_f32 v21, v20, s28, -v21
	v_fmac_f32_e32 v21, 0x32a5705f, v20
	v_add_f32_e32 v21, v23, v21
	v_cvt_i32_f32_e32 v22, v22
	v_exp_f32_e32 v21, v21
	v_cmp_ngt_f32_e64 s[8:9], s29, v20
	v_ldexp_f32 v21, v21, v22
	v_cndmask_b32_e64 v21, 0, v21, s[8:9]
	v_cmp_nlt_f32_e64 s[8:9], s30, v20
	v_cndmask_b32_e64 v20, v14, v21, s[8:9]
	v_add_f32_e32 v20, 1.0, v20
	v_rcp_f32_e32 v20, v20
	v_fma_f32 v20, v20, -2.0, 1.0
.LBB163_18:                             ;   in Loop: Header=BB163_4 Depth=1
	s_andn2_saveexec_b64 s[8:9], s[22:23]
; %bb.19:                               ;   in Loop: Header=BB163_4 Depth=1
	v_mul_f32_e32 v20, v17, v17
	v_mov_b32_e32 v21, 0x3ca908c9
	v_fmac_f32_e32 v21, 0xbbbac73d, v20
	v_fma_f32 v21, v20, v21, v11
	v_fma_f32 v21, v20, v21, v12
	;; [unrolled: 1-line block ×3, first 2 shown]
	v_mul_f32_e64 v21, |v17|, v21
	v_fma_f32 v20, v20, v21, |v17|
; %bb.20:                               ;   in Loop: Header=BB163_4 Depth=1
	s_or_b64 exec, exec, s[8:9]
	v_cmp_nlt_f32_e64 s[8:9], |v16|, s27
                                        ; implicit-def: $vgpr21
	s_and_saveexec_b64 s[22:23], s[8:9]
	s_xor_b64 s[22:23], exec, s[22:23]
	s_cbranch_execz .LBB163_22
; %bb.21:                               ;   in Loop: Header=BB163_4 Depth=1
	v_add_f32_e64 v21, |v16|, |v16|
	v_mul_f32_e32 v22, 0x3fb8aa3b, v21
	v_rndne_f32_e32 v23, v22
	v_sub_f32_e32 v24, v22, v23
	v_fma_f32 v22, v21, s28, -v22
	v_fmac_f32_e32 v22, 0x32a5705f, v21
	v_add_f32_e32 v22, v24, v22
	v_cvt_i32_f32_e32 v23, v23
	v_exp_f32_e32 v22, v22
	v_cmp_ngt_f32_e64 s[8:9], s29, v21
	v_ldexp_f32 v22, v22, v23
	v_cndmask_b32_e64 v22, 0, v22, s[8:9]
	v_cmp_nlt_f32_e64 s[8:9], s30, v21
	v_cndmask_b32_e64 v21, v14, v22, s[8:9]
	v_add_f32_e32 v21, 1.0, v21
	v_rcp_f32_e32 v21, v21
	v_fma_f32 v21, v21, -2.0, 1.0
.LBB163_22:                             ;   in Loop: Header=BB163_4 Depth=1
	s_andn2_saveexec_b64 s[8:9], s[22:23]
; %bb.23:                               ;   in Loop: Header=BB163_4 Depth=1
	v_mul_f32_e32 v21, v16, v16
	v_mov_b32_e32 v22, 0x3ca908c9
	v_fmac_f32_e32 v22, 0xbbbac73d, v21
	v_fma_f32 v22, v21, v22, v11
	v_fma_f32 v22, v21, v22, v12
	;; [unrolled: 1-line block ×3, first 2 shown]
	v_mul_f32_e64 v22, |v16|, v22
	v_fma_f32 v21, v21, v22, |v16|
; %bb.24:                               ;   in Loop: Header=BB163_4 Depth=1
	s_or_b64 exec, exec, s[8:9]
	v_cmp_nlt_f32_e64 s[8:9], |v18|, s27
                                        ; implicit-def: $vgpr22
	s_and_saveexec_b64 s[22:23], s[8:9]
	s_xor_b64 s[22:23], exec, s[22:23]
	s_cbranch_execnz .LBB163_30
; %bb.25:                               ;   in Loop: Header=BB163_4 Depth=1
	s_andn2_saveexec_b64 s[8:9], s[22:23]
	s_cbranch_execnz .LBB163_31
.LBB163_26:                             ;   in Loop: Header=BB163_4 Depth=1
	s_or_b64 exec, exec, s[8:9]
	s_and_saveexec_b64 s[8:9], vcc
	s_xor_b64 s[8:9], exec, s[8:9]
	s_cbranch_execnz .LBB163_32
.LBB163_27:                             ;   in Loop: Header=BB163_4 Depth=1
	s_or_b64 exec, exec, s[8:9]
	s_and_saveexec_b64 s[8:9], s[0:1]
	s_cbranch_execnz .LBB163_33
.LBB163_28:                             ;   in Loop: Header=BB163_4 Depth=1
	s_or_b64 exec, exec, s[8:9]
	s_and_saveexec_b64 s[0:1], s[2:3]
	s_cbranch_execnz .LBB163_34
.LBB163_29:                             ;   in Loop: Header=BB163_4 Depth=1
	s_or_b64 exec, exec, s[0:1]
	s_and_saveexec_b64 s[0:1], s[6:7]
	s_cbranch_execz .LBB163_3
	s_branch .LBB163_35
.LBB163_30:                             ;   in Loop: Header=BB163_4 Depth=1
	v_add_f32_e64 v22, |v18|, |v18|
	v_mul_f32_e32 v23, 0x3fb8aa3b, v22
	v_rndne_f32_e32 v24, v23
	v_sub_f32_e32 v25, v23, v24
	v_fma_f32 v23, v22, s28, -v23
	v_fmac_f32_e32 v23, 0x32a5705f, v22
	v_add_f32_e32 v23, v25, v23
	v_cvt_i32_f32_e32 v24, v24
	v_exp_f32_e32 v23, v23
	v_cmp_ngt_f32_e64 s[8:9], s29, v22
	v_ldexp_f32 v23, v23, v24
	v_cndmask_b32_e64 v23, 0, v23, s[8:9]
	v_cmp_nlt_f32_e64 s[8:9], s30, v22
	v_cndmask_b32_e64 v22, v14, v23, s[8:9]
	v_add_f32_e32 v22, 1.0, v22
	v_rcp_f32_e32 v22, v22
	v_fma_f32 v22, v22, -2.0, 1.0
	s_andn2_saveexec_b64 s[8:9], s[22:23]
	s_cbranch_execz .LBB163_26
.LBB163_31:                             ;   in Loop: Header=BB163_4 Depth=1
	v_mul_f32_e32 v22, v18, v18
	v_mov_b32_e32 v23, 0x3ca908c9
	v_fmac_f32_e32 v23, 0xbbbac73d, v22
	v_fma_f32 v23, v22, v23, v11
	v_fma_f32 v23, v22, v23, v12
	;; [unrolled: 1-line block ×3, first 2 shown]
	v_mul_f32_e64 v23, |v18|, v23
	v_fma_f32 v22, v22, v23, |v18|
	s_or_b64 exec, exec, s[8:9]
	s_and_saveexec_b64 s[8:9], vcc
	s_xor_b64 s[8:9], exec, s[8:9]
	s_cbranch_execz .LBB163_27
.LBB163_32:                             ;   in Loop: Header=BB163_4 Depth=1
	v_cvt_f16_f32_e32 v19, v19
	v_lshrrev_b32_e32 v15, 16, v15
	v_bfi_b32 v15, s31, v19, v15
	global_store_short v[1:2], v15, off
	s_or_b64 exec, exec, s[8:9]
	s_and_saveexec_b64 s[8:9], s[0:1]
	s_cbranch_execz .LBB163_28
.LBB163_33:                             ;   in Loop: Header=BB163_4 Depth=1
	v_cvt_f16_f32_e32 v15, v20
	v_lshrrev_b32_e32 v17, 16, v17
	v_bfi_b32 v15, s31, v15, v17
	global_store_short v[3:4], v15, off
	s_or_b64 exec, exec, s[8:9]
	s_and_saveexec_b64 s[0:1], s[2:3]
	s_cbranch_execz .LBB163_29
.LBB163_34:                             ;   in Loop: Header=BB163_4 Depth=1
	v_cvt_f16_f32_e32 v15, v21
	v_lshrrev_b32_e32 v16, 16, v16
	v_bfi_b32 v17, s31, v15, v16
	v_add_co_u32_e32 v15, vcc, s24, v1
	v_addc_co_u32_e32 v16, vcc, 0, v2, vcc
	global_store_short v[15:16], v17, off
	s_or_b64 exec, exec, s[0:1]
	s_and_saveexec_b64 s[0:1], s[6:7]
	s_cbranch_execz .LBB163_3
.LBB163_35:                             ;   in Loop: Header=BB163_4 Depth=1
	v_cvt_f16_f32_e32 v15, v22
	v_lshrrev_b32_e32 v16, 16, v18
	v_bfi_b32 v17, s31, v15, v16
	v_add_co_u32_e32 v15, vcc, s26, v1
	v_addc_co_u32_e32 v16, vcc, 0, v2, vcc
	global_store_short v[15:16], v17, off
	s_branch .LBB163_3
.LBB163_36:
	s_cbranch_execz .LBB163_38
	s_branch .LBB163_57
.LBB163_37:
.LBB163_38:
	v_mov_b32_e32 v1, 0x10000
	v_mov_b32_e32 v2, 0
	v_cmp_lt_i64_e32 vcc, s[14:15], v[1:2]
	v_mov_b32_e32 v2, 0
	s_and_b64 s[0:1], vcc, exec
	s_cselect_b32 s1, s15, 0
	s_cselect_b32 s0, s14, 0x10000
	v_lshlrev_b32_e32 v1, 2, v0
	v_cmp_gt_i64_e32 vcc, s[0:1], v[1:2]
	s_and_saveexec_b64 s[2:3], vcc
	s_cbranch_execz .LBB163_57
; %bb.39:
	s_load_dword s2, s[4:5], 0xd3c
	v_mov_b32_e32 v1, v2
	v_lshlrev_b32_e32 v2, 3, v0
	s_mov_b32 s8, 0x3f200000
	s_mov_b32 s9, 0x3fb8aa3b
	s_waitcnt lgkmcnt(0)
	s_and_b32 s6, s2, 0xffff
	s_add_u32 s2, s10, s12
	s_addc_u32 s3, s11, s13
	v_mov_b32_e32 v3, s3
	v_add_co_u32_e32 v2, vcc, s2, v2
	v_addc_co_u32_e32 v3, vcc, 0, v3, vcc
	v_add_co_u32_e32 v2, vcc, 4, v2
	v_addc_co_u32_e32 v3, vcc, 0, v3, vcc
	s_lshl_b32 s7, s6, 3
	s_mov_b64 s[2:3], 0
	s_mov_b32 s10, 0xc2ce8ed0
	s_mov_b32 s11, 0x42b17218
	v_mov_b32_e32 v6, 0xbd5c1c4e
	v_mov_b32_e32 v7, 0x3e088382
	v_mov_b32_e32 v8, 0xbeaaaa99
	s_movk_i32 s12, 0x7fff
	v_mov_b32_e32 v9, 0x7f800000
	s_branch .LBB163_41
.LBB163_40:                             ;   in Loop: Header=BB163_41 Depth=1
	s_or_b64 exec, exec, s[4:5]
	v_cvt_f16_f32_e32 v12, v12
	v_cvt_f16_f32_e32 v14, v14
	;; [unrolled: 1-line block ×3, first 2 shown]
	v_lshrrev_b32_e32 v4, 16, v4
	v_bfi_b32 v4, s12, v12, v4
	v_cvt_f16_f32_e32 v12, v15
	v_add_co_u32_e32 v0, vcc, s6, v0
	v_lshrrev_b32_e32 v13, 16, v13
	v_lshrrev_b32_e32 v10, 16, v10
	v_addc_co_u32_e32 v1, vcc, 0, v1, vcc
	v_bfi_b32 v13, s12, v14, v13
	v_bfi_b32 v14, s12, v11, v10
	v_lshlrev_b64 v[10:11], 2, v[0:1]
	v_lshrrev_b32_e32 v5, 16, v5
	v_bfi_b32 v5, s12, v12, v5
	v_cmp_le_i64_e32 vcc, s[0:1], v[10:11]
	v_pack_b32_f16 v5, v13, v5
	v_pack_b32_f16 v4, v14, v4
	global_store_dwordx2 v[2:3], v[4:5], off offset:-4
	s_or_b64 s[2:3], vcc, s[2:3]
	v_add_co_u32_e32 v2, vcc, s7, v2
	v_addc_co_u32_e32 v3, vcc, 0, v3, vcc
	s_andn2_b64 exec, exec, s[2:3]
	s_cbranch_execz .LBB163_57
.LBB163_41:                             ; =>This Inner Loop Header: Depth=1
	global_load_dwordx2 v[4:5], v[2:3], off offset:-4
                                        ; implicit-def: $vgpr11
	s_waitcnt vmcnt(0)
	v_cvt_f32_f16_e32 v10, v4
	v_cmp_nlt_f32_e64 s[4:5], |v10|, s8
	s_and_saveexec_b64 s[14:15], s[4:5]
	s_xor_b64 s[4:5], exec, s[14:15]
	s_cbranch_execz .LBB163_43
; %bb.42:                               ;   in Loop: Header=BB163_41 Depth=1
	v_add_f32_e64 v11, |v10|, |v10|
	v_mul_f32_e32 v12, 0x3fb8aa3b, v11
	v_rndne_f32_e32 v13, v12
	v_sub_f32_e32 v14, v12, v13
	v_fma_f32 v12, v11, s9, -v12
	v_fmac_f32_e32 v12, 0x32a5705f, v11
	v_add_f32_e32 v12, v14, v12
	v_cvt_i32_f32_e32 v13, v13
	v_exp_f32_e32 v12, v12
	v_cmp_ngt_f32_e32 vcc, s10, v11
	v_ldexp_f32 v12, v12, v13
	v_cndmask_b32_e32 v12, 0, v12, vcc
	v_cmp_nlt_f32_e32 vcc, s11, v11
	v_cndmask_b32_e32 v11, v9, v12, vcc
	v_add_f32_e32 v11, 1.0, v11
	v_rcp_f32_e32 v11, v11
	v_fma_f32 v11, v11, -2.0, 1.0
.LBB163_43:                             ;   in Loop: Header=BB163_41 Depth=1
	s_andn2_saveexec_b64 s[4:5], s[4:5]
; %bb.44:                               ;   in Loop: Header=BB163_41 Depth=1
	v_mul_f32_e32 v11, v10, v10
	v_mov_b32_e32 v12, 0x3ca908c9
	v_fmac_f32_e32 v12, 0xbbbac73d, v11
	v_fma_f32 v12, v11, v12, v6
	v_fma_f32 v12, v11, v12, v7
	;; [unrolled: 1-line block ×3, first 2 shown]
	v_mul_f32_e64 v12, |v10|, v12
	v_fma_f32 v11, v11, v12, |v10|
; %bb.45:                               ;   in Loop: Header=BB163_41 Depth=1
	s_or_b64 exec, exec, s[4:5]
	v_cvt_f32_f16_sdwa v4, v4 dst_sel:DWORD dst_unused:UNUSED_PAD src0_sel:WORD_1
                                        ; implicit-def: $vgpr12
	v_cmp_nlt_f32_e64 s[4:5], |v4|, s8
	s_and_saveexec_b64 s[14:15], s[4:5]
	s_xor_b64 s[4:5], exec, s[14:15]
	s_cbranch_execz .LBB163_47
; %bb.46:                               ;   in Loop: Header=BB163_41 Depth=1
	v_add_f32_e64 v12, |v4|, |v4|
	v_mul_f32_e32 v13, 0x3fb8aa3b, v12
	v_rndne_f32_e32 v14, v13
	v_sub_f32_e32 v15, v13, v14
	v_fma_f32 v13, v12, s9, -v13
	v_fmac_f32_e32 v13, 0x32a5705f, v12
	v_add_f32_e32 v13, v15, v13
	v_cvt_i32_f32_e32 v14, v14
	v_exp_f32_e32 v13, v13
	v_cmp_ngt_f32_e32 vcc, s10, v12
	v_ldexp_f32 v13, v13, v14
	v_cndmask_b32_e32 v13, 0, v13, vcc
	v_cmp_nlt_f32_e32 vcc, s11, v12
	v_cndmask_b32_e32 v12, v9, v13, vcc
	v_add_f32_e32 v12, 1.0, v12
	v_rcp_f32_e32 v12, v12
	v_fma_f32 v12, v12, -2.0, 1.0
.LBB163_47:                             ;   in Loop: Header=BB163_41 Depth=1
	s_andn2_saveexec_b64 s[4:5], s[4:5]
; %bb.48:                               ;   in Loop: Header=BB163_41 Depth=1
	v_mul_f32_e32 v12, v4, v4
	v_mov_b32_e32 v13, 0x3ca908c9
	v_fmac_f32_e32 v13, 0xbbbac73d, v12
	v_fma_f32 v13, v12, v13, v6
	v_fma_f32 v13, v12, v13, v7
	;; [unrolled: 1-line block ×3, first 2 shown]
	v_mul_f32_e64 v13, |v4|, v13
	v_fma_f32 v12, v12, v13, |v4|
; %bb.49:                               ;   in Loop: Header=BB163_41 Depth=1
	s_or_b64 exec, exec, s[4:5]
	v_cvt_f32_f16_e32 v13, v5
                                        ; implicit-def: $vgpr14
	v_cmp_nlt_f32_e64 s[4:5], |v13|, s8
	s_and_saveexec_b64 s[14:15], s[4:5]
	s_xor_b64 s[4:5], exec, s[14:15]
	s_cbranch_execz .LBB163_51
; %bb.50:                               ;   in Loop: Header=BB163_41 Depth=1
	v_add_f32_e64 v14, |v13|, |v13|
	v_mul_f32_e32 v15, 0x3fb8aa3b, v14
	v_rndne_f32_e32 v16, v15
	v_sub_f32_e32 v17, v15, v16
	v_fma_f32 v15, v14, s9, -v15
	v_fmac_f32_e32 v15, 0x32a5705f, v14
	v_add_f32_e32 v15, v17, v15
	v_cvt_i32_f32_e32 v16, v16
	v_exp_f32_e32 v15, v15
	v_cmp_ngt_f32_e32 vcc, s10, v14
	v_ldexp_f32 v15, v15, v16
	v_cndmask_b32_e32 v15, 0, v15, vcc
	v_cmp_nlt_f32_e32 vcc, s11, v14
	v_cndmask_b32_e32 v14, v9, v15, vcc
	v_add_f32_e32 v14, 1.0, v14
	v_rcp_f32_e32 v14, v14
	v_fma_f32 v14, v14, -2.0, 1.0
.LBB163_51:                             ;   in Loop: Header=BB163_41 Depth=1
	s_andn2_saveexec_b64 s[4:5], s[4:5]
; %bb.52:                               ;   in Loop: Header=BB163_41 Depth=1
	v_mul_f32_e32 v14, v13, v13
	v_mov_b32_e32 v15, 0x3ca908c9
	v_fmac_f32_e32 v15, 0xbbbac73d, v14
	v_fma_f32 v15, v14, v15, v6
	v_fma_f32 v15, v14, v15, v7
	;; [unrolled: 1-line block ×3, first 2 shown]
	v_mul_f32_e64 v15, |v13|, v15
	v_fma_f32 v14, v14, v15, |v13|
; %bb.53:                               ;   in Loop: Header=BB163_41 Depth=1
	s_or_b64 exec, exec, s[4:5]
	v_cvt_f32_f16_sdwa v5, v5 dst_sel:DWORD dst_unused:UNUSED_PAD src0_sel:WORD_1
                                        ; implicit-def: $vgpr15
	v_cmp_nlt_f32_e64 s[4:5], |v5|, s8
	s_and_saveexec_b64 s[14:15], s[4:5]
	s_xor_b64 s[4:5], exec, s[14:15]
	s_cbranch_execz .LBB163_55
; %bb.54:                               ;   in Loop: Header=BB163_41 Depth=1
	v_add_f32_e64 v15, |v5|, |v5|
	v_mul_f32_e32 v16, 0x3fb8aa3b, v15
	v_rndne_f32_e32 v17, v16
	v_sub_f32_e32 v18, v16, v17
	v_fma_f32 v16, v15, s9, -v16
	v_fmac_f32_e32 v16, 0x32a5705f, v15
	v_add_f32_e32 v16, v18, v16
	v_cvt_i32_f32_e32 v17, v17
	v_exp_f32_e32 v16, v16
	v_cmp_ngt_f32_e32 vcc, s10, v15
	v_ldexp_f32 v16, v16, v17
	v_cndmask_b32_e32 v16, 0, v16, vcc
	v_cmp_nlt_f32_e32 vcc, s11, v15
	v_cndmask_b32_e32 v15, v9, v16, vcc
	v_add_f32_e32 v15, 1.0, v15
	v_rcp_f32_e32 v15, v15
	v_fma_f32 v15, v15, -2.0, 1.0
.LBB163_55:                             ;   in Loop: Header=BB163_41 Depth=1
	s_andn2_saveexec_b64 s[4:5], s[4:5]
	s_cbranch_execz .LBB163_40
; %bb.56:                               ;   in Loop: Header=BB163_41 Depth=1
	v_mul_f32_e32 v15, v5, v5
	v_mov_b32_e32 v16, 0x3ca908c9
	v_fmac_f32_e32 v16, 0xbbbac73d, v15
	v_fma_f32 v16, v15, v16, v6
	v_fma_f32 v16, v15, v16, v7
	;; [unrolled: 1-line block ×3, first 2 shown]
	v_mul_f32_e64 v16, |v5|, v16
	v_fma_f32 v15, v15, v16, |v5|
	s_branch .LBB163_40
.LBB163_57:
	s_endpgm
	.section	.rodata,"a",@progbits
	.p2align	6, 0x0
	.amdhsa_kernel _ZN2at6native12_GLOBAL__N_125multi_tensor_apply_kernelINS1_18TensorListMetadataILi1EEENS1_14UnaryOpFunctorIN3c104HalfELi1ELi1ELi0EEEJNS0_4TanhIfEEEEEvT_T0_DpT1_
		.amdhsa_group_segment_fixed_size 0
		.amdhsa_private_segment_fixed_size 0
		.amdhsa_kernarg_size 3632
		.amdhsa_user_sgpr_count 6
		.amdhsa_user_sgpr_private_segment_buffer 1
		.amdhsa_user_sgpr_dispatch_ptr 0
		.amdhsa_user_sgpr_queue_ptr 0
		.amdhsa_user_sgpr_kernarg_segment_ptr 1
		.amdhsa_user_sgpr_dispatch_id 0
		.amdhsa_user_sgpr_flat_scratch_init 0
		.amdhsa_user_sgpr_private_segment_size 0
		.amdhsa_uses_dynamic_stack 0
		.amdhsa_system_sgpr_private_segment_wavefront_offset 0
		.amdhsa_system_sgpr_workgroup_id_x 1
		.amdhsa_system_sgpr_workgroup_id_y 0
		.amdhsa_system_sgpr_workgroup_id_z 0
		.amdhsa_system_sgpr_workgroup_info 0
		.amdhsa_system_vgpr_workitem_id 0
		.amdhsa_next_free_vgpr 26
		.amdhsa_next_free_sgpr 32
		.amdhsa_reserve_vcc 1
		.amdhsa_reserve_flat_scratch 0
		.amdhsa_float_round_mode_32 0
		.amdhsa_float_round_mode_16_64 0
		.amdhsa_float_denorm_mode_32 3
		.amdhsa_float_denorm_mode_16_64 3
		.amdhsa_dx10_clamp 1
		.amdhsa_ieee_mode 1
		.amdhsa_fp16_overflow 0
		.amdhsa_exception_fp_ieee_invalid_op 0
		.amdhsa_exception_fp_denorm_src 0
		.amdhsa_exception_fp_ieee_div_zero 0
		.amdhsa_exception_fp_ieee_overflow 0
		.amdhsa_exception_fp_ieee_underflow 0
		.amdhsa_exception_fp_ieee_inexact 0
		.amdhsa_exception_int_div_zero 0
	.end_amdhsa_kernel
	.section	.text._ZN2at6native12_GLOBAL__N_125multi_tensor_apply_kernelINS1_18TensorListMetadataILi1EEENS1_14UnaryOpFunctorIN3c104HalfELi1ELi1ELi0EEEJNS0_4TanhIfEEEEEvT_T0_DpT1_,"axG",@progbits,_ZN2at6native12_GLOBAL__N_125multi_tensor_apply_kernelINS1_18TensorListMetadataILi1EEENS1_14UnaryOpFunctorIN3c104HalfELi1ELi1ELi0EEEJNS0_4TanhIfEEEEEvT_T0_DpT1_,comdat
.Lfunc_end163:
	.size	_ZN2at6native12_GLOBAL__N_125multi_tensor_apply_kernelINS1_18TensorListMetadataILi1EEENS1_14UnaryOpFunctorIN3c104HalfELi1ELi1ELi0EEEJNS0_4TanhIfEEEEEvT_T0_DpT1_, .Lfunc_end163-_ZN2at6native12_GLOBAL__N_125multi_tensor_apply_kernelINS1_18TensorListMetadataILi1EEENS1_14UnaryOpFunctorIN3c104HalfELi1ELi1ELi0EEEJNS0_4TanhIfEEEEEvT_T0_DpT1_
                                        ; -- End function
	.set _ZN2at6native12_GLOBAL__N_125multi_tensor_apply_kernelINS1_18TensorListMetadataILi1EEENS1_14UnaryOpFunctorIN3c104HalfELi1ELi1ELi0EEEJNS0_4TanhIfEEEEEvT_T0_DpT1_.num_vgpr, 26
	.set _ZN2at6native12_GLOBAL__N_125multi_tensor_apply_kernelINS1_18TensorListMetadataILi1EEENS1_14UnaryOpFunctorIN3c104HalfELi1ELi1ELi0EEEJNS0_4TanhIfEEEEEvT_T0_DpT1_.num_agpr, 0
	.set _ZN2at6native12_GLOBAL__N_125multi_tensor_apply_kernelINS1_18TensorListMetadataILi1EEENS1_14UnaryOpFunctorIN3c104HalfELi1ELi1ELi0EEEJNS0_4TanhIfEEEEEvT_T0_DpT1_.numbered_sgpr, 32
	.set _ZN2at6native12_GLOBAL__N_125multi_tensor_apply_kernelINS1_18TensorListMetadataILi1EEENS1_14UnaryOpFunctorIN3c104HalfELi1ELi1ELi0EEEJNS0_4TanhIfEEEEEvT_T0_DpT1_.num_named_barrier, 0
	.set _ZN2at6native12_GLOBAL__N_125multi_tensor_apply_kernelINS1_18TensorListMetadataILi1EEENS1_14UnaryOpFunctorIN3c104HalfELi1ELi1ELi0EEEJNS0_4TanhIfEEEEEvT_T0_DpT1_.private_seg_size, 0
	.set _ZN2at6native12_GLOBAL__N_125multi_tensor_apply_kernelINS1_18TensorListMetadataILi1EEENS1_14UnaryOpFunctorIN3c104HalfELi1ELi1ELi0EEEJNS0_4TanhIfEEEEEvT_T0_DpT1_.uses_vcc, 1
	.set _ZN2at6native12_GLOBAL__N_125multi_tensor_apply_kernelINS1_18TensorListMetadataILi1EEENS1_14UnaryOpFunctorIN3c104HalfELi1ELi1ELi0EEEJNS0_4TanhIfEEEEEvT_T0_DpT1_.uses_flat_scratch, 0
	.set _ZN2at6native12_GLOBAL__N_125multi_tensor_apply_kernelINS1_18TensorListMetadataILi1EEENS1_14UnaryOpFunctorIN3c104HalfELi1ELi1ELi0EEEJNS0_4TanhIfEEEEEvT_T0_DpT1_.has_dyn_sized_stack, 0
	.set _ZN2at6native12_GLOBAL__N_125multi_tensor_apply_kernelINS1_18TensorListMetadataILi1EEENS1_14UnaryOpFunctorIN3c104HalfELi1ELi1ELi0EEEJNS0_4TanhIfEEEEEvT_T0_DpT1_.has_recursion, 0
	.set _ZN2at6native12_GLOBAL__N_125multi_tensor_apply_kernelINS1_18TensorListMetadataILi1EEENS1_14UnaryOpFunctorIN3c104HalfELi1ELi1ELi0EEEJNS0_4TanhIfEEEEEvT_T0_DpT1_.has_indirect_call, 0
	.section	.AMDGPU.csdata,"",@progbits
; Kernel info:
; codeLenInByte = 2804
; TotalNumSgprs: 36
; NumVgprs: 26
; ScratchSize: 0
; MemoryBound: 0
; FloatMode: 240
; IeeeMode: 1
; LDSByteSize: 0 bytes/workgroup (compile time only)
; SGPRBlocks: 4
; VGPRBlocks: 6
; NumSGPRsForWavesPerEU: 36
; NumVGPRsForWavesPerEU: 26
; Occupancy: 9
; WaveLimiterHint : 0
; COMPUTE_PGM_RSRC2:SCRATCH_EN: 0
; COMPUTE_PGM_RSRC2:USER_SGPR: 6
; COMPUTE_PGM_RSRC2:TRAP_HANDLER: 0
; COMPUTE_PGM_RSRC2:TGID_X_EN: 1
; COMPUTE_PGM_RSRC2:TGID_Y_EN: 0
; COMPUTE_PGM_RSRC2:TGID_Z_EN: 0
; COMPUTE_PGM_RSRC2:TIDIG_COMP_CNT: 0
	.section	.text._ZN2at6native12_GLOBAL__N_125multi_tensor_apply_kernelINS1_18TensorListMetadataILi1EEENS1_14UnaryOpFunctorIN3c108BFloat16ELi1ELi1ELi0EEEJNS0_4TanhIfEEEEEvT_T0_DpT1_,"axG",@progbits,_ZN2at6native12_GLOBAL__N_125multi_tensor_apply_kernelINS1_18TensorListMetadataILi1EEENS1_14UnaryOpFunctorIN3c108BFloat16ELi1ELi1ELi0EEEJNS0_4TanhIfEEEEEvT_T0_DpT1_,comdat
	.globl	_ZN2at6native12_GLOBAL__N_125multi_tensor_apply_kernelINS1_18TensorListMetadataILi1EEENS1_14UnaryOpFunctorIN3c108BFloat16ELi1ELi1ELi0EEEJNS0_4TanhIfEEEEEvT_T0_DpT1_ ; -- Begin function _ZN2at6native12_GLOBAL__N_125multi_tensor_apply_kernelINS1_18TensorListMetadataILi1EEENS1_14UnaryOpFunctorIN3c108BFloat16ELi1ELi1ELi0EEEJNS0_4TanhIfEEEEEvT_T0_DpT1_
	.p2align	8
	.type	_ZN2at6native12_GLOBAL__N_125multi_tensor_apply_kernelINS1_18TensorListMetadataILi1EEENS1_14UnaryOpFunctorIN3c108BFloat16ELi1ELi1ELi0EEEJNS0_4TanhIfEEEEEvT_T0_DpT1_,@function
_ZN2at6native12_GLOBAL__N_125multi_tensor_apply_kernelINS1_18TensorListMetadataILi1EEENS1_14UnaryOpFunctorIN3c108BFloat16ELi1ELi1ELi0EEEJNS0_4TanhIfEEEEEvT_T0_DpT1_: ; @_ZN2at6native12_GLOBAL__N_125multi_tensor_apply_kernelINS1_18TensorListMetadataILi1EEENS1_14UnaryOpFunctorIN3c108BFloat16ELi1ELi1ELi0EEEJNS0_4TanhIfEEEEEvT_T0_DpT1_
; %bb.0:
	v_mov_b32_e32 v1, s6
	global_load_ubyte v1, v1, s[4:5] offset:1760
	s_add_u32 s0, s4, s6
	s_mul_hi_u32 s1, s6, 3
	s_mul_i32 s6, s6, 3
	s_addc_u32 s2, s5, 0
	s_add_u32 s0, s0, s6
	s_addc_u32 s1, s2, s1
	s_load_dword s0, s[0:1], 0x820
	s_mov_b32 s7, 0
	s_waitcnt vmcnt(0)
	v_readfirstlane_b32 s1, v1
	s_lshl_b32 s1, s1, 3
	s_load_dwordx2 s[2:3], s[4:5], s1 offset:0x370
	s_load_dwordx2 s[10:11], s[4:5], s1 offset:0x0
	s_waitcnt lgkmcnt(0)
	s_ashr_i32 s1, s0, 31
	s_lshl_b64 s[12:13], s[0:1], 17
	s_lshl_b64 s[0:1], s[0:1], 16
	s_and_b32 s6, s10, 7
	s_sub_u32 s14, s2, s0
	s_subb_u32 s15, s3, s1
	s_and_b32 s0, s2, 3
	s_mov_b32 s1, s7
	s_or_b64 s[0:1], s[6:7], s[0:1]
	s_cmp_eq_u64 s[0:1], 0
	s_cbranch_scc1 .LBB164_37
; %bb.1:
	v_cmp_lt_i64_e64 s[0:1], s[14:15], 1
	s_and_b64 vcc, exec, s[0:1]
	s_cbranch_vccnz .LBB164_36
; %bb.2:
	v_mov_b32_e32 v1, 0x10000
	s_load_dword s2, s[4:5], 0xd3c
	v_mov_b32_e32 v2, 0
	v_cmp_lt_i64_e32 vcc, s[14:15], v[1:2]
	s_mov_b64 s[20:21], 0
	s_and_b64 s[0:1], vcc, exec
	v_cmp_lt_u64_e32 vcc, s[14:15], v[1:2]
	s_cselect_b32 s17, s15, 0
	s_cselect_b32 s16, s14, 0x10000
	s_waitcnt lgkmcnt(0)
	s_and_b32 s2, s2, 0xffff
	s_and_b64 s[0:1], vcc, exec
	s_cselect_b32 s19, s15, 0
	s_cselect_b32 s18, s14, 0x10000
	s_lshl_b32 s3, s2, 1
	s_lshl_b32 s24, s2, 2
	s_add_u32 s6, s10, s12
	v_lshlrev_b32_e32 v1, 1, v0
	s_addc_u32 s7, s11, s13
	v_mov_b32_e32 v2, s7
	v_add_co_u32_e32 v1, vcc, s6, v1
	s_mul_i32 s0, s2, 3
	v_addc_co_u32_e32 v2, vcc, 0, v2, vcc
	v_add_co_u32_e32 v5, vcc, s0, v0
	v_addc_co_u32_e64 v6, s[0:1], 0, 0, vcc
	v_add_co_u32_e32 v7, vcc, s3, v0
	v_addc_co_u32_e64 v8, s[0:1], 0, 0, vcc
	v_add_co_u32_e32 v9, vcc, s2, v0
	v_lshlrev_b32_e32 v3, 1, v9
	v_addc_co_u32_e64 v10, s[0:1], 0, 0, vcc
	v_mov_b32_e32 v4, s7
	v_add_co_u32_e32 v3, vcc, s6, v3
	s_lshl_b32 s25, s2, 3
	s_mul_i32 s26, s2, 6
	v_addc_co_u32_e32 v4, vcc, 0, v4, vcc
	s_mov_b32 s27, 0x3f200000
	s_mov_b32 s28, 0x3fb8aa3b
	;; [unrolled: 1-line block ×4, first 2 shown]
	v_mov_b32_e32 v11, 0xbd5c1c4e
	v_mov_b32_e32 v12, 0x3e088382
	v_mov_b32_e32 v13, 0xbeaaaa99
	s_brev_b32 s31, -2
	s_movk_i32 s33, 0x7fff
	v_mov_b32_e32 v14, 0x7f800000
	v_mov_b32_e32 v15, 0x7fc0
	s_branch .LBB164_4
.LBB164_3:                              ;   in Loop: Header=BB164_4 Depth=1
	s_or_b64 exec, exec, s[0:1]
	s_add_u32 s20, s20, s24
	v_add_co_u32_e32 v1, vcc, s25, v1
	v_mov_b32_e32 v16, s16
	s_addc_u32 s21, s21, 0
	v_addc_co_u32_e32 v2, vcc, 0, v2, vcc
	v_mov_b32_e32 v17, s17
	v_cmp_ge_i64_e32 vcc, s[20:21], v[16:17]
	v_add_co_u32_e64 v3, s[0:1], s25, v3
	v_addc_co_u32_e64 v4, s[0:1], 0, v4, s[0:1]
	s_cbranch_vccnz .LBB164_36
.LBB164_4:                              ; =>This Inner Loop Header: Depth=1
	v_mov_b32_e32 v17, s21
	v_add_co_u32_e32 v16, vcc, s20, v0
	v_addc_co_u32_e32 v17, vcc, 0, v17, vcc
	v_cmp_gt_u64_e32 vcc, s[18:19], v[16:17]
	v_mov_b32_e32 v17, 0
	s_and_saveexec_b64 s[0:1], vcc
	s_cbranch_execz .LBB164_6
; %bb.5:                                ;   in Loop: Header=BB164_4 Depth=1
	global_load_ushort v16, v[1:2], off
	s_waitcnt vmcnt(0)
	v_lshlrev_b32_e32 v17, 16, v16
.LBB164_6:                              ;   in Loop: Header=BB164_4 Depth=1
	s_or_b64 exec, exec, s[0:1]
	v_mov_b32_e32 v16, s21
	v_add_co_u32_e64 v18, s[0:1], s20, v9
	v_addc_co_u32_e64 v19, s[0:1], v10, v16, s[0:1]
	v_cmp_gt_u64_e64 s[0:1], s[18:19], v[18:19]
	v_mov_b32_e32 v16, 0
	v_mov_b32_e32 v18, 0
	s_and_saveexec_b64 s[2:3], s[0:1]
	s_cbranch_execz .LBB164_8
; %bb.7:                                ;   in Loop: Header=BB164_4 Depth=1
	global_load_ushort v18, v[3:4], off
	s_waitcnt vmcnt(0)
	v_lshlrev_b32_e32 v18, 16, v18
.LBB164_8:                              ;   in Loop: Header=BB164_4 Depth=1
	s_or_b64 exec, exec, s[2:3]
	v_mov_b32_e32 v20, s21
	v_add_co_u32_e64 v19, s[2:3], s20, v7
	v_addc_co_u32_e64 v20, s[2:3], v8, v20, s[2:3]
	v_cmp_gt_u64_e64 s[2:3], s[18:19], v[19:20]
	s_and_saveexec_b64 s[8:9], s[2:3]
	s_cbranch_execz .LBB164_10
; %bb.9:                                ;   in Loop: Header=BB164_4 Depth=1
	v_add_co_u32_e64 v19, s[6:7], s24, v1
	v_addc_co_u32_e64 v20, s[6:7], 0, v2, s[6:7]
	global_load_ushort v16, v[19:20], off
	s_waitcnt vmcnt(0)
	v_lshlrev_b32_e32 v16, 16, v16
.LBB164_10:                             ;   in Loop: Header=BB164_4 Depth=1
	s_or_b64 exec, exec, s[8:9]
	v_mov_b32_e32 v20, s21
	v_add_co_u32_e64 v19, s[6:7], s20, v5
	v_addc_co_u32_e64 v20, s[6:7], v6, v20, s[6:7]
	v_cmp_gt_u64_e64 s[6:7], s[18:19], v[19:20]
	v_mov_b32_e32 v19, 0
	s_and_saveexec_b64 s[22:23], s[6:7]
	s_cbranch_execz .LBB164_12
; %bb.11:                               ;   in Loop: Header=BB164_4 Depth=1
	v_add_co_u32_e64 v19, s[8:9], s26, v1
	v_addc_co_u32_e64 v20, s[8:9], 0, v2, s[8:9]
	global_load_ushort v19, v[19:20], off
	s_waitcnt vmcnt(0)
	v_lshlrev_b32_e32 v19, 16, v19
.LBB164_12:                             ;   in Loop: Header=BB164_4 Depth=1
	s_or_b64 exec, exec, s[22:23]
	v_cmp_nlt_f32_e64 s[8:9], |v17|, s27
                                        ; implicit-def: $vgpr20
	s_and_saveexec_b64 s[22:23], s[8:9]
	s_xor_b64 s[22:23], exec, s[22:23]
	s_cbranch_execz .LBB164_14
; %bb.13:                               ;   in Loop: Header=BB164_4 Depth=1
	v_add_f32_e64 v20, |v17|, |v17|
	v_mul_f32_e32 v21, 0x3fb8aa3b, v20
	v_rndne_f32_e32 v22, v21
	v_sub_f32_e32 v23, v21, v22
	v_fma_f32 v21, v20, s28, -v21
	v_fmac_f32_e32 v21, 0x32a5705f, v20
	v_add_f32_e32 v21, v23, v21
	v_cvt_i32_f32_e32 v22, v22
	v_exp_f32_e32 v21, v21
	v_cmp_ngt_f32_e64 s[8:9], s29, v20
	v_ldexp_f32 v21, v21, v22
	v_cndmask_b32_e64 v21, 0, v21, s[8:9]
	v_cmp_nlt_f32_e64 s[8:9], s30, v20
	v_cndmask_b32_e64 v20, v14, v21, s[8:9]
	v_add_f32_e32 v20, 1.0, v20
	v_rcp_f32_e32 v20, v20
	v_fma_f32 v20, v20, -2.0, 1.0
.LBB164_14:                             ;   in Loop: Header=BB164_4 Depth=1
	s_andn2_saveexec_b64 s[8:9], s[22:23]
; %bb.15:                               ;   in Loop: Header=BB164_4 Depth=1
	v_mul_f32_e32 v20, v17, v17
	v_mov_b32_e32 v21, 0x3ca908c9
	v_fmac_f32_e32 v21, 0xbbbac73d, v20
	v_fma_f32 v21, v20, v21, v11
	v_fma_f32 v21, v20, v21, v12
	;; [unrolled: 1-line block ×3, first 2 shown]
	v_mul_f32_e64 v21, |v17|, v21
	v_fma_f32 v20, v20, v21, |v17|
; %bb.16:                               ;   in Loop: Header=BB164_4 Depth=1
	s_or_b64 exec, exec, s[8:9]
	v_cmp_nlt_f32_e64 s[8:9], |v18|, s27
                                        ; implicit-def: $vgpr21
	s_and_saveexec_b64 s[22:23], s[8:9]
	s_xor_b64 s[22:23], exec, s[22:23]
	s_cbranch_execz .LBB164_18
; %bb.17:                               ;   in Loop: Header=BB164_4 Depth=1
	v_add_f32_e64 v21, |v18|, |v18|
	v_mul_f32_e32 v22, 0x3fb8aa3b, v21
	v_rndne_f32_e32 v23, v22
	v_sub_f32_e32 v24, v22, v23
	v_fma_f32 v22, v21, s28, -v22
	v_fmac_f32_e32 v22, 0x32a5705f, v21
	v_add_f32_e32 v22, v24, v22
	v_cvt_i32_f32_e32 v23, v23
	v_exp_f32_e32 v22, v22
	v_cmp_ngt_f32_e64 s[8:9], s29, v21
	v_ldexp_f32 v22, v22, v23
	v_cndmask_b32_e64 v22, 0, v22, s[8:9]
	v_cmp_nlt_f32_e64 s[8:9], s30, v21
	v_cndmask_b32_e64 v21, v14, v22, s[8:9]
	v_add_f32_e32 v21, 1.0, v21
	v_rcp_f32_e32 v21, v21
	v_fma_f32 v21, v21, -2.0, 1.0
.LBB164_18:                             ;   in Loop: Header=BB164_4 Depth=1
	s_andn2_saveexec_b64 s[8:9], s[22:23]
; %bb.19:                               ;   in Loop: Header=BB164_4 Depth=1
	v_mul_f32_e32 v21, v18, v18
	v_mov_b32_e32 v22, 0x3ca908c9
	v_fmac_f32_e32 v22, 0xbbbac73d, v21
	v_fma_f32 v22, v21, v22, v11
	v_fma_f32 v22, v21, v22, v12
	v_fma_f32 v22, v21, v22, v13
	v_mul_f32_e64 v22, |v18|, v22
	v_fma_f32 v21, v21, v22, |v18|
; %bb.20:                               ;   in Loop: Header=BB164_4 Depth=1
	s_or_b64 exec, exec, s[8:9]
	v_cmp_nlt_f32_e64 s[8:9], |v16|, s27
                                        ; implicit-def: $vgpr22
	s_and_saveexec_b64 s[22:23], s[8:9]
	s_xor_b64 s[22:23], exec, s[22:23]
	s_cbranch_execz .LBB164_22
; %bb.21:                               ;   in Loop: Header=BB164_4 Depth=1
	v_add_f32_e64 v22, |v16|, |v16|
	v_mul_f32_e32 v23, 0x3fb8aa3b, v22
	v_rndne_f32_e32 v24, v23
	v_sub_f32_e32 v25, v23, v24
	v_fma_f32 v23, v22, s28, -v23
	v_fmac_f32_e32 v23, 0x32a5705f, v22
	v_add_f32_e32 v23, v25, v23
	v_cvt_i32_f32_e32 v24, v24
	v_exp_f32_e32 v23, v23
	v_cmp_ngt_f32_e64 s[8:9], s29, v22
	v_ldexp_f32 v23, v23, v24
	v_cndmask_b32_e64 v23, 0, v23, s[8:9]
	v_cmp_nlt_f32_e64 s[8:9], s30, v22
	v_cndmask_b32_e64 v22, v14, v23, s[8:9]
	v_add_f32_e32 v22, 1.0, v22
	v_rcp_f32_e32 v22, v22
	v_fma_f32 v22, v22, -2.0, 1.0
.LBB164_22:                             ;   in Loop: Header=BB164_4 Depth=1
	s_andn2_saveexec_b64 s[8:9], s[22:23]
; %bb.23:                               ;   in Loop: Header=BB164_4 Depth=1
	v_mul_f32_e32 v22, v16, v16
	v_mov_b32_e32 v23, 0x3ca908c9
	v_fmac_f32_e32 v23, 0xbbbac73d, v22
	v_fma_f32 v23, v22, v23, v11
	v_fma_f32 v23, v22, v23, v12
	;; [unrolled: 1-line block ×3, first 2 shown]
	v_mul_f32_e64 v23, |v16|, v23
	v_fma_f32 v22, v22, v23, |v16|
; %bb.24:                               ;   in Loop: Header=BB164_4 Depth=1
	s_or_b64 exec, exec, s[8:9]
	v_cmp_nlt_f32_e64 s[8:9], |v19|, s27
                                        ; implicit-def: $vgpr23
	s_and_saveexec_b64 s[22:23], s[8:9]
	s_xor_b64 s[22:23], exec, s[22:23]
	s_cbranch_execnz .LBB164_30
; %bb.25:                               ;   in Loop: Header=BB164_4 Depth=1
	s_andn2_saveexec_b64 s[8:9], s[22:23]
	s_cbranch_execnz .LBB164_31
.LBB164_26:                             ;   in Loop: Header=BB164_4 Depth=1
	s_or_b64 exec, exec, s[8:9]
	s_and_saveexec_b64 s[8:9], vcc
	s_xor_b64 s[8:9], exec, s[8:9]
	s_cbranch_execnz .LBB164_32
.LBB164_27:                             ;   in Loop: Header=BB164_4 Depth=1
	s_or_b64 exec, exec, s[8:9]
	s_and_saveexec_b64 s[8:9], s[0:1]
	s_cbranch_execnz .LBB164_33
.LBB164_28:                             ;   in Loop: Header=BB164_4 Depth=1
	s_or_b64 exec, exec, s[8:9]
	s_and_saveexec_b64 s[0:1], s[2:3]
	s_cbranch_execnz .LBB164_34
.LBB164_29:                             ;   in Loop: Header=BB164_4 Depth=1
	s_or_b64 exec, exec, s[0:1]
	s_and_saveexec_b64 s[0:1], s[6:7]
	s_cbranch_execz .LBB164_3
	s_branch .LBB164_35
.LBB164_30:                             ;   in Loop: Header=BB164_4 Depth=1
	v_add_f32_e64 v23, |v19|, |v19|
	v_mul_f32_e32 v24, 0x3fb8aa3b, v23
	v_rndne_f32_e32 v25, v24
	v_sub_f32_e32 v26, v24, v25
	v_fma_f32 v24, v23, s28, -v24
	v_fmac_f32_e32 v24, 0x32a5705f, v23
	v_add_f32_e32 v24, v26, v24
	v_cvt_i32_f32_e32 v25, v25
	v_exp_f32_e32 v24, v24
	v_cmp_ngt_f32_e64 s[8:9], s29, v23
	v_ldexp_f32 v24, v24, v25
	v_cndmask_b32_e64 v24, 0, v24, s[8:9]
	v_cmp_nlt_f32_e64 s[8:9], s30, v23
	v_cndmask_b32_e64 v23, v14, v24, s[8:9]
	v_add_f32_e32 v23, 1.0, v23
	v_rcp_f32_e32 v23, v23
	v_fma_f32 v23, v23, -2.0, 1.0
	s_andn2_saveexec_b64 s[8:9], s[22:23]
	s_cbranch_execz .LBB164_26
.LBB164_31:                             ;   in Loop: Header=BB164_4 Depth=1
	v_mul_f32_e32 v23, v19, v19
	v_mov_b32_e32 v24, 0x3ca908c9
	v_fmac_f32_e32 v24, 0xbbbac73d, v23
	v_fma_f32 v24, v23, v24, v11
	v_fma_f32 v24, v23, v24, v12
	;; [unrolled: 1-line block ×3, first 2 shown]
	v_mul_f32_e64 v24, |v19|, v24
	v_fma_f32 v23, v23, v24, |v19|
	s_or_b64 exec, exec, s[8:9]
	s_and_saveexec_b64 s[8:9], vcc
	s_xor_b64 s[8:9], exec, s[8:9]
	s_cbranch_execz .LBB164_27
.LBB164_32:                             ;   in Loop: Header=BB164_4 Depth=1
	v_bfi_b32 v17, s31, v20, v17
	v_bfe_u32 v20, v17, 16, 1
	v_add3_u32 v20, v17, v20, s33
	v_cmp_o_f32_e32 vcc, v17, v17
	v_cndmask_b32_sdwa v17, v15, v20, vcc dst_sel:DWORD dst_unused:UNUSED_PAD src0_sel:DWORD src1_sel:WORD_1
	global_store_short v[1:2], v17, off
	s_or_b64 exec, exec, s[8:9]
	s_and_saveexec_b64 s[8:9], s[0:1]
	s_cbranch_execz .LBB164_28
.LBB164_33:                             ;   in Loop: Header=BB164_4 Depth=1
	v_bfi_b32 v17, s31, v21, v18
	v_bfe_u32 v18, v17, 16, 1
	v_add3_u32 v18, v17, v18, s33
	v_cmp_o_f32_e32 vcc, v17, v17
	v_cndmask_b32_sdwa v17, v15, v18, vcc dst_sel:DWORD dst_unused:UNUSED_PAD src0_sel:DWORD src1_sel:WORD_1
	global_store_short v[3:4], v17, off
	s_or_b64 exec, exec, s[8:9]
	s_and_saveexec_b64 s[0:1], s[2:3]
	s_cbranch_execz .LBB164_29
.LBB164_34:                             ;   in Loop: Header=BB164_4 Depth=1
	v_bfi_b32 v16, s31, v22, v16
	v_bfe_u32 v17, v16, 16, 1
	v_add3_u32 v17, v16, v17, s33
	v_cmp_o_f32_e32 vcc, v16, v16
	v_cndmask_b32_sdwa v18, v15, v17, vcc dst_sel:DWORD dst_unused:UNUSED_PAD src0_sel:DWORD src1_sel:WORD_1
	v_add_co_u32_e32 v16, vcc, s24, v1
	v_addc_co_u32_e32 v17, vcc, 0, v2, vcc
	global_store_short v[16:17], v18, off
	s_or_b64 exec, exec, s[0:1]
	s_and_saveexec_b64 s[0:1], s[6:7]
	s_cbranch_execz .LBB164_3
.LBB164_35:                             ;   in Loop: Header=BB164_4 Depth=1
	v_bfi_b32 v16, s31, v23, v19
	v_bfe_u32 v17, v16, 16, 1
	v_add3_u32 v17, v16, v17, s33
	v_cmp_o_f32_e32 vcc, v16, v16
	v_cndmask_b32_sdwa v18, v15, v17, vcc dst_sel:DWORD dst_unused:UNUSED_PAD src0_sel:DWORD src1_sel:WORD_1
	v_add_co_u32_e32 v16, vcc, s26, v1
	v_addc_co_u32_e32 v17, vcc, 0, v2, vcc
	global_store_short v[16:17], v18, off
	s_branch .LBB164_3
.LBB164_36:
	s_cbranch_execz .LBB164_38
	s_branch .LBB164_57
.LBB164_37:
.LBB164_38:
	v_mov_b32_e32 v1, 0x10000
	v_mov_b32_e32 v2, 0
	v_cmp_lt_i64_e32 vcc, s[14:15], v[1:2]
	v_mov_b32_e32 v2, 0
	s_and_b64 s[0:1], vcc, exec
	s_cselect_b32 s1, s15, 0
	s_cselect_b32 s0, s14, 0x10000
	v_lshlrev_b32_e32 v1, 2, v0
	v_cmp_gt_i64_e32 vcc, s[0:1], v[1:2]
	s_and_saveexec_b64 s[2:3], vcc
	s_cbranch_execz .LBB164_57
; %bb.39:
	s_load_dword s2, s[4:5], 0xd3c
	v_mov_b32_e32 v1, v2
	v_lshlrev_b32_e32 v2, 3, v0
	s_mov_b32 s8, 0x3f200000
	s_mov_b32 s9, 0x3fb8aa3b
	s_waitcnt lgkmcnt(0)
	s_and_b32 s6, s2, 0xffff
	s_add_u32 s2, s10, s12
	s_addc_u32 s3, s11, s13
	v_mov_b32_e32 v3, s3
	v_add_co_u32_e32 v2, vcc, s2, v2
	v_addc_co_u32_e32 v3, vcc, 0, v3, vcc
	s_lshl_b32 s7, s6, 3
	s_mov_b64 s[2:3], 0
	s_mov_b32 s10, 0xc2ce8ed0
	s_mov_b32 s11, 0x42b17218
	v_mov_b32_e32 v6, 0xbd5c1c4e
	v_mov_b32_e32 v7, 0x3e088382
	;; [unrolled: 1-line block ×3, first 2 shown]
	s_brev_b32 s12, -2
	s_movk_i32 s13, 0x7fff
	v_mov_b32_e32 v9, 0x7f800000
	v_mov_b32_e32 v10, 0x7fc00000
	;; [unrolled: 1-line block ×3, first 2 shown]
	s_branch .LBB164_41
.LBB164_40:                             ;   in Loop: Header=BB164_41 Depth=1
	s_or_b64 exec, exec, s[4:5]
	v_bfi_b32 v5, s12, v17, v5
	v_bfi_b32 v4, s12, v16, v4
	v_bfe_u32 v17, v5, 16, 1
	v_bfe_u32 v16, v4, 16, 1
	v_bfi_b32 v14, s12, v15, v14
	v_add3_u32 v17, v5, v17, s13
	v_add3_u32 v16, v4, v16, s13
	v_bfe_u32 v15, v14, 16, 1
	v_bfi_b32 v12, s12, v13, v12
	v_and_b32_e32 v17, 0xffff0000, v17
	v_cmp_o_f32_e32 vcc, v5, v5
	v_lshrrev_b32_e32 v16, 16, v16
	v_add3_u32 v15, v14, v15, s13
	v_bfe_u32 v13, v12, 16, 1
	v_cndmask_b32_e32 v5, v10, v17, vcc
	v_cmp_o_f32_e32 vcc, v4, v4
	v_and_b32_e32 v15, 0xffff0000, v15
	v_add3_u32 v13, v12, v13, s13
	v_cndmask_b32_e32 v4, v11, v16, vcc
	v_cmp_o_f32_e32 vcc, v14, v14
	v_lshrrev_b32_e32 v13, 16, v13
	v_cndmask_b32_e32 v14, v10, v15, vcc
	v_cmp_o_f32_e32 vcc, v12, v12
	v_cndmask_b32_e32 v12, v11, v13, vcc
	v_add_co_u32_e32 v0, vcc, s6, v0
	v_addc_co_u32_e32 v1, vcc, 0, v1, vcc
	v_or_b32_e32 v14, v14, v12
	v_lshlrev_b64 v[12:13], 2, v[0:1]
	v_or3_b32 v5, 0, v4, v5
	v_cmp_le_i64_e32 vcc, s[0:1], v[12:13]
	v_or3_b32 v4, v14, 0, 0
	global_store_dwordx2 v[2:3], v[4:5], off
	s_or_b64 s[2:3], vcc, s[2:3]
	v_add_co_u32_e32 v2, vcc, s7, v2
	v_addc_co_u32_e32 v3, vcc, 0, v3, vcc
	s_andn2_b64 exec, exec, s[2:3]
	s_cbranch_execz .LBB164_57
.LBB164_41:                             ; =>This Inner Loop Header: Depth=1
	global_load_dwordx2 v[4:5], v[2:3], off
                                        ; implicit-def: $vgpr13
	s_waitcnt vmcnt(0)
	v_lshlrev_b32_e32 v12, 16, v4
	v_cmp_nlt_f32_e64 s[4:5], |v12|, s8
	s_and_saveexec_b64 s[14:15], s[4:5]
	s_xor_b64 s[4:5], exec, s[14:15]
	s_cbranch_execz .LBB164_43
; %bb.42:                               ;   in Loop: Header=BB164_41 Depth=1
	v_add_f32_e64 v13, |v12|, |v12|
	v_mul_f32_e32 v14, 0x3fb8aa3b, v13
	v_rndne_f32_e32 v15, v14
	v_sub_f32_e32 v16, v14, v15
	v_fma_f32 v14, v13, s9, -v14
	v_fmac_f32_e32 v14, 0x32a5705f, v13
	v_add_f32_e32 v14, v16, v14
	v_cvt_i32_f32_e32 v15, v15
	v_exp_f32_e32 v14, v14
	v_cmp_ngt_f32_e32 vcc, s10, v13
	v_ldexp_f32 v14, v14, v15
	v_cndmask_b32_e32 v14, 0, v14, vcc
	v_cmp_nlt_f32_e32 vcc, s11, v13
	v_cndmask_b32_e32 v13, v9, v14, vcc
	v_add_f32_e32 v13, 1.0, v13
	v_rcp_f32_e32 v13, v13
	v_fma_f32 v13, v13, -2.0, 1.0
.LBB164_43:                             ;   in Loop: Header=BB164_41 Depth=1
	s_andn2_saveexec_b64 s[4:5], s[4:5]
; %bb.44:                               ;   in Loop: Header=BB164_41 Depth=1
	v_mul_f32_e32 v13, v12, v12
	v_mov_b32_e32 v14, 0x3ca908c9
	v_fmac_f32_e32 v14, 0xbbbac73d, v13
	v_fma_f32 v14, v13, v14, v6
	v_fma_f32 v14, v13, v14, v7
	;; [unrolled: 1-line block ×3, first 2 shown]
	v_mul_f32_e64 v14, |v12|, v14
	v_fma_f32 v13, v13, v14, |v12|
; %bb.45:                               ;   in Loop: Header=BB164_41 Depth=1
	s_or_b64 exec, exec, s[4:5]
	v_and_b32_e32 v14, 0xffff0000, v4
	v_cmp_nlt_f32_e64 s[4:5], |v14|, s8
                                        ; implicit-def: $vgpr15
	s_and_saveexec_b64 s[14:15], s[4:5]
	s_xor_b64 s[4:5], exec, s[14:15]
	s_cbranch_execz .LBB164_47
; %bb.46:                               ;   in Loop: Header=BB164_41 Depth=1
	v_add_f32_e64 v15, |v14|, |v14|
	v_mul_f32_e32 v16, 0x3fb8aa3b, v15
	v_rndne_f32_e32 v17, v16
	v_sub_f32_e32 v18, v16, v17
	v_fma_f32 v16, v15, s9, -v16
	v_fmac_f32_e32 v16, 0x32a5705f, v15
	v_add_f32_e32 v16, v18, v16
	v_cvt_i32_f32_e32 v17, v17
	v_exp_f32_e32 v16, v16
	v_cmp_ngt_f32_e32 vcc, s10, v15
	v_ldexp_f32 v16, v16, v17
	v_cndmask_b32_e32 v16, 0, v16, vcc
	v_cmp_nlt_f32_e32 vcc, s11, v15
	v_cndmask_b32_e32 v15, v9, v16, vcc
	v_add_f32_e32 v15, 1.0, v15
	v_rcp_f32_e32 v15, v15
	v_fma_f32 v15, v15, -2.0, 1.0
.LBB164_47:                             ;   in Loop: Header=BB164_41 Depth=1
	s_andn2_saveexec_b64 s[4:5], s[4:5]
; %bb.48:                               ;   in Loop: Header=BB164_41 Depth=1
	v_mul_f32_e32 v15, v14, v14
	v_mov_b32_e32 v16, 0x3ca908c9
	v_fmac_f32_e32 v16, 0xbbbac73d, v15
	v_fma_f32 v16, v15, v16, v6
	v_fma_f32 v16, v15, v16, v7
	;; [unrolled: 1-line block ×3, first 2 shown]
	v_mul_f32_e64 v16, |v14|, v16
	v_fma_f32 v15, v15, v16, |v14|
; %bb.49:                               ;   in Loop: Header=BB164_41 Depth=1
	s_or_b64 exec, exec, s[4:5]
	v_alignbit_b32 v4, v5, v4, 16
	v_and_b32_e32 v4, 0xffff0000, v4
	v_cmp_nlt_f32_e64 s[4:5], |v4|, s8
                                        ; implicit-def: $vgpr16
	s_and_saveexec_b64 s[14:15], s[4:5]
	s_xor_b64 s[4:5], exec, s[14:15]
	s_cbranch_execz .LBB164_51
; %bb.50:                               ;   in Loop: Header=BB164_41 Depth=1
	v_add_f32_e64 v16, |v4|, |v4|
	v_mul_f32_e32 v17, 0x3fb8aa3b, v16
	v_rndne_f32_e32 v18, v17
	v_sub_f32_e32 v19, v17, v18
	v_fma_f32 v17, v16, s9, -v17
	v_fmac_f32_e32 v17, 0x32a5705f, v16
	v_add_f32_e32 v17, v19, v17
	v_cvt_i32_f32_e32 v18, v18
	v_exp_f32_e32 v17, v17
	v_cmp_ngt_f32_e32 vcc, s10, v16
	v_ldexp_f32 v17, v17, v18
	v_cndmask_b32_e32 v17, 0, v17, vcc
	v_cmp_nlt_f32_e32 vcc, s11, v16
	v_cndmask_b32_e32 v16, v9, v17, vcc
	v_add_f32_e32 v16, 1.0, v16
	v_rcp_f32_e32 v16, v16
	v_fma_f32 v16, v16, -2.0, 1.0
.LBB164_51:                             ;   in Loop: Header=BB164_41 Depth=1
	s_andn2_saveexec_b64 s[4:5], s[4:5]
; %bb.52:                               ;   in Loop: Header=BB164_41 Depth=1
	v_mul_f32_e32 v16, v4, v4
	v_mov_b32_e32 v17, 0x3ca908c9
	v_fmac_f32_e32 v17, 0xbbbac73d, v16
	v_fma_f32 v17, v16, v17, v6
	v_fma_f32 v17, v16, v17, v7
	;; [unrolled: 1-line block ×3, first 2 shown]
	v_mul_f32_e64 v17, |v4|, v17
	v_fma_f32 v16, v16, v17, |v4|
; %bb.53:                               ;   in Loop: Header=BB164_41 Depth=1
	s_or_b64 exec, exec, s[4:5]
	v_and_b32_e32 v5, 0xffff0000, v5
	v_cmp_nlt_f32_e64 s[4:5], |v5|, s8
                                        ; implicit-def: $vgpr17
	s_and_saveexec_b64 s[14:15], s[4:5]
	s_xor_b64 s[4:5], exec, s[14:15]
	s_cbranch_execz .LBB164_55
; %bb.54:                               ;   in Loop: Header=BB164_41 Depth=1
	v_add_f32_e64 v17, |v5|, |v5|
	v_mul_f32_e32 v18, 0x3fb8aa3b, v17
	v_rndne_f32_e32 v19, v18
	v_sub_f32_e32 v20, v18, v19
	v_fma_f32 v18, v17, s9, -v18
	v_fmac_f32_e32 v18, 0x32a5705f, v17
	v_add_f32_e32 v18, v20, v18
	v_cvt_i32_f32_e32 v19, v19
	v_exp_f32_e32 v18, v18
	v_cmp_ngt_f32_e32 vcc, s10, v17
	v_ldexp_f32 v18, v18, v19
	v_cndmask_b32_e32 v18, 0, v18, vcc
	v_cmp_nlt_f32_e32 vcc, s11, v17
	v_cndmask_b32_e32 v17, v9, v18, vcc
	v_add_f32_e32 v17, 1.0, v17
	v_rcp_f32_e32 v17, v17
	v_fma_f32 v17, v17, -2.0, 1.0
.LBB164_55:                             ;   in Loop: Header=BB164_41 Depth=1
	s_andn2_saveexec_b64 s[4:5], s[4:5]
	s_cbranch_execz .LBB164_40
; %bb.56:                               ;   in Loop: Header=BB164_41 Depth=1
	v_mul_f32_e32 v17, v5, v5
	v_mov_b32_e32 v18, 0x3ca908c9
	v_fmac_f32_e32 v18, 0xbbbac73d, v17
	v_fma_f32 v18, v17, v18, v6
	v_fma_f32 v18, v17, v18, v7
	;; [unrolled: 1-line block ×3, first 2 shown]
	v_mul_f32_e64 v18, |v5|, v18
	v_fma_f32 v17, v17, v18, |v5|
	s_branch .LBB164_40
.LBB164_57:
	s_endpgm
	.section	.rodata,"a",@progbits
	.p2align	6, 0x0
	.amdhsa_kernel _ZN2at6native12_GLOBAL__N_125multi_tensor_apply_kernelINS1_18TensorListMetadataILi1EEENS1_14UnaryOpFunctorIN3c108BFloat16ELi1ELi1ELi0EEEJNS0_4TanhIfEEEEEvT_T0_DpT1_
		.amdhsa_group_segment_fixed_size 0
		.amdhsa_private_segment_fixed_size 0
		.amdhsa_kernarg_size 3632
		.amdhsa_user_sgpr_count 6
		.amdhsa_user_sgpr_private_segment_buffer 1
		.amdhsa_user_sgpr_dispatch_ptr 0
		.amdhsa_user_sgpr_queue_ptr 0
		.amdhsa_user_sgpr_kernarg_segment_ptr 1
		.amdhsa_user_sgpr_dispatch_id 0
		.amdhsa_user_sgpr_flat_scratch_init 0
		.amdhsa_user_sgpr_private_segment_size 0
		.amdhsa_uses_dynamic_stack 0
		.amdhsa_system_sgpr_private_segment_wavefront_offset 0
		.amdhsa_system_sgpr_workgroup_id_x 1
		.amdhsa_system_sgpr_workgroup_id_y 0
		.amdhsa_system_sgpr_workgroup_id_z 0
		.amdhsa_system_sgpr_workgroup_info 0
		.amdhsa_system_vgpr_workitem_id 0
		.amdhsa_next_free_vgpr 27
		.amdhsa_next_free_sgpr 34
		.amdhsa_reserve_vcc 1
		.amdhsa_reserve_flat_scratch 0
		.amdhsa_float_round_mode_32 0
		.amdhsa_float_round_mode_16_64 0
		.amdhsa_float_denorm_mode_32 3
		.amdhsa_float_denorm_mode_16_64 3
		.amdhsa_dx10_clamp 1
		.amdhsa_ieee_mode 1
		.amdhsa_fp16_overflow 0
		.amdhsa_exception_fp_ieee_invalid_op 0
		.amdhsa_exception_fp_denorm_src 0
		.amdhsa_exception_fp_ieee_div_zero 0
		.amdhsa_exception_fp_ieee_overflow 0
		.amdhsa_exception_fp_ieee_underflow 0
		.amdhsa_exception_fp_ieee_inexact 0
		.amdhsa_exception_int_div_zero 0
	.end_amdhsa_kernel
	.section	.text._ZN2at6native12_GLOBAL__N_125multi_tensor_apply_kernelINS1_18TensorListMetadataILi1EEENS1_14UnaryOpFunctorIN3c108BFloat16ELi1ELi1ELi0EEEJNS0_4TanhIfEEEEEvT_T0_DpT1_,"axG",@progbits,_ZN2at6native12_GLOBAL__N_125multi_tensor_apply_kernelINS1_18TensorListMetadataILi1EEENS1_14UnaryOpFunctorIN3c108BFloat16ELi1ELi1ELi0EEEJNS0_4TanhIfEEEEEvT_T0_DpT1_,comdat
.Lfunc_end164:
	.size	_ZN2at6native12_GLOBAL__N_125multi_tensor_apply_kernelINS1_18TensorListMetadataILi1EEENS1_14UnaryOpFunctorIN3c108BFloat16ELi1ELi1ELi0EEEJNS0_4TanhIfEEEEEvT_T0_DpT1_, .Lfunc_end164-_ZN2at6native12_GLOBAL__N_125multi_tensor_apply_kernelINS1_18TensorListMetadataILi1EEENS1_14UnaryOpFunctorIN3c108BFloat16ELi1ELi1ELi0EEEJNS0_4TanhIfEEEEEvT_T0_DpT1_
                                        ; -- End function
	.set _ZN2at6native12_GLOBAL__N_125multi_tensor_apply_kernelINS1_18TensorListMetadataILi1EEENS1_14UnaryOpFunctorIN3c108BFloat16ELi1ELi1ELi0EEEJNS0_4TanhIfEEEEEvT_T0_DpT1_.num_vgpr, 27
	.set _ZN2at6native12_GLOBAL__N_125multi_tensor_apply_kernelINS1_18TensorListMetadataILi1EEENS1_14UnaryOpFunctorIN3c108BFloat16ELi1ELi1ELi0EEEJNS0_4TanhIfEEEEEvT_T0_DpT1_.num_agpr, 0
	.set _ZN2at6native12_GLOBAL__N_125multi_tensor_apply_kernelINS1_18TensorListMetadataILi1EEENS1_14UnaryOpFunctorIN3c108BFloat16ELi1ELi1ELi0EEEJNS0_4TanhIfEEEEEvT_T0_DpT1_.numbered_sgpr, 34
	.set _ZN2at6native12_GLOBAL__N_125multi_tensor_apply_kernelINS1_18TensorListMetadataILi1EEENS1_14UnaryOpFunctorIN3c108BFloat16ELi1ELi1ELi0EEEJNS0_4TanhIfEEEEEvT_T0_DpT1_.num_named_barrier, 0
	.set _ZN2at6native12_GLOBAL__N_125multi_tensor_apply_kernelINS1_18TensorListMetadataILi1EEENS1_14UnaryOpFunctorIN3c108BFloat16ELi1ELi1ELi0EEEJNS0_4TanhIfEEEEEvT_T0_DpT1_.private_seg_size, 0
	.set _ZN2at6native12_GLOBAL__N_125multi_tensor_apply_kernelINS1_18TensorListMetadataILi1EEENS1_14UnaryOpFunctorIN3c108BFloat16ELi1ELi1ELi0EEEJNS0_4TanhIfEEEEEvT_T0_DpT1_.uses_vcc, 1
	.set _ZN2at6native12_GLOBAL__N_125multi_tensor_apply_kernelINS1_18TensorListMetadataILi1EEENS1_14UnaryOpFunctorIN3c108BFloat16ELi1ELi1ELi0EEEJNS0_4TanhIfEEEEEvT_T0_DpT1_.uses_flat_scratch, 0
	.set _ZN2at6native12_GLOBAL__N_125multi_tensor_apply_kernelINS1_18TensorListMetadataILi1EEENS1_14UnaryOpFunctorIN3c108BFloat16ELi1ELi1ELi0EEEJNS0_4TanhIfEEEEEvT_T0_DpT1_.has_dyn_sized_stack, 0
	.set _ZN2at6native12_GLOBAL__N_125multi_tensor_apply_kernelINS1_18TensorListMetadataILi1EEENS1_14UnaryOpFunctorIN3c108BFloat16ELi1ELi1ELi0EEEJNS0_4TanhIfEEEEEvT_T0_DpT1_.has_recursion, 0
	.set _ZN2at6native12_GLOBAL__N_125multi_tensor_apply_kernelINS1_18TensorListMetadataILi1EEENS1_14UnaryOpFunctorIN3c108BFloat16ELi1ELi1ELi0EEEJNS0_4TanhIfEEEEEvT_T0_DpT1_.has_indirect_call, 0
	.section	.AMDGPU.csdata,"",@progbits
; Kernel info:
; codeLenInByte = 3012
; TotalNumSgprs: 38
; NumVgprs: 27
; ScratchSize: 0
; MemoryBound: 0
; FloatMode: 240
; IeeeMode: 1
; LDSByteSize: 0 bytes/workgroup (compile time only)
; SGPRBlocks: 4
; VGPRBlocks: 6
; NumSGPRsForWavesPerEU: 38
; NumVGPRsForWavesPerEU: 27
; Occupancy: 9
; WaveLimiterHint : 0
; COMPUTE_PGM_RSRC2:SCRATCH_EN: 0
; COMPUTE_PGM_RSRC2:USER_SGPR: 6
; COMPUTE_PGM_RSRC2:TRAP_HANDLER: 0
; COMPUTE_PGM_RSRC2:TGID_X_EN: 1
; COMPUTE_PGM_RSRC2:TGID_Y_EN: 0
; COMPUTE_PGM_RSRC2:TGID_Z_EN: 0
; COMPUTE_PGM_RSRC2:TIDIG_COMP_CNT: 0
	.section	.text._ZN2at6native12_GLOBAL__N_125multi_tensor_apply_kernelINS1_18TensorListMetadataILi2EEENS1_14UnaryOpFunctorIdLi2ELi1ELi1EEEJNS0_3LogIdEEEEEvT_T0_DpT1_,"axG",@progbits,_ZN2at6native12_GLOBAL__N_125multi_tensor_apply_kernelINS1_18TensorListMetadataILi2EEENS1_14UnaryOpFunctorIdLi2ELi1ELi1EEEJNS0_3LogIdEEEEEvT_T0_DpT1_,comdat
	.globl	_ZN2at6native12_GLOBAL__N_125multi_tensor_apply_kernelINS1_18TensorListMetadataILi2EEENS1_14UnaryOpFunctorIdLi2ELi1ELi1EEEJNS0_3LogIdEEEEEvT_T0_DpT1_ ; -- Begin function _ZN2at6native12_GLOBAL__N_125multi_tensor_apply_kernelINS1_18TensorListMetadataILi2EEENS1_14UnaryOpFunctorIdLi2ELi1ELi1EEEJNS0_3LogIdEEEEEvT_T0_DpT1_
	.p2align	8
	.type	_ZN2at6native12_GLOBAL__N_125multi_tensor_apply_kernelINS1_18TensorListMetadataILi2EEENS1_14UnaryOpFunctorIdLi2ELi1ELi1EEEJNS0_3LogIdEEEEEvT_T0_DpT1_,@function
_ZN2at6native12_GLOBAL__N_125multi_tensor_apply_kernelINS1_18TensorListMetadataILi2EEENS1_14UnaryOpFunctorIdLi2ELi1ELi1EEEJNS0_3LogIdEEEEEvT_T0_DpT1_: ; @_ZN2at6native12_GLOBAL__N_125multi_tensor_apply_kernelINS1_18TensorListMetadataILi2EEENS1_14UnaryOpFunctorIdLi2ELi1ELi1EEEJNS0_3LogIdEEEEEvT_T0_DpT1_
; %bb.0:
	v_mov_b32_e32 v1, s6
	global_load_ubyte v1, v1, s[4:5] offset:1536
	s_add_u32 s0, s4, s6
	s_mul_hi_u32 s1, s6, 3
	s_mul_i32 s6, s6, 3
	s_addc_u32 s2, s5, 0
	s_add_u32 s0, s0, s6
	s_addc_u32 s1, s2, s1
	s_load_dword s6, s[0:1], 0x740
	s_mov_b32 s9, 0
	s_mov_b32 s11, s9
	s_waitcnt vmcnt(0)
	v_readfirstlane_b32 s0, v1
	s_lshl_b32 s7, s0, 3
	s_load_dwordx2 s[12:13], s[4:5], s7 offset:0x400
	s_load_dwordx2 s[2:3], s[4:5], s7 offset:0x0
	;; [unrolled: 1-line block ×3, first 2 shown]
	s_waitcnt lgkmcnt(0)
	s_ashr_i32 s7, s6, 31
	s_lshl_b64 s[14:15], s[6:7], 19
	s_lshl_b64 s[6:7], s[6:7], 16
	s_add_u32 s8, s2, s14
	s_and_b32 s10, s0, 31
	s_and_b32 s8, s8, 31
	s_sub_u32 s6, s12, s6
	s_subb_u32 s7, s13, s7
	s_and_b32 s12, s12, 3
	s_mov_b32 s13, s9
	s_or_b64 s[10:11], s[10:11], s[12:13]
	s_or_b64 s[8:9], s[10:11], s[8:9]
	s_cmp_eq_u64 s[8:9], 0
	s_mov_b64 s[8:9], -1
	s_cbranch_scc0 .LBB165_5
; %bb.1:
	v_mov_b32_e32 v1, 0x10000
	v_mov_b32_e32 v2, 0
	v_cmp_lt_i64_e32 vcc, s[6:7], v[1:2]
	v_mov_b32_e32 v2, 0
	s_and_b64 s[8:9], vcc, exec
	s_cselect_b32 s9, s7, 0
	s_cselect_b32 s8, s6, 0x10000
	v_lshlrev_b32_e32 v1, 2, v0
	v_cmp_gt_i64_e32 vcc, s[8:9], v[1:2]
	s_and_saveexec_b64 s[10:11], vcc
	s_cbranch_execz .LBB165_4
; %bb.2:
	s_load_dword s12, s[4:5], 0xc5c
	s_mov_b32 s20, 0x6b47b09a
	v_mov_b32_e32 v1, v2
	v_lshlrev_b32_e32 v2, 5, v0
	s_mov_b32 s16, 0x55555555
	s_mov_b32 s21, 0x3fc38538
	v_mov_b32_e32 v9, s20
	v_mov_b32_e32 v3, s15
	s_waitcnt lgkmcnt(0)
	s_and_b32 s33, s12, 0xffff
	v_add_co_u32_e32 v13, vcc, s14, v2
	s_mov_b32 s17, 0x3fe55555
	s_mov_b32 s18, 0xbf559e2b
	v_mov_b32_e32 v10, s21
	s_mov_b32 s20, 0xd7f4df2e
	s_mov_b32 s22, 0x16291751
	;; [unrolled: 1-line block ×6, first 2 shown]
	v_mov_b32_e32 v12, v1
	v_addc_co_u32_e32 v14, vcc, 0, v3, vcc
	s_lshl_b32 s36, s33, 5
	s_mov_b64 s[12:13], 0
	v_mov_b32_e32 v15, s3
	s_mov_b32 s19, 0x3fc3ab76
	s_mov_b32 s21, 0x3fc7474d
	s_mov_b32 s23, 0x3fcc71c0
	s_mov_b32 s25, 0x3fd24924
	s_mov_b32 s27, 0x3fd99999
	s_mov_b32 s28, 0x55555780
	s_mov_b32 s29, s17
	s_mov_b32 s31, 0x3fe62e42
	s_mov_b32 s35, 0x3c7abc9e
	s_movk_i32 s37, 0x204
	v_mov_b32_e32 v16, 0x7ff80000
	v_mov_b32_e32 v17, 0xfff00000
	;; [unrolled: 1-line block ×4, first 2 shown]
.LBB165_3:                              ; =>This Inner Loop Header: Depth=1
	v_add_co_u32_e32 v5, vcc, s2, v13
	v_addc_co_u32_e32 v6, vcc, v15, v14, vcc
	global_load_dwordx4 v[1:4], v[5:6], off offset:16
	global_load_dwordx4 v[19:22], v[5:6], off
	s_waitcnt vmcnt(0)
	v_frexp_mant_f64_e32 v[5:6], v[19:20]
	v_frexp_exp_i32_f64_e32 v7, v[19:20]
	v_cmp_gt_f64_e32 vcc, s[16:17], v[5:6]
	v_cndmask_b32_e64 v8, 0, 1, vcc
	v_ldexp_f64 v[5:6], v[5:6], v8
	v_subbrev_co_u32_e32 v33, vcc, 0, v7, vcc
	v_cmp_class_f64_e64 vcc, v[19:20], s37
	v_add_f64 v[23:24], v[5:6], 1.0
	v_add_f64 v[7:8], v[5:6], -1.0
	v_add_f64 v[25:26], v[23:24], -1.0
	v_add_f64 v[5:6], v[5:6], -v[25:26]
	v_rcp_f64_e32 v[25:26], v[23:24]
	v_fma_f64 v[27:28], -v[23:24], v[25:26], 1.0
	v_fma_f64 v[25:26], v[27:28], v[25:26], v[25:26]
	v_fma_f64 v[27:28], -v[23:24], v[25:26], 1.0
	v_fma_f64 v[25:26], v[27:28], v[25:26], v[25:26]
	v_mul_f64 v[27:28], v[7:8], v[25:26]
	v_mul_f64 v[29:30], v[23:24], v[27:28]
	v_fma_f64 v[23:24], v[27:28], v[23:24], -v[29:30]
	v_fma_f64 v[5:6], v[27:28], v[5:6], v[23:24]
	v_add_f64 v[23:24], v[29:30], v[5:6]
	v_add_f64 v[31:32], v[7:8], -v[23:24]
	v_add_f64 v[29:30], v[23:24], -v[29:30]
	;; [unrolled: 1-line block ×5, first 2 shown]
	v_add_f64 v[5:6], v[5:6], v[7:8]
	v_add_f64 v[5:6], v[31:32], v[5:6]
	v_mul_f64 v[5:6], v[25:26], v[5:6]
	v_add_f64 v[7:8], v[27:28], v[5:6]
	v_add_f64 v[23:24], v[7:8], -v[27:28]
	v_ldexp_f64 v[27:28], v[7:8], 1
	v_add_f64 v[5:6], v[5:6], -v[23:24]
	v_mul_f64 v[23:24], v[7:8], v[7:8]
	v_ldexp_f64 v[5:6], v[5:6], 1
	v_fma_f64 v[25:26], v[23:24], s[18:19], v[9:10]
	v_mul_f64 v[7:8], v[7:8], v[23:24]
	v_fma_f64 v[25:26], v[23:24], v[25:26], s[20:21]
	v_fma_f64 v[25:26], v[23:24], v[25:26], s[22:23]
	;; [unrolled: 1-line block ×5, first 2 shown]
	v_mul_f64 v[7:8], v[7:8], v[25:26]
	v_add_f64 v[23:24], v[27:28], v[7:8]
	v_add_f64 v[25:26], v[23:24], -v[27:28]
	v_add_f64 v[7:8], v[7:8], -v[25:26]
	v_add_f64 v[5:6], v[5:6], v[7:8]
	v_add_f64 v[7:8], v[23:24], v[5:6]
	v_add_f64 v[23:24], v[7:8], -v[23:24]
	v_add_f64 v[5:6], v[5:6], -v[23:24]
	v_cvt_f64_i32_e32 v[23:24], v33
	v_mul_f64 v[25:26], v[23:24], s[30:31]
	v_fma_f64 v[27:28], v[23:24], s[30:31], -v[25:26]
	v_fma_f64 v[23:24], v[23:24], s[34:35], v[27:28]
	v_add_f64 v[27:28], v[25:26], v[23:24]
	v_add_f64 v[25:26], v[27:28], -v[25:26]
	v_add_f64 v[23:24], v[23:24], -v[25:26]
	v_add_f64 v[25:26], v[27:28], v[7:8]
	v_add_f64 v[29:30], v[25:26], -v[27:28]
	v_add_f64 v[31:32], v[25:26], -v[29:30]
	;; [unrolled: 1-line block ×4, first 2 shown]
	v_add_f64 v[7:8], v[7:8], v[27:28]
	v_add_f64 v[27:28], v[23:24], v[5:6]
	v_add_f64 v[29:30], v[27:28], -v[23:24]
	v_add_f64 v[7:8], v[27:28], v[7:8]
	v_add_f64 v[31:32], v[27:28], -v[29:30]
	v_add_f64 v[5:6], v[5:6], -v[29:30]
	;; [unrolled: 1-line block ×3, first 2 shown]
	v_add_f64 v[5:6], v[5:6], v[23:24]
	v_add_f64 v[23:24], v[25:26], v[7:8]
	v_add_f64 v[25:26], v[23:24], -v[25:26]
	v_add_f64 v[7:8], v[7:8], -v[25:26]
	v_add_f64 v[5:6], v[5:6], v[7:8]
	v_frexp_mant_f64_e32 v[7:8], v[21:22]
	v_add_f64 v[5:6], v[23:24], v[5:6]
	v_cndmask_b32_e32 v5, v5, v19, vcc
	v_cndmask_b32_e32 v6, v6, v20, vcc
	v_cmp_ngt_f64_e32 vcc, 0, v[19:20]
	v_cndmask_b32_e32 v6, v16, v6, vcc
	v_cmp_nge_f64_e32 vcc, 0, v[19:20]
	v_cndmask_b32_e32 v5, 0, v5, vcc
	v_cmp_neq_f64_e32 vcc, 0, v[19:20]
	v_frexp_exp_i32_f64_e32 v19, v[21:22]
	v_cndmask_b32_e32 v6, v17, v6, vcc
	v_cmp_gt_f64_e32 vcc, s[16:17], v[7:8]
	v_cndmask_b32_e64 v20, 0, 1, vcc
	v_ldexp_f64 v[7:8], v[7:8], v20
	v_subbrev_co_u32_e32 v33, vcc, 0, v19, vcc
	v_cmp_class_f64_e64 vcc, v[21:22], s37
	v_add_f64 v[23:24], v[7:8], 1.0
	v_add_f64 v[19:20], v[7:8], -1.0
	v_add_f64 v[25:26], v[23:24], -1.0
	v_add_f64 v[7:8], v[7:8], -v[25:26]
	v_rcp_f64_e32 v[25:26], v[23:24]
	v_fma_f64 v[27:28], -v[23:24], v[25:26], 1.0
	v_fma_f64 v[25:26], v[27:28], v[25:26], v[25:26]
	v_fma_f64 v[27:28], -v[23:24], v[25:26], 1.0
	v_fma_f64 v[25:26], v[27:28], v[25:26], v[25:26]
	v_mul_f64 v[27:28], v[19:20], v[25:26]
	v_mul_f64 v[29:30], v[23:24], v[27:28]
	v_fma_f64 v[23:24], v[27:28], v[23:24], -v[29:30]
	v_fma_f64 v[7:8], v[27:28], v[7:8], v[23:24]
	v_add_f64 v[23:24], v[29:30], v[7:8]
	v_add_f64 v[31:32], v[19:20], -v[23:24]
	v_add_f64 v[29:30], v[23:24], -v[29:30]
	;; [unrolled: 1-line block ×5, first 2 shown]
	v_add_f64 v[7:8], v[7:8], v[19:20]
	v_add_f64 v[7:8], v[31:32], v[7:8]
	v_mul_f64 v[7:8], v[25:26], v[7:8]
	v_add_f64 v[19:20], v[27:28], v[7:8]
	v_add_f64 v[23:24], v[19:20], -v[27:28]
	v_ldexp_f64 v[27:28], v[19:20], 1
	v_add_f64 v[7:8], v[7:8], -v[23:24]
	v_mul_f64 v[23:24], v[19:20], v[19:20]
	v_ldexp_f64 v[7:8], v[7:8], 1
	v_fma_f64 v[25:26], v[23:24], s[18:19], v[9:10]
	v_mul_f64 v[19:20], v[19:20], v[23:24]
	v_fma_f64 v[25:26], v[23:24], v[25:26], s[20:21]
	v_fma_f64 v[25:26], v[23:24], v[25:26], s[22:23]
	;; [unrolled: 1-line block ×5, first 2 shown]
	v_mul_f64 v[19:20], v[19:20], v[25:26]
	v_add_f64 v[23:24], v[27:28], v[19:20]
	v_add_f64 v[25:26], v[23:24], -v[27:28]
	v_add_f64 v[19:20], v[19:20], -v[25:26]
	v_add_f64 v[7:8], v[7:8], v[19:20]
	v_add_f64 v[19:20], v[23:24], v[7:8]
	v_add_f64 v[23:24], v[19:20], -v[23:24]
	v_add_f64 v[7:8], v[7:8], -v[23:24]
	v_cvt_f64_i32_e32 v[23:24], v33
	v_mul_f64 v[25:26], v[23:24], s[30:31]
	v_fma_f64 v[27:28], v[23:24], s[30:31], -v[25:26]
	v_fma_f64 v[23:24], v[23:24], s[34:35], v[27:28]
	v_add_f64 v[27:28], v[25:26], v[23:24]
	v_add_f64 v[25:26], v[27:28], -v[25:26]
	v_add_f64 v[23:24], v[23:24], -v[25:26]
	v_add_f64 v[25:26], v[27:28], v[19:20]
	v_add_f64 v[29:30], v[25:26], -v[27:28]
	v_add_f64 v[31:32], v[25:26], -v[29:30]
	;; [unrolled: 1-line block ×4, first 2 shown]
	v_add_f64 v[19:20], v[19:20], v[27:28]
	v_add_f64 v[27:28], v[23:24], v[7:8]
	v_add_f64 v[29:30], v[27:28], -v[23:24]
	v_add_f64 v[19:20], v[27:28], v[19:20]
	v_add_f64 v[31:32], v[27:28], -v[29:30]
	v_add_f64 v[7:8], v[7:8], -v[29:30]
	;; [unrolled: 1-line block ×3, first 2 shown]
	v_add_f64 v[7:8], v[7:8], v[23:24]
	v_add_f64 v[23:24], v[25:26], v[19:20]
	v_add_f64 v[25:26], v[23:24], -v[25:26]
	v_add_f64 v[19:20], v[19:20], -v[25:26]
	v_add_f64 v[7:8], v[7:8], v[19:20]
	v_frexp_mant_f64_e32 v[19:20], v[1:2]
	v_add_f64 v[7:8], v[23:24], v[7:8]
	v_cndmask_b32_e32 v7, v7, v21, vcc
	v_cndmask_b32_e32 v8, v8, v22, vcc
	v_cmp_ngt_f64_e32 vcc, 0, v[21:22]
	v_cndmask_b32_e32 v8, v16, v8, vcc
	v_cmp_nge_f64_e32 vcc, 0, v[21:22]
	v_cndmask_b32_e32 v7, 0, v7, vcc
	v_cmp_neq_f64_e32 vcc, 0, v[21:22]
	v_frexp_exp_i32_f64_e32 v21, v[1:2]
	v_cndmask_b32_e32 v8, v17, v8, vcc
	v_cmp_gt_f64_e32 vcc, s[16:17], v[19:20]
	v_cndmask_b32_e64 v22, 0, 1, vcc
	v_ldexp_f64 v[19:20], v[19:20], v22
	v_subbrev_co_u32_e32 v33, vcc, 0, v21, vcc
	v_cmp_class_f64_e64 vcc, v[1:2], s37
	v_add_f64 v[23:24], v[19:20], 1.0
	v_add_f64 v[21:22], v[19:20], -1.0
	v_add_f64 v[25:26], v[23:24], -1.0
	v_add_f64 v[19:20], v[19:20], -v[25:26]
	v_rcp_f64_e32 v[25:26], v[23:24]
	v_fma_f64 v[27:28], -v[23:24], v[25:26], 1.0
	v_fma_f64 v[25:26], v[27:28], v[25:26], v[25:26]
	v_fma_f64 v[27:28], -v[23:24], v[25:26], 1.0
	v_fma_f64 v[25:26], v[27:28], v[25:26], v[25:26]
	v_mul_f64 v[27:28], v[21:22], v[25:26]
	v_mul_f64 v[29:30], v[23:24], v[27:28]
	v_fma_f64 v[23:24], v[27:28], v[23:24], -v[29:30]
	v_fma_f64 v[19:20], v[27:28], v[19:20], v[23:24]
	v_add_f64 v[23:24], v[29:30], v[19:20]
	v_add_f64 v[31:32], v[21:22], -v[23:24]
	v_add_f64 v[29:30], v[23:24], -v[29:30]
	;; [unrolled: 1-line block ×5, first 2 shown]
	v_add_f64 v[19:20], v[19:20], v[21:22]
	v_add_f64 v[19:20], v[31:32], v[19:20]
	v_mul_f64 v[19:20], v[25:26], v[19:20]
	v_add_f64 v[21:22], v[27:28], v[19:20]
	v_add_f64 v[23:24], v[21:22], -v[27:28]
	v_ldexp_f64 v[27:28], v[21:22], 1
	v_add_f64 v[19:20], v[19:20], -v[23:24]
	v_mul_f64 v[23:24], v[21:22], v[21:22]
	v_ldexp_f64 v[19:20], v[19:20], 1
	v_fma_f64 v[25:26], v[23:24], s[18:19], v[9:10]
	v_mul_f64 v[21:22], v[21:22], v[23:24]
	v_fma_f64 v[25:26], v[23:24], v[25:26], s[20:21]
	v_fma_f64 v[25:26], v[23:24], v[25:26], s[22:23]
	;; [unrolled: 1-line block ×5, first 2 shown]
	v_mul_f64 v[21:22], v[21:22], v[25:26]
	v_add_f64 v[23:24], v[27:28], v[21:22]
	v_add_f64 v[25:26], v[23:24], -v[27:28]
	v_add_f64 v[21:22], v[21:22], -v[25:26]
	v_add_f64 v[19:20], v[19:20], v[21:22]
	v_add_f64 v[21:22], v[23:24], v[19:20]
	v_add_f64 v[23:24], v[21:22], -v[23:24]
	v_add_f64 v[19:20], v[19:20], -v[23:24]
	v_cvt_f64_i32_e32 v[23:24], v33
	v_mul_f64 v[25:26], v[23:24], s[30:31]
	v_fma_f64 v[27:28], v[23:24], s[30:31], -v[25:26]
	v_fma_f64 v[23:24], v[23:24], s[34:35], v[27:28]
	v_add_f64 v[27:28], v[25:26], v[23:24]
	v_add_f64 v[25:26], v[27:28], -v[25:26]
	v_add_f64 v[23:24], v[23:24], -v[25:26]
	v_add_f64 v[25:26], v[27:28], v[21:22]
	v_add_f64 v[29:30], v[25:26], -v[27:28]
	v_add_f64 v[31:32], v[25:26], -v[29:30]
	;; [unrolled: 1-line block ×4, first 2 shown]
	v_add_f64 v[21:22], v[21:22], v[27:28]
	v_add_f64 v[27:28], v[23:24], v[19:20]
	v_add_f64 v[29:30], v[27:28], -v[23:24]
	v_add_f64 v[21:22], v[27:28], v[21:22]
	v_add_f64 v[31:32], v[27:28], -v[29:30]
	v_add_f64 v[19:20], v[19:20], -v[29:30]
	;; [unrolled: 1-line block ×3, first 2 shown]
	v_add_f64 v[19:20], v[19:20], v[23:24]
	v_add_f64 v[23:24], v[25:26], v[21:22]
	v_add_f64 v[25:26], v[23:24], -v[25:26]
	v_add_f64 v[21:22], v[21:22], -v[25:26]
	v_add_f64 v[19:20], v[19:20], v[21:22]
	v_frexp_exp_i32_f64_e32 v21, v[3:4]
	v_add_f64 v[19:20], v[23:24], v[19:20]
	v_cndmask_b32_e32 v19, v19, v1, vcc
	v_cndmask_b32_e32 v20, v20, v2, vcc
	v_cmp_ngt_f64_e32 vcc, 0, v[1:2]
	v_cndmask_b32_e32 v20, v16, v20, vcc
	v_cmp_nge_f64_e32 vcc, 0, v[1:2]
	v_cndmask_b32_e32 v19, 0, v19, vcc
	v_cmp_neq_f64_e32 vcc, 0, v[1:2]
	v_frexp_mant_f64_e32 v[1:2], v[3:4]
	v_cndmask_b32_e32 v20, v17, v20, vcc
	v_cmp_gt_f64_e32 vcc, s[16:17], v[1:2]
	v_cndmask_b32_e64 v22, 0, 1, vcc
	v_ldexp_f64 v[1:2], v[1:2], v22
	v_subbrev_co_u32_e32 v33, vcc, 0, v21, vcc
	v_cmp_class_f64_e64 vcc, v[3:4], s37
	v_add_f64 v[23:24], v[1:2], 1.0
	v_add_f64 v[21:22], v[1:2], -1.0
	v_add_f64 v[25:26], v[23:24], -1.0
	v_add_f64 v[1:2], v[1:2], -v[25:26]
	v_rcp_f64_e32 v[25:26], v[23:24]
	v_fma_f64 v[27:28], -v[23:24], v[25:26], 1.0
	v_fma_f64 v[25:26], v[27:28], v[25:26], v[25:26]
	v_fma_f64 v[27:28], -v[23:24], v[25:26], 1.0
	v_fma_f64 v[25:26], v[27:28], v[25:26], v[25:26]
	v_mul_f64 v[27:28], v[21:22], v[25:26]
	v_mul_f64 v[29:30], v[23:24], v[27:28]
	v_fma_f64 v[23:24], v[27:28], v[23:24], -v[29:30]
	v_fma_f64 v[1:2], v[27:28], v[1:2], v[23:24]
	v_add_f64 v[23:24], v[29:30], v[1:2]
	v_add_f64 v[31:32], v[21:22], -v[23:24]
	v_add_f64 v[29:30], v[23:24], -v[29:30]
	;; [unrolled: 1-line block ×5, first 2 shown]
	v_add_f64 v[1:2], v[1:2], v[21:22]
	v_add_f64 v[1:2], v[31:32], v[1:2]
	v_mul_f64 v[1:2], v[25:26], v[1:2]
	v_add_f64 v[21:22], v[27:28], v[1:2]
	v_add_f64 v[23:24], v[21:22], -v[27:28]
	v_ldexp_f64 v[27:28], v[21:22], 1
	v_add_f64 v[1:2], v[1:2], -v[23:24]
	v_mul_f64 v[23:24], v[21:22], v[21:22]
	v_ldexp_f64 v[1:2], v[1:2], 1
	v_fma_f64 v[25:26], v[23:24], s[18:19], v[9:10]
	v_mul_f64 v[21:22], v[21:22], v[23:24]
	v_fma_f64 v[25:26], v[23:24], v[25:26], s[20:21]
	v_fma_f64 v[25:26], v[23:24], v[25:26], s[22:23]
	;; [unrolled: 1-line block ×5, first 2 shown]
	v_mul_f64 v[21:22], v[21:22], v[25:26]
	v_add_f64 v[23:24], v[27:28], v[21:22]
	v_add_f64 v[25:26], v[23:24], -v[27:28]
	v_add_f64 v[21:22], v[21:22], -v[25:26]
	v_add_f64 v[1:2], v[1:2], v[21:22]
	v_add_f64 v[21:22], v[23:24], v[1:2]
	v_add_f64 v[23:24], v[21:22], -v[23:24]
	v_add_f64 v[1:2], v[1:2], -v[23:24]
	v_cvt_f64_i32_e32 v[23:24], v33
	v_mul_f64 v[25:26], v[23:24], s[30:31]
	v_fma_f64 v[27:28], v[23:24], s[30:31], -v[25:26]
	v_fma_f64 v[23:24], v[23:24], s[34:35], v[27:28]
	v_add_f64 v[27:28], v[25:26], v[23:24]
	v_add_f64 v[25:26], v[27:28], -v[25:26]
	v_add_f64 v[23:24], v[23:24], -v[25:26]
	v_add_f64 v[25:26], v[27:28], v[21:22]
	v_add_f64 v[29:30], v[25:26], -v[27:28]
	v_add_f64 v[31:32], v[25:26], -v[29:30]
	;; [unrolled: 1-line block ×4, first 2 shown]
	v_add_f64 v[21:22], v[21:22], v[27:28]
	v_add_f64 v[27:28], v[23:24], v[1:2]
	v_add_f64 v[29:30], v[27:28], -v[23:24]
	v_add_f64 v[21:22], v[27:28], v[21:22]
	v_add_f64 v[31:32], v[27:28], -v[29:30]
	v_add_f64 v[1:2], v[1:2], -v[29:30]
	;; [unrolled: 1-line block ×3, first 2 shown]
	v_add_f64 v[1:2], v[1:2], v[23:24]
	v_add_f64 v[23:24], v[25:26], v[21:22]
	v_add_f64 v[25:26], v[23:24], -v[25:26]
	v_add_f64 v[21:22], v[21:22], -v[25:26]
	v_add_f64 v[1:2], v[1:2], v[21:22]
	v_add_f64 v[1:2], v[23:24], v[1:2]
	v_cndmask_b32_e32 v1, v1, v3, vcc
	v_cndmask_b32_e32 v2, v2, v4, vcc
	v_cmp_ngt_f64_e32 vcc, 0, v[3:4]
	v_cndmask_b32_e32 v2, v16, v2, vcc
	v_cmp_nge_f64_e32 vcc, 0, v[3:4]
	v_cndmask_b32_e32 v21, 0, v1, vcc
	v_cmp_neq_f64_e32 vcc, 0, v[3:4]
	v_cndmask_b32_e32 v22, v17, v2, vcc
	v_add_co_u32_e32 v1, vcc, s0, v13
	v_addc_co_u32_e32 v2, vcc, v18, v14, vcc
	v_add_co_u32_e32 v11, vcc, s33, v11
	v_addc_co_u32_e32 v12, vcc, 0, v12, vcc
	global_store_dwordx4 v[1:2], v[5:8], off
	global_store_dwordx4 v[1:2], v[19:22], off offset:16
	v_lshlrev_b64 v[1:2], 2, v[11:12]
	v_add_co_u32_e32 v13, vcc, s36, v13
	v_addc_co_u32_e32 v14, vcc, 0, v14, vcc
	v_cmp_le_i64_e32 vcc, s[8:9], v[1:2]
	s_or_b64 s[12:13], vcc, s[12:13]
	s_andn2_b64 exec, exec, s[12:13]
	s_cbranch_execnz .LBB165_3
.LBB165_4:
	s_or_b64 exec, exec, s[10:11]
	s_mov_b64 s[8:9], 0
.LBB165_5:
	s_andn2_b64 vcc, exec, s[8:9]
	s_cbranch_vccnz .LBB165_25
; %bb.6:
	v_cmp_lt_i64_e64 s[8:9], s[6:7], 1
	s_and_b64 vcc, exec, s[8:9]
	s_cbranch_vccnz .LBB165_25
; %bb.7:
	v_mov_b32_e32 v1, 0x10000
	s_load_dword s8, s[4:5], 0xc5c
	v_mov_b32_e32 v2, 0
	v_cmp_lt_i64_e32 vcc, s[6:7], v[1:2]
	v_mov_b32_e32 v3, 0
	s_and_b64 s[4:5], vcc, exec
	v_cmp_lt_u64_e32 vcc, s[6:7], v[1:2]
	s_cselect_b32 s17, s7, 0
	s_cselect_b32 s16, s6, 0x10000
	s_waitcnt lgkmcnt(0)
	s_and_b32 s8, s8, 0xffff
	v_lshlrev_b32_e32 v2, 3, v0
	s_and_b64 s[4:5], vcc, exec
	v_mov_b32_e32 v1, s3
	v_add_co_u32_e32 v11, vcc, s2, v2
	v_mad_u64_u32 v[3:4], s[4:5], s8, 24, v[2:3]
	v_addc_co_u32_e32 v12, vcc, 0, v1, vcc
	v_mov_b32_e32 v1, s1
	v_add_co_u32_e32 v13, vcc, s0, v2
	v_addc_co_u32_e32 v14, vcc, 0, v1, vcc
	v_mov_b32_e32 v1, s3
	v_add_co_u32_e32 v15, vcc, s2, v3
	;; [unrolled: 3-line block ×3, first 2 shown]
	s_cselect_b32 s19, s7, 0
	s_cselect_b32 s18, s6, 0x10000
	v_addc_co_u32_e32 v18, vcc, v1, v4, vcc
	s_lshl_b32 s4, s8, 4
	v_add_co_u32_e32 v1, vcc, s4, v2
	v_addc_co_u32_e64 v2, s[4:5], 0, 0, vcc
	v_mov_b32_e32 v3, s3
	v_add_co_u32_e32 v19, vcc, s2, v1
	v_addc_co_u32_e32 v20, vcc, v3, v2, vcc
	v_mov_b32_e32 v3, s1
	v_add_co_u32_e32 v21, vcc, s0, v1
	v_addc_co_u32_e32 v22, vcc, v3, v2, vcc
	v_add_co_u32_e32 v23, vcc, s8, v0
	v_lshlrev_b32_e32 v1, 3, v23
	v_addc_co_u32_e64 v24, s[4:5], 0, 0, vcc
	v_mov_b32_e32 v2, s3
	v_add_co_u32_e32 v25, vcc, s2, v1
	v_addc_co_u32_e32 v26, vcc, 0, v2, vcc
	v_mov_b32_e32 v2, s1
	v_add_co_u32_e32 v27, vcc, s0, v1
	s_mul_i32 s7, s8, 3
	v_addc_co_u32_e32 v28, vcc, 0, v2, vcc
	s_lshl_b32 s6, s8, 1
	v_add_co_u32_e32 v29, vcc, s7, v0
	s_mov_b32 s22, 0x55555555
	s_mov_b32 s24, 0xfefa39ef
	;; [unrolled: 1-line block ×8, first 2 shown]
	v_addc_co_u32_e64 v30, s[0:1], 0, 0, vcc
	v_add_co_u32_e32 v31, vcc, s6, v0
	s_lshl_b32 s33, s8, 2
	s_lshl_b32 s44, s8, 5
	s_mov_b64 s[20:21], 0
	s_movk_i32 s45, 0x204
	s_mov_b32 s23, 0x3fe55555
	s_mov_b32 s25, 0x3fe62e42
	;; [unrolled: 1-line block ×9, first 2 shown]
	v_mov_b32_e32 v1, 0x6b47b09a
	v_mov_b32_e32 v2, 0x3fc38538
	v_addc_co_u32_e64 v32, s[0:1], 0, 0, vcc
	v_mov_b32_e32 v33, 0x7ff80000
	v_mov_b32_e32 v34, 0xfff00000
	s_branch .LBB165_9
.LBB165_8:                              ;   in Loop: Header=BB165_9 Depth=1
	s_or_b64 exec, exec, s[0:1]
	v_add_co_u32_e32 v11, vcc, s44, v11
	v_addc_co_u32_e32 v12, vcc, 0, v12, vcc
	v_add_co_u32_e32 v13, vcc, s44, v13
	v_addc_co_u32_e32 v14, vcc, 0, v14, vcc
	;; [unrolled: 2-line block ×6, first 2 shown]
	s_add_u32 s20, s20, s33
	v_add_co_u32_e32 v25, vcc, s44, v25
	s_waitcnt vmcnt(0)
	v_mov_b32_e32 v3, s16
	s_addc_u32 s21, s21, 0
	v_addc_co_u32_e32 v26, vcc, 0, v26, vcc
	v_mov_b32_e32 v4, s17
	v_cmp_ge_i64_e32 vcc, s[20:21], v[3:4]
	v_add_co_u32_e64 v27, s[0:1], s44, v27
	v_addc_co_u32_e64 v28, s[0:1], 0, v28, s[0:1]
	s_cbranch_vccnz .LBB165_25
.LBB165_9:                              ; =>This Inner Loop Header: Depth=1
	v_mov_b32_e32 v4, s21
	v_add_co_u32_e32 v3, vcc, s20, v0
	v_addc_co_u32_e32 v4, vcc, 0, v4, vcc
	v_cmp_gt_u64_e64 s[4:5], s[18:19], v[3:4]
	v_mov_b32_e32 v7, 0
	v_mov_b32_e32 v9, 0
	;; [unrolled: 1-line block ×4, first 2 shown]
	s_and_saveexec_b64 s[0:1], s[4:5]
	s_cbranch_execz .LBB165_11
; %bb.10:                               ;   in Loop: Header=BB165_9 Depth=1
	v_mov_b32_e32 v4, s15
	v_add_co_u32_e32 v3, vcc, s14, v11
	v_addc_co_u32_e32 v4, vcc, v12, v4, vcc
	global_load_dwordx2 v[9:10], v[3:4], off
.LBB165_11:                             ;   in Loop: Header=BB165_9 Depth=1
	s_or_b64 exec, exec, s[0:1]
	v_mov_b32_e32 v4, s21
	v_add_co_u32_e32 v3, vcc, s20, v23
	v_addc_co_u32_e32 v4, vcc, v24, v4, vcc
	v_cmp_gt_u64_e64 s[2:3], s[18:19], v[3:4]
	s_and_saveexec_b64 s[0:1], s[2:3]
	s_cbranch_execz .LBB165_13
; %bb.12:                               ;   in Loop: Header=BB165_9 Depth=1
	v_mov_b32_e32 v4, s15
	v_add_co_u32_e32 v3, vcc, s14, v25
	v_addc_co_u32_e32 v4, vcc, v26, v4, vcc
	global_load_dwordx2 v[7:8], v[3:4], off
.LBB165_13:                             ;   in Loop: Header=BB165_9 Depth=1
	s_or_b64 exec, exec, s[0:1]
	v_mov_b32_e32 v4, s21
	v_add_co_u32_e32 v3, vcc, s20, v31
	v_addc_co_u32_e32 v4, vcc, v32, v4, vcc
	v_cmp_gt_u64_e64 s[0:1], s[18:19], v[3:4]
	v_mov_b32_e32 v3, 0
	v_mov_b32_e32 v5, 0
	v_mov_b32_e32 v4, 0
	v_mov_b32_e32 v6, 0
	s_and_saveexec_b64 s[6:7], s[0:1]
	s_cbranch_execz .LBB165_15
; %bb.14:                               ;   in Loop: Header=BB165_9 Depth=1
	v_mov_b32_e32 v6, s15
	v_add_co_u32_e32 v5, vcc, s14, v19
	v_addc_co_u32_e32 v6, vcc, v20, v6, vcc
	global_load_dwordx2 v[5:6], v[5:6], off
.LBB165_15:                             ;   in Loop: Header=BB165_9 Depth=1
	s_or_b64 exec, exec, s[6:7]
	v_mov_b32_e32 v36, s21
	v_add_co_u32_e32 v35, vcc, s20, v29
	v_addc_co_u32_e32 v36, vcc, v30, v36, vcc
	v_cmp_gt_u64_e32 vcc, s[18:19], v[35:36]
	s_and_saveexec_b64 s[8:9], vcc
	s_cbranch_execnz .LBB165_20
; %bb.16:                               ;   in Loop: Header=BB165_9 Depth=1
	s_or_b64 exec, exec, s[8:9]
	s_and_saveexec_b64 s[42:43], s[4:5]
	s_cbranch_execnz .LBB165_21
.LBB165_17:                             ;   in Loop: Header=BB165_9 Depth=1
	s_or_b64 exec, exec, s[42:43]
	s_and_saveexec_b64 s[4:5], s[2:3]
	s_cbranch_execnz .LBB165_22
.LBB165_18:                             ;   in Loop: Header=BB165_9 Depth=1
	s_or_b64 exec, exec, s[4:5]
	s_and_saveexec_b64 s[2:3], s[0:1]
	s_cbranch_execnz .LBB165_23
.LBB165_19:                             ;   in Loop: Header=BB165_9 Depth=1
	s_or_b64 exec, exec, s[2:3]
	s_and_saveexec_b64 s[0:1], vcc
	s_cbranch_execz .LBB165_8
	s_branch .LBB165_24
.LBB165_20:                             ;   in Loop: Header=BB165_9 Depth=1
	v_mov_b32_e32 v4, s15
	v_add_co_u32_e64 v3, s[6:7], s14, v15
	v_addc_co_u32_e64 v4, s[6:7], v16, v4, s[6:7]
	global_load_dwordx2 v[3:4], v[3:4], off
	s_or_b64 exec, exec, s[8:9]
	s_and_saveexec_b64 s[42:43], s[4:5]
	s_cbranch_execz .LBB165_17
.LBB165_21:                             ;   in Loop: Header=BB165_9 Depth=1
	s_waitcnt vmcnt(0)
	v_frexp_mant_f64_e32 v[35:36], v[9:10]
	s_mov_b32 s41, s23
	v_cmp_ngt_f64_e64 s[6:7], 0, v[9:10]
	v_cmp_nge_f64_e64 s[8:9], 0, v[9:10]
	v_cmp_neq_f64_e64 s[10:11], 0, v[9:10]
	v_cmp_gt_f64_e64 s[4:5], s[22:23], v[35:36]
	v_cndmask_b32_e64 v37, 0, 1, s[4:5]
	v_ldexp_f64 v[35:36], v[35:36], v37
	v_add_f64 v[37:38], v[35:36], 1.0
	v_add_f64 v[43:44], v[35:36], -1.0
	v_rcp_f64_e32 v[39:40], v[37:38]
	v_add_f64 v[45:46], v[37:38], -1.0
	v_add_f64 v[35:36], v[35:36], -v[45:46]
	v_fma_f64 v[41:42], -v[37:38], v[39:40], 1.0
	v_fma_f64 v[39:40], v[41:42], v[39:40], v[39:40]
	v_fma_f64 v[41:42], -v[37:38], v[39:40], 1.0
	v_fma_f64 v[39:40], v[41:42], v[39:40], v[39:40]
	v_mul_f64 v[41:42], v[43:44], v[39:40]
	v_mul_f64 v[47:48], v[37:38], v[41:42]
	v_fma_f64 v[37:38], v[41:42], v[37:38], -v[47:48]
	v_fma_f64 v[35:36], v[41:42], v[35:36], v[37:38]
	v_add_f64 v[37:38], v[47:48], v[35:36]
	v_add_f64 v[45:46], v[43:44], -v[37:38]
	v_add_f64 v[47:48], v[37:38], -v[47:48]
	;; [unrolled: 1-line block ×5, first 2 shown]
	v_add_f64 v[35:36], v[35:36], v[37:38]
	v_add_f64 v[35:36], v[45:46], v[35:36]
	v_mul_f64 v[35:36], v[39:40], v[35:36]
	v_add_f64 v[37:38], v[41:42], v[35:36]
	v_mul_f64 v[39:40], v[37:38], v[37:38]
	v_fma_f64 v[43:44], v[39:40], s[28:29], v[1:2]
	v_mul_f64 v[45:46], v[37:38], v[39:40]
	v_fma_f64 v[43:44], v[39:40], v[43:44], s[30:31]
	v_fma_f64 v[43:44], v[39:40], v[43:44], s[34:35]
	;; [unrolled: 1-line block ×5, first 2 shown]
	v_ldexp_f64 v[43:44], v[37:38], 1
	v_add_f64 v[37:38], v[37:38], -v[41:42]
	v_mul_f64 v[39:40], v[45:46], v[39:40]
	v_frexp_exp_i32_f64_e32 v45, v[9:10]
	v_add_f64 v[35:36], v[35:36], -v[37:38]
	v_add_f64 v[41:42], v[43:44], v[39:40]
	v_subbrev_co_u32_e64 v45, s[4:5], 0, v45, s[4:5]
	v_cvt_f64_i32_e32 v[45:46], v45
	v_ldexp_f64 v[35:36], v[35:36], 1
	v_cmp_class_f64_e64 s[4:5], v[9:10], s45
	v_mul_f64 v[47:48], v[45:46], s[24:25]
	v_add_f64 v[37:38], v[41:42], -v[43:44]
	v_fma_f64 v[43:44], v[45:46], s[24:25], -v[47:48]
	v_add_f64 v[37:38], v[39:40], -v[37:38]
	v_fma_f64 v[39:40], v[45:46], s[26:27], v[43:44]
	v_add_f64 v[35:36], v[35:36], v[37:38]
	v_add_f64 v[37:38], v[47:48], v[39:40]
	;; [unrolled: 1-line block ×3, first 2 shown]
	v_add_f64 v[47:48], v[37:38], -v[47:48]
	v_add_f64 v[45:46], v[37:38], v[43:44]
	v_add_f64 v[41:42], v[43:44], -v[41:42]
	v_add_f64 v[39:40], v[39:40], -v[47:48]
	;; [unrolled: 1-line block ×6, first 2 shown]
	v_add_f64 v[43:44], v[39:40], v[35:36]
	v_add_f64 v[37:38], v[37:38], -v[51:52]
	v_add_f64 v[37:38], v[41:42], v[37:38]
	v_add_f64 v[41:42], v[43:44], -v[39:40]
	;; [unrolled: 2-line block ×3, first 2 shown]
	v_add_f64 v[35:36], v[35:36], -v[41:42]
	v_add_f64 v[47:48], v[45:46], v[37:38]
	v_add_f64 v[39:40], v[39:40], -v[43:44]
	v_add_f64 v[41:42], v[47:48], -v[45:46]
	v_add_f64 v[35:36], v[35:36], v[39:40]
	v_add_f64 v[37:38], v[37:38], -v[41:42]
	v_add_f64 v[35:36], v[35:36], v[37:38]
	v_mov_b32_e32 v38, s15
	v_add_co_u32_e64 v37, s[12:13], s14, v13
	v_add_f64 v[35:36], v[47:48], v[35:36]
	v_cndmask_b32_e64 v10, v36, v10, s[4:5]
	v_cndmask_b32_e64 v9, v35, v9, s[4:5]
	;; [unrolled: 1-line block ×5, first 2 shown]
	v_addc_co_u32_e64 v38, s[4:5], v14, v38, s[12:13]
	global_store_dwordx2 v[37:38], v[9:10], off
	s_or_b64 exec, exec, s[42:43]
	s_and_saveexec_b64 s[4:5], s[2:3]
	s_cbranch_execz .LBB165_18
.LBB165_22:                             ;   in Loop: Header=BB165_9 Depth=1
	s_waitcnt vmcnt(0)
	v_frexp_mant_f64_e32 v[9:10], v[7:8]
	s_mov_b32 s41, s23
	v_cmp_gt_f64_e64 s[2:3], s[22:23], v[9:10]
	v_cndmask_b32_e64 v35, 0, 1, s[2:3]
	v_ldexp_f64 v[9:10], v[9:10], v35
	v_add_f64 v[35:36], v[9:10], 1.0
	v_add_f64 v[41:42], v[9:10], -1.0
	v_rcp_f64_e32 v[37:38], v[35:36]
	v_add_f64 v[43:44], v[35:36], -1.0
	v_add_f64 v[9:10], v[9:10], -v[43:44]
	v_fma_f64 v[39:40], -v[35:36], v[37:38], 1.0
	v_fma_f64 v[37:38], v[39:40], v[37:38], v[37:38]
	v_fma_f64 v[39:40], -v[35:36], v[37:38], 1.0
	v_fma_f64 v[37:38], v[39:40], v[37:38], v[37:38]
	v_mul_f64 v[39:40], v[41:42], v[37:38]
	v_mul_f64 v[45:46], v[35:36], v[39:40]
	v_fma_f64 v[35:36], v[39:40], v[35:36], -v[45:46]
	v_fma_f64 v[9:10], v[39:40], v[9:10], v[35:36]
	v_add_f64 v[35:36], v[45:46], v[9:10]
	v_add_f64 v[43:44], v[41:42], -v[35:36]
	v_add_f64 v[45:46], v[35:36], -v[45:46]
	;; [unrolled: 1-line block ×5, first 2 shown]
	v_add_f64 v[9:10], v[9:10], v[35:36]
	v_add_f64 v[9:10], v[43:44], v[9:10]
	v_mul_f64 v[9:10], v[37:38], v[9:10]
	v_add_f64 v[35:36], v[39:40], v[9:10]
	v_mul_f64 v[37:38], v[35:36], v[35:36]
	v_fma_f64 v[41:42], v[37:38], s[28:29], v[1:2]
	v_mul_f64 v[43:44], v[35:36], v[37:38]
	v_fma_f64 v[41:42], v[37:38], v[41:42], s[30:31]
	v_fma_f64 v[41:42], v[37:38], v[41:42], s[34:35]
	;; [unrolled: 1-line block ×5, first 2 shown]
	v_ldexp_f64 v[41:42], v[35:36], 1
	v_add_f64 v[35:36], v[35:36], -v[39:40]
	v_mul_f64 v[37:38], v[43:44], v[37:38]
	v_frexp_exp_i32_f64_e32 v43, v[7:8]
	v_add_f64 v[9:10], v[9:10], -v[35:36]
	v_add_f64 v[39:40], v[41:42], v[37:38]
	v_subbrev_co_u32_e64 v43, s[2:3], 0, v43, s[2:3]
	v_cvt_f64_i32_e32 v[43:44], v43
	v_ldexp_f64 v[9:10], v[9:10], 1
	v_cmp_class_f64_e64 s[2:3], v[7:8], s45
	v_mul_f64 v[45:46], v[43:44], s[24:25]
	v_add_f64 v[35:36], v[39:40], -v[41:42]
	v_fma_f64 v[41:42], v[43:44], s[24:25], -v[45:46]
	v_add_f64 v[35:36], v[37:38], -v[35:36]
	v_fma_f64 v[37:38], v[43:44], s[26:27], v[41:42]
	v_add_f64 v[9:10], v[9:10], v[35:36]
	v_add_f64 v[35:36], v[45:46], v[37:38]
	;; [unrolled: 1-line block ×3, first 2 shown]
	v_add_f64 v[45:46], v[35:36], -v[45:46]
	v_add_f64 v[43:44], v[35:36], v[41:42]
	v_add_f64 v[39:40], v[41:42], -v[39:40]
	v_add_f64 v[37:38], v[37:38], -v[45:46]
	;; [unrolled: 1-line block ×6, first 2 shown]
	v_add_f64 v[41:42], v[37:38], v[9:10]
	v_add_f64 v[35:36], v[35:36], -v[49:50]
	v_add_f64 v[35:36], v[39:40], v[35:36]
	v_add_f64 v[39:40], v[41:42], -v[37:38]
	;; [unrolled: 2-line block ×3, first 2 shown]
	v_add_f64 v[9:10], v[9:10], -v[39:40]
	v_add_f64 v[45:46], v[43:44], v[35:36]
	v_add_f64 v[37:38], v[37:38], -v[41:42]
	v_add_f64 v[39:40], v[45:46], -v[43:44]
	v_add_f64 v[9:10], v[9:10], v[37:38]
	v_add_f64 v[35:36], v[35:36], -v[39:40]
	v_add_f64 v[9:10], v[9:10], v[35:36]
	v_mov_b32_e32 v35, s15
	v_add_f64 v[9:10], v[45:46], v[9:10]
	v_cndmask_b32_e64 v9, v9, v7, s[2:3]
	v_cndmask_b32_e64 v10, v10, v8, s[2:3]
	v_cmp_ngt_f64_e64 s[2:3], 0, v[7:8]
	v_cndmask_b32_e64 v10, v33, v10, s[2:3]
	v_cmp_nge_f64_e64 s[2:3], 0, v[7:8]
	v_cndmask_b32_e64 v9, 0, v9, s[2:3]
	v_cmp_neq_f64_e64 s[2:3], 0, v[7:8]
	v_cndmask_b32_e64 v10, v34, v10, s[2:3]
	v_add_co_u32_e64 v7, s[2:3], s14, v27
	v_addc_co_u32_e64 v8, s[2:3], v28, v35, s[2:3]
	global_store_dwordx2 v[7:8], v[9:10], off
	s_or_b64 exec, exec, s[4:5]
	s_and_saveexec_b64 s[2:3], s[0:1]
	s_cbranch_execz .LBB165_19
.LBB165_23:                             ;   in Loop: Header=BB165_9 Depth=1
	s_waitcnt vmcnt(0)
	v_frexp_mant_f64_e32 v[7:8], v[5:6]
	s_mov_b32 s41, s23
	v_cmp_gt_f64_e64 s[0:1], s[22:23], v[7:8]
	v_cndmask_b32_e64 v9, 0, 1, s[0:1]
	v_ldexp_f64 v[7:8], v[7:8], v9
	v_add_f64 v[9:10], v[7:8], 1.0
	v_add_f64 v[39:40], v[7:8], -1.0
	v_rcp_f64_e32 v[35:36], v[9:10]
	v_add_f64 v[41:42], v[9:10], -1.0
	v_add_f64 v[7:8], v[7:8], -v[41:42]
	v_fma_f64 v[37:38], -v[9:10], v[35:36], 1.0
	v_fma_f64 v[35:36], v[37:38], v[35:36], v[35:36]
	v_fma_f64 v[37:38], -v[9:10], v[35:36], 1.0
	v_fma_f64 v[35:36], v[37:38], v[35:36], v[35:36]
	v_mul_f64 v[37:38], v[39:40], v[35:36]
	v_mul_f64 v[43:44], v[9:10], v[37:38]
	v_fma_f64 v[9:10], v[37:38], v[9:10], -v[43:44]
	v_fma_f64 v[7:8], v[37:38], v[7:8], v[9:10]
	v_add_f64 v[9:10], v[43:44], v[7:8]
	v_add_f64 v[41:42], v[39:40], -v[9:10]
	v_add_f64 v[43:44], v[9:10], -v[43:44]
	;; [unrolled: 1-line block ×5, first 2 shown]
	v_add_f64 v[7:8], v[7:8], v[9:10]
	v_add_f64 v[7:8], v[41:42], v[7:8]
	v_mul_f64 v[7:8], v[35:36], v[7:8]
	v_add_f64 v[9:10], v[37:38], v[7:8]
	v_mul_f64 v[35:36], v[9:10], v[9:10]
	v_fma_f64 v[39:40], v[35:36], s[28:29], v[1:2]
	v_mul_f64 v[41:42], v[9:10], v[35:36]
	v_fma_f64 v[39:40], v[35:36], v[39:40], s[30:31]
	v_fma_f64 v[39:40], v[35:36], v[39:40], s[34:35]
	;; [unrolled: 1-line block ×5, first 2 shown]
	v_ldexp_f64 v[39:40], v[9:10], 1
	v_add_f64 v[9:10], v[9:10], -v[37:38]
	v_mul_f64 v[35:36], v[41:42], v[35:36]
	v_frexp_exp_i32_f64_e32 v41, v[5:6]
	v_add_f64 v[7:8], v[7:8], -v[9:10]
	v_add_f64 v[37:38], v[39:40], v[35:36]
	v_subbrev_co_u32_e64 v41, s[0:1], 0, v41, s[0:1]
	v_cvt_f64_i32_e32 v[41:42], v41
	v_ldexp_f64 v[7:8], v[7:8], 1
	v_cmp_class_f64_e64 s[0:1], v[5:6], s45
	v_mul_f64 v[43:44], v[41:42], s[24:25]
	v_add_f64 v[9:10], v[37:38], -v[39:40]
	v_fma_f64 v[39:40], v[41:42], s[24:25], -v[43:44]
	v_add_f64 v[9:10], v[35:36], -v[9:10]
	v_fma_f64 v[35:36], v[41:42], s[26:27], v[39:40]
	v_add_f64 v[7:8], v[7:8], v[9:10]
	v_add_f64 v[9:10], v[43:44], v[35:36]
	v_add_f64 v[39:40], v[37:38], v[7:8]
	v_add_f64 v[43:44], v[9:10], -v[43:44]
	v_add_f64 v[41:42], v[9:10], v[39:40]
	v_add_f64 v[37:38], v[39:40], -v[37:38]
	v_add_f64 v[35:36], v[35:36], -v[43:44]
	;; [unrolled: 1-line block ×6, first 2 shown]
	v_add_f64 v[39:40], v[35:36], v[7:8]
	v_add_f64 v[9:10], v[9:10], -v[47:48]
	v_add_f64 v[9:10], v[37:38], v[9:10]
	v_add_f64 v[37:38], v[39:40], -v[35:36]
	;; [unrolled: 2-line block ×3, first 2 shown]
	v_add_f64 v[7:8], v[7:8], -v[37:38]
	v_add_f64 v[43:44], v[41:42], v[9:10]
	v_add_f64 v[35:36], v[35:36], -v[39:40]
	v_add_f64 v[37:38], v[43:44], -v[41:42]
	v_add_f64 v[7:8], v[7:8], v[35:36]
	v_add_f64 v[9:10], v[9:10], -v[37:38]
	v_add_f64 v[7:8], v[7:8], v[9:10]
	v_mov_b32_e32 v9, s15
	v_add_f64 v[7:8], v[43:44], v[7:8]
	v_cndmask_b32_e64 v7, v7, v5, s[0:1]
	v_cndmask_b32_e64 v8, v8, v6, s[0:1]
	v_cmp_ngt_f64_e64 s[0:1], 0, v[5:6]
	v_cndmask_b32_e64 v8, v33, v8, s[0:1]
	v_cmp_nge_f64_e64 s[0:1], 0, v[5:6]
	v_cndmask_b32_e64 v7, 0, v7, s[0:1]
	v_cmp_neq_f64_e64 s[0:1], 0, v[5:6]
	v_cndmask_b32_e64 v8, v34, v8, s[0:1]
	v_add_co_u32_e64 v5, s[0:1], s14, v21
	v_addc_co_u32_e64 v6, s[0:1], v22, v9, s[0:1]
	global_store_dwordx2 v[5:6], v[7:8], off
	s_or_b64 exec, exec, s[2:3]
	s_and_saveexec_b64 s[0:1], vcc
	s_cbranch_execz .LBB165_8
.LBB165_24:                             ;   in Loop: Header=BB165_9 Depth=1
	s_waitcnt vmcnt(0)
	v_frexp_mant_f64_e32 v[5:6], v[3:4]
	s_mov_b32 s41, s23
	v_cmp_gt_f64_e32 vcc, s[22:23], v[5:6]
	v_cndmask_b32_e64 v7, 0, 1, vcc
	v_ldexp_f64 v[5:6], v[5:6], v7
	v_add_f64 v[7:8], v[5:6], 1.0
	v_add_f64 v[37:38], v[5:6], -1.0
	v_rcp_f64_e32 v[9:10], v[7:8]
	v_add_f64 v[39:40], v[7:8], -1.0
	v_add_f64 v[5:6], v[5:6], -v[39:40]
	v_fma_f64 v[35:36], -v[7:8], v[9:10], 1.0
	v_fma_f64 v[9:10], v[35:36], v[9:10], v[9:10]
	v_fma_f64 v[35:36], -v[7:8], v[9:10], 1.0
	v_fma_f64 v[9:10], v[35:36], v[9:10], v[9:10]
	v_mul_f64 v[35:36], v[37:38], v[9:10]
	v_mul_f64 v[41:42], v[7:8], v[35:36]
	v_fma_f64 v[7:8], v[35:36], v[7:8], -v[41:42]
	v_fma_f64 v[5:6], v[35:36], v[5:6], v[7:8]
	v_add_f64 v[7:8], v[41:42], v[5:6]
	v_add_f64 v[39:40], v[37:38], -v[7:8]
	v_add_f64 v[41:42], v[7:8], -v[41:42]
	;; [unrolled: 1-line block ×5, first 2 shown]
	v_add_f64 v[5:6], v[5:6], v[7:8]
	v_add_f64 v[5:6], v[39:40], v[5:6]
	v_mul_f64 v[5:6], v[9:10], v[5:6]
	v_add_f64 v[7:8], v[35:36], v[5:6]
	v_mul_f64 v[9:10], v[7:8], v[7:8]
	v_fma_f64 v[37:38], v[9:10], s[28:29], v[1:2]
	v_mul_f64 v[39:40], v[7:8], v[9:10]
	v_fma_f64 v[37:38], v[9:10], v[37:38], s[30:31]
	v_fma_f64 v[37:38], v[9:10], v[37:38], s[34:35]
	;; [unrolled: 1-line block ×5, first 2 shown]
	v_ldexp_f64 v[37:38], v[7:8], 1
	v_add_f64 v[7:8], v[7:8], -v[35:36]
	v_mul_f64 v[9:10], v[39:40], v[9:10]
	v_frexp_exp_i32_f64_e32 v39, v[3:4]
	v_add_f64 v[5:6], v[5:6], -v[7:8]
	v_add_f64 v[35:36], v[37:38], v[9:10]
	v_subbrev_co_u32_e32 v39, vcc, 0, v39, vcc
	v_cvt_f64_i32_e32 v[39:40], v39
	v_ldexp_f64 v[5:6], v[5:6], 1
	v_cmp_class_f64_e64 vcc, v[3:4], s45
	v_mul_f64 v[41:42], v[39:40], s[24:25]
	v_add_f64 v[7:8], v[35:36], -v[37:38]
	v_fma_f64 v[37:38], v[39:40], s[24:25], -v[41:42]
	v_add_f64 v[7:8], v[9:10], -v[7:8]
	v_fma_f64 v[9:10], v[39:40], s[26:27], v[37:38]
	v_add_f64 v[5:6], v[5:6], v[7:8]
	v_add_f64 v[7:8], v[41:42], v[9:10]
	;; [unrolled: 1-line block ×3, first 2 shown]
	v_add_f64 v[41:42], v[7:8], -v[41:42]
	v_add_f64 v[39:40], v[7:8], v[37:38]
	v_add_f64 v[35:36], v[37:38], -v[35:36]
	v_add_f64 v[9:10], v[9:10], -v[41:42]
	;; [unrolled: 1-line block ×6, first 2 shown]
	v_add_f64 v[37:38], v[9:10], v[5:6]
	v_add_f64 v[7:8], v[7:8], -v[45:46]
	v_add_f64 v[7:8], v[35:36], v[7:8]
	v_add_f64 v[35:36], v[37:38], -v[9:10]
	;; [unrolled: 2-line block ×3, first 2 shown]
	v_add_f64 v[5:6], v[5:6], -v[35:36]
	v_add_f64 v[41:42], v[39:40], v[7:8]
	v_add_f64 v[9:10], v[9:10], -v[37:38]
	v_add_f64 v[35:36], v[41:42], -v[39:40]
	v_add_f64 v[5:6], v[5:6], v[9:10]
	v_add_f64 v[7:8], v[7:8], -v[35:36]
	v_add_f64 v[5:6], v[5:6], v[7:8]
	v_mov_b32_e32 v7, s15
	v_add_f64 v[5:6], v[41:42], v[5:6]
	v_cndmask_b32_e32 v5, v5, v3, vcc
	v_cndmask_b32_e32 v6, v6, v4, vcc
	v_cmp_ngt_f64_e32 vcc, 0, v[3:4]
	v_cndmask_b32_e32 v6, v33, v6, vcc
	v_cmp_nge_f64_e32 vcc, 0, v[3:4]
	v_cndmask_b32_e32 v5, 0, v5, vcc
	v_cmp_neq_f64_e32 vcc, 0, v[3:4]
	v_cndmask_b32_e32 v6, v34, v6, vcc
	v_add_co_u32_e32 v3, vcc, s14, v17
	v_addc_co_u32_e32 v4, vcc, v18, v7, vcc
	global_store_dwordx2 v[3:4], v[5:6], off
	s_branch .LBB165_8
.LBB165_25:
	s_endpgm
	.section	.rodata,"a",@progbits
	.p2align	6, 0x0
	.amdhsa_kernel _ZN2at6native12_GLOBAL__N_125multi_tensor_apply_kernelINS1_18TensorListMetadataILi2EEENS1_14UnaryOpFunctorIdLi2ELi1ELi1EEEJNS0_3LogIdEEEEEvT_T0_DpT1_
		.amdhsa_group_segment_fixed_size 0
		.amdhsa_private_segment_fixed_size 0
		.amdhsa_kernarg_size 3408
		.amdhsa_user_sgpr_count 6
		.amdhsa_user_sgpr_private_segment_buffer 1
		.amdhsa_user_sgpr_dispatch_ptr 0
		.amdhsa_user_sgpr_queue_ptr 0
		.amdhsa_user_sgpr_kernarg_segment_ptr 1
		.amdhsa_user_sgpr_dispatch_id 0
		.amdhsa_user_sgpr_flat_scratch_init 0
		.amdhsa_user_sgpr_private_segment_size 0
		.amdhsa_uses_dynamic_stack 0
		.amdhsa_system_sgpr_private_segment_wavefront_offset 0
		.amdhsa_system_sgpr_workgroup_id_x 1
		.amdhsa_system_sgpr_workgroup_id_y 0
		.amdhsa_system_sgpr_workgroup_id_z 0
		.amdhsa_system_sgpr_workgroup_info 0
		.amdhsa_system_vgpr_workitem_id 0
		.amdhsa_next_free_vgpr 53
		.amdhsa_next_free_sgpr 46
		.amdhsa_reserve_vcc 1
		.amdhsa_reserve_flat_scratch 0
		.amdhsa_float_round_mode_32 0
		.amdhsa_float_round_mode_16_64 0
		.amdhsa_float_denorm_mode_32 3
		.amdhsa_float_denorm_mode_16_64 3
		.amdhsa_dx10_clamp 1
		.amdhsa_ieee_mode 1
		.amdhsa_fp16_overflow 0
		.amdhsa_exception_fp_ieee_invalid_op 0
		.amdhsa_exception_fp_denorm_src 0
		.amdhsa_exception_fp_ieee_div_zero 0
		.amdhsa_exception_fp_ieee_overflow 0
		.amdhsa_exception_fp_ieee_underflow 0
		.amdhsa_exception_fp_ieee_inexact 0
		.amdhsa_exception_int_div_zero 0
	.end_amdhsa_kernel
	.section	.text._ZN2at6native12_GLOBAL__N_125multi_tensor_apply_kernelINS1_18TensorListMetadataILi2EEENS1_14UnaryOpFunctorIdLi2ELi1ELi1EEEJNS0_3LogIdEEEEEvT_T0_DpT1_,"axG",@progbits,_ZN2at6native12_GLOBAL__N_125multi_tensor_apply_kernelINS1_18TensorListMetadataILi2EEENS1_14UnaryOpFunctorIdLi2ELi1ELi1EEEJNS0_3LogIdEEEEEvT_T0_DpT1_,comdat
.Lfunc_end165:
	.size	_ZN2at6native12_GLOBAL__N_125multi_tensor_apply_kernelINS1_18TensorListMetadataILi2EEENS1_14UnaryOpFunctorIdLi2ELi1ELi1EEEJNS0_3LogIdEEEEEvT_T0_DpT1_, .Lfunc_end165-_ZN2at6native12_GLOBAL__N_125multi_tensor_apply_kernelINS1_18TensorListMetadataILi2EEENS1_14UnaryOpFunctorIdLi2ELi1ELi1EEEJNS0_3LogIdEEEEEvT_T0_DpT1_
                                        ; -- End function
	.set _ZN2at6native12_GLOBAL__N_125multi_tensor_apply_kernelINS1_18TensorListMetadataILi2EEENS1_14UnaryOpFunctorIdLi2ELi1ELi1EEEJNS0_3LogIdEEEEEvT_T0_DpT1_.num_vgpr, 53
	.set _ZN2at6native12_GLOBAL__N_125multi_tensor_apply_kernelINS1_18TensorListMetadataILi2EEENS1_14UnaryOpFunctorIdLi2ELi1ELi1EEEJNS0_3LogIdEEEEEvT_T0_DpT1_.num_agpr, 0
	.set _ZN2at6native12_GLOBAL__N_125multi_tensor_apply_kernelINS1_18TensorListMetadataILi2EEENS1_14UnaryOpFunctorIdLi2ELi1ELi1EEEJNS0_3LogIdEEEEEvT_T0_DpT1_.numbered_sgpr, 46
	.set _ZN2at6native12_GLOBAL__N_125multi_tensor_apply_kernelINS1_18TensorListMetadataILi2EEENS1_14UnaryOpFunctorIdLi2ELi1ELi1EEEJNS0_3LogIdEEEEEvT_T0_DpT1_.num_named_barrier, 0
	.set _ZN2at6native12_GLOBAL__N_125multi_tensor_apply_kernelINS1_18TensorListMetadataILi2EEENS1_14UnaryOpFunctorIdLi2ELi1ELi1EEEJNS0_3LogIdEEEEEvT_T0_DpT1_.private_seg_size, 0
	.set _ZN2at6native12_GLOBAL__N_125multi_tensor_apply_kernelINS1_18TensorListMetadataILi2EEENS1_14UnaryOpFunctorIdLi2ELi1ELi1EEEJNS0_3LogIdEEEEEvT_T0_DpT1_.uses_vcc, 1
	.set _ZN2at6native12_GLOBAL__N_125multi_tensor_apply_kernelINS1_18TensorListMetadataILi2EEENS1_14UnaryOpFunctorIdLi2ELi1ELi1EEEJNS0_3LogIdEEEEEvT_T0_DpT1_.uses_flat_scratch, 0
	.set _ZN2at6native12_GLOBAL__N_125multi_tensor_apply_kernelINS1_18TensorListMetadataILi2EEENS1_14UnaryOpFunctorIdLi2ELi1ELi1EEEJNS0_3LogIdEEEEEvT_T0_DpT1_.has_dyn_sized_stack, 0
	.set _ZN2at6native12_GLOBAL__N_125multi_tensor_apply_kernelINS1_18TensorListMetadataILi2EEENS1_14UnaryOpFunctorIdLi2ELi1ELi1EEEJNS0_3LogIdEEEEEvT_T0_DpT1_.has_recursion, 0
	.set _ZN2at6native12_GLOBAL__N_125multi_tensor_apply_kernelINS1_18TensorListMetadataILi2EEENS1_14UnaryOpFunctorIdLi2ELi1ELi1EEEJNS0_3LogIdEEEEEvT_T0_DpT1_.has_indirect_call, 0
	.section	.AMDGPU.csdata,"",@progbits
; Kernel info:
; codeLenInByte = 6584
; TotalNumSgprs: 50
; NumVgprs: 53
; ScratchSize: 0
; MemoryBound: 0
; FloatMode: 240
; IeeeMode: 1
; LDSByteSize: 0 bytes/workgroup (compile time only)
; SGPRBlocks: 6
; VGPRBlocks: 13
; NumSGPRsForWavesPerEU: 50
; NumVGPRsForWavesPerEU: 53
; Occupancy: 4
; WaveLimiterHint : 0
; COMPUTE_PGM_RSRC2:SCRATCH_EN: 0
; COMPUTE_PGM_RSRC2:USER_SGPR: 6
; COMPUTE_PGM_RSRC2:TRAP_HANDLER: 0
; COMPUTE_PGM_RSRC2:TGID_X_EN: 1
; COMPUTE_PGM_RSRC2:TGID_Y_EN: 0
; COMPUTE_PGM_RSRC2:TGID_Z_EN: 0
; COMPUTE_PGM_RSRC2:TIDIG_COMP_CNT: 0
	.section	.text._ZN2at6native12_GLOBAL__N_125multi_tensor_apply_kernelINS1_18TensorListMetadataILi2EEENS1_14UnaryOpFunctorIfLi2ELi1ELi1EEEJNS0_3LogIfEEEEEvT_T0_DpT1_,"axG",@progbits,_ZN2at6native12_GLOBAL__N_125multi_tensor_apply_kernelINS1_18TensorListMetadataILi2EEENS1_14UnaryOpFunctorIfLi2ELi1ELi1EEEJNS0_3LogIfEEEEEvT_T0_DpT1_,comdat
	.globl	_ZN2at6native12_GLOBAL__N_125multi_tensor_apply_kernelINS1_18TensorListMetadataILi2EEENS1_14UnaryOpFunctorIfLi2ELi1ELi1EEEJNS0_3LogIfEEEEEvT_T0_DpT1_ ; -- Begin function _ZN2at6native12_GLOBAL__N_125multi_tensor_apply_kernelINS1_18TensorListMetadataILi2EEENS1_14UnaryOpFunctorIfLi2ELi1ELi1EEEJNS0_3LogIfEEEEEvT_T0_DpT1_
	.p2align	8
	.type	_ZN2at6native12_GLOBAL__N_125multi_tensor_apply_kernelINS1_18TensorListMetadataILi2EEENS1_14UnaryOpFunctorIfLi2ELi1ELi1EEEJNS0_3LogIfEEEEEvT_T0_DpT1_,@function
_ZN2at6native12_GLOBAL__N_125multi_tensor_apply_kernelINS1_18TensorListMetadataILi2EEENS1_14UnaryOpFunctorIfLi2ELi1ELi1EEEJNS0_3LogIfEEEEEvT_T0_DpT1_: ; @_ZN2at6native12_GLOBAL__N_125multi_tensor_apply_kernelINS1_18TensorListMetadataILi2EEENS1_14UnaryOpFunctorIfLi2ELi1ELi1EEEJNS0_3LogIfEEEEEvT_T0_DpT1_
; %bb.0:
	v_mov_b32_e32 v1, s6
	global_load_ubyte v1, v1, s[4:5] offset:1536
	s_add_u32 s0, s4, s6
	s_mul_hi_u32 s2, s6, 3
	s_mul_i32 s6, s6, 3
	s_addc_u32 s7, s5, 0
	s_add_u32 s6, s0, s6
	s_addc_u32 s7, s7, s2
	s_load_dword s6, s[6:7], 0x740
	s_mov_b32 s1, 0
	s_mov_b32 s3, s1
	s_waitcnt lgkmcnt(0)
	s_ashr_i32 s7, s6, 31
	s_lshl_b64 s[8:9], s[6:7], 18
	s_lshl_b64 s[6:7], s[6:7], 16
	s_waitcnt vmcnt(0)
	v_readfirstlane_b32 s0, v1
	s_lshl_b32 s0, s0, 3
	s_load_dwordx2 s[10:11], s[4:5], s0 offset:0x400
	s_load_dwordx2 s[16:17], s[4:5], s0 offset:0x0
	;; [unrolled: 1-line block ×3, first 2 shown]
	s_waitcnt lgkmcnt(0)
	s_add_u32 s0, s16, s8
	s_and_b32 s2, s14, 15
	s_and_b32 s0, s0, 15
	s_sub_u32 s12, s10, s6
	s_subb_u32 s13, s11, s7
	s_and_b32 s6, s10, 3
	s_mov_b32 s7, s1
	s_or_b64 s[2:3], s[2:3], s[6:7]
	s_or_b64 s[0:1], s[2:3], s[0:1]
	s_cmp_eq_u64 s[0:1], 0
	s_mov_b64 s[0:1], -1
	s_cbranch_scc0 .LBB166_5
; %bb.1:
	v_mov_b32_e32 v1, 0x10000
	v_mov_b32_e32 v2, 0
	v_cmp_lt_i64_e32 vcc, s[12:13], v[1:2]
	v_mov_b32_e32 v2, 0
	s_and_b64 s[0:1], vcc, exec
	s_cselect_b32 s11, s13, 0
	s_cselect_b32 s10, s12, 0x10000
	v_lshlrev_b32_e32 v1, 2, v0
	v_cmp_gt_i64_e32 vcc, s[10:11], v[1:2]
	s_and_saveexec_b64 s[18:19], vcc
	s_cbranch_execz .LBB166_4
; %bb.2:
	s_load_dword s0, s[4:5], 0xc5c
	v_mov_b32_e32 v1, v2
	v_lshlrev_b32_e32 v2, 4, v0
	v_mov_b32_e32 v4, s9
	v_add_co_u32_e32 v3, vcc, s8, v2
	s_waitcnt lgkmcnt(0)
	s_and_b32 s22, s0, 0xffff
	v_mov_b32_e32 v2, v1
	v_addc_co_u32_e32 v4, vcc, 0, v4, vcc
	s_lshl_b32 s23, s22, 4
	s_mov_b64 s[20:21], 0
	v_mov_b32_e32 v5, s17
	s_mov_b32 s24, 0x800000
	s_mov_b32 s25, 0x3f317217
	;; [unrolled: 1-line block ×3, first 2 shown]
	v_mov_b32_e32 v6, 0x41b17218
	v_mov_b32_e32 v7, s15
	;; [unrolled: 1-line block ×3, first 2 shown]
.LBB166_3:                              ; =>This Inner Loop Header: Depth=1
	v_add_co_u32_e32 v8, vcc, s16, v3
	v_addc_co_u32_e32 v9, vcc, v5, v4, vcc
	global_load_dwordx4 v[8:11], v[8:9], off
	v_add_co_u32_e32 v12, vcc, s14, v3
	v_addc_co_u32_e32 v13, vcc, v7, v4, vcc
	v_add_co_u32_e32 v1, vcc, s22, v1
	v_addc_co_u32_e32 v2, vcc, 0, v2, vcc
	v_add_co_u32_e32 v3, vcc, s23, v3
	v_lshlrev_b64 v[14:15], 2, v[1:2]
	v_addc_co_u32_e32 v4, vcc, 0, v4, vcc
	v_cmp_le_i64_e32 vcc, s[10:11], v[14:15]
	s_or_b64 s[20:21], vcc, s[20:21]
	s_waitcnt vmcnt(0)
	v_cmp_gt_f32_e32 vcc, s24, v8
	v_cmp_gt_f32_e64 s[0:1], s24, v9
	v_cmp_gt_f32_e64 s[2:3], s24, v10
	v_cmp_gt_f32_e64 s[6:7], s24, v11
	v_cndmask_b32_e64 v14, 0, 32, vcc
	v_cndmask_b32_e64 v15, 0, 32, s[0:1]
	v_cndmask_b32_e64 v16, 0, 32, s[2:3]
	;; [unrolled: 1-line block ×3, first 2 shown]
	v_ldexp_f32 v8, v8, v14
	v_ldexp_f32 v9, v9, v15
	;; [unrolled: 1-line block ×4, first 2 shown]
	v_log_f32_e32 v8, v8
	v_log_f32_e32 v9, v9
	;; [unrolled: 1-line block ×4, first 2 shown]
	v_mul_f32_e32 v18, 0x3f317217, v8
	v_mul_f32_e32 v19, 0x3f317217, v9
	;; [unrolled: 1-line block ×4, first 2 shown]
	v_fma_f32 v18, v8, s25, -v18
	v_fma_f32 v19, v9, s25, -v19
	;; [unrolled: 1-line block ×4, first 2 shown]
	v_fmac_f32_e32 v18, 0x3377d1cf, v8
	v_fmac_f32_e32 v19, 0x3377d1cf, v9
	;; [unrolled: 1-line block ×4, first 2 shown]
	v_cndmask_b32_e32 v14, 0, v6, vcc
	v_cndmask_b32_e64 v15, 0, v6, s[0:1]
	v_cndmask_b32_e64 v16, 0, v6, s[2:3]
	;; [unrolled: 1-line block ×3, first 2 shown]
	v_fmac_f32_e32 v18, 0x3f317217, v8
	v_fmac_f32_e32 v19, 0x3f317217, v9
	v_fmac_f32_e32 v20, 0x3f317217, v10
	v_cmp_lt_f32_e64 vcc, |v10|, s26
	v_fmac_f32_e32 v21, 0x3f317217, v11
	v_cmp_lt_f32_e64 s[0:1], |v11|, s26
	v_cmp_lt_f32_e64 s[2:3], |v9|, s26
	;; [unrolled: 1-line block ×3, first 2 shown]
	v_cndmask_b32_e64 v8, v8, v18, s[6:7]
	v_cndmask_b32_e64 v9, v9, v19, s[2:3]
	v_cndmask_b32_e32 v10, v10, v20, vcc
	v_cndmask_b32_e64 v11, v11, v21, s[0:1]
	v_sub_f32_e32 v8, v8, v14
	v_sub_f32_e32 v9, v9, v15
	;; [unrolled: 1-line block ×4, first 2 shown]
	global_store_dwordx4 v[12:13], v[8:11], off
	s_andn2_b64 exec, exec, s[20:21]
	s_cbranch_execnz .LBB166_3
.LBB166_4:
	s_or_b64 exec, exec, s[18:19]
	s_mov_b64 s[0:1], 0
.LBB166_5:
	s_andn2_b64 vcc, exec, s[0:1]
	s_cbranch_vccnz .LBB166_25
; %bb.6:
	v_cmp_lt_i64_e64 s[0:1], s[12:13], 1
	s_and_b64 vcc, exec, s[0:1]
	s_cbranch_vccnz .LBB166_25
; %bb.7:
	v_mov_b32_e32 v1, 0x10000
	s_load_dword s2, s[4:5], 0xc5c
	v_mov_b32_e32 v2, 0
	v_cmp_lt_i64_e32 vcc, s[12:13], v[1:2]
	v_mov_b32_e32 v10, 0
	s_and_b64 s[0:1], vcc, exec
	v_cmp_lt_u64_e32 vcc, s[12:13], v[1:2]
	s_cselect_b32 s11, s13, 0
	s_cselect_b32 s10, s12, 0x10000
	s_waitcnt lgkmcnt(0)
	s_and_b32 s2, s2, 0xffff
	v_lshlrev_b32_e32 v9, 2, v0
	s_and_b64 s[0:1], vcc, exec
	v_mov_b32_e32 v2, s17
	v_add_co_u32_e32 v1, vcc, s16, v9
	v_mad_u64_u32 v[7:8], s[0:1], s2, 12, v[9:10]
	v_addc_co_u32_e32 v2, vcc, 0, v2, vcc
	v_mov_b32_e32 v4, s15
	v_add_co_u32_e32 v3, vcc, s14, v9
	v_addc_co_u32_e32 v4, vcc, 0, v4, vcc
	v_mov_b32_e32 v6, s17
	v_add_co_u32_e32 v5, vcc, s16, v7
	;; [unrolled: 3-line block ×3, first 2 shown]
	s_cselect_b32 s13, s13, 0
	s_cselect_b32 s12, s12, 0x10000
	v_addc_co_u32_e32 v8, vcc, v10, v8, vcc
	s_lshl_b32 s0, s2, 3
	v_add_co_u32_e32 v11, vcc, s0, v9
	v_addc_co_u32_e64 v12, s[0:1], 0, 0, vcc
	v_mov_b32_e32 v10, s17
	v_add_co_u32_e32 v9, vcc, s16, v11
	v_addc_co_u32_e32 v10, vcc, v10, v12, vcc
	v_mov_b32_e32 v13, s15
	v_add_co_u32_e32 v11, vcc, s14, v11
	v_addc_co_u32_e32 v12, vcc, v13, v12, vcc
	v_add_co_u32_e32 v13, vcc, s2, v0
	v_lshlrev_b32_e32 v17, 2, v13
	v_addc_co_u32_e64 v14, s[0:1], 0, 0, vcc
	v_mov_b32_e32 v16, s17
	v_add_co_u32_e32 v15, vcc, s16, v17
	v_addc_co_u32_e32 v16, vcc, 0, v16, vcc
	v_mov_b32_e32 v18, s15
	v_add_co_u32_e32 v17, vcc, s14, v17
	s_mul_i32 s4, s2, 3
	v_addc_co_u32_e32 v18, vcc, 0, v18, vcc
	s_lshl_b32 s3, s2, 1
	v_add_co_u32_e32 v19, vcc, s4, v0
	v_addc_co_u32_e64 v20, s[0:1], 0, 0, vcc
	v_add_co_u32_e32 v21, vcc, s3, v0
	s_lshl_b32 s18, s2, 2
	s_lshl_b32 s19, s2, 4
	s_mov_b64 s[14:15], 0
	s_mov_b32 s20, 0x800000
	s_mov_b32 s21, 0x3f317217
	;; [unrolled: 1-line block ×3, first 2 shown]
	v_addc_co_u32_e64 v22, s[0:1], 0, 0, vcc
	v_mov_b32_e32 v23, 0x41b17218
	s_branch .LBB166_9
.LBB166_8:                              ;   in Loop: Header=BB166_9 Depth=1
	s_or_b64 exec, exec, s[0:1]
	v_add_co_u32_e32 v1, vcc, s19, v1
	v_addc_co_u32_e32 v2, vcc, 0, v2, vcc
	v_add_co_u32_e32 v3, vcc, s19, v3
	v_addc_co_u32_e32 v4, vcc, 0, v4, vcc
	;; [unrolled: 2-line block ×6, first 2 shown]
	s_add_u32 s14, s14, s18
	v_add_co_u32_e32 v15, vcc, s19, v15
	s_waitcnt vmcnt(0)
	v_mov_b32_e32 v25, s11
	s_addc_u32 s15, s15, 0
	v_addc_co_u32_e32 v16, vcc, 0, v16, vcc
	v_mov_b32_e32 v24, s10
	v_cmp_ge_i64_e32 vcc, s[14:15], v[24:25]
	v_add_co_u32_e64 v17, s[0:1], s19, v17
	v_addc_co_u32_e64 v18, s[0:1], 0, v18, s[0:1]
	s_cbranch_vccnz .LBB166_25
.LBB166_9:                              ; =>This Inner Loop Header: Depth=1
	v_mov_b32_e32 v25, s15
	v_add_co_u32_e32 v24, vcc, s14, v0
	v_addc_co_u32_e32 v25, vcc, 0, v25, vcc
	v_cmp_gt_u64_e64 s[4:5], s[12:13], v[24:25]
	v_mov_b32_e32 v26, 0
	s_and_saveexec_b64 s[0:1], s[4:5]
	s_cbranch_execz .LBB166_11
; %bb.10:                               ;   in Loop: Header=BB166_9 Depth=1
	v_mov_b32_e32 v25, s9
	v_add_co_u32_e32 v24, vcc, s8, v1
	v_addc_co_u32_e32 v25, vcc, v2, v25, vcc
	global_load_dword v26, v[24:25], off
.LBB166_11:                             ;   in Loop: Header=BB166_9 Depth=1
	s_or_b64 exec, exec, s[0:1]
	v_mov_b32_e32 v25, s15
	v_add_co_u32_e32 v24, vcc, s14, v13
	v_addc_co_u32_e32 v25, vcc, v14, v25, vcc
	v_cmp_gt_u64_e64 s[2:3], s[12:13], v[24:25]
	v_mov_b32_e32 v24, 0
	v_mov_b32_e32 v27, 0
	s_and_saveexec_b64 s[0:1], s[2:3]
	s_cbranch_execz .LBB166_13
; %bb.12:                               ;   in Loop: Header=BB166_9 Depth=1
	v_mov_b32_e32 v25, s9
	v_add_co_u32_e32 v27, vcc, s8, v15
	v_addc_co_u32_e32 v28, vcc, v16, v25, vcc
	global_load_dword v27, v[27:28], off
.LBB166_13:                             ;   in Loop: Header=BB166_9 Depth=1
	s_or_b64 exec, exec, s[0:1]
	v_mov_b32_e32 v25, s15
	v_add_co_u32_e32 v28, vcc, s14, v21
	v_addc_co_u32_e32 v29, vcc, v22, v25, vcc
	v_cmp_gt_u64_e64 s[0:1], s[12:13], v[28:29]
	s_and_saveexec_b64 s[6:7], s[0:1]
	s_cbranch_execz .LBB166_15
; %bb.14:                               ;   in Loop: Header=BB166_9 Depth=1
	v_mov_b32_e32 v25, s9
	v_add_co_u32_e32 v24, vcc, s8, v9
	v_addc_co_u32_e32 v25, vcc, v10, v25, vcc
	global_load_dword v24, v[24:25], off
.LBB166_15:                             ;   in Loop: Header=BB166_9 Depth=1
	s_or_b64 exec, exec, s[6:7]
	v_mov_b32_e32 v25, s15
	v_add_co_u32_e32 v28, vcc, s14, v19
	v_addc_co_u32_e32 v29, vcc, v20, v25, vcc
	v_cmp_gt_u64_e32 vcc, s[12:13], v[28:29]
	v_mov_b32_e32 v25, 0
	s_and_saveexec_b64 s[16:17], vcc
	s_cbranch_execnz .LBB166_20
; %bb.16:                               ;   in Loop: Header=BB166_9 Depth=1
	s_or_b64 exec, exec, s[16:17]
	s_and_saveexec_b64 s[16:17], s[4:5]
	s_cbranch_execnz .LBB166_21
.LBB166_17:                             ;   in Loop: Header=BB166_9 Depth=1
	s_or_b64 exec, exec, s[16:17]
	s_and_saveexec_b64 s[4:5], s[2:3]
	s_cbranch_execnz .LBB166_22
.LBB166_18:                             ;   in Loop: Header=BB166_9 Depth=1
	s_or_b64 exec, exec, s[4:5]
	s_and_saveexec_b64 s[2:3], s[0:1]
	s_cbranch_execnz .LBB166_23
.LBB166_19:                             ;   in Loop: Header=BB166_9 Depth=1
	s_or_b64 exec, exec, s[2:3]
	s_and_saveexec_b64 s[0:1], vcc
	s_cbranch_execz .LBB166_8
	s_branch .LBB166_24
.LBB166_20:                             ;   in Loop: Header=BB166_9 Depth=1
	v_mov_b32_e32 v25, s9
	v_add_co_u32_e64 v28, s[6:7], s8, v5
	v_addc_co_u32_e64 v29, s[6:7], v6, v25, s[6:7]
	global_load_dword v25, v[28:29], off
	s_or_b64 exec, exec, s[16:17]
	s_and_saveexec_b64 s[16:17], s[4:5]
	s_cbranch_execz .LBB166_17
.LBB166_21:                             ;   in Loop: Header=BB166_9 Depth=1
	s_waitcnt vmcnt(0)
	v_cmp_gt_f32_e64 s[4:5], s20, v26
	v_cndmask_b32_e64 v28, 0, 32, s[4:5]
	v_ldexp_f32 v26, v26, v28
	v_log_f32_e32 v26, v26
	v_mov_b32_e32 v29, s9
	v_add_co_u32_e64 v28, s[6:7], s8, v3
	v_mul_f32_e32 v30, 0x3f317217, v26
	v_fma_f32 v30, v26, s21, -v30
	v_addc_co_u32_e64 v29, s[6:7], v4, v29, s[6:7]
	v_fmac_f32_e32 v30, 0x3377d1cf, v26
	v_fmac_f32_e32 v30, 0x3f317217, v26
	v_cmp_lt_f32_e64 s[6:7], |v26|, s22
	v_cndmask_b32_e64 v26, v26, v30, s[6:7]
	v_cndmask_b32_e64 v30, 0, v23, s[4:5]
	v_sub_f32_e32 v26, v26, v30
	global_store_dword v[28:29], v26, off
	s_or_b64 exec, exec, s[16:17]
	s_and_saveexec_b64 s[4:5], s[2:3]
	s_cbranch_execz .LBB166_18
.LBB166_22:                             ;   in Loop: Header=BB166_9 Depth=1
	s_waitcnt vmcnt(0)
	v_cmp_gt_f32_e64 s[2:3], s20, v27
	v_cndmask_b32_e64 v26, 0, 32, s[2:3]
	v_ldexp_f32 v26, v27, v26
	v_log_f32_e32 v26, v26
	v_cndmask_b32_e64 v27, 0, v23, s[2:3]
	v_mul_f32_e32 v28, 0x3f317217, v26
	v_fma_f32 v28, v26, s21, -v28
	v_fmac_f32_e32 v28, 0x3377d1cf, v26
	v_fmac_f32_e32 v28, 0x3f317217, v26
	v_cmp_lt_f32_e64 s[2:3], |v26|, s22
	v_cndmask_b32_e64 v26, v26, v28, s[2:3]
	v_sub_f32_e32 v28, v26, v27
	v_mov_b32_e32 v27, s9
	v_add_co_u32_e64 v26, s[2:3], s8, v17
	v_addc_co_u32_e64 v27, s[2:3], v18, v27, s[2:3]
	global_store_dword v[26:27], v28, off
	s_or_b64 exec, exec, s[4:5]
	s_and_saveexec_b64 s[2:3], s[0:1]
	s_cbranch_execz .LBB166_19
.LBB166_23:                             ;   in Loop: Header=BB166_9 Depth=1
	s_waitcnt vmcnt(0)
	v_cmp_gt_f32_e64 s[0:1], s20, v24
	v_cndmask_b32_e64 v26, 0, 32, s[0:1]
	v_ldexp_f32 v24, v24, v26
	v_log_f32_e32 v24, v24
	v_cndmask_b32_e64 v26, 0, v23, s[0:1]
	v_mul_f32_e32 v27, 0x3f317217, v24
	v_fma_f32 v27, v24, s21, -v27
	v_fmac_f32_e32 v27, 0x3377d1cf, v24
	v_fmac_f32_e32 v27, 0x3f317217, v24
	v_cmp_lt_f32_e64 s[0:1], |v24|, s22
	v_cndmask_b32_e64 v24, v24, v27, s[0:1]
	v_sub_f32_e32 v24, v24, v26
	v_mov_b32_e32 v27, s9
	v_add_co_u32_e64 v26, s[0:1], s8, v11
	v_addc_co_u32_e64 v27, s[0:1], v12, v27, s[0:1]
	global_store_dword v[26:27], v24, off
	s_or_b64 exec, exec, s[2:3]
	s_and_saveexec_b64 s[0:1], vcc
	s_cbranch_execz .LBB166_8
.LBB166_24:                             ;   in Loop: Header=BB166_9 Depth=1
	s_waitcnt vmcnt(0)
	v_cmp_gt_f32_e32 vcc, s20, v25
	v_cndmask_b32_e64 v24, 0, 32, vcc
	v_ldexp_f32 v24, v25, v24
	v_log_f32_e32 v24, v24
	v_cndmask_b32_e32 v25, 0, v23, vcc
	v_mul_f32_e32 v26, 0x3f317217, v24
	v_fma_f32 v26, v24, s21, -v26
	v_fmac_f32_e32 v26, 0x3377d1cf, v24
	v_fmac_f32_e32 v26, 0x3f317217, v24
	v_cmp_lt_f32_e64 vcc, |v24|, s22
	v_cndmask_b32_e32 v24, v24, v26, vcc
	v_sub_f32_e32 v26, v24, v25
	v_mov_b32_e32 v25, s9
	v_add_co_u32_e32 v24, vcc, s8, v7
	v_addc_co_u32_e32 v25, vcc, v8, v25, vcc
	global_store_dword v[24:25], v26, off
	s_branch .LBB166_8
.LBB166_25:
	s_endpgm
	.section	.rodata,"a",@progbits
	.p2align	6, 0x0
	.amdhsa_kernel _ZN2at6native12_GLOBAL__N_125multi_tensor_apply_kernelINS1_18TensorListMetadataILi2EEENS1_14UnaryOpFunctorIfLi2ELi1ELi1EEEJNS0_3LogIfEEEEEvT_T0_DpT1_
		.amdhsa_group_segment_fixed_size 0
		.amdhsa_private_segment_fixed_size 0
		.amdhsa_kernarg_size 3408
		.amdhsa_user_sgpr_count 6
		.amdhsa_user_sgpr_private_segment_buffer 1
		.amdhsa_user_sgpr_dispatch_ptr 0
		.amdhsa_user_sgpr_queue_ptr 0
		.amdhsa_user_sgpr_kernarg_segment_ptr 1
		.amdhsa_user_sgpr_dispatch_id 0
		.amdhsa_user_sgpr_flat_scratch_init 0
		.amdhsa_user_sgpr_private_segment_size 0
		.amdhsa_uses_dynamic_stack 0
		.amdhsa_system_sgpr_private_segment_wavefront_offset 0
		.amdhsa_system_sgpr_workgroup_id_x 1
		.amdhsa_system_sgpr_workgroup_id_y 0
		.amdhsa_system_sgpr_workgroup_id_z 0
		.amdhsa_system_sgpr_workgroup_info 0
		.amdhsa_system_vgpr_workitem_id 0
		.amdhsa_next_free_vgpr 31
		.amdhsa_next_free_sgpr 27
		.amdhsa_reserve_vcc 1
		.amdhsa_reserve_flat_scratch 0
		.amdhsa_float_round_mode_32 0
		.amdhsa_float_round_mode_16_64 0
		.amdhsa_float_denorm_mode_32 3
		.amdhsa_float_denorm_mode_16_64 3
		.amdhsa_dx10_clamp 1
		.amdhsa_ieee_mode 1
		.amdhsa_fp16_overflow 0
		.amdhsa_exception_fp_ieee_invalid_op 0
		.amdhsa_exception_fp_denorm_src 0
		.amdhsa_exception_fp_ieee_div_zero 0
		.amdhsa_exception_fp_ieee_overflow 0
		.amdhsa_exception_fp_ieee_underflow 0
		.amdhsa_exception_fp_ieee_inexact 0
		.amdhsa_exception_int_div_zero 0
	.end_amdhsa_kernel
	.section	.text._ZN2at6native12_GLOBAL__N_125multi_tensor_apply_kernelINS1_18TensorListMetadataILi2EEENS1_14UnaryOpFunctorIfLi2ELi1ELi1EEEJNS0_3LogIfEEEEEvT_T0_DpT1_,"axG",@progbits,_ZN2at6native12_GLOBAL__N_125multi_tensor_apply_kernelINS1_18TensorListMetadataILi2EEENS1_14UnaryOpFunctorIfLi2ELi1ELi1EEEJNS0_3LogIfEEEEEvT_T0_DpT1_,comdat
.Lfunc_end166:
	.size	_ZN2at6native12_GLOBAL__N_125multi_tensor_apply_kernelINS1_18TensorListMetadataILi2EEENS1_14UnaryOpFunctorIfLi2ELi1ELi1EEEJNS0_3LogIfEEEEEvT_T0_DpT1_, .Lfunc_end166-_ZN2at6native12_GLOBAL__N_125multi_tensor_apply_kernelINS1_18TensorListMetadataILi2EEENS1_14UnaryOpFunctorIfLi2ELi1ELi1EEEJNS0_3LogIfEEEEEvT_T0_DpT1_
                                        ; -- End function
	.set _ZN2at6native12_GLOBAL__N_125multi_tensor_apply_kernelINS1_18TensorListMetadataILi2EEENS1_14UnaryOpFunctorIfLi2ELi1ELi1EEEJNS0_3LogIfEEEEEvT_T0_DpT1_.num_vgpr, 31
	.set _ZN2at6native12_GLOBAL__N_125multi_tensor_apply_kernelINS1_18TensorListMetadataILi2EEENS1_14UnaryOpFunctorIfLi2ELi1ELi1EEEJNS0_3LogIfEEEEEvT_T0_DpT1_.num_agpr, 0
	.set _ZN2at6native12_GLOBAL__N_125multi_tensor_apply_kernelINS1_18TensorListMetadataILi2EEENS1_14UnaryOpFunctorIfLi2ELi1ELi1EEEJNS0_3LogIfEEEEEvT_T0_DpT1_.numbered_sgpr, 27
	.set _ZN2at6native12_GLOBAL__N_125multi_tensor_apply_kernelINS1_18TensorListMetadataILi2EEENS1_14UnaryOpFunctorIfLi2ELi1ELi1EEEJNS0_3LogIfEEEEEvT_T0_DpT1_.num_named_barrier, 0
	.set _ZN2at6native12_GLOBAL__N_125multi_tensor_apply_kernelINS1_18TensorListMetadataILi2EEENS1_14UnaryOpFunctorIfLi2ELi1ELi1EEEJNS0_3LogIfEEEEEvT_T0_DpT1_.private_seg_size, 0
	.set _ZN2at6native12_GLOBAL__N_125multi_tensor_apply_kernelINS1_18TensorListMetadataILi2EEENS1_14UnaryOpFunctorIfLi2ELi1ELi1EEEJNS0_3LogIfEEEEEvT_T0_DpT1_.uses_vcc, 1
	.set _ZN2at6native12_GLOBAL__N_125multi_tensor_apply_kernelINS1_18TensorListMetadataILi2EEENS1_14UnaryOpFunctorIfLi2ELi1ELi1EEEJNS0_3LogIfEEEEEvT_T0_DpT1_.uses_flat_scratch, 0
	.set _ZN2at6native12_GLOBAL__N_125multi_tensor_apply_kernelINS1_18TensorListMetadataILi2EEENS1_14UnaryOpFunctorIfLi2ELi1ELi1EEEJNS0_3LogIfEEEEEvT_T0_DpT1_.has_dyn_sized_stack, 0
	.set _ZN2at6native12_GLOBAL__N_125multi_tensor_apply_kernelINS1_18TensorListMetadataILi2EEENS1_14UnaryOpFunctorIfLi2ELi1ELi1EEEJNS0_3LogIfEEEEEvT_T0_DpT1_.has_recursion, 0
	.set _ZN2at6native12_GLOBAL__N_125multi_tensor_apply_kernelINS1_18TensorListMetadataILi2EEENS1_14UnaryOpFunctorIfLi2ELi1ELi1EEEJNS0_3LogIfEEEEEvT_T0_DpT1_.has_indirect_call, 0
	.section	.AMDGPU.csdata,"",@progbits
; Kernel info:
; codeLenInByte = 1944
; TotalNumSgprs: 31
; NumVgprs: 31
; ScratchSize: 0
; MemoryBound: 0
; FloatMode: 240
; IeeeMode: 1
; LDSByteSize: 0 bytes/workgroup (compile time only)
; SGPRBlocks: 3
; VGPRBlocks: 7
; NumSGPRsForWavesPerEU: 31
; NumVGPRsForWavesPerEU: 31
; Occupancy: 8
; WaveLimiterHint : 0
; COMPUTE_PGM_RSRC2:SCRATCH_EN: 0
; COMPUTE_PGM_RSRC2:USER_SGPR: 6
; COMPUTE_PGM_RSRC2:TRAP_HANDLER: 0
; COMPUTE_PGM_RSRC2:TGID_X_EN: 1
; COMPUTE_PGM_RSRC2:TGID_Y_EN: 0
; COMPUTE_PGM_RSRC2:TGID_Z_EN: 0
; COMPUTE_PGM_RSRC2:TIDIG_COMP_CNT: 0
	.section	.text._ZN2at6native12_GLOBAL__N_125multi_tensor_apply_kernelINS1_18TensorListMetadataILi2EEENS1_14UnaryOpFunctorIN3c107complexIdEELi2ELi1ELi1EEEJNS0_3LogIS8_EEEEEvT_T0_DpT1_,"axG",@progbits,_ZN2at6native12_GLOBAL__N_125multi_tensor_apply_kernelINS1_18TensorListMetadataILi2EEENS1_14UnaryOpFunctorIN3c107complexIdEELi2ELi1ELi1EEEJNS0_3LogIS8_EEEEEvT_T0_DpT1_,comdat
	.globl	_ZN2at6native12_GLOBAL__N_125multi_tensor_apply_kernelINS1_18TensorListMetadataILi2EEENS1_14UnaryOpFunctorIN3c107complexIdEELi2ELi1ELi1EEEJNS0_3LogIS8_EEEEEvT_T0_DpT1_ ; -- Begin function _ZN2at6native12_GLOBAL__N_125multi_tensor_apply_kernelINS1_18TensorListMetadataILi2EEENS1_14UnaryOpFunctorIN3c107complexIdEELi2ELi1ELi1EEEJNS0_3LogIS8_EEEEEvT_T0_DpT1_
	.p2align	8
	.type	_ZN2at6native12_GLOBAL__N_125multi_tensor_apply_kernelINS1_18TensorListMetadataILi2EEENS1_14UnaryOpFunctorIN3c107complexIdEELi2ELi1ELi1EEEJNS0_3LogIS8_EEEEEvT_T0_DpT1_,@function
_ZN2at6native12_GLOBAL__N_125multi_tensor_apply_kernelINS1_18TensorListMetadataILi2EEENS1_14UnaryOpFunctorIN3c107complexIdEELi2ELi1ELi1EEEJNS0_3LogIS8_EEEEEvT_T0_DpT1_: ; @_ZN2at6native12_GLOBAL__N_125multi_tensor_apply_kernelINS1_18TensorListMetadataILi2EEENS1_14UnaryOpFunctorIN3c107complexIdEELi2ELi1ELi1EEEJNS0_3LogIS8_EEEEEvT_T0_DpT1_
; %bb.0:
	v_mov_b32_e32 v1, s6
	global_load_ubyte v1, v1, s[4:5] offset:1536
	s_add_u32 s0, s4, s6
	s_mul_hi_u32 s2, s6, 3
	s_mul_i32 s6, s6, 3
	s_addc_u32 s7, s5, 0
	s_add_u32 s6, s0, s6
	s_addc_u32 s7, s7, s2
	s_load_dword s14, s[6:7], 0x740
	s_mov_b32 s1, 0
	s_mov_b32 s3, s1
	s_waitcnt lgkmcnt(0)
	s_ashr_i32 s15, s14, 31
	s_lshl_b64 s[12:13], s[14:15], 20
	s_waitcnt vmcnt(0)
	v_readfirstlane_b32 s0, v1
	s_lshl_b32 s0, s0, 3
	s_load_dwordx2 s[6:7], s[4:5], s0 offset:0x0
	s_load_dwordx2 s[8:9], s[4:5], s0 offset:0x400
	;; [unrolled: 1-line block ×3, first 2 shown]
	s_waitcnt lgkmcnt(0)
	s_add_u32 s33, s6, s12
	s_addc_u32 s59, s7, s13
	s_and_b32 s0, s33, 63
	s_add_u32 s52, s10, s12
	s_addc_u32 s53, s11, s13
	s_lshl_b64 s[6:7], s[14:15], 16
	s_and_b32 s2, s52, 63
	s_sub_u32 s10, s8, s6
	s_subb_u32 s11, s9, s7
	s_and_b32 s6, s8, 3
	s_mov_b32 s7, s1
	s_or_b64 s[2:3], s[2:3], s[6:7]
	s_or_b64 s[0:1], s[2:3], s[0:1]
	s_cmp_eq_u64 s[0:1], 0
	s_mov_b64 s[0:1], -1
	s_cbranch_scc0 .LBB167_141
; %bb.1:
	v_mov_b32_e32 v1, 0x10000
	v_mov_b32_e32 v2, 0
                                        ; implicit-def: $vgpr78 : SGPR spill to VGPR lane
	v_cmp_lt_i64_e32 vcc, s[10:11], v[1:2]
	v_writelane_b32 v78, s4, 0
	v_writelane_b32 v78, s5, 1
	v_mov_b32_e32 v33, 0
	s_and_b64 s[0:1], vcc, exec
	s_mov_b32 s45, s59
	s_cselect_b32 s13, s11, 0
	v_writelane_b32 v78, s10, 2
	s_cselect_b32 s12, s10, 0x10000
	v_lshlrev_b32_e32 v1, 2, v0
	v_mov_b32_e32 v2, v33
	v_writelane_b32 v78, s11, 3
	v_cmp_gt_i64_e32 vcc, s[12:13], v[1:2]
	s_mov_b64 s[0:1], exec
	v_writelane_b32 v78, s0, 4
	v_writelane_b32 v78, s1, 5
	s_and_b64 s[0:1], s[0:1], vcc
	s_mov_b64 exec, s[0:1]
	s_cbranch_execz .LBB167_140
; %bb.2:
	v_readlane_b32 s0, v78, 0
	v_readlane_b32 s1, v78, 1
	s_load_dword s0, s[0:1], 0xc5c
	v_mov_b32_e32 v1, v33
	s_mov_b32 s24, 0x55555555
	s_mov_b32 s26, 0xbf559e2b
	s_mov_b32 s28, 0xd7f4df2e
	s_mov_b32 s30, 0x16291751
	s_mov_b32 s34, 0x9b27acf1
	s_mov_b32 s36, 0x998ef7b6
	s_mov_b32 s38, 0xfefa39ef
	s_mov_b32 s40, 0x3b39803f
	s_mov_b32 s18, 0xb5e68a13
	s_mov_b32 s46, 0xaf56de9b
	s_mov_b32 s48, 0xa595c56f
	s_mov_b32 s50, 0xa57d9582
	s_mov_b32 s4, 0x5f08b19f
	s_mov_b32 s54, 0xfc27006a
	s_mov_b32 s56, 0x5711927a
	s_mov_b32 s58, 0xe82d3ff0
	s_mov_b32 s60, 0x6ef28734
	s_mov_b32 s62, 0x6a214619
	s_mov_b32 s64, 0x8427b883
	s_mov_b32 s66, 0x8b207f05
	s_mov_b32 s68, 0x57b87036
	s_mov_b32 s70, 0x19378e4f
	s_mov_b32 s72, 0x17e1913c
	s_mov_b32 s74, 0x92376b7d
	s_mov_b32 s76, 0x999952cc
	s_mov_b32 s78, 0x55555523
	s_mov_b32 s80, 0x54442d18
	s_mov_b32 s86, 0x8b145769
	v_mov_b32_e32 v40, v1
	s_mov_b32 s92, 0
	s_mov_b64 s[16:17], 0
	v_mov_b32_e32 v59, s45
	s_brev_b32 s42, -2
	s_waitcnt lgkmcnt(0)
	s_and_b32 s43, s0, 0xffff
	s_mov_b32 s25, 0x3fe55555
	s_mov_b32 s27, 0x3fc3ab76
	;; [unrolled: 1-line block ×26, first 2 shown]
	s_movk_i32 s44, 0x204
	s_mov_b32 s81, 0x3ff921fb
	s_mov_b32 s87, 0x4005bf0a
	v_mov_b32_e32 v35, 0x6b47b09a
	v_mov_b32_e32 v36, 0x3fc38538
	;; [unrolled: 1-line block ×12, first 2 shown]
	s_mov_b32 s88, 0x55555780
	s_brev_b32 s93, 4
	s_mov_b32 s95, 0x400921fb
	s_branch .LBB167_5
.LBB167_3:                              ;   in Loop: Header=BB167_5 Depth=1
	s_or_b64 exec, exec, s[2:3]
	v_frexp_mant_f64_e32 v[5:6], v[1:2]
	s_mov_b32 s89, s25
	v_cmp_gt_f64_e32 vcc, s[24:25], v[5:6]
	v_cndmask_b32_e64 v3, 0, 1, vcc
	v_ldexp_f64 v[5:6], v[5:6], v3
	v_frexp_exp_i32_f64_e32 v3, v[1:2]
	v_add_f64 v[9:10], v[5:6], 1.0
	v_add_f64 v[31:32], v[5:6], -1.0
	v_subbrev_co_u32_e32 v3, vcc, 0, v3, vcc
	v_cmp_class_f64_e64 vcc, v[1:2], s44
	v_rcp_f64_e32 v[13:14], v[9:10]
	v_add_f64 v[43:44], v[9:10], -1.0
	v_add_f64 v[5:6], v[5:6], -v[43:44]
	v_fma_f64 v[29:30], -v[9:10], v[13:14], 1.0
	v_fma_f64 v[13:14], v[29:30], v[13:14], v[13:14]
	v_fma_f64 v[29:30], -v[9:10], v[13:14], 1.0
	v_fma_f64 v[13:14], v[29:30], v[13:14], v[13:14]
	v_mul_f64 v[29:30], v[31:32], v[13:14]
	v_mul_f64 v[45:46], v[9:10], v[29:30]
	v_fma_f64 v[9:10], v[29:30], v[9:10], -v[45:46]
	v_fma_f64 v[5:6], v[29:30], v[5:6], v[9:10]
	v_add_f64 v[9:10], v[45:46], v[5:6]
	v_add_f64 v[43:44], v[31:32], -v[9:10]
	v_add_f64 v[45:46], v[9:10], -v[45:46]
	;; [unrolled: 1-line block ×5, first 2 shown]
	v_add_f64 v[5:6], v[5:6], v[9:10]
	v_add_f64 v[5:6], v[43:44], v[5:6]
	v_mul_f64 v[5:6], v[13:14], v[5:6]
	v_add_f64 v[9:10], v[29:30], v[5:6]
	v_mul_f64 v[13:14], v[9:10], v[9:10]
	v_fma_f64 v[31:32], v[13:14], s[26:27], v[35:36]
	v_mul_f64 v[43:44], v[9:10], v[13:14]
	v_fma_f64 v[31:32], v[13:14], v[31:32], s[28:29]
	v_fma_f64 v[31:32], v[13:14], v[31:32], s[30:31]
	;; [unrolled: 1-line block ×5, first 2 shown]
	v_ldexp_f64 v[31:32], v[9:10], 1
	v_add_f64 v[9:10], v[9:10], -v[29:30]
	v_mul_f64 v[13:14], v[43:44], v[13:14]
	v_cvt_f64_i32_e32 v[43:44], v3
	v_add_f64 v[5:6], v[5:6], -v[9:10]
	v_mul_f64 v[45:46], v[43:44], s[38:39]
	v_add_f64 v[29:30], v[31:32], v[13:14]
	v_ldexp_f64 v[5:6], v[5:6], 1
	v_add_f64 v[9:10], v[29:30], -v[31:32]
	v_fma_f64 v[31:32], v[43:44], s[38:39], -v[45:46]
	v_add_f64 v[9:10], v[13:14], -v[9:10]
	v_fma_f64 v[13:14], v[43:44], s[40:41], v[31:32]
	v_add_f64 v[5:6], v[5:6], v[9:10]
	v_add_f64 v[9:10], v[45:46], v[13:14]
	;; [unrolled: 1-line block ×3, first 2 shown]
	v_add_f64 v[45:46], v[9:10], -v[45:46]
	v_add_f64 v[43:44], v[9:10], v[31:32]
	v_add_f64 v[29:30], v[31:32], -v[29:30]
	v_add_f64 v[13:14], v[13:14], -v[45:46]
	;; [unrolled: 1-line block ×6, first 2 shown]
	v_add_f64 v[31:32], v[13:14], v[5:6]
	v_add_f64 v[9:10], v[9:10], -v[49:50]
	v_add_f64 v[9:10], v[29:30], v[9:10]
	v_add_f64 v[29:30], v[31:32], -v[13:14]
	;; [unrolled: 2-line block ×3, first 2 shown]
	v_add_f64 v[5:6], v[5:6], -v[29:30]
	v_add_f64 v[45:46], v[43:44], v[9:10]
	v_add_f64 v[13:14], v[13:14], -v[31:32]
	v_mov_b32_e32 v31, 0
	v_mov_b32_e32 v32, 0x7ff80000
	v_add_f64 v[29:30], v[45:46], -v[43:44]
	v_add_f64 v[5:6], v[5:6], v[13:14]
	v_add_f64 v[9:10], v[9:10], -v[29:30]
	v_add_f64 v[5:6], v[5:6], v[9:10]
	v_add_f64 v[5:6], v[45:46], v[5:6]
	v_cndmask_b32_e32 v3, v5, v1, vcc
	v_cndmask_b32_e32 v5, v6, v2, vcc
	v_cmp_ngt_f64_e32 vcc, 0, v[1:2]
	v_cndmask_b32_e32 v5, v61, v5, vcc
	v_cmp_nge_f64_e32 vcc, 0, v[1:2]
	v_cndmask_b32_e32 v29, 0, v3, vcc
	v_cmp_neq_f64_e32 vcc, 0, v[1:2]
	v_cndmask_b32_e32 v30, v62, v5, vcc
.LBB167_4:                              ;   in Loop: Header=BB167_5 Depth=1
	s_or_b64 exec, exec, s[0:1]
	v_mov_b32_e32 v2, s53
	v_add_co_u32_e32 v1, vcc, s52, v41
	v_addc_co_u32_e32 v2, vcc, v2, v42, vcc
	v_add_co_u32_e32 v39, vcc, s43, v39
	v_addc_co_u32_e32 v40, vcc, 0, v40, vcc
	v_bfi_b32 v20, s42, v20, v4
	v_lshlrev_b64 v[3:4], 2, v[39:40]
	v_bfi_b32 v28, s42, v28, v16
	v_cmp_le_i64_e32 vcc, s[12:13], v[3:4]
	v_bfi_b32 v24, s42, v24, v12
	v_bfi_b32 v32, s42, v32, v8
	s_or_b64 s[16:17], vcc, s[16:17]
	global_store_dwordx4 v[1:2], v[17:20], off
	global_store_dwordx4 v[1:2], v[21:24], off offset:16
	global_store_dwordx4 v[1:2], v[25:28], off offset:32
	global_store_dwordx4 v[1:2], v[29:32], off offset:48
	s_andn2_b64 exec, exec, s[16:17]
	s_cbranch_execz .LBB167_140
.LBB167_5:                              ; =>This Loop Header: Depth=1
                                        ;     Child Loop BB167_16 Depth 2
                                        ;     Child Loop BB167_50 Depth 2
	;; [unrolled: 1-line block ×4, first 2 shown]
	v_lshlrev_b64 v[41:42], 6, v[39:40]
                                        ; implicit-def: $vgpr17_vgpr18
	v_add_co_u32_e32 v13, vcc, s33, v41
	v_addc_co_u32_e32 v14, vcc, v59, v42, vcc
	global_load_dwordx4 v[1:4], v[13:14], off
	global_load_dwordx4 v[9:12], v[13:14], off offset:16
	global_load_dwordx4 v[5:8], v[13:14], off offset:48
	s_nop 0
	global_load_dwordx4 v[13:16], v[13:14], off offset:32
	s_waitcnt vmcnt(3)
	v_cmp_o_f64_e32 vcc, v[1:2], v[3:4]
	s_and_saveexec_b64 s[0:1], vcc
	s_xor_b64 s[82:83], exec, s[0:1]
	s_cbranch_execz .LBB167_33
; %bb.6:                                ;   in Loop: Header=BB167_5 Depth=1
	v_cmp_lt_f64_e64 s[0:1], |v[1:2]|, |v[3:4]|
	v_and_b32_e32 v19, 0x7fffffff, v2
	v_and_b32_e32 v20, 0x7fffffff, v4
	s_mov_b32 s2, 0x85ebc8a0
	s_mov_b32 s3, 0x7fd1ccf3
	v_mov_b32_e32 v23, v3
                                        ; implicit-def: $vgpr17_vgpr18
	v_cndmask_b32_e64 v22, v20, v19, s[0:1]
	v_cndmask_b32_e64 v21, v3, v1, s[0:1]
	v_cmp_nlt_f64_e32 vcc, s[2:3], v[21:22]
	s_and_saveexec_b64 s[2:3], vcc
	s_xor_b64 s[14:15], exec, s[2:3]
	s_cbranch_execz .LBB167_30
; %bb.7:                                ;   in Loop: Header=BB167_5 Depth=1
	v_cndmask_b32_e64 v24, v19, v20, s[0:1]
	v_cndmask_b32_e64 v23, v1, v23, s[0:1]
	v_cmp_neq_f64_e32 vcc, 1.0, v[23:24]
                                        ; implicit-def: $vgpr17_vgpr18
	s_and_saveexec_b64 s[2:3], vcc
	s_xor_b64 s[90:91], exec, s[2:3]
	s_cbranch_execz .LBB167_23
; %bb.8:                                ;   in Loop: Header=BB167_5 Depth=1
	v_max_f64 v[17:18], v[21:22], v[21:22]
	v_max_f64 v[19:20], v[23:24], v[23:24]
	s_mov_b32 s2, 0x4ad4b81f
	s_mov_b32 s3, 0x358dee7a
	v_min_f64 v[25:26], v[19:20], v[17:18]
	v_max_f64 v[17:18], v[19:20], v[17:18]
	v_cmp_ngt_f64_e32 vcc, s[2:3], v[25:26]
	s_mov_b32 s2, 0xc57e649a
	s_mov_b32 s3, 0x4a511b0e
	v_cmp_nlt_f64_e64 s[2:3], s[2:3], v[17:18]
                                        ; implicit-def: $vgpr17_vgpr18
	s_and_b64 s[2:3], s[2:3], vcc
	s_and_saveexec_b64 s[6:7], s[2:3]
	s_xor_b64 s[20:21], exec, s[6:7]
	s_cbranch_execz .LBB167_20
; %bb.9:                                ;   in Loop: Header=BB167_5 Depth=1
	v_cmp_le_f64_e32 vcc, 1.0, v[23:24]
                                        ; implicit-def: $vgpr17_vgpr18
	s_and_saveexec_b64 s[2:3], vcc
	s_xor_b64 s[22:23], exec, s[2:3]
	s_cbranch_execz .LBB167_11
; %bb.10:                               ;   in Loop: Header=BB167_5 Depth=1
	v_add_f64 v[17:18], v[23:24], -1.0
	v_add_f64 v[19:20], v[23:24], 1.0
	s_mov_b32 s89, s25
	s_mov_b32 s94, s80
	;; [unrolled: 1-line block ×4, first 2 shown]
	v_cmp_class_f64_e64 s[10:11], v[3:4], s44
	v_mul_f64 v[17:18], v[17:18], v[19:20]
	v_fma_f64 v[18:19], v[21:22], v[21:22], v[17:18]
	v_add_f64 v[20:21], v[18:19], 1.0
	v_cmp_nge_f64_e64 s[6:7], -1.0, v[18:19]
	v_cmp_neq_f64_e64 s[8:9], s[8:9], v[18:19]
	v_frexp_mant_f64_e32 v[24:25], v[20:21]
	v_frexp_exp_i32_f64_e32 v17, v[20:21]
	v_add_f64 v[22:23], v[20:21], -1.0
	v_cmp_gt_f64_e32 vcc, s[24:25], v[24:25]
	v_add_f64 v[26:27], v[22:23], -v[20:21]
	v_add_f64 v[22:23], v[18:19], -v[22:23]
	v_subbrev_co_u32_e32 v17, vcc, 0, v17, vcc
	v_sub_u32_e32 v28, 0, v17
	v_ldexp_f64 v[20:21], v[20:21], v28
	v_add_f64 v[24:25], v[26:27], 1.0
	v_add_f64 v[26:27], v[20:21], 1.0
	v_add_f64 v[22:23], v[22:23], v[24:25]
	v_add_f64 v[43:44], v[20:21], -1.0
	v_add_f64 v[24:25], v[26:27], -1.0
	v_ldexp_f64 v[22:23], v[22:23], v28
	v_add_f64 v[45:46], v[43:44], 1.0
	v_add_f64 v[24:25], v[20:21], -v[24:25]
	v_add_f64 v[20:21], v[20:21], -v[45:46]
	v_add_f64 v[28:29], v[22:23], v[24:25]
	v_add_f64 v[45:46], v[22:23], v[20:21]
	;; [unrolled: 1-line block ×3, first 2 shown]
	v_rcp_f64_e32 v[30:31], v[24:25]
	v_add_f64 v[26:27], v[24:25], -v[26:27]
	v_add_f64 v[28:29], v[28:29], -v[26:27]
	v_fma_f64 v[47:48], -v[24:25], v[30:31], 1.0
	v_fma_f64 v[30:31], v[47:48], v[30:31], v[30:31]
	v_add_f64 v[47:48], v[43:44], v[45:46]
	v_fma_f64 v[20:21], -v[24:25], v[30:31], 1.0
	v_add_f64 v[43:44], v[47:48], -v[43:44]
	v_fma_f64 v[20:21], v[20:21], v[30:31], v[30:31]
	v_add_f64 v[43:44], v[45:46], -v[43:44]
	v_mul_f64 v[22:23], v[47:48], v[20:21]
	v_mul_f64 v[30:31], v[24:25], v[22:23]
	v_fma_f64 v[26:27], v[22:23], v[24:25], -v[30:31]
	v_fma_f64 v[49:50], v[22:23], v[28:29], v[26:27]
	v_add_f64 v[51:52], v[30:31], v[49:50]
	v_add_f64 v[26:27], v[47:48], -v[51:52]
	v_add_f64 v[30:31], v[51:52], -v[30:31]
	;; [unrolled: 1-line block ×5, first 2 shown]
	v_add_f64 v[43:44], v[43:44], v[45:46]
	v_max_f64 v[45:46], |v[1:2]|, |v[1:2]|
	v_add_f64 v[30:31], v[30:31], v[43:44]
	v_max_f64 v[43:44], |v[3:4]|, |v[3:4]|
	v_add_f64 v[47:48], v[26:27], v[30:31]
	v_max_f64 v[49:50], v[45:46], v[43:44]
	v_min_f64 v[43:44], v[45:46], v[43:44]
	v_mul_f64 v[45:46], v[20:21], v[47:48]
	v_add_f64 v[26:27], v[26:27], -v[47:48]
	v_div_scale_f64 v[51:52], s[2:3], v[49:50], v[49:50], v[43:44]
	s_mov_b32 s2, 0x69efb384
	s_mov_b32 s3, 0x3f4b2bb0
	v_mul_f64 v[53:54], v[24:25], v[45:46]
	v_add_f64 v[26:27], v[30:31], v[26:27]
	v_fma_f64 v[24:25], v[45:46], v[24:25], -v[53:54]
	v_rcp_f64_e32 v[55:56], v[51:52]
	v_fma_f64 v[24:25], v[45:46], v[28:29], v[24:25]
	v_add_f64 v[28:29], v[53:54], v[24:25]
	v_fma_f64 v[57:58], -v[51:52], v[55:56], 1.0
	v_add_f64 v[67:68], v[47:48], -v[28:29]
	v_add_f64 v[30:31], v[28:29], -v[53:54]
	v_fma_f64 v[55:56], v[55:56], v[57:58], v[55:56]
	v_div_scale_f64 v[57:58], vcc, v[43:44], v[49:50], v[43:44]
	v_add_f64 v[47:48], v[47:48], -v[67:68]
	v_add_f64 v[24:25], v[30:31], -v[24:25]
	v_fma_f64 v[69:70], -v[51:52], v[55:56], 1.0
	v_add_f64 v[30:31], v[22:23], v[45:46]
	v_add_f64 v[28:29], v[47:48], -v[28:29]
	v_fma_f64 v[47:48], v[55:56], v[69:70], v[55:56]
	v_add_f64 v[22:23], v[30:31], -v[22:23]
	v_add_f64 v[26:27], v[26:27], v[28:29]
	v_mul_f64 v[28:29], v[57:58], v[47:48]
	v_add_f64 v[22:23], v[45:46], -v[22:23]
	v_add_f64 v[24:25], v[24:25], v[26:27]
	v_fma_f64 v[26:27], -v[51:52], v[28:29], v[57:58]
	v_add_f64 v[24:25], v[67:68], v[24:25]
	v_div_fmas_f64 v[26:27], v[26:27], v[47:48], v[28:29]
	v_cmp_gt_i32_e32 vcc, 0, v2
	v_mul_f64 v[20:21], v[20:21], v[24:25]
	v_add_f64 v[20:21], v[22:23], v[20:21]
	v_div_fixup_f64 v[22:23], v[26:27], v[49:50], v[43:44]
	v_add_f64 v[24:25], v[30:31], v[20:21]
	v_mul_f64 v[26:27], v[22:23], v[22:23]
	v_mul_f64 v[28:29], v[24:25], v[24:25]
	v_fma_f64 v[43:44], v[26:27], s[18:19], v[37:38]
	v_cmp_class_f64_e64 s[18:19], v[1:2], s44
	v_ashrrev_i32_e32 v1, 31, v2
	v_fma_f64 v[45:46], v[28:29], s[26:27], v[35:36]
	v_mul_f64 v[47:48], v[24:25], v[28:29]
	v_fma_f64 v[43:44], v[26:27], v[43:44], s[2:3]
	v_cmp_eq_f64_e64 s[2:3], 0, v[3:4]
	v_fma_f64 v[45:46], v[28:29], v[45:46], s[28:29]
	v_fma_f64 v[43:44], v[26:27], v[43:44], s[46:47]
	;; [unrolled: 1-line block ×9, first 2 shown]
	v_ldexp_f64 v[45:46], v[24:25], 1
	v_fma_f64 v[43:44], v[26:27], v[43:44], s[54:55]
	v_add_f64 v[24:25], v[24:25], -v[30:31]
	v_mul_f64 v[28:29], v[47:48], v[28:29]
	v_cvt_f64_i32_e32 v[47:48], v17
	v_fma_f64 v[43:44], v[26:27], v[43:44], s[56:57]
	v_add_f64 v[20:21], v[20:21], -v[24:25]
	v_cndmask_b32_e32 v17, v65, v66, vcc
	v_mul_f64 v[49:50], v[47:48], s[38:39]
	v_bfi_b32 v17, s42, v17, v4
	v_add_f64 v[30:31], v[45:46], v[28:29]
	v_fma_f64 v[43:44], v[26:27], v[43:44], s[58:59]
	v_ldexp_f64 v[20:21], v[20:21], 1
	v_add_f64 v[24:25], v[30:31], -v[45:46]
	v_fma_f64 v[45:46], v[47:48], s[38:39], -v[49:50]
	v_fma_f64 v[43:44], v[26:27], v[43:44], s[60:61]
	v_add_f64 v[24:25], v[28:29], -v[24:25]
	v_fma_f64 v[28:29], v[26:27], v[43:44], s[62:63]
	v_fma_f64 v[43:44], v[47:48], s[40:41], v[45:46]
	v_add_f64 v[20:21], v[20:21], v[24:25]
	v_fma_f64 v[24:25], v[26:27], v[28:29], s[64:65]
	v_add_f64 v[28:29], v[49:50], v[43:44]
	v_add_f64 v[45:46], v[30:31], v[20:21]
	v_fma_f64 v[24:25], v[26:27], v[24:25], s[66:67]
	v_add_f64 v[49:50], v[28:29], -v[49:50]
	v_add_f64 v[47:48], v[28:29], v[45:46]
	v_add_f64 v[30:31], v[45:46], -v[30:31]
	v_fma_f64 v[24:25], v[26:27], v[24:25], s[68:69]
	v_add_f64 v[43:44], v[43:44], -v[49:50]
	v_add_f64 v[51:52], v[47:48], -v[28:29]
	;; [unrolled: 1-line block ×3, first 2 shown]
	v_fma_f64 v[24:25], v[26:27], v[24:25], s[70:71]
	v_add_f64 v[53:54], v[47:48], -v[51:52]
	v_add_f64 v[30:31], v[45:46], -v[51:52]
	v_fma_f64 v[24:25], v[26:27], v[24:25], s[72:73]
	v_add_f64 v[45:46], v[43:44], v[20:21]
	v_add_f64 v[28:29], v[28:29], -v[53:54]
	v_fma_f64 v[24:25], v[26:27], v[24:25], s[74:75]
	v_add_f64 v[28:29], v[30:31], v[28:29]
	;; [unrolled: 3-line block ×3, first 2 shown]
	v_add_f64 v[45:46], v[45:46], -v[30:31]
	v_fma_f64 v[24:25], v[26:27], v[24:25], s[78:79]
	v_add_f64 v[20:21], v[20:21], -v[30:31]
	v_add_f64 v[49:50], v[47:48], v[28:29]
	v_mul_f64 v[24:25], v[26:27], v[24:25]
	v_add_f64 v[26:27], v[43:44], -v[45:46]
	v_add_f64 v[30:31], v[49:50], -v[47:48]
	v_fma_f64 v[22:23], v[22:23], v[24:25], v[22:23]
	v_add_f64 v[20:21], v[20:21], v[26:27]
	v_add_f64 v[24:25], v[28:29], -v[30:31]
	v_add_f64 v[26:27], -v[22:23], s[80:81]
	v_add_f64 v[20:21], v[20:21], v[24:25]
	v_cndmask_b32_e64 v23, v23, v27, s[0:1]
	v_cndmask_b32_e64 v22, v22, v26, s[0:1]
	v_add_f64 v[24:25], -v[22:23], s[94:95]
	v_and_b32_e32 v27, 0x54442d18, v1
	v_cndmask_b32_e32 v26, v63, v64, vcc
	v_add_f64 v[20:21], v[49:50], v[20:21]
	v_cndmask_b32_e32 v22, v22, v24, vcc
	v_and_b32_e32 v24, 0x400921fb, v1
	v_mul_f64 v[1:2], v[20:21], 0.5
	v_cndmask_b32_e32 v20, v23, v25, vcc
	v_cndmask_b32_e64 v21, v22, v27, s[2:3]
	v_cndmask_b32_e64 v20, v20, v24, s[2:3]
	s_and_b64 vcc, s[18:19], s[10:11]
	s_and_b64 s[2:3], s[6:7], s[8:9]
	v_cndmask_b32_e32 v20, v20, v17, vcc
	s_mov_b32 s18, 0xb5e68a13
	v_cndmask_b32_e64 v17, 0, v1, s[2:3]
	v_cmp_ngt_f64_e64 s[2:3], -1.0, v[18:19]
	v_cndmask_b32_e64 v2, v60, v2, s[8:9]
	s_mov_b32 s19, 0x3eeba404
                                        ; implicit-def: $vgpr23_vgpr24
	v_cndmask_b32_e64 v1, v61, v2, s[2:3]
	v_cmp_neq_f64_e64 s[2:3], -1.0, v[18:19]
	v_cndmask_b32_e32 v19, v21, v26, vcc
                                        ; implicit-def: $vgpr21_vgpr22
	v_cndmask_b32_e64 v18, v62, v1, s[2:3]
.LBB167_11:                             ;   in Loop: Header=BB167_5 Depth=1
	s_andn2_saveexec_b64 s[22:23], s[22:23]
	s_cbranch_execz .LBB167_19
; %bb.12:                               ;   in Loop: Header=BB167_5 Depth=1
	v_mul_f64 v[17:18], v[21:22], v[21:22]
	s_mov_b32 s2, 0x66666666
	s_mov_b32 s3, 0x3fe66666
	v_fma_f64 v[19:20], v[23:24], v[23:24], v[17:18]
                                        ; implicit-def: $vgpr17_vgpr18
	v_cmp_ge_f64_e32 vcc, s[2:3], v[19:20]
	s_and_saveexec_b64 s[2:3], vcc
	s_xor_b64 s[8:9], exec, s[2:3]
	s_cbranch_execz .LBB167_14
; %bb.13:                               ;   in Loop: Header=BB167_5 Depth=1
	v_frexp_mant_f64_e32 v[17:18], v[19:20]
	v_max_f64 v[27:28], |v[3:4]|, |v[3:4]|
	v_max_f64 v[29:30], |v[1:2]|, |v[1:2]|
	s_mov_b32 s89, s25
	v_frexp_exp_i32_f64_e32 v34, v[19:20]
	s_mov_b32 s94, s80
	v_cmp_class_f64_e64 s[10:11], v[3:4], s44
	v_cmp_gt_f64_e64 s[2:3], s[24:25], v[17:18]
	v_cndmask_b32_e64 v21, 0, 1, s[2:3]
	v_ldexp_f64 v[17:18], v[17:18], v21
	v_add_f64 v[21:22], v[17:18], 1.0
	v_add_f64 v[43:44], v[17:18], -1.0
	v_rcp_f64_e32 v[23:24], v[21:22]
	v_add_f64 v[47:48], v[21:22], -1.0
	v_add_f64 v[17:18], v[17:18], -v[47:48]
	v_fma_f64 v[25:26], -v[21:22], v[23:24], 1.0
	v_fma_f64 v[23:24], v[25:26], v[23:24], v[23:24]
	v_max_f64 v[25:26], v[29:30], v[27:28]
	v_min_f64 v[27:28], v[29:30], v[27:28]
	v_fma_f64 v[29:30], -v[21:22], v[23:24], 1.0
	v_div_scale_f64 v[31:32], s[6:7], v[25:26], v[25:26], v[27:28]
	s_mov_b32 s6, 0x69efb384
	s_mov_b32 s7, 0x3f4b2bb0
	v_fma_f64 v[23:24], v[29:30], v[23:24], v[23:24]
	v_mul_f64 v[29:30], v[43:44], v[23:24]
	v_rcp_f64_e32 v[45:46], v[31:32]
	v_mul_f64 v[49:50], v[21:22], v[29:30]
	v_fma_f64 v[21:22], v[29:30], v[21:22], -v[49:50]
	v_fma_f64 v[47:48], -v[31:32], v[45:46], 1.0
	v_fma_f64 v[17:18], v[29:30], v[17:18], v[21:22]
	v_fma_f64 v[21:22], v[45:46], v[47:48], v[45:46]
	v_div_scale_f64 v[47:48], vcc, v[27:28], v[25:26], v[27:28]
	v_add_f64 v[45:46], v[49:50], v[17:18]
	v_fma_f64 v[51:52], -v[31:32], v[21:22], 1.0
	v_add_f64 v[53:54], v[43:44], -v[45:46]
	v_add_f64 v[49:50], v[45:46], -v[49:50]
	v_fma_f64 v[21:22], v[21:22], v[51:52], v[21:22]
	v_add_f64 v[43:44], v[43:44], -v[53:54]
	v_add_f64 v[17:18], v[49:50], -v[17:18]
	v_mul_f64 v[51:52], v[47:48], v[21:22]
	v_add_f64 v[43:44], v[43:44], -v[45:46]
	v_fma_f64 v[31:32], -v[31:32], v[51:52], v[47:48]
	v_add_f64 v[17:18], v[17:18], v[43:44]
	v_div_fmas_f64 v[21:22], v[31:32], v[21:22], v[51:52]
	v_subbrev_co_u32_e64 v34, vcc, 0, v34, s[2:3]
	v_cmp_eq_f64_e64 s[2:3], 0, v[3:4]
	v_cmp_gt_i32_e32 vcc, 0, v2
	v_add_f64 v[17:18], v[53:54], v[17:18]
	v_mul_f64 v[17:18], v[23:24], v[17:18]
	v_div_fixup_f64 v[21:22], v[21:22], v[25:26], v[27:28]
	v_add_f64 v[23:24], v[29:30], v[17:18]
	v_mul_f64 v[25:26], v[21:22], v[21:22]
	v_mul_f64 v[27:28], v[23:24], v[23:24]
	v_fma_f64 v[31:32], v[25:26], s[18:19], v[37:38]
	v_cmp_class_f64_e64 s[18:19], v[1:2], s44
	v_ashrrev_i32_e32 v1, 31, v2
	v_fma_f64 v[43:44], v[27:28], s[26:27], v[35:36]
	v_mul_f64 v[45:46], v[23:24], v[27:28]
	v_fma_f64 v[31:32], v[25:26], v[31:32], s[6:7]
	v_cmp_neq_f64_e64 s[6:7], 0, v[19:20]
	v_fma_f64 v[43:44], v[27:28], v[43:44], s[28:29]
	v_fma_f64 v[31:32], v[25:26], v[31:32], s[46:47]
	;; [unrolled: 1-line block ×9, first 2 shown]
	v_ldexp_f64 v[43:44], v[23:24], 1
	v_fma_f64 v[31:32], v[25:26], v[31:32], s[54:55]
	v_add_f64 v[23:24], v[23:24], -v[29:30]
	v_mul_f64 v[27:28], v[45:46], v[27:28]
	v_cvt_f64_i32_e32 v[45:46], v34
	v_fma_f64 v[31:32], v[25:26], v[31:32], s[56:57]
	v_add_f64 v[17:18], v[17:18], -v[23:24]
	v_mul_f64 v[47:48], v[45:46], s[38:39]
	v_add_f64 v[29:30], v[43:44], v[27:28]
	v_fma_f64 v[31:32], v[25:26], v[31:32], s[58:59]
	v_ldexp_f64 v[17:18], v[17:18], 1
	v_add_f64 v[23:24], v[29:30], -v[43:44]
	v_fma_f64 v[43:44], v[45:46], s[38:39], -v[47:48]
	v_fma_f64 v[31:32], v[25:26], v[31:32], s[60:61]
	v_add_f64 v[23:24], v[27:28], -v[23:24]
	v_fma_f64 v[27:28], v[25:26], v[31:32], s[62:63]
	v_fma_f64 v[31:32], v[45:46], s[40:41], v[43:44]
	v_add_f64 v[17:18], v[17:18], v[23:24]
	v_fma_f64 v[23:24], v[25:26], v[27:28], s[64:65]
	v_add_f64 v[27:28], v[47:48], v[31:32]
	v_add_f64 v[43:44], v[29:30], v[17:18]
	v_fma_f64 v[23:24], v[25:26], v[23:24], s[66:67]
	v_add_f64 v[47:48], v[27:28], -v[47:48]
	v_add_f64 v[45:46], v[27:28], v[43:44]
	v_add_f64 v[29:30], v[43:44], -v[29:30]
	v_fma_f64 v[23:24], v[25:26], v[23:24], s[68:69]
	v_add_f64 v[31:32], v[31:32], -v[47:48]
	v_add_f64 v[49:50], v[45:46], -v[27:28]
	;; [unrolled: 1-line block ×3, first 2 shown]
	v_fma_f64 v[23:24], v[25:26], v[23:24], s[70:71]
	v_add_f64 v[51:52], v[45:46], -v[49:50]
	v_add_f64 v[29:30], v[43:44], -v[49:50]
	v_fma_f64 v[23:24], v[25:26], v[23:24], s[72:73]
	v_add_f64 v[43:44], v[31:32], v[17:18]
	v_add_f64 v[27:28], v[27:28], -v[51:52]
	v_fma_f64 v[23:24], v[25:26], v[23:24], s[74:75]
	v_add_f64 v[27:28], v[29:30], v[27:28]
	v_add_f64 v[29:30], v[43:44], -v[31:32]
	v_fma_f64 v[23:24], v[25:26], v[23:24], s[76:77]
	v_add_f64 v[27:28], v[43:44], v[27:28]
	v_add_f64 v[43:44], v[43:44], -v[29:30]
	v_fma_f64 v[23:24], v[25:26], v[23:24], s[78:79]
	v_add_f64 v[17:18], v[17:18], -v[29:30]
	v_add_f64 v[47:48], v[45:46], v[27:28]
	v_mul_f64 v[23:24], v[25:26], v[23:24]
	v_add_f64 v[25:26], v[31:32], -v[43:44]
	v_add_f64 v[29:30], v[47:48], -v[45:46]
	v_fma_f64 v[21:22], v[21:22], v[23:24], v[21:22]
	v_add_f64 v[17:18], v[17:18], v[25:26]
	v_add_f64 v[23:24], v[27:28], -v[29:30]
	v_and_b32_e32 v27, 0x400921fb, v1
	v_add_f64 v[25:26], -v[21:22], s[80:81]
	v_add_f64 v[17:18], v[17:18], v[23:24]
	v_cndmask_b32_e64 v22, v22, v26, s[0:1]
	v_cndmask_b32_e64 v21, v21, v25, s[0:1]
	v_add_f64 v[23:24], -v[21:22], s[94:95]
	v_and_b32_e32 v26, 0x54442d18, v1
	v_cndmask_b32_e32 v25, v63, v64, vcc
	v_add_f64 v[17:18], v[47:48], v[17:18]
	v_cndmask_b32_e32 v21, v21, v23, vcc
	v_cndmask_b32_e32 v23, v65, v66, vcc
	v_cndmask_b32_e64 v19, v21, v26, s[2:3]
	v_mul_f64 v[1:2], v[17:18], 0.5
	v_cndmask_b32_e32 v18, v22, v24, vcc
	v_bfi_b32 v17, s42, v23, v4
	v_cndmask_b32_e64 v18, v18, v27, s[2:3]
	s_and_b64 vcc, s[18:19], s[10:11]
	s_mov_b32 s18, 0xb5e68a13
	s_mov_b32 s19, 0x3eeba404
	v_cndmask_b32_e32 v20, v18, v17, vcc
	v_cndmask_b32_e64 v18, v62, v2, s[6:7]
	v_cndmask_b32_e64 v17, 0, v1, s[6:7]
	v_cndmask_b32_e32 v19, v19, v25, vcc
                                        ; implicit-def: $vgpr23_vgpr24
                                        ; implicit-def: $vgpr21_vgpr22
.LBB167_14:                             ;   in Loop: Header=BB167_5 Depth=1
	s_andn2_saveexec_b64 s[84:85], s[8:9]
	s_cbranch_execz .LBB167_18
; %bb.15:                               ;   in Loop: Header=BB167_5 Depth=1
	v_and_b32_e32 v34, 0x7ffffff8, v24
	v_and_b32_e32 v20, 0x7ffffff8, v22
	v_mov_b32_e32 v19, v33
	v_add_f64 v[17:18], v[23:24], -v[33:34]
	v_add_f64 v[21:22], v[21:22], -v[19:20]
	v_mov_b32_e32 v25, v33
	v_mov_b32_e32 v43, v33
	v_add_f64 v[29:30], v[33:34], v[33:34]
	v_add_f64 v[31:32], v[19:20], v[19:20]
	v_mul_f64 v[19:20], v[19:20], v[19:20]
	s_mov_b64 s[10:11], 0
	v_and_b32_e32 v26, -8, v18
	v_and_b32_e32 v44, -8, v22
	v_add_f64 v[49:50], v[17:18], -v[25:26]
	v_add_f64 v[51:52], v[21:22], -v[43:44]
	v_add_f64 v[53:54], v[25:26], v[25:26]
	v_add_f64 v[55:56], v[43:44], v[43:44]
	v_mul_f64 v[17:18], v[33:34], v[33:34]
	v_mul_f64 v[23:24], v[29:30], v[25:26]
	;; [unrolled: 1-line block ×11, first 2 shown]
.LBB167_16:                             ;   Parent Loop BB167_5 Depth=1
                                        ; =>  This Inner Loop Header: Depth=2
	v_cmp_nlt_f64_e32 vcc, v[17:18], v[19:20]
	v_cndmask_b32_e32 v52, v18, v20, vcc
	v_cndmask_b32_e32 v51, v17, v19, vcc
	v_cmp_nlt_f64_e64 s[2:3], v[51:52], v[23:24]
	v_cndmask_b32_e32 v18, v20, v18, vcc
	v_cndmask_b32_e32 v17, v19, v17, vcc
	v_cndmask_b32_e64 v54, v52, v24, s[2:3]
	v_cndmask_b32_e64 v53, v51, v23, s[2:3]
	v_cmp_nlt_f64_e64 s[6:7], v[53:54], v[21:22]
	v_cndmask_b32_e64 v20, v24, v52, s[2:3]
	v_cndmask_b32_e64 v19, v23, v51, s[2:3]
	s_and_b64 s[18:19], vcc, s[2:3]
	v_cndmask_b32_e64 v56, v54, v22, s[6:7]
	v_cndmask_b32_e64 v55, v53, v21, s[6:7]
	v_cmp_nlt_f64_e64 s[8:9], v[55:56], v[27:28]
	v_cndmask_b32_e64 v24, v22, v54, s[6:7]
	v_cndmask_b32_e64 v23, v21, v53, s[6:7]
	;; [unrolled: 1-line block ×4, first 2 shown]
	v_cmp_nlt_f64_e32 vcc, v[51:52], v[43:44]
	v_cndmask_b32_e64 v22, v28, v56, s[8:9]
	v_cndmask_b32_e64 v21, v27, v55, s[8:9]
	s_and_b64 s[8:9], s[6:7], s[8:9]
	v_cndmask_b32_e32 v54, v52, v44, vcc
	v_cndmask_b32_e32 v53, v51, v43, vcc
	v_cmp_nlt_f64_e64 s[2:3], v[53:54], v[47:48]
	v_cndmask_b32_e32 v28, v44, v52, vcc
	v_cndmask_b32_e32 v27, v43, v51, vcc
	v_cndmask_b32_e64 v52, v54, v48, s[2:3]
	v_cndmask_b32_e64 v51, v53, v47, s[2:3]
	v_cmp_nlt_f64_e64 s[6:7], v[51:52], v[45:46]
	v_cndmask_b32_e64 v44, v48, v54, s[2:3]
	v_cndmask_b32_e64 v43, v47, v53, s[2:3]
	s_and_b64 s[2:3], vcc, s[2:3]
	v_cndmask_b32_e64 v54, v52, v46, s[6:7]
	v_cndmask_b32_e64 v53, v51, v45, s[6:7]
	v_cmp_nlt_f64_e32 vcc, v[53:54], v[31:32]
	v_cndmask_b32_e64 v48, v46, v52, s[6:7]
	v_cndmask_b32_e64 v47, v45, v51, s[6:7]
	s_and_b64 s[6:7], s[2:3], s[6:7]
	v_cndmask_b32_e32 v52, v54, v32, vcc
	v_cndmask_b32_e32 v51, v53, v31, vcc
	v_cmp_nlt_f64_e64 s[2:3], v[51:52], v[29:30]
	v_cndmask_b32_e32 v46, v32, v54, vcc
	v_cndmask_b32_e32 v45, v31, v53, vcc
	s_and_b64 s[6:7], s[6:7], vcc
	v_cndmask_b32_e64 v54, v52, v30, s[2:3]
	v_cndmask_b32_e64 v53, v51, v29, s[2:3]
	v_cmp_nlt_f64_e32 vcc, v[53:54], v[25:26]
	v_cndmask_b32_e64 v32, v30, v52, s[2:3]
	v_cndmask_b32_e64 v31, v29, v51, s[2:3]
	s_and_b64 s[6:7], s[6:7], s[2:3]
	v_cndmask_b32_e32 v56, v54, v26, vcc
	v_cndmask_b32_e32 v55, v53, v25, vcc
	v_cmp_nlt_f64_e64 s[2:3], v[55:56], v[49:50]
	s_and_b64 s[6:7], s[6:7], vcc
	v_cndmask_b32_e32 v30, v26, v54, vcc
	v_cndmask_b32_e32 v29, v25, v53, vcc
	v_cndmask_b32_e64 v52, v56, v50, s[2:3]
	v_cndmask_b32_e64 v51, v55, v49, s[2:3]
	;; [unrolled: 1-line block ×4, first 2 shown]
	s_and_b64 s[2:3], s[6:7], s[2:3]
	s_and_b64 s[2:3], s[2:3], s[8:9]
	;; [unrolled: 1-line block ×3, first 2 shown]
	s_and_b64 s[2:3], exec, s[2:3]
	v_mov_b32_e32 v49, v51
	s_or_b64 s[10:11], s[2:3], s[10:11]
	v_mov_b32_e32 v50, v52
	s_andn2_b64 exec, exec, s[10:11]
	s_cbranch_execnz .LBB167_16
; %bb.17:                               ;   in Loop: Header=BB167_5 Depth=1
	s_or_b64 exec, exec, s[10:11]
	v_add_f64 v[17:18], v[17:18], -1.0
	s_mov_b32 s89, s25
	s_mov_b32 s94, s80
	;; [unrolled: 1-line block ×4, first 2 shown]
	v_cmp_class_f64_e64 s[10:11], v[3:4], s44
	v_cmp_class_f64_e64 s[18:19], v[1:2], s44
	v_add_f64 v[17:18], v[17:18], v[19:20]
	v_add_f64 v[17:18], v[17:18], v[23:24]
	;; [unrolled: 1-line block ×11, first 2 shown]
	v_add_f64 v[20:21], v[18:19], 1.0
	v_cmp_nge_f64_e64 s[6:7], -1.0, v[18:19]
	v_cmp_neq_f64_e64 s[8:9], s[8:9], v[18:19]
	v_frexp_mant_f64_e32 v[24:25], v[20:21]
	v_frexp_exp_i32_f64_e32 v17, v[20:21]
	v_add_f64 v[22:23], v[20:21], -1.0
	v_cmp_gt_f64_e32 vcc, s[24:25], v[24:25]
	v_add_f64 v[26:27], v[22:23], -v[20:21]
	v_add_f64 v[22:23], v[18:19], -v[22:23]
	v_subbrev_co_u32_e32 v17, vcc, 0, v17, vcc
	v_sub_u32_e32 v28, 0, v17
	v_ldexp_f64 v[20:21], v[20:21], v28
	v_add_f64 v[24:25], v[26:27], 1.0
	v_add_f64 v[26:27], v[20:21], 1.0
	v_add_f64 v[22:23], v[22:23], v[24:25]
	v_add_f64 v[43:44], v[20:21], -1.0
	v_add_f64 v[24:25], v[26:27], -1.0
	v_ldexp_f64 v[22:23], v[22:23], v28
	v_add_f64 v[45:46], v[43:44], 1.0
	v_add_f64 v[24:25], v[20:21], -v[24:25]
	v_add_f64 v[20:21], v[20:21], -v[45:46]
	v_add_f64 v[28:29], v[22:23], v[24:25]
	v_add_f64 v[45:46], v[22:23], v[20:21]
	;; [unrolled: 1-line block ×3, first 2 shown]
	v_rcp_f64_e32 v[30:31], v[24:25]
	v_add_f64 v[26:27], v[24:25], -v[26:27]
	v_add_f64 v[28:29], v[28:29], -v[26:27]
	v_fma_f64 v[47:48], -v[24:25], v[30:31], 1.0
	v_fma_f64 v[30:31], v[47:48], v[30:31], v[30:31]
	v_add_f64 v[47:48], v[43:44], v[45:46]
	v_fma_f64 v[20:21], -v[24:25], v[30:31], 1.0
	v_add_f64 v[43:44], v[47:48], -v[43:44]
	v_fma_f64 v[20:21], v[20:21], v[30:31], v[30:31]
	v_add_f64 v[43:44], v[45:46], -v[43:44]
	v_mul_f64 v[22:23], v[47:48], v[20:21]
	v_mul_f64 v[30:31], v[24:25], v[22:23]
	v_fma_f64 v[26:27], v[22:23], v[24:25], -v[30:31]
	v_fma_f64 v[49:50], v[22:23], v[28:29], v[26:27]
	v_add_f64 v[51:52], v[30:31], v[49:50]
	v_add_f64 v[26:27], v[47:48], -v[51:52]
	v_add_f64 v[30:31], v[51:52], -v[30:31]
	;; [unrolled: 1-line block ×5, first 2 shown]
	v_add_f64 v[43:44], v[43:44], v[45:46]
	v_max_f64 v[45:46], |v[1:2]|, |v[1:2]|
	v_ashrrev_i32_e32 v1, 31, v2
	v_add_f64 v[30:31], v[30:31], v[43:44]
	v_max_f64 v[43:44], |v[3:4]|, |v[3:4]|
	v_add_f64 v[47:48], v[26:27], v[30:31]
	v_max_f64 v[49:50], v[45:46], v[43:44]
	v_min_f64 v[43:44], v[45:46], v[43:44]
	v_mul_f64 v[45:46], v[20:21], v[47:48]
	v_add_f64 v[26:27], v[26:27], -v[47:48]
	v_div_scale_f64 v[51:52], s[2:3], v[49:50], v[49:50], v[43:44]
	s_mov_b32 s2, 0xb5e68a13
	s_mov_b32 s3, 0x3eeba404
	v_mul_f64 v[53:54], v[24:25], v[45:46]
	v_add_f64 v[26:27], v[30:31], v[26:27]
	v_fma_f64 v[24:25], v[45:46], v[24:25], -v[53:54]
	v_rcp_f64_e32 v[55:56], v[51:52]
	v_fma_f64 v[24:25], v[45:46], v[28:29], v[24:25]
	v_add_f64 v[28:29], v[53:54], v[24:25]
	v_fma_f64 v[57:58], -v[51:52], v[55:56], 1.0
	v_add_f64 v[67:68], v[47:48], -v[28:29]
	v_add_f64 v[30:31], v[28:29], -v[53:54]
	v_fma_f64 v[55:56], v[55:56], v[57:58], v[55:56]
	v_div_scale_f64 v[57:58], vcc, v[43:44], v[49:50], v[43:44]
	v_add_f64 v[47:48], v[47:48], -v[67:68]
	v_add_f64 v[24:25], v[30:31], -v[24:25]
	v_fma_f64 v[69:70], -v[51:52], v[55:56], 1.0
	v_add_f64 v[30:31], v[22:23], v[45:46]
	v_add_f64 v[28:29], v[47:48], -v[28:29]
	v_fma_f64 v[47:48], v[55:56], v[69:70], v[55:56]
	v_add_f64 v[22:23], v[30:31], -v[22:23]
	v_add_f64 v[26:27], v[26:27], v[28:29]
	v_mul_f64 v[28:29], v[57:58], v[47:48]
	v_add_f64 v[22:23], v[45:46], -v[22:23]
	v_add_f64 v[24:25], v[24:25], v[26:27]
	v_fma_f64 v[26:27], -v[51:52], v[28:29], v[57:58]
	v_add_f64 v[24:25], v[67:68], v[24:25]
	v_div_fmas_f64 v[26:27], v[26:27], v[47:48], v[28:29]
	v_cmp_gt_i32_e32 vcc, 0, v2
	v_mul_f64 v[20:21], v[20:21], v[24:25]
	v_add_f64 v[20:21], v[22:23], v[20:21]
	v_div_fixup_f64 v[22:23], v[26:27], v[49:50], v[43:44]
	v_add_f64 v[24:25], v[30:31], v[20:21]
	v_mul_f64 v[26:27], v[22:23], v[22:23]
	v_mul_f64 v[28:29], v[24:25], v[24:25]
	v_fma_f64 v[43:44], v[26:27], s[2:3], v[37:38]
	s_mov_b32 s2, 0x69efb384
	s_mov_b32 s3, 0x3f4b2bb0
	v_fma_f64 v[45:46], v[28:29], s[26:27], v[35:36]
	v_mul_f64 v[47:48], v[24:25], v[28:29]
	v_fma_f64 v[43:44], v[26:27], v[43:44], s[2:3]
	v_cmp_eq_f64_e64 s[2:3], 0, v[3:4]
	v_fma_f64 v[45:46], v[28:29], v[45:46], s[28:29]
	v_fma_f64 v[43:44], v[26:27], v[43:44], s[46:47]
	v_fma_f64 v[45:46], v[28:29], v[45:46], s[30:31]
	v_fma_f64 v[43:44], v[26:27], v[43:44], s[48:49]
	v_fma_f64 v[45:46], v[28:29], v[45:46], s[34:35]
	v_fma_f64 v[43:44], v[26:27], v[43:44], s[50:51]
	v_fma_f64 v[45:46], v[28:29], v[45:46], s[36:37]
	v_fma_f64 v[43:44], v[26:27], v[43:44], s[4:5]
	v_fma_f64 v[28:29], v[28:29], v[45:46], s[88:89]
	v_ldexp_f64 v[45:46], v[24:25], 1
	v_fma_f64 v[43:44], v[26:27], v[43:44], s[54:55]
	v_add_f64 v[24:25], v[24:25], -v[30:31]
	v_mul_f64 v[28:29], v[47:48], v[28:29]
	v_cvt_f64_i32_e32 v[47:48], v17
	v_fma_f64 v[43:44], v[26:27], v[43:44], s[56:57]
	v_add_f64 v[20:21], v[20:21], -v[24:25]
	v_cndmask_b32_e32 v17, v65, v66, vcc
	v_mul_f64 v[49:50], v[47:48], s[38:39]
	v_bfi_b32 v17, s42, v17, v4
	v_add_f64 v[30:31], v[45:46], v[28:29]
	v_fma_f64 v[43:44], v[26:27], v[43:44], s[58:59]
	v_ldexp_f64 v[20:21], v[20:21], 1
	v_add_f64 v[24:25], v[30:31], -v[45:46]
	v_fma_f64 v[45:46], v[47:48], s[38:39], -v[49:50]
	v_fma_f64 v[43:44], v[26:27], v[43:44], s[60:61]
	v_add_f64 v[24:25], v[28:29], -v[24:25]
	v_fma_f64 v[28:29], v[26:27], v[43:44], s[62:63]
	v_fma_f64 v[43:44], v[47:48], s[40:41], v[45:46]
	v_add_f64 v[20:21], v[20:21], v[24:25]
	v_fma_f64 v[24:25], v[26:27], v[28:29], s[64:65]
	v_add_f64 v[28:29], v[49:50], v[43:44]
	v_add_f64 v[45:46], v[30:31], v[20:21]
	v_fma_f64 v[24:25], v[26:27], v[24:25], s[66:67]
	v_add_f64 v[49:50], v[28:29], -v[49:50]
	v_add_f64 v[47:48], v[28:29], v[45:46]
	v_add_f64 v[30:31], v[45:46], -v[30:31]
	v_fma_f64 v[24:25], v[26:27], v[24:25], s[68:69]
	v_add_f64 v[43:44], v[43:44], -v[49:50]
	v_add_f64 v[51:52], v[47:48], -v[28:29]
	;; [unrolled: 1-line block ×3, first 2 shown]
	v_fma_f64 v[24:25], v[26:27], v[24:25], s[70:71]
	v_add_f64 v[53:54], v[47:48], -v[51:52]
	v_add_f64 v[30:31], v[45:46], -v[51:52]
	v_fma_f64 v[24:25], v[26:27], v[24:25], s[72:73]
	v_add_f64 v[45:46], v[43:44], v[20:21]
	v_add_f64 v[28:29], v[28:29], -v[53:54]
	v_fma_f64 v[24:25], v[26:27], v[24:25], s[74:75]
	v_add_f64 v[28:29], v[30:31], v[28:29]
	;; [unrolled: 3-line block ×3, first 2 shown]
	v_add_f64 v[45:46], v[45:46], -v[30:31]
	v_fma_f64 v[24:25], v[26:27], v[24:25], s[78:79]
	v_add_f64 v[20:21], v[20:21], -v[30:31]
	v_add_f64 v[49:50], v[47:48], v[28:29]
	v_mul_f64 v[24:25], v[26:27], v[24:25]
	v_add_f64 v[26:27], v[43:44], -v[45:46]
	v_add_f64 v[30:31], v[49:50], -v[47:48]
	v_fma_f64 v[22:23], v[22:23], v[24:25], v[22:23]
	v_add_f64 v[20:21], v[20:21], v[26:27]
	v_add_f64 v[24:25], v[28:29], -v[30:31]
	v_add_f64 v[26:27], -v[22:23], s[80:81]
	v_add_f64 v[20:21], v[20:21], v[24:25]
	v_cndmask_b32_e64 v23, v23, v27, s[0:1]
	v_cndmask_b32_e64 v22, v22, v26, s[0:1]
	v_add_f64 v[24:25], -v[22:23], s[94:95]
	v_and_b32_e32 v27, 0x54442d18, v1
	v_cndmask_b32_e32 v26, v63, v64, vcc
	v_add_f64 v[20:21], v[49:50], v[20:21]
	v_cndmask_b32_e32 v22, v22, v24, vcc
	v_and_b32_e32 v24, 0x400921fb, v1
	v_mul_f64 v[1:2], v[20:21], 0.5
	v_cndmask_b32_e32 v20, v23, v25, vcc
	v_cndmask_b32_e64 v21, v22, v27, s[2:3]
	v_cndmask_b32_e64 v20, v20, v24, s[2:3]
	s_and_b64 vcc, s[18:19], s[10:11]
	s_and_b64 s[2:3], s[6:7], s[8:9]
	v_cndmask_b32_e32 v20, v20, v17, vcc
	s_mov_b32 s18, 0xb5e68a13
	v_cndmask_b32_e64 v17, 0, v1, s[2:3]
	v_cmp_ngt_f64_e64 s[2:3], -1.0, v[18:19]
	v_cndmask_b32_e64 v2, v60, v2, s[8:9]
	s_mov_b32 s19, 0x3eeba404
	v_cndmask_b32_e64 v1, v61, v2, s[2:3]
	v_cmp_neq_f64_e64 s[2:3], -1.0, v[18:19]
	v_cndmask_b32_e32 v19, v21, v26, vcc
	v_cndmask_b32_e64 v18, v62, v1, s[2:3]
.LBB167_18:                             ;   in Loop: Header=BB167_5 Depth=1
	s_or_b64 exec, exec, s[84:85]
.LBB167_19:                             ;   in Loop: Header=BB167_5 Depth=1
	s_or_b64 exec, exec, s[22:23]
.LBB167_20:                             ;   in Loop: Header=BB167_5 Depth=1
	s_andn2_saveexec_b64 s[8:9], s[20:21]
	s_cbranch_execz .LBB167_22
; %bb.21:                               ;   in Loop: Header=BB167_5 Depth=1
	v_max_f64 v[20:21], |v[3:4]|, |v[3:4]|
	v_max_f64 v[22:23], |v[1:2]|, |v[1:2]|
	v_cmp_class_f64_e64 s[20:21], v[1:2], s44
	v_cmp_class_f64_e64 s[22:23], v[3:4], s44
	s_mov_b32 s89, s25
	s_mov_b32 s94, s80
	v_max_f64 v[24:25], v[22:23], v[20:21]
	v_min_f64 v[20:21], v[22:23], v[20:21]
	v_frexp_exp_i32_f64_e32 v19, v[24:25]
	v_sub_u32_e32 v26, 0, v19
	v_ldexp_f64 v[17:18], |v[3:4]|, v26
	v_ldexp_f64 v[26:27], |v[1:2]|, v26
	v_mul_f64 v[17:18], v[17:18], v[17:18]
	v_fma_f64 v[17:18], v[26:27], v[26:27], v[17:18]
	v_rsq_f64_e32 v[26:27], v[17:18]
	v_cmp_eq_f64_e32 vcc, 0, v[17:18]
	v_mul_f64 v[28:29], v[17:18], v[26:27]
	v_mul_f64 v[26:27], v[26:27], 0.5
	v_fma_f64 v[30:31], -v[26:27], v[28:29], 0.5
	v_fma_f64 v[28:29], v[28:29], v[30:31], v[28:29]
	v_fma_f64 v[26:27], v[26:27], v[30:31], v[26:27]
	v_fma_f64 v[30:31], -v[28:29], v[28:29], v[17:18]
	v_fma_f64 v[26:27], v[30:31], v[26:27], v[28:29]
	v_cndmask_b32_e32 v18, v27, v18, vcc
	v_cndmask_b32_e32 v17, v26, v17, vcc
	v_ldexp_f64 v[17:18], v[17:18], v19
	s_or_b64 vcc, s[20:21], s[22:23]
	v_cndmask_b32_e32 v19, v18, v60, vcc
	v_cndmask_b32_e64 v18, v17, 0, vcc
	v_frexp_mant_f64_e32 v[26:27], v[18:19]
	v_cmp_gt_f64_e64 s[2:3], s[24:25], v[26:27]
	v_cndmask_b32_e64 v1, 0, 1, s[2:3]
	v_ldexp_f64 v[26:27], v[26:27], v1
	v_frexp_exp_i32_f64_e32 v1, v[18:19]
	v_add_f64 v[28:29], v[26:27], 1.0
	v_add_f64 v[45:46], v[26:27], -1.0
	v_rcp_f64_e32 v[30:31], v[28:29]
	v_add_f64 v[49:50], v[28:29], -1.0
	v_add_f64 v[26:27], v[26:27], -v[49:50]
	v_fma_f64 v[43:44], -v[28:29], v[30:31], 1.0
	v_fma_f64 v[22:23], v[43:44], v[30:31], v[30:31]
	v_div_scale_f64 v[30:31], s[6:7], v[24:25], v[24:25], v[20:21]
	s_mov_b32 s6, 0x69efb384
	s_mov_b32 s7, 0x3f4b2bb0
	v_fma_f64 v[43:44], -v[28:29], v[22:23], 1.0
	v_fma_f64 v[22:23], v[43:44], v[22:23], v[22:23]
	v_rcp_f64_e32 v[43:44], v[30:31]
	v_mul_f64 v[47:48], v[45:46], v[22:23]
	v_mul_f64 v[51:52], v[28:29], v[47:48]
	v_fma_f64 v[53:54], -v[30:31], v[43:44], 1.0
	v_fma_f64 v[28:29], v[47:48], v[28:29], -v[51:52]
	v_fma_f64 v[43:44], v[43:44], v[53:54], v[43:44]
	v_fma_f64 v[26:27], v[47:48], v[26:27], v[28:29]
	v_div_scale_f64 v[28:29], vcc, v[20:21], v[24:25], v[20:21]
	v_fma_f64 v[49:50], -v[30:31], v[43:44], 1.0
	v_add_f64 v[53:54], v[51:52], v[26:27]
	v_fma_f64 v[43:44], v[43:44], v[49:50], v[43:44]
	v_add_f64 v[49:50], v[45:46], -v[53:54]
	v_add_f64 v[51:52], v[53:54], -v[51:52]
	v_mul_f64 v[55:56], v[28:29], v[43:44]
	v_add_f64 v[45:46], v[45:46], -v[49:50]
	v_add_f64 v[26:27], v[51:52], -v[26:27]
	v_fma_f64 v[28:29], -v[30:31], v[55:56], v[28:29]
	v_add_f64 v[30:31], v[45:46], -v[53:54]
	v_div_fmas_f64 v[28:29], v[28:29], v[43:44], v[55:56]
	v_subbrev_co_u32_e64 v1, vcc, 0, v1, s[2:3]
	v_cmp_eq_f64_e64 s[2:3], 0, v[3:4]
	v_cmp_gt_i32_e32 vcc, 0, v2
	v_add_f64 v[26:27], v[26:27], v[30:31]
	v_add_f64 v[26:27], v[49:50], v[26:27]
	v_div_fixup_f64 v[20:21], v[28:29], v[24:25], v[20:21]
	v_mul_f64 v[22:23], v[22:23], v[26:27]
	v_mul_f64 v[24:25], v[20:21], v[20:21]
	v_add_f64 v[26:27], v[47:48], v[22:23]
	v_fma_f64 v[28:29], v[24:25], s[18:19], v[37:38]
	v_mul_f64 v[30:31], v[26:27], v[26:27]
	v_fma_f64 v[28:29], v[24:25], v[28:29], s[6:7]
	v_cmp_class_f64_e64 s[6:7], v[18:19], s44
	v_fma_f64 v[43:44], v[30:31], s[26:27], v[35:36]
	v_mul_f64 v[45:46], v[26:27], v[30:31]
	v_fma_f64 v[28:29], v[24:25], v[28:29], s[46:47]
	v_fma_f64 v[43:44], v[30:31], v[43:44], s[28:29]
	;; [unrolled: 1-line block ×10, first 2 shown]
	v_ldexp_f64 v[43:44], v[26:27], 1
	v_add_f64 v[26:27], v[26:27], -v[47:48]
	v_fma_f64 v[28:29], v[24:25], v[28:29], s[56:57]
	v_cvt_f64_i32_e32 v[47:48], v1
	v_ashrrev_i32_e32 v1, 31, v2
	v_and_b32_e32 v17, 0x54442d18, v1
	v_mul_f64 v[30:31], v[45:46], v[30:31]
	v_mul_f64 v[49:50], v[47:48], s[38:39]
	v_add_f64 v[22:23], v[22:23], -v[26:27]
	v_fma_f64 v[28:29], v[24:25], v[28:29], s[58:59]
	v_add_f64 v[45:46], v[43:44], v[30:31]
	v_ldexp_f64 v[22:23], v[22:23], 1
	v_fma_f64 v[28:29], v[24:25], v[28:29], s[60:61]
	v_add_f64 v[26:27], v[45:46], -v[43:44]
	v_fma_f64 v[43:44], v[47:48], s[38:39], -v[49:50]
	v_fma_f64 v[28:29], v[24:25], v[28:29], s[62:63]
	v_add_f64 v[26:27], v[30:31], -v[26:27]
	v_fma_f64 v[30:31], v[47:48], s[40:41], v[43:44]
	v_fma_f64 v[28:29], v[24:25], v[28:29], s[64:65]
	v_add_f64 v[22:23], v[22:23], v[26:27]
	v_fma_f64 v[26:27], v[24:25], v[28:29], s[66:67]
	v_add_f64 v[28:29], v[49:50], v[30:31]
	v_add_f64 v[43:44], v[45:46], v[22:23]
	v_fma_f64 v[26:27], v[24:25], v[26:27], s[68:69]
	v_add_f64 v[49:50], v[28:29], -v[49:50]
	v_add_f64 v[47:48], v[28:29], v[43:44]
	v_add_f64 v[45:46], v[43:44], -v[45:46]
	v_fma_f64 v[26:27], v[24:25], v[26:27], s[70:71]
	v_add_f64 v[30:31], v[30:31], -v[49:50]
	v_add_f64 v[51:52], v[47:48], -v[28:29]
	v_add_f64 v[22:23], v[22:23], -v[45:46]
	v_fma_f64 v[26:27], v[24:25], v[26:27], s[72:73]
	v_add_f64 v[53:54], v[47:48], -v[51:52]
	v_add_f64 v[43:44], v[43:44], -v[51:52]
	v_add_f64 v[45:46], v[30:31], v[22:23]
	v_fma_f64 v[26:27], v[24:25], v[26:27], s[74:75]
	v_add_f64 v[28:29], v[28:29], -v[53:54]
	v_fma_f64 v[26:27], v[24:25], v[26:27], s[76:77]
	v_add_f64 v[28:29], v[43:44], v[28:29]
	v_add_f64 v[43:44], v[45:46], -v[30:31]
	v_fma_f64 v[26:27], v[24:25], v[26:27], s[78:79]
	v_add_f64 v[28:29], v[45:46], v[28:29]
	v_add_f64 v[22:23], v[22:23], -v[43:44]
	v_mul_f64 v[24:25], v[24:25], v[26:27]
	v_add_f64 v[26:27], v[45:46], -v[43:44]
	v_add_f64 v[45:46], v[47:48], v[28:29]
	v_fma_f64 v[20:21], v[20:21], v[24:25], v[20:21]
	v_add_f64 v[24:25], v[30:31], -v[26:27]
	v_add_f64 v[26:27], v[45:46], -v[47:48]
	v_add_f64 v[30:31], -v[20:21], s[80:81]
	v_add_f64 v[22:23], v[22:23], v[24:25]
	v_add_f64 v[24:25], v[28:29], -v[26:27]
	v_cndmask_b32_e64 v21, v21, v31, s[0:1]
	v_cndmask_b32_e64 v20, v20, v30, s[0:1]
	v_add_f64 v[26:27], -v[20:21], s[94:95]
	v_add_f64 v[22:23], v[22:23], v[24:25]
	v_cndmask_b32_e32 v25, v65, v66, vcc
	v_cndmask_b32_e32 v24, v63, v64, vcc
	;; [unrolled: 1-line block ×3, first 2 shown]
	v_and_b32_e32 v26, 0x400921fb, v1
	v_cndmask_b32_e32 v21, v21, v27, vcc
	v_add_f64 v[1:2], v[45:46], v[22:23]
	v_cndmask_b32_e64 v23, v20, v17, s[2:3]
	v_cndmask_b32_e64 v17, v21, v26, s[2:3]
	v_cmp_ngt_f64_e64 s[2:3], 0, v[18:19]
	v_bfi_b32 v22, s42, v25, v4
	s_and_b64 vcc, s[20:21], s[22:23]
	v_cndmask_b32_e32 v20, v17, v22, vcc
	v_cndmask_b32_e64 v2, v2, v19, s[6:7]
	v_cndmask_b32_e64 v1, v1, v18, s[6:7]
	;; [unrolled: 1-line block ×3, first 2 shown]
	v_cmp_nge_f64_e64 s[2:3], 0, v[18:19]
	v_cndmask_b32_e64 v17, 0, v1, s[2:3]
	v_cmp_neq_f64_e64 s[2:3], 0, v[18:19]
	v_cndmask_b32_e32 v19, v23, v24, vcc
	v_cndmask_b32_e64 v18, v62, v2, s[2:3]
.LBB167_22:                             ;   in Loop: Header=BB167_5 Depth=1
	s_or_b64 exec, exec, s[8:9]
                                        ; implicit-def: $vgpr21_vgpr22
.LBB167_23:                             ;   in Loop: Header=BB167_5 Depth=1
	s_andn2_saveexec_b64 s[8:9], s[90:91]
	s_cbranch_execz .LBB167_29
; %bb.24:                               ;   in Loop: Header=BB167_5 Depth=1
	s_mov_b32 s2, 0x6a3f9475
	s_mov_b32 s3, 0x20ca2fe7
	v_cmp_ngt_f64_e32 vcc, s[2:3], v[21:22]
                                        ; implicit-def: $vgpr17_vgpr18
	s_and_saveexec_b64 s[2:3], vcc
	s_xor_b64 s[20:21], exec, s[2:3]
	s_cbranch_execz .LBB167_26
; %bb.25:                               ;   in Loop: Header=BB167_5 Depth=1
	v_mul_f64 v[17:18], v[21:22], v[21:22]
	s_mov_b32 s89, s25
	s_mov_b32 s94, s80
	;; [unrolled: 1-line block ×3, first 2 shown]
	v_cmp_class_f64_e64 s[10:11], v[3:4], s44
	s_mov_b32 s7, 0x7ff00000
	v_add_f64 v[19:20], v[17:18], 1.0
	v_cmp_neq_f64_e64 s[6:7], s[6:7], v[17:18]
	v_frexp_mant_f64_e32 v[23:24], v[19:20]
	v_frexp_exp_i32_f64_e32 v27, v[19:20]
	v_add_f64 v[21:22], v[19:20], -1.0
	v_cmp_gt_f64_e32 vcc, s[24:25], v[23:24]
	v_add_f64 v[25:26], v[21:22], -v[19:20]
	v_add_f64 v[21:22], v[17:18], -v[21:22]
	v_subbrev_co_u32_e32 v31, vcc, 0, v27, vcc
	v_sub_u32_e32 v27, 0, v31
	v_ldexp_f64 v[19:20], v[19:20], v27
	v_add_f64 v[23:24], v[25:26], 1.0
	v_cvt_f64_i32_e32 v[31:32], v31
	v_add_f64 v[25:26], v[19:20], 1.0
	v_add_f64 v[21:22], v[21:22], v[23:24]
	v_add_f64 v[43:44], v[19:20], -1.0
	v_add_f64 v[23:24], v[25:26], -1.0
	v_ldexp_f64 v[21:22], v[21:22], v27
	v_add_f64 v[45:46], v[43:44], 1.0
	v_add_f64 v[23:24], v[19:20], -v[23:24]
	v_add_f64 v[19:20], v[19:20], -v[45:46]
	v_add_f64 v[27:28], v[21:22], v[23:24]
	v_add_f64 v[45:46], v[21:22], v[19:20]
	;; [unrolled: 1-line block ×3, first 2 shown]
	v_rcp_f64_e32 v[29:30], v[23:24]
	v_add_f64 v[25:26], v[25:26], -v[23:24]
	v_add_f64 v[27:28], v[27:28], v[25:26]
	v_fma_f64 v[47:48], -v[23:24], v[29:30], 1.0
	v_fma_f64 v[29:30], v[47:48], v[29:30], v[29:30]
	v_add_f64 v[47:48], v[43:44], v[45:46]
	v_fma_f64 v[19:20], -v[23:24], v[29:30], 1.0
	v_add_f64 v[43:44], v[43:44], -v[47:48]
	v_fma_f64 v[19:20], v[19:20], v[29:30], v[29:30]
	v_add_f64 v[43:44], v[45:46], v[43:44]
	v_mul_f64 v[21:22], v[47:48], v[19:20]
	v_mul_f64 v[29:30], v[23:24], v[21:22]
	v_fma_f64 v[25:26], v[21:22], v[23:24], -v[29:30]
	v_fma_f64 v[49:50], v[21:22], v[27:28], v[25:26]
	v_add_f64 v[51:52], v[29:30], v[49:50]
	v_add_f64 v[25:26], v[47:48], -v[51:52]
	v_add_f64 v[29:30], v[51:52], -v[29:30]
	;; [unrolled: 1-line block ×5, first 2 shown]
	v_add_f64 v[43:44], v[43:44], v[45:46]
	v_max_f64 v[45:46], |v[1:2]|, |v[1:2]|
	v_add_f64 v[29:30], v[29:30], v[43:44]
	v_max_f64 v[43:44], |v[3:4]|, |v[3:4]|
	v_add_f64 v[47:48], v[25:26], v[29:30]
	v_max_f64 v[49:50], v[45:46], v[43:44]
	v_min_f64 v[43:44], v[45:46], v[43:44]
	v_mul_f64 v[45:46], v[19:20], v[47:48]
	v_add_f64 v[25:26], v[25:26], -v[47:48]
	v_div_scale_f64 v[51:52], s[2:3], v[49:50], v[49:50], v[43:44]
	s_mov_b32 s2, 0x69efb384
	s_mov_b32 s3, 0x3f4b2bb0
	v_mul_f64 v[53:54], v[23:24], v[45:46]
	v_add_f64 v[25:26], v[29:30], v[25:26]
	v_fma_f64 v[23:24], v[45:46], v[23:24], -v[53:54]
	v_rcp_f64_e32 v[55:56], v[51:52]
	v_fma_f64 v[23:24], v[45:46], v[27:28], v[23:24]
	v_add_f64 v[27:28], v[53:54], v[23:24]
	v_fma_f64 v[57:58], -v[51:52], v[55:56], 1.0
	v_add_f64 v[67:68], v[47:48], -v[27:28]
	v_add_f64 v[29:30], v[27:28], -v[53:54]
	v_fma_f64 v[55:56], v[55:56], v[57:58], v[55:56]
	v_div_scale_f64 v[57:58], vcc, v[43:44], v[49:50], v[43:44]
	v_add_f64 v[47:48], v[47:48], -v[67:68]
	v_add_f64 v[23:24], v[29:30], -v[23:24]
	v_fma_f64 v[69:70], -v[51:52], v[55:56], 1.0
	v_add_f64 v[29:30], v[21:22], v[45:46]
	v_add_f64 v[27:28], v[47:48], -v[27:28]
	v_fma_f64 v[47:48], v[55:56], v[69:70], v[55:56]
	v_add_f64 v[21:22], v[29:30], -v[21:22]
	v_add_f64 v[25:26], v[25:26], v[27:28]
	v_mul_f64 v[27:28], v[57:58], v[47:48]
	v_add_f64 v[21:22], v[45:46], -v[21:22]
	v_add_f64 v[23:24], v[23:24], v[25:26]
	v_fma_f64 v[25:26], -v[51:52], v[27:28], v[57:58]
	v_add_f64 v[23:24], v[67:68], v[23:24]
	v_div_fmas_f64 v[25:26], v[25:26], v[47:48], v[27:28]
	v_cmp_gt_i32_e32 vcc, 0, v2
	v_mul_f64 v[19:20], v[19:20], v[23:24]
	v_add_f64 v[19:20], v[21:22], v[19:20]
	v_div_fixup_f64 v[21:22], v[25:26], v[49:50], v[43:44]
	v_add_f64 v[23:24], v[29:30], v[19:20]
	v_mul_f64 v[25:26], v[21:22], v[21:22]
	v_mul_f64 v[27:28], v[23:24], v[23:24]
	v_fma_f64 v[43:44], v[25:26], s[18:19], v[37:38]
	v_cmp_class_f64_e64 s[18:19], v[1:2], s44
	v_ashrrev_i32_e32 v1, 31, v2
	v_fma_f64 v[45:46], v[27:28], s[26:27], v[35:36]
	v_mul_f64 v[47:48], v[23:24], v[27:28]
	v_fma_f64 v[43:44], v[25:26], v[43:44], s[2:3]
	v_cmp_eq_f64_e64 s[2:3], 0, v[3:4]
	v_fma_f64 v[45:46], v[27:28], v[45:46], s[28:29]
	v_fma_f64 v[43:44], v[25:26], v[43:44], s[46:47]
	;; [unrolled: 1-line block ×9, first 2 shown]
	v_ldexp_f64 v[45:46], v[23:24], 1
	v_fma_f64 v[43:44], v[25:26], v[43:44], s[54:55]
	v_add_f64 v[23:24], v[23:24], -v[29:30]
	v_mul_f64 v[27:28], v[47:48], v[27:28]
	v_mul_f64 v[47:48], v[31:32], s[38:39]
	v_fma_f64 v[43:44], v[25:26], v[43:44], s[56:57]
	v_add_f64 v[19:20], v[19:20], -v[23:24]
	v_add_f64 v[29:30], v[45:46], v[27:28]
	v_fma_f64 v[43:44], v[25:26], v[43:44], s[58:59]
	v_ldexp_f64 v[19:20], v[19:20], 1
	v_add_f64 v[23:24], v[29:30], -v[45:46]
	v_fma_f64 v[45:46], v[31:32], s[38:39], -v[47:48]
	v_fma_f64 v[43:44], v[25:26], v[43:44], s[60:61]
	v_add_f64 v[23:24], v[27:28], -v[23:24]
	v_fma_f64 v[31:32], v[31:32], s[40:41], v[45:46]
	v_fma_f64 v[27:28], v[25:26], v[43:44], s[62:63]
	v_add_f64 v[19:20], v[19:20], v[23:24]
	v_fma_f64 v[23:24], v[25:26], v[27:28], s[64:65]
	v_add_f64 v[27:28], v[47:48], v[31:32]
	v_add_f64 v[43:44], v[29:30], v[19:20]
	v_fma_f64 v[23:24], v[25:26], v[23:24], s[66:67]
	v_add_f64 v[47:48], v[27:28], -v[47:48]
	v_add_f64 v[45:46], v[27:28], v[43:44]
	v_add_f64 v[29:30], v[43:44], -v[29:30]
	v_fma_f64 v[23:24], v[25:26], v[23:24], s[68:69]
	v_add_f64 v[31:32], v[31:32], -v[47:48]
	v_add_f64 v[49:50], v[45:46], -v[27:28]
	v_add_f64 v[19:20], v[19:20], -v[29:30]
	v_fma_f64 v[23:24], v[25:26], v[23:24], s[70:71]
	v_add_f64 v[51:52], v[45:46], -v[49:50]
	v_add_f64 v[29:30], v[43:44], -v[49:50]
	v_fma_f64 v[23:24], v[25:26], v[23:24], s[72:73]
	v_add_f64 v[43:44], v[31:32], v[19:20]
	v_add_f64 v[27:28], v[27:28], -v[51:52]
	v_fma_f64 v[23:24], v[25:26], v[23:24], s[74:75]
	v_add_f64 v[27:28], v[29:30], v[27:28]
	;; [unrolled: 3-line block ×3, first 2 shown]
	v_add_f64 v[43:44], v[43:44], -v[29:30]
	v_fma_f64 v[23:24], v[25:26], v[23:24], s[78:79]
	v_add_f64 v[19:20], v[19:20], -v[29:30]
	v_add_f64 v[47:48], v[45:46], v[27:28]
	v_mul_f64 v[23:24], v[25:26], v[23:24]
	v_add_f64 v[25:26], v[31:32], -v[43:44]
	v_add_f64 v[29:30], v[47:48], -v[45:46]
	v_fma_f64 v[21:22], v[21:22], v[23:24], v[21:22]
	v_add_f64 v[19:20], v[19:20], v[25:26]
	v_add_f64 v[23:24], v[27:28], -v[29:30]
	v_and_b32_e32 v27, 0x400921fb, v1
	v_add_f64 v[25:26], -v[21:22], s[80:81]
	v_add_f64 v[19:20], v[19:20], v[23:24]
	v_cndmask_b32_e64 v22, v22, v26, s[0:1]
	v_cndmask_b32_e64 v21, v21, v25, s[0:1]
	v_add_f64 v[23:24], -v[21:22], s[94:95]
	v_and_b32_e32 v26, 0x54442d18, v1
	v_cndmask_b32_e32 v25, v63, v64, vcc
	v_add_f64 v[19:20], v[47:48], v[19:20]
	v_cndmask_b32_e32 v21, v21, v23, vcc
	v_cndmask_b32_e32 v23, v65, v66, vcc
	;; [unrolled: 1-line block ×3, first 2 shown]
	v_bfi_b32 v17, s42, v23, v4
	v_mul_f64 v[1:2], v[19:20], 0.5
	v_cndmask_b32_e64 v19, v21, v26, s[2:3]
	v_cndmask_b32_e64 v18, v18, v27, s[2:3]
	s_and_b64 vcc, s[18:19], s[10:11]
	s_mov_b32 s18, 0xb5e68a13
	s_mov_b32 s19, 0x3eeba404
	v_cndmask_b32_e32 v20, v18, v17, vcc
	v_cndmask_b32_e32 v19, v19, v25, vcc
	v_cndmask_b32_e64 v18, v60, v2, s[6:7]
	v_cndmask_b32_e64 v17, 0, v1, s[6:7]
                                        ; implicit-def: $vgpr21_vgpr22
.LBB167_26:                             ;   in Loop: Header=BB167_5 Depth=1
	s_andn2_saveexec_b64 s[6:7], s[20:21]
	s_cbranch_execz .LBB167_28
; %bb.27:                               ;   in Loop: Header=BB167_5 Depth=1
	v_max_f64 v[17:18], |v[3:4]|, |v[3:4]|
	v_max_f64 v[19:20], |v[1:2]|, |v[1:2]|
	s_mov_b32 s94, s80
	v_cmp_class_f64_e64 s[10:11], v[3:4], s44
	v_max_f64 v[23:24], v[19:20], v[17:18]
	v_min_f64 v[17:18], v[19:20], v[17:18]
	v_div_scale_f64 v[19:20], s[2:3], v[23:24], v[23:24], v[17:18]
	s_mov_b32 s2, 0x69efb384
	s_mov_b32 s3, 0x3f4b2bb0
	v_rcp_f64_e32 v[25:26], v[19:20]
	v_fma_f64 v[27:28], -v[19:20], v[25:26], 1.0
	v_fma_f64 v[25:26], v[25:26], v[27:28], v[25:26]
	v_div_scale_f64 v[27:28], vcc, v[17:18], v[23:24], v[17:18]
	v_fma_f64 v[29:30], -v[19:20], v[25:26], 1.0
	v_fma_f64 v[25:26], v[25:26], v[29:30], v[25:26]
	v_mul_f64 v[29:30], v[27:28], v[25:26]
	v_fma_f64 v[19:20], -v[19:20], v[29:30], v[27:28]
	v_div_fmas_f64 v[19:20], v[19:20], v[25:26], v[29:30]
	v_ashrrev_i32_e32 v25, 31, v2
	v_cmp_gt_i32_e32 vcc, 0, v2
	v_and_b32_e32 v27, 0x54442d18, v25
	v_cndmask_b32_e32 v26, v63, v64, vcc
	v_div_fixup_f64 v[17:18], v[19:20], v[23:24], v[17:18]
	v_mul_f64 v[19:20], v[17:18], v[17:18]
	v_fma_f64 v[23:24], v[19:20], s[18:19], v[37:38]
	v_cmp_class_f64_e64 s[18:19], v[1:2], s44
	v_cndmask_b32_e32 v1, v65, v66, vcc
	v_and_b32_e32 v2, 0x400921fb, v25
	v_bfi_b32 v1, s42, v1, v4
	v_fma_f64 v[23:24], v[19:20], v[23:24], s[2:3]
	v_cmp_eq_f64_e64 s[2:3], 0, v[3:4]
	v_fma_f64 v[23:24], v[19:20], v[23:24], s[46:47]
	v_fma_f64 v[23:24], v[19:20], v[23:24], s[48:49]
	;; [unrolled: 1-line block ×17, first 2 shown]
	v_mul_f64 v[19:20], v[19:20], v[23:24]
	v_fma_f64 v[17:18], v[17:18], v[19:20], v[17:18]
	v_add_f64 v[19:20], -v[17:18], s[80:81]
	v_cndmask_b32_e64 v20, v18, v20, s[0:1]
	v_cndmask_b32_e64 v19, v17, v19, s[0:1]
	v_mul_f64 v[17:18], v[21:22], 0.5
	v_add_f64 v[23:24], -v[19:20], s[94:95]
	v_mul_f64 v[17:18], v[21:22], v[17:18]
	v_cndmask_b32_e32 v19, v19, v23, vcc
	v_cndmask_b32_e32 v20, v20, v24, vcc
	v_cndmask_b32_e64 v19, v19, v27, s[2:3]
	v_cndmask_b32_e64 v2, v20, v2, s[2:3]
	s_and_b64 vcc, s[18:19], s[10:11]
	s_mov_b32 s18, 0xb5e68a13
	s_mov_b32 s19, 0x3eeba404
	v_cndmask_b32_e32 v20, v2, v1, vcc
	v_cndmask_b32_e32 v19, v19, v26, vcc
.LBB167_28:                             ;   in Loop: Header=BB167_5 Depth=1
	s_or_b64 exec, exec, s[6:7]
.LBB167_29:                             ;   in Loop: Header=BB167_5 Depth=1
	s_or_b64 exec, exec, s[8:9]
.LBB167_30:                             ;   in Loop: Header=BB167_5 Depth=1
	s_andn2_saveexec_b64 s[6:7], s[14:15]
	s_cbranch_execz .LBB167_32
; %bb.31:                               ;   in Loop: Header=BB167_5 Depth=1
	v_div_scale_f64 v[17:18], s[2:3], s[86:87], s[86:87], v[1:2]
	v_div_scale_f64 v[19:20], s[2:3], s[86:87], s[86:87], v[3:4]
	v_div_scale_f64 v[29:30], s[2:3], v[3:4], s[86:87], v[3:4]
	s_mov_b32 s89, s25
	s_mov_b32 s94, s80
	v_cmp_class_f64_e64 s[10:11], v[1:2], s44
	v_rcp_f64_e32 v[21:22], v[17:18]
	v_rcp_f64_e32 v[23:24], v[19:20]
	v_fma_f64 v[25:26], -v[17:18], v[21:22], 1.0
	v_fma_f64 v[27:28], -v[19:20], v[23:24], 1.0
	v_fma_f64 v[21:22], v[21:22], v[25:26], v[21:22]
	v_div_scale_f64 v[25:26], vcc, v[1:2], s[86:87], v[1:2]
	v_fma_f64 v[23:24], v[23:24], v[27:28], v[23:24]
	v_fma_f64 v[27:28], -v[17:18], v[21:22], 1.0
	v_fma_f64 v[31:32], -v[19:20], v[23:24], 1.0
	v_fma_f64 v[21:22], v[21:22], v[27:28], v[21:22]
	v_fma_f64 v[23:24], v[23:24], v[31:32], v[23:24]
	v_mul_f64 v[27:28], v[25:26], v[21:22]
	v_mul_f64 v[31:32], v[29:30], v[23:24]
	v_fma_f64 v[17:18], -v[17:18], v[27:28], v[25:26]
	v_fma_f64 v[19:20], -v[19:20], v[31:32], v[29:30]
	v_div_fmas_f64 v[17:18], v[17:18], v[21:22], v[27:28]
	s_mov_b64 vcc, s[2:3]
	v_div_fmas_f64 v[19:20], v[19:20], v[23:24], v[31:32]
	v_max_f64 v[30:31], |v[1:2]|, |v[1:2]|
	v_div_fixup_f64 v[17:18], v[17:18], s[86:87], v[1:2]
	v_ashrrev_i32_e32 v1, 31, v2
	v_div_fixup_f64 v[19:20], v[19:20], s[86:87], v[3:4]
	v_cmp_class_f64_e64 s[2:3], v[17:18], s44
	v_max_f64 v[21:22], |v[17:18]|, |v[19:20]|
	v_cmp_class_f64_e64 s[8:9], v[19:20], s44
	v_frexp_exp_i32_f64_e32 v29, v[21:22]
	v_sub_u32_e32 v23, 0, v29
	v_ldexp_f64 v[21:22], |v[19:20]|, v23
	v_ldexp_f64 v[23:24], |v[17:18]|, v23
	v_mul_f64 v[21:22], v[21:22], v[21:22]
	v_fma_f64 v[21:22], v[23:24], v[23:24], v[21:22]
	v_rsq_f64_e32 v[23:24], v[21:22]
	v_cmp_eq_f64_e32 vcc, 0, v[21:22]
	v_mul_f64 v[25:26], v[21:22], v[23:24]
	v_mul_f64 v[23:24], v[23:24], 0.5
	v_fma_f64 v[27:28], -v[23:24], v[25:26], 0.5
	v_fma_f64 v[25:26], v[25:26], v[27:28], v[25:26]
	v_fma_f64 v[23:24], v[23:24], v[27:28], v[23:24]
	v_fma_f64 v[27:28], -v[25:26], v[25:26], v[21:22]
	v_fma_f64 v[23:24], v[27:28], v[23:24], v[25:26]
	v_cndmask_b32_e32 v22, v24, v22, vcc
	v_cndmask_b32_e32 v21, v23, v21, vcc
	v_ldexp_f64 v[21:22], v[21:22], v29
	v_cmp_o_f64_e32 vcc, v[17:18], v[19:20]
	v_max_f64 v[28:29], |v[3:4]|, |v[3:4]|
	v_cndmask_b32_e32 v17, 0, v21, vcc
	v_cndmask_b32_e32 v18, v61, v22, vcc
	s_or_b64 vcc, s[2:3], s[8:9]
	v_cndmask_b32_e32 v19, v18, v60, vcc
	v_cndmask_b32_e64 v18, v17, 0, vcc
	v_frexp_mant_f64_e32 v[20:21], v[18:19]
	v_cmp_gt_f64_e64 s[2:3], s[24:25], v[20:21]
	v_cndmask_b32_e64 v17, 0, 1, s[2:3]
	v_ldexp_f64 v[20:21], v[20:21], v17
	v_frexp_exp_i32_f64_e32 v17, v[18:19]
	v_add_f64 v[22:23], v[20:21], 1.0
	v_add_f64 v[45:46], v[20:21], -1.0
	v_rcp_f64_e32 v[24:25], v[22:23]
	v_add_f64 v[49:50], v[22:23], -1.0
	v_add_f64 v[20:21], v[20:21], -v[49:50]
	v_fma_f64 v[26:27], -v[22:23], v[24:25], 1.0
	v_fma_f64 v[24:25], v[26:27], v[24:25], v[24:25]
	v_max_f64 v[26:27], v[30:31], v[28:29]
	v_min_f64 v[28:29], v[30:31], v[28:29]
	v_fma_f64 v[30:31], -v[22:23], v[24:25], 1.0
	v_div_scale_f64 v[43:44], s[8:9], v[26:27], v[26:27], v[28:29]
	s_mov_b32 s8, 0x69efb384
	s_mov_b32 s9, 0x3f4b2bb0
	v_fma_f64 v[24:25], v[30:31], v[24:25], v[24:25]
	v_mul_f64 v[30:31], v[45:46], v[24:25]
	v_rcp_f64_e32 v[47:48], v[43:44]
	v_mul_f64 v[51:52], v[22:23], v[30:31]
	v_fma_f64 v[22:23], v[30:31], v[22:23], -v[51:52]
	v_fma_f64 v[49:50], -v[43:44], v[47:48], 1.0
	v_fma_f64 v[20:21], v[30:31], v[20:21], v[22:23]
	v_fma_f64 v[22:23], v[47:48], v[49:50], v[47:48]
	v_div_scale_f64 v[49:50], vcc, v[28:29], v[26:27], v[28:29]
	v_add_f64 v[47:48], v[51:52], v[20:21]
	v_fma_f64 v[53:54], -v[43:44], v[22:23], 1.0
	v_add_f64 v[55:56], v[45:46], -v[47:48]
	v_add_f64 v[51:52], v[47:48], -v[51:52]
	v_fma_f64 v[22:23], v[22:23], v[53:54], v[22:23]
	v_add_f64 v[45:46], v[45:46], -v[55:56]
	v_add_f64 v[20:21], v[51:52], -v[20:21]
	v_mul_f64 v[53:54], v[49:50], v[22:23]
	v_add_f64 v[45:46], v[45:46], -v[47:48]
	v_fma_f64 v[43:44], -v[43:44], v[53:54], v[49:50]
	v_add_f64 v[20:21], v[20:21], v[45:46]
	v_div_fmas_f64 v[22:23], v[43:44], v[22:23], v[53:54]
	v_subbrev_co_u32_e64 v17, vcc, 0, v17, s[2:3]
	v_cmp_class_f64_e64 vcc, v[18:19], s44
	v_cmp_eq_f64_e64 s[2:3], 0, v[3:4]
	v_add_f64 v[20:21], v[55:56], v[20:21]
	v_mul_f64 v[20:21], v[24:25], v[20:21]
	v_div_fixup_f64 v[22:23], v[22:23], v[26:27], v[28:29]
	v_add_f64 v[24:25], v[30:31], v[20:21]
	v_mul_f64 v[26:27], v[22:23], v[22:23]
	v_mul_f64 v[28:29], v[24:25], v[24:25]
	v_fma_f64 v[43:44], v[26:27], s[18:19], v[37:38]
	v_fma_f64 v[45:46], v[28:29], s[26:27], v[35:36]
	v_mul_f64 v[47:48], v[24:25], v[28:29]
	v_fma_f64 v[43:44], v[26:27], v[43:44], s[8:9]
	v_cmp_class_f64_e64 s[8:9], v[3:4], s44
	v_fma_f64 v[45:46], v[28:29], v[45:46], s[28:29]
	v_fma_f64 v[43:44], v[26:27], v[43:44], s[46:47]
	;; [unrolled: 1-line block ×9, first 2 shown]
	v_ldexp_f64 v[45:46], v[24:25], 1
	v_fma_f64 v[43:44], v[26:27], v[43:44], s[54:55]
	v_add_f64 v[24:25], v[24:25], -v[30:31]
	v_mul_f64 v[28:29], v[47:48], v[28:29]
	v_cvt_f64_i32_e32 v[47:48], v17
	v_fma_f64 v[43:44], v[26:27], v[43:44], s[56:57]
	v_add_f64 v[20:21], v[20:21], -v[24:25]
	v_mul_f64 v[49:50], v[47:48], s[38:39]
	v_add_f64 v[30:31], v[45:46], v[28:29]
	v_fma_f64 v[43:44], v[26:27], v[43:44], s[58:59]
	v_ldexp_f64 v[20:21], v[20:21], 1
	v_add_f64 v[24:25], v[30:31], -v[45:46]
	v_fma_f64 v[45:46], v[47:48], s[38:39], -v[49:50]
	v_fma_f64 v[43:44], v[26:27], v[43:44], s[60:61]
	v_add_f64 v[24:25], v[28:29], -v[24:25]
	v_fma_f64 v[28:29], v[26:27], v[43:44], s[62:63]
	v_fma_f64 v[43:44], v[47:48], s[40:41], v[45:46]
	v_add_f64 v[20:21], v[20:21], v[24:25]
	v_fma_f64 v[24:25], v[26:27], v[28:29], s[64:65]
	v_add_f64 v[28:29], v[49:50], v[43:44]
	v_add_f64 v[45:46], v[30:31], v[20:21]
	v_fma_f64 v[24:25], v[26:27], v[24:25], s[66:67]
	v_add_f64 v[49:50], v[28:29], -v[49:50]
	v_add_f64 v[47:48], v[28:29], v[45:46]
	v_add_f64 v[30:31], v[45:46], -v[30:31]
	v_fma_f64 v[24:25], v[26:27], v[24:25], s[68:69]
	v_add_f64 v[43:44], v[43:44], -v[49:50]
	v_add_f64 v[51:52], v[47:48], -v[28:29]
	;; [unrolled: 1-line block ×3, first 2 shown]
	v_fma_f64 v[24:25], v[26:27], v[24:25], s[70:71]
	v_add_f64 v[53:54], v[47:48], -v[51:52]
	v_add_f64 v[30:31], v[45:46], -v[51:52]
	v_fma_f64 v[24:25], v[26:27], v[24:25], s[72:73]
	v_add_f64 v[45:46], v[43:44], v[20:21]
	v_add_f64 v[28:29], v[28:29], -v[53:54]
	v_fma_f64 v[24:25], v[26:27], v[24:25], s[74:75]
	v_add_f64 v[28:29], v[30:31], v[28:29]
	;; [unrolled: 3-line block ×3, first 2 shown]
	v_add_f64 v[45:46], v[45:46], -v[30:31]
	v_fma_f64 v[24:25], v[26:27], v[24:25], s[78:79]
	v_add_f64 v[20:21], v[20:21], -v[30:31]
	v_add_f64 v[49:50], v[47:48], v[28:29]
	v_mul_f64 v[24:25], v[26:27], v[24:25]
	v_add_f64 v[26:27], v[43:44], -v[45:46]
	v_add_f64 v[30:31], v[49:50], -v[47:48]
	v_fma_f64 v[22:23], v[22:23], v[24:25], v[22:23]
	v_add_f64 v[20:21], v[20:21], v[26:27]
	v_add_f64 v[24:25], v[28:29], -v[30:31]
	v_add_f64 v[26:27], -v[22:23], s[80:81]
	v_add_f64 v[20:21], v[20:21], v[24:25]
	v_cndmask_b32_e64 v23, v23, v27, s[0:1]
	v_cndmask_b32_e64 v22, v22, v26, s[0:1]
	v_add_f64 v[24:25], -v[22:23], s[94:95]
	v_cmp_gt_i32_e64 s[0:1], 0, v2
	v_and_b32_e32 v27, 0x54442d18, v1
	v_cndmask_b32_e64 v26, v63, v64, s[0:1]
	v_add_f64 v[20:21], v[49:50], v[20:21]
	v_cndmask_b32_e64 v17, v65, v66, s[0:1]
	v_bfi_b32 v17, s42, v17, v4
	v_cndmask_b32_e64 v22, v22, v24, s[0:1]
	v_and_b32_e32 v24, 0x400921fb, v1
	v_cndmask_b32_e32 v2, v21, v19, vcc
	v_cndmask_b32_e32 v1, v20, v18, vcc
	v_add_f64 v[1:2], v[1:2], 1.0
	v_cndmask_b32_e64 v20, v23, v25, s[0:1]
	v_cmp_ngt_f64_e64 s[0:1], 0, v[18:19]
	v_cndmask_b32_e64 v20, v20, v24, s[2:3]
	s_and_b64 vcc, s[10:11], s[8:9]
	v_cndmask_b32_e32 v20, v20, v17, vcc
	v_cndmask_b32_e64 v21, v22, v27, s[2:3]
	v_cndmask_b32_e64 v2, v61, v2, s[0:1]
	v_cmp_nge_f64_e64 s[0:1], 0, v[18:19]
	v_cndmask_b32_e64 v17, 0, v1, s[0:1]
	v_cmp_neq_f64_e64 s[0:1], 0, v[18:19]
	v_cndmask_b32_e32 v19, v21, v26, vcc
	v_cndmask_b32_e64 v18, v62, v2, s[0:1]
.LBB167_32:                             ;   in Loop: Header=BB167_5 Depth=1
	s_or_b64 exec, exec, s[6:7]
.LBB167_33:                             ;   in Loop: Header=BB167_5 Depth=1
	s_andn2_saveexec_b64 s[0:1], s[82:83]
	s_cbranch_execz .LBB167_39
; %bb.34:                               ;   in Loop: Header=BB167_5 Depth=1
	v_cmp_nlt_f64_e64 s[2:3], |v[1:2]|, s[92:93]
	v_cmp_nlt_f64_e64 s[6:7], |v[3:4]|, s[92:93]
                                        ; implicit-def: $vgpr21_vgpr22
	s_or_b64 s[2:3], s[2:3], s[6:7]
	s_and_saveexec_b64 s[6:7], s[2:3]
	s_xor_b64 s[2:3], exec, s[6:7]
	s_cbranch_execz .LBB167_36
; %bb.35:                               ;   in Loop: Header=BB167_5 Depth=1
	v_mul_f64 v[17:18], v[3:4], v[3:4]
	v_fma_f64 v[21:22], v[1:2], v[1:2], v[17:18]
.LBB167_36:                             ;   in Loop: Header=BB167_5 Depth=1
	s_andn2_saveexec_b64 s[2:3], s[2:3]
	s_cbranch_execz .LBB167_38
; %bb.37:                               ;   in Loop: Header=BB167_5 Depth=1
	v_mul_f64 v[17:18], v[3:4], 4.0
	v_mul_f64 v[1:2], v[1:2], 4.0
	v_mul_f64 v[17:18], v[17:18], v[17:18]
	v_fma_f64 v[1:2], v[1:2], v[1:2], v[17:18]
	v_ldexp_f64 v[21:22], v[1:2], -4
.LBB167_38:                             ;   in Loop: Header=BB167_5 Depth=1
	s_or_b64 exec, exec, s[2:3]
	v_frexp_mant_f64_e32 v[1:2], v[21:22]
	s_mov_b32 s89, s25
	v_cmp_gt_f64_e32 vcc, s[24:25], v[1:2]
	v_cndmask_b32_e64 v3, 0, 1, vcc
	v_ldexp_f64 v[1:2], v[1:2], v3
	v_frexp_exp_i32_f64_e32 v3, v[21:22]
	v_add_f64 v[17:18], v[1:2], 1.0
	v_add_f64 v[25:26], v[1:2], -1.0
	v_subbrev_co_u32_e32 v3, vcc, 0, v3, vcc
	v_cmp_class_f64_e64 vcc, v[21:22], s44
	v_rcp_f64_e32 v[19:20], v[17:18]
	v_add_f64 v[27:28], v[17:18], -1.0
	v_add_f64 v[1:2], v[1:2], -v[27:28]
	v_fma_f64 v[23:24], -v[17:18], v[19:20], 1.0
	v_fma_f64 v[19:20], v[23:24], v[19:20], v[19:20]
	v_fma_f64 v[23:24], -v[17:18], v[19:20], 1.0
	v_fma_f64 v[19:20], v[23:24], v[19:20], v[19:20]
	v_mul_f64 v[23:24], v[25:26], v[19:20]
	v_mul_f64 v[29:30], v[17:18], v[23:24]
	v_fma_f64 v[17:18], v[23:24], v[17:18], -v[29:30]
	v_fma_f64 v[1:2], v[23:24], v[1:2], v[17:18]
	v_add_f64 v[17:18], v[29:30], v[1:2]
	v_add_f64 v[27:28], v[25:26], -v[17:18]
	v_add_f64 v[29:30], v[17:18], -v[29:30]
	;; [unrolled: 1-line block ×5, first 2 shown]
	v_add_f64 v[1:2], v[1:2], v[17:18]
	v_add_f64 v[1:2], v[27:28], v[1:2]
	v_mul_f64 v[1:2], v[19:20], v[1:2]
	v_add_f64 v[17:18], v[23:24], v[1:2]
	v_mul_f64 v[19:20], v[17:18], v[17:18]
	v_fma_f64 v[25:26], v[19:20], s[26:27], v[35:36]
	v_mul_f64 v[27:28], v[17:18], v[19:20]
	v_fma_f64 v[25:26], v[19:20], v[25:26], s[28:29]
	v_fma_f64 v[25:26], v[19:20], v[25:26], s[30:31]
	;; [unrolled: 1-line block ×5, first 2 shown]
	v_ldexp_f64 v[25:26], v[17:18], 1
	v_add_f64 v[17:18], v[17:18], -v[23:24]
	v_mul_f64 v[19:20], v[27:28], v[19:20]
	v_cvt_f64_i32_e32 v[27:28], v3
	v_add_f64 v[1:2], v[1:2], -v[17:18]
	v_mul_f64 v[29:30], v[27:28], s[38:39]
	v_add_f64 v[23:24], v[25:26], v[19:20]
	v_ldexp_f64 v[1:2], v[1:2], 1
	v_add_f64 v[17:18], v[23:24], -v[25:26]
	v_fma_f64 v[25:26], v[27:28], s[38:39], -v[29:30]
	v_add_f64 v[17:18], v[19:20], -v[17:18]
	v_fma_f64 v[19:20], v[27:28], s[40:41], v[25:26]
	v_add_f64 v[1:2], v[1:2], v[17:18]
	v_add_f64 v[17:18], v[29:30], v[19:20]
	;; [unrolled: 1-line block ×3, first 2 shown]
	v_add_f64 v[29:30], v[17:18], -v[29:30]
	v_add_f64 v[27:28], v[17:18], v[25:26]
	v_add_f64 v[23:24], v[25:26], -v[23:24]
	v_add_f64 v[19:20], v[19:20], -v[29:30]
	;; [unrolled: 1-line block ×6, first 2 shown]
	v_add_f64 v[25:26], v[19:20], v[1:2]
	v_add_f64 v[17:18], v[17:18], -v[43:44]
	v_add_f64 v[17:18], v[23:24], v[17:18]
	v_add_f64 v[23:24], v[25:26], -v[19:20]
	;; [unrolled: 2-line block ×3, first 2 shown]
	v_add_f64 v[1:2], v[1:2], -v[23:24]
	v_add_f64 v[29:30], v[27:28], v[17:18]
	v_add_f64 v[19:20], v[19:20], -v[25:26]
	v_add_f64 v[23:24], v[29:30], -v[27:28]
	v_add_f64 v[1:2], v[1:2], v[19:20]
	v_mov_b32_e32 v19, 0
	v_mov_b32_e32 v20, 0x7ff80000
	v_add_f64 v[17:18], v[17:18], -v[23:24]
	v_add_f64 v[1:2], v[1:2], v[17:18]
	v_add_f64 v[1:2], v[29:30], v[1:2]
	v_cndmask_b32_e32 v1, v1, v21, vcc
	v_cndmask_b32_e32 v2, v2, v22, vcc
	v_cmp_ngt_f64_e32 vcc, 0, v[21:22]
	v_cndmask_b32_e32 v2, v61, v2, vcc
	v_cmp_nge_f64_e32 vcc, 0, v[21:22]
	v_cndmask_b32_e32 v17, 0, v1, vcc
	v_cmp_neq_f64_e32 vcc, 0, v[21:22]
	v_cndmask_b32_e32 v18, v62, v2, vcc
.LBB167_39:                             ;   in Loop: Header=BB167_5 Depth=1
	s_or_b64 exec, exec, s[0:1]
	s_waitcnt vmcnt(2)
	v_cmp_o_f64_e32 vcc, v[9:10], v[11:12]
                                        ; implicit-def: $vgpr21_vgpr22
	s_and_saveexec_b64 s[0:1], vcc
	s_xor_b64 s[82:83], exec, s[0:1]
	s_cbranch_execz .LBB167_67
; %bb.40:                               ;   in Loop: Header=BB167_5 Depth=1
	v_cmp_lt_f64_e64 s[0:1], |v[9:10]|, |v[11:12]|
	v_and_b32_e32 v1, 0x7fffffff, v10
	v_and_b32_e32 v2, 0x7fffffff, v12
	s_mov_b32 s2, 0x85ebc8a0
	s_mov_b32 s3, 0x7fd1ccf3
	v_mov_b32_e32 v3, v11
                                        ; implicit-def: $vgpr21_vgpr22
	v_cndmask_b32_e64 v26, v2, v1, s[0:1]
	v_cndmask_b32_e64 v25, v11, v9, s[0:1]
	v_cmp_nlt_f64_e32 vcc, s[2:3], v[25:26]
	s_and_saveexec_b64 s[2:3], vcc
	s_xor_b64 s[14:15], exec, s[2:3]
	s_cbranch_execz .LBB167_64
; %bb.41:                               ;   in Loop: Header=BB167_5 Depth=1
	v_cndmask_b32_e64 v28, v1, v2, s[0:1]
	v_cndmask_b32_e64 v27, v9, v3, s[0:1]
	v_cmp_neq_f64_e32 vcc, 1.0, v[27:28]
                                        ; implicit-def: $vgpr21_vgpr22
	s_and_saveexec_b64 s[2:3], vcc
	s_xor_b64 s[90:91], exec, s[2:3]
	s_cbranch_execz .LBB167_57
; %bb.42:                               ;   in Loop: Header=BB167_5 Depth=1
	v_max_f64 v[1:2], v[25:26], v[25:26]
	v_max_f64 v[21:22], v[27:28], v[27:28]
	s_mov_b32 s2, 0x4ad4b81f
	s_mov_b32 s3, 0x358dee7a
	v_min_f64 v[23:24], v[21:22], v[1:2]
	v_max_f64 v[1:2], v[21:22], v[1:2]
	v_cmp_ngt_f64_e32 vcc, s[2:3], v[23:24]
	s_mov_b32 s2, 0xc57e649a
	s_mov_b32 s3, 0x4a511b0e
	v_cmp_nlt_f64_e64 s[2:3], s[2:3], v[1:2]
                                        ; implicit-def: $vgpr21_vgpr22
	s_and_b64 s[2:3], s[2:3], vcc
	s_and_saveexec_b64 s[6:7], s[2:3]
	s_xor_b64 s[20:21], exec, s[6:7]
	s_cbranch_execz .LBB167_54
; %bb.43:                               ;   in Loop: Header=BB167_5 Depth=1
	v_cmp_le_f64_e32 vcc, 1.0, v[27:28]
                                        ; implicit-def: $vgpr21_vgpr22
	s_and_saveexec_b64 s[2:3], vcc
	s_xor_b64 s[22:23], exec, s[2:3]
	s_cbranch_execz .LBB167_45
; %bb.44:                               ;   in Loop: Header=BB167_5 Depth=1
	v_add_f64 v[1:2], v[27:28], -1.0
	v_add_f64 v[21:22], v[27:28], 1.0
	s_mov_b32 s89, s25
	s_mov_b32 s94, s80
	s_mov_b32 s8, 0
	s_mov_b32 s9, 0x7ff00000
	v_cmp_class_f64_e64 s[10:11], v[11:12], s44
	v_mul_f64 v[1:2], v[1:2], v[21:22]
	v_fma_f64 v[1:2], v[25:26], v[25:26], v[1:2]
	v_add_f64 v[21:22], v[1:2], 1.0
	v_cmp_nge_f64_e64 s[6:7], -1.0, v[1:2]
	v_cmp_neq_f64_e64 s[8:9], s[8:9], v[1:2]
	v_frexp_mant_f64_e32 v[25:26], v[21:22]
	v_frexp_exp_i32_f64_e32 v3, v[21:22]
	v_add_f64 v[23:24], v[21:22], -1.0
	v_cmp_gt_f64_e32 vcc, s[24:25], v[25:26]
	v_add_f64 v[27:28], v[23:24], -v[21:22]
	v_add_f64 v[23:24], v[1:2], -v[23:24]
	v_subbrev_co_u32_e32 v3, vcc, 0, v3, vcc
	v_sub_u32_e32 v29, 0, v3
	v_ldexp_f64 v[21:22], v[21:22], v29
	v_add_f64 v[25:26], v[27:28], 1.0
	v_add_f64 v[27:28], v[21:22], 1.0
	v_add_f64 v[23:24], v[23:24], v[25:26]
	v_add_f64 v[43:44], v[21:22], -1.0
	v_add_f64 v[25:26], v[27:28], -1.0
	v_ldexp_f64 v[23:24], v[23:24], v29
	v_add_f64 v[45:46], v[43:44], 1.0
	v_add_f64 v[25:26], v[21:22], -v[25:26]
	v_add_f64 v[21:22], v[21:22], -v[45:46]
	v_add_f64 v[29:30], v[23:24], v[25:26]
	v_add_f64 v[45:46], v[23:24], v[21:22]
	;; [unrolled: 1-line block ×3, first 2 shown]
	v_rcp_f64_e32 v[31:32], v[25:26]
	v_add_f64 v[27:28], v[25:26], -v[27:28]
	v_add_f64 v[29:30], v[29:30], -v[27:28]
	v_fma_f64 v[47:48], -v[25:26], v[31:32], 1.0
	v_fma_f64 v[31:32], v[47:48], v[31:32], v[31:32]
	v_add_f64 v[47:48], v[43:44], v[45:46]
	v_fma_f64 v[21:22], -v[25:26], v[31:32], 1.0
	v_add_f64 v[43:44], v[47:48], -v[43:44]
	v_fma_f64 v[21:22], v[21:22], v[31:32], v[31:32]
	v_add_f64 v[43:44], v[45:46], -v[43:44]
	v_mul_f64 v[23:24], v[47:48], v[21:22]
	v_mul_f64 v[31:32], v[25:26], v[23:24]
	v_fma_f64 v[27:28], v[23:24], v[25:26], -v[31:32]
	v_fma_f64 v[49:50], v[23:24], v[29:30], v[27:28]
	v_add_f64 v[51:52], v[31:32], v[49:50]
	v_add_f64 v[27:28], v[47:48], -v[51:52]
	v_add_f64 v[31:32], v[51:52], -v[31:32]
	;; [unrolled: 1-line block ×5, first 2 shown]
	v_add_f64 v[43:44], v[43:44], v[45:46]
	v_max_f64 v[45:46], |v[9:10]|, |v[9:10]|
	v_add_f64 v[31:32], v[31:32], v[43:44]
	v_max_f64 v[43:44], |v[11:12]|, |v[11:12]|
	v_add_f64 v[47:48], v[27:28], v[31:32]
	v_max_f64 v[49:50], v[45:46], v[43:44]
	v_min_f64 v[43:44], v[45:46], v[43:44]
	v_mul_f64 v[45:46], v[21:22], v[47:48]
	v_add_f64 v[27:28], v[27:28], -v[47:48]
	v_div_scale_f64 v[51:52], s[2:3], v[49:50], v[49:50], v[43:44]
	s_mov_b32 s2, 0x69efb384
	s_mov_b32 s3, 0x3f4b2bb0
	v_mul_f64 v[53:54], v[25:26], v[45:46]
	v_add_f64 v[27:28], v[31:32], v[27:28]
	v_fma_f64 v[25:26], v[45:46], v[25:26], -v[53:54]
	v_rcp_f64_e32 v[55:56], v[51:52]
	v_fma_f64 v[25:26], v[45:46], v[29:30], v[25:26]
	v_add_f64 v[29:30], v[53:54], v[25:26]
	v_fma_f64 v[57:58], -v[51:52], v[55:56], 1.0
	v_add_f64 v[67:68], v[47:48], -v[29:30]
	v_add_f64 v[31:32], v[29:30], -v[53:54]
	v_fma_f64 v[55:56], v[55:56], v[57:58], v[55:56]
	v_div_scale_f64 v[57:58], vcc, v[43:44], v[49:50], v[43:44]
	v_add_f64 v[47:48], v[47:48], -v[67:68]
	v_add_f64 v[25:26], v[31:32], -v[25:26]
	v_fma_f64 v[69:70], -v[51:52], v[55:56], 1.0
	v_add_f64 v[31:32], v[23:24], v[45:46]
	v_add_f64 v[29:30], v[47:48], -v[29:30]
	v_fma_f64 v[47:48], v[55:56], v[69:70], v[55:56]
	v_add_f64 v[23:24], v[31:32], -v[23:24]
	v_add_f64 v[27:28], v[27:28], v[29:30]
	v_mul_f64 v[29:30], v[57:58], v[47:48]
	v_add_f64 v[23:24], v[45:46], -v[23:24]
	v_add_f64 v[25:26], v[25:26], v[27:28]
	v_fma_f64 v[27:28], -v[51:52], v[29:30], v[57:58]
	v_add_f64 v[25:26], v[67:68], v[25:26]
	v_div_fmas_f64 v[27:28], v[27:28], v[47:48], v[29:30]
	v_cmp_gt_i32_e32 vcc, 0, v10
	v_mul_f64 v[21:22], v[21:22], v[25:26]
	v_add_f64 v[21:22], v[23:24], v[21:22]
	v_div_fixup_f64 v[23:24], v[27:28], v[49:50], v[43:44]
	v_add_f64 v[25:26], v[31:32], v[21:22]
	v_mul_f64 v[27:28], v[23:24], v[23:24]
	v_mul_f64 v[29:30], v[25:26], v[25:26]
	v_fma_f64 v[43:44], v[27:28], s[18:19], v[37:38]
	v_cmp_class_f64_e64 s[18:19], v[9:10], s44
	v_ashrrev_i32_e32 v9, 31, v10
	v_fma_f64 v[45:46], v[29:30], s[26:27], v[35:36]
	v_mul_f64 v[47:48], v[25:26], v[29:30]
	v_fma_f64 v[43:44], v[27:28], v[43:44], s[2:3]
	v_cmp_eq_f64_e64 s[2:3], 0, v[11:12]
	v_fma_f64 v[45:46], v[29:30], v[45:46], s[28:29]
	v_fma_f64 v[43:44], v[27:28], v[43:44], s[46:47]
	;; [unrolled: 1-line block ×9, first 2 shown]
	v_ldexp_f64 v[45:46], v[25:26], 1
	v_fma_f64 v[43:44], v[27:28], v[43:44], s[54:55]
	v_add_f64 v[25:26], v[25:26], -v[31:32]
	v_mul_f64 v[29:30], v[47:48], v[29:30]
	v_cvt_f64_i32_e32 v[47:48], v3
	v_fma_f64 v[43:44], v[27:28], v[43:44], s[56:57]
	v_add_f64 v[21:22], v[21:22], -v[25:26]
	v_cndmask_b32_e32 v3, v63, v64, vcc
	v_mul_f64 v[49:50], v[47:48], s[38:39]
	v_add_f64 v[31:32], v[45:46], v[29:30]
	v_fma_f64 v[43:44], v[27:28], v[43:44], s[58:59]
	v_ldexp_f64 v[21:22], v[21:22], 1
	v_add_f64 v[25:26], v[31:32], -v[45:46]
	v_fma_f64 v[45:46], v[47:48], s[38:39], -v[49:50]
	v_fma_f64 v[43:44], v[27:28], v[43:44], s[60:61]
	v_add_f64 v[25:26], v[29:30], -v[25:26]
	v_fma_f64 v[29:30], v[27:28], v[43:44], s[62:63]
	v_fma_f64 v[43:44], v[47:48], s[40:41], v[45:46]
	v_add_f64 v[21:22], v[21:22], v[25:26]
	v_fma_f64 v[25:26], v[27:28], v[29:30], s[64:65]
	v_add_f64 v[29:30], v[49:50], v[43:44]
	v_add_f64 v[45:46], v[31:32], v[21:22]
	v_fma_f64 v[25:26], v[27:28], v[25:26], s[66:67]
	v_add_f64 v[49:50], v[29:30], -v[49:50]
	v_add_f64 v[47:48], v[29:30], v[45:46]
	v_add_f64 v[31:32], v[45:46], -v[31:32]
	v_fma_f64 v[25:26], v[27:28], v[25:26], s[68:69]
	v_add_f64 v[43:44], v[43:44], -v[49:50]
	v_add_f64 v[51:52], v[47:48], -v[29:30]
	v_add_f64 v[21:22], v[21:22], -v[31:32]
	v_fma_f64 v[25:26], v[27:28], v[25:26], s[70:71]
	v_add_f64 v[53:54], v[47:48], -v[51:52]
	v_add_f64 v[31:32], v[45:46], -v[51:52]
	v_fma_f64 v[25:26], v[27:28], v[25:26], s[72:73]
	v_add_f64 v[45:46], v[43:44], v[21:22]
	v_add_f64 v[29:30], v[29:30], -v[53:54]
	v_fma_f64 v[25:26], v[27:28], v[25:26], s[74:75]
	v_add_f64 v[29:30], v[31:32], v[29:30]
	;; [unrolled: 3-line block ×3, first 2 shown]
	v_add_f64 v[45:46], v[45:46], -v[31:32]
	v_fma_f64 v[25:26], v[27:28], v[25:26], s[78:79]
	v_add_f64 v[21:22], v[21:22], -v[31:32]
	v_add_f64 v[49:50], v[47:48], v[29:30]
	v_mul_f64 v[25:26], v[27:28], v[25:26]
	v_add_f64 v[27:28], v[43:44], -v[45:46]
	v_add_f64 v[31:32], v[49:50], -v[47:48]
	v_fma_f64 v[23:24], v[23:24], v[25:26], v[23:24]
	v_add_f64 v[21:22], v[21:22], v[27:28]
	v_add_f64 v[25:26], v[29:30], -v[31:32]
	v_add_f64 v[27:28], -v[23:24], s[80:81]
	v_add_f64 v[21:22], v[21:22], v[25:26]
	v_cndmask_b32_e64 v24, v24, v28, s[0:1]
	v_cndmask_b32_e64 v23, v23, v27, s[0:1]
	v_add_f64 v[25:26], -v[23:24], s[94:95]
	v_and_b32_e32 v28, 0x54442d18, v9
	v_cndmask_b32_e32 v27, v65, v66, vcc
	v_add_f64 v[21:22], v[49:50], v[21:22]
	v_cndmask_b32_e32 v23, v23, v25, vcc
	v_and_b32_e32 v25, 0x400921fb, v9
	v_cndmask_b32_e64 v23, v23, v28, s[2:3]
	v_mul_f64 v[9:10], v[21:22], 0.5
	v_cndmask_b32_e32 v22, v24, v26, vcc
	v_bfi_b32 v21, s42, v27, v12
	v_cndmask_b32_e64 v22, v22, v25, s[2:3]
	s_and_b64 vcc, s[18:19], s[10:11]
	s_and_b64 s[2:3], s[6:7], s[8:9]
	v_cndmask_b32_e32 v24, v22, v21, vcc
	s_mov_b32 s18, 0xb5e68a13
	v_cndmask_b32_e64 v21, 0, v9, s[2:3]
	v_cmp_ngt_f64_e64 s[2:3], -1.0, v[1:2]
	v_cndmask_b32_e64 v10, v60, v10, s[8:9]
	s_mov_b32 s19, 0x3eeba404
	v_cndmask_b32_e32 v23, v23, v3, vcc
                                        ; implicit-def: $vgpr25_vgpr26
                                        ; implicit-def: $vgpr27_vgpr28
	v_cndmask_b32_e64 v9, v61, v10, s[2:3]
	v_cmp_neq_f64_e64 s[2:3], -1.0, v[1:2]
	v_cndmask_b32_e64 v22, v62, v9, s[2:3]
.LBB167_45:                             ;   in Loop: Header=BB167_5 Depth=1
	s_andn2_saveexec_b64 s[22:23], s[22:23]
	s_cbranch_execz .LBB167_53
; %bb.46:                               ;   in Loop: Header=BB167_5 Depth=1
	v_mul_f64 v[1:2], v[25:26], v[25:26]
	s_mov_b32 s2, 0x66666666
	s_mov_b32 s3, 0x3fe66666
                                        ; implicit-def: $vgpr21_vgpr22
	v_fma_f64 v[1:2], v[27:28], v[27:28], v[1:2]
	v_cmp_ge_f64_e32 vcc, s[2:3], v[1:2]
	s_and_saveexec_b64 s[2:3], vcc
	s_xor_b64 s[8:9], exec, s[2:3]
	s_cbranch_execz .LBB167_48
; %bb.47:                               ;   in Loop: Header=BB167_5 Depth=1
	v_frexp_mant_f64_e32 v[21:22], v[1:2]
	v_max_f64 v[29:30], |v[11:12]|, |v[11:12]|
	v_max_f64 v[31:32], |v[9:10]|, |v[9:10]|
	s_mov_b32 s89, s25
	s_mov_b32 s94, s80
	v_cmp_class_f64_e64 s[10:11], v[11:12], s44
	v_cmp_gt_f64_e64 s[2:3], s[24:25], v[21:22]
	v_cndmask_b32_e64 v3, 0, 1, s[2:3]
	v_ldexp_f64 v[21:22], v[21:22], v3
	v_frexp_exp_i32_f64_e32 v3, v[1:2]
	v_add_f64 v[23:24], v[21:22], 1.0
	v_add_f64 v[45:46], v[21:22], -1.0
	v_rcp_f64_e32 v[25:26], v[23:24]
	v_add_f64 v[49:50], v[23:24], -1.0
	v_add_f64 v[21:22], v[21:22], -v[49:50]
	v_fma_f64 v[27:28], -v[23:24], v[25:26], 1.0
	v_fma_f64 v[25:26], v[27:28], v[25:26], v[25:26]
	v_max_f64 v[27:28], v[31:32], v[29:30]
	v_min_f64 v[29:30], v[31:32], v[29:30]
	v_fma_f64 v[31:32], -v[23:24], v[25:26], 1.0
	v_div_scale_f64 v[43:44], s[6:7], v[27:28], v[27:28], v[29:30]
	s_mov_b32 s6, 0x69efb384
	s_mov_b32 s7, 0x3f4b2bb0
	v_fma_f64 v[25:26], v[31:32], v[25:26], v[25:26]
	v_mul_f64 v[31:32], v[45:46], v[25:26]
	v_rcp_f64_e32 v[47:48], v[43:44]
	v_mul_f64 v[51:52], v[23:24], v[31:32]
	v_fma_f64 v[23:24], v[31:32], v[23:24], -v[51:52]
	v_fma_f64 v[49:50], -v[43:44], v[47:48], 1.0
	v_fma_f64 v[21:22], v[31:32], v[21:22], v[23:24]
	v_fma_f64 v[23:24], v[47:48], v[49:50], v[47:48]
	v_div_scale_f64 v[49:50], vcc, v[29:30], v[27:28], v[29:30]
	v_add_f64 v[47:48], v[51:52], v[21:22]
	v_fma_f64 v[53:54], -v[43:44], v[23:24], 1.0
	v_add_f64 v[55:56], v[45:46], -v[47:48]
	v_add_f64 v[51:52], v[47:48], -v[51:52]
	v_fma_f64 v[23:24], v[23:24], v[53:54], v[23:24]
	v_add_f64 v[45:46], v[45:46], -v[55:56]
	v_add_f64 v[21:22], v[51:52], -v[21:22]
	v_mul_f64 v[53:54], v[49:50], v[23:24]
	v_add_f64 v[45:46], v[45:46], -v[47:48]
	v_fma_f64 v[43:44], -v[43:44], v[53:54], v[49:50]
	v_add_f64 v[21:22], v[21:22], v[45:46]
	v_div_fmas_f64 v[23:24], v[43:44], v[23:24], v[53:54]
	v_subbrev_co_u32_e64 v3, vcc, 0, v3, s[2:3]
	v_cmp_eq_f64_e64 s[2:3], 0, v[11:12]
	v_cmp_gt_i32_e32 vcc, 0, v10
	v_add_f64 v[21:22], v[55:56], v[21:22]
	v_mul_f64 v[21:22], v[25:26], v[21:22]
	v_div_fixup_f64 v[23:24], v[23:24], v[27:28], v[29:30]
	v_add_f64 v[25:26], v[31:32], v[21:22]
	v_mul_f64 v[27:28], v[23:24], v[23:24]
	v_mul_f64 v[29:30], v[25:26], v[25:26]
	v_fma_f64 v[43:44], v[27:28], s[18:19], v[37:38]
	v_cmp_class_f64_e64 s[18:19], v[9:10], s44
	v_ashrrev_i32_e32 v9, 31, v10
	v_fma_f64 v[45:46], v[29:30], s[26:27], v[35:36]
	v_mul_f64 v[47:48], v[25:26], v[29:30]
	v_fma_f64 v[43:44], v[27:28], v[43:44], s[6:7]
	v_cmp_neq_f64_e64 s[6:7], 0, v[1:2]
	v_fma_f64 v[45:46], v[29:30], v[45:46], s[28:29]
	v_fma_f64 v[43:44], v[27:28], v[43:44], s[46:47]
	;; [unrolled: 1-line block ×9, first 2 shown]
	v_ldexp_f64 v[45:46], v[25:26], 1
	v_fma_f64 v[43:44], v[27:28], v[43:44], s[54:55]
	v_add_f64 v[25:26], v[25:26], -v[31:32]
	v_mul_f64 v[29:30], v[47:48], v[29:30]
	v_cvt_f64_i32_e32 v[47:48], v3
	v_fma_f64 v[43:44], v[27:28], v[43:44], s[56:57]
	v_add_f64 v[21:22], v[21:22], -v[25:26]
	v_cndmask_b32_e32 v3, v63, v64, vcc
	v_mul_f64 v[49:50], v[47:48], s[38:39]
	v_add_f64 v[31:32], v[45:46], v[29:30]
	v_fma_f64 v[43:44], v[27:28], v[43:44], s[58:59]
	v_ldexp_f64 v[21:22], v[21:22], 1
	v_add_f64 v[25:26], v[31:32], -v[45:46]
	v_fma_f64 v[45:46], v[47:48], s[38:39], -v[49:50]
	v_fma_f64 v[43:44], v[27:28], v[43:44], s[60:61]
	v_add_f64 v[25:26], v[29:30], -v[25:26]
	v_fma_f64 v[29:30], v[27:28], v[43:44], s[62:63]
	v_fma_f64 v[43:44], v[47:48], s[40:41], v[45:46]
	v_add_f64 v[21:22], v[21:22], v[25:26]
	v_fma_f64 v[25:26], v[27:28], v[29:30], s[64:65]
	v_add_f64 v[29:30], v[49:50], v[43:44]
	v_add_f64 v[45:46], v[31:32], v[21:22]
	v_fma_f64 v[25:26], v[27:28], v[25:26], s[66:67]
	v_add_f64 v[49:50], v[29:30], -v[49:50]
	v_add_f64 v[47:48], v[29:30], v[45:46]
	v_add_f64 v[31:32], v[45:46], -v[31:32]
	v_fma_f64 v[25:26], v[27:28], v[25:26], s[68:69]
	v_add_f64 v[43:44], v[43:44], -v[49:50]
	v_add_f64 v[51:52], v[47:48], -v[29:30]
	;; [unrolled: 1-line block ×3, first 2 shown]
	v_fma_f64 v[25:26], v[27:28], v[25:26], s[70:71]
	v_add_f64 v[53:54], v[47:48], -v[51:52]
	v_add_f64 v[31:32], v[45:46], -v[51:52]
	v_fma_f64 v[25:26], v[27:28], v[25:26], s[72:73]
	v_add_f64 v[45:46], v[43:44], v[21:22]
	v_add_f64 v[29:30], v[29:30], -v[53:54]
	v_fma_f64 v[25:26], v[27:28], v[25:26], s[74:75]
	v_add_f64 v[29:30], v[31:32], v[29:30]
	;; [unrolled: 3-line block ×3, first 2 shown]
	v_add_f64 v[45:46], v[45:46], -v[31:32]
	v_fma_f64 v[25:26], v[27:28], v[25:26], s[78:79]
	v_add_f64 v[21:22], v[21:22], -v[31:32]
	v_add_f64 v[49:50], v[47:48], v[29:30]
	v_mul_f64 v[25:26], v[27:28], v[25:26]
	v_add_f64 v[27:28], v[43:44], -v[45:46]
	v_add_f64 v[31:32], v[49:50], -v[47:48]
	v_fma_f64 v[23:24], v[23:24], v[25:26], v[23:24]
	v_add_f64 v[21:22], v[21:22], v[27:28]
	v_add_f64 v[25:26], v[29:30], -v[31:32]
	v_add_f64 v[27:28], -v[23:24], s[80:81]
	v_add_f64 v[21:22], v[21:22], v[25:26]
	v_cndmask_b32_e64 v24, v24, v28, s[0:1]
	v_cndmask_b32_e64 v23, v23, v27, s[0:1]
	v_add_f64 v[25:26], -v[23:24], s[94:95]
	v_and_b32_e32 v27, 0x54442d18, v9
	v_and_b32_e32 v28, 0x400921fb, v9
	v_add_f64 v[21:22], v[49:50], v[21:22]
	v_cndmask_b32_e32 v23, v23, v25, vcc
	v_cndmask_b32_e32 v25, v65, v66, vcc
	;; [unrolled: 1-line block ×3, first 2 shown]
	v_bfi_b32 v1, s42, v25, v12
	v_mul_f64 v[9:10], v[21:22], 0.5
	v_cndmask_b32_e64 v23, v23, v27, s[2:3]
	v_cndmask_b32_e64 v2, v2, v28, s[2:3]
	s_and_b64 vcc, s[18:19], s[10:11]
	s_mov_b32 s18, 0xb5e68a13
	s_mov_b32 s19, 0x3eeba404
	v_cndmask_b32_e32 v24, v2, v1, vcc
	v_cndmask_b32_e32 v23, v23, v3, vcc
	v_cndmask_b32_e64 v22, v62, v10, s[6:7]
	v_cndmask_b32_e64 v21, 0, v9, s[6:7]
                                        ; implicit-def: $vgpr27_vgpr28
                                        ; implicit-def: $vgpr25_vgpr26
.LBB167_48:                             ;   in Loop: Header=BB167_5 Depth=1
	s_andn2_saveexec_b64 s[84:85], s[8:9]
	s_cbranch_execz .LBB167_52
; %bb.49:                               ;   in Loop: Header=BB167_5 Depth=1
	v_and_b32_e32 v34, 0x7ffffff8, v28
	v_and_b32_e32 v22, 0x7ffffff8, v26
	v_mov_b32_e32 v21, v33
	v_add_f64 v[1:2], v[27:28], -v[33:34]
	v_add_f64 v[23:24], v[25:26], -v[21:22]
	v_mov_b32_e32 v27, v33
	v_mov_b32_e32 v45, v33
	v_add_f64 v[31:32], v[33:34], v[33:34]
	v_add_f64 v[43:44], v[21:22], v[21:22]
	v_mul_f64 v[21:22], v[21:22], v[21:22]
	s_mov_b64 s[10:11], 0
	v_and_b32_e32 v28, -8, v2
	v_and_b32_e32 v46, -8, v24
	v_add_f64 v[51:52], v[1:2], -v[27:28]
	v_add_f64 v[53:54], v[23:24], -v[45:46]
	v_add_f64 v[55:56], v[27:28], v[27:28]
	v_add_f64 v[57:58], v[45:46], v[45:46]
	v_mul_f64 v[1:2], v[33:34], v[33:34]
	v_mul_f64 v[25:26], v[31:32], v[27:28]
	;; [unrolled: 1-line block ×11, first 2 shown]
.LBB167_50:                             ;   Parent Loop BB167_5 Depth=1
                                        ; =>  This Inner Loop Header: Depth=2
	v_cmp_nlt_f64_e32 vcc, v[1:2], v[21:22]
	v_cndmask_b32_e32 v54, v2, v22, vcc
	v_cndmask_b32_e32 v53, v1, v21, vcc
	v_cmp_nlt_f64_e64 s[2:3], v[53:54], v[25:26]
	v_cndmask_b32_e32 v2, v22, v2, vcc
	v_cndmask_b32_e32 v1, v21, v1, vcc
	v_cndmask_b32_e64 v56, v54, v26, s[2:3]
	v_cndmask_b32_e64 v55, v53, v25, s[2:3]
	v_cmp_nlt_f64_e64 s[6:7], v[55:56], v[23:24]
	v_cndmask_b32_e64 v22, v26, v54, s[2:3]
	v_cndmask_b32_e64 v21, v25, v53, s[2:3]
	s_and_b64 s[18:19], vcc, s[2:3]
	v_cndmask_b32_e64 v58, v56, v24, s[6:7]
	v_cndmask_b32_e64 v57, v55, v23, s[6:7]
	v_cmp_nlt_f64_e64 s[8:9], v[57:58], v[29:30]
	v_cndmask_b32_e64 v26, v24, v56, s[6:7]
	v_cndmask_b32_e64 v25, v23, v55, s[6:7]
	;; [unrolled: 1-line block ×4, first 2 shown]
	v_cmp_nlt_f64_e32 vcc, v[53:54], v[45:46]
	v_cndmask_b32_e64 v24, v30, v58, s[8:9]
	v_cndmask_b32_e64 v23, v29, v57, s[8:9]
	s_and_b64 s[8:9], s[6:7], s[8:9]
	v_cndmask_b32_e32 v56, v54, v46, vcc
	v_cndmask_b32_e32 v55, v53, v45, vcc
	v_cmp_nlt_f64_e64 s[2:3], v[55:56], v[49:50]
	v_cndmask_b32_e32 v30, v46, v54, vcc
	v_cndmask_b32_e32 v29, v45, v53, vcc
	v_cndmask_b32_e64 v54, v56, v50, s[2:3]
	v_cndmask_b32_e64 v53, v55, v49, s[2:3]
	v_cmp_nlt_f64_e64 s[6:7], v[53:54], v[47:48]
	v_cndmask_b32_e64 v46, v50, v56, s[2:3]
	v_cndmask_b32_e64 v45, v49, v55, s[2:3]
	s_and_b64 s[2:3], vcc, s[2:3]
	v_cndmask_b32_e64 v56, v54, v48, s[6:7]
	v_cndmask_b32_e64 v55, v53, v47, s[6:7]
	v_cmp_nlt_f64_e32 vcc, v[55:56], v[43:44]
	v_cndmask_b32_e64 v50, v48, v54, s[6:7]
	v_cndmask_b32_e64 v49, v47, v53, s[6:7]
	s_and_b64 s[6:7], s[2:3], s[6:7]
	v_cndmask_b32_e32 v54, v56, v44, vcc
	v_cndmask_b32_e32 v53, v55, v43, vcc
	v_cmp_nlt_f64_e64 s[2:3], v[53:54], v[31:32]
	v_cndmask_b32_e32 v48, v44, v56, vcc
	v_cndmask_b32_e32 v47, v43, v55, vcc
	s_and_b64 s[6:7], s[6:7], vcc
	v_cndmask_b32_e64 v56, v54, v32, s[2:3]
	v_cndmask_b32_e64 v55, v53, v31, s[2:3]
	v_cmp_nlt_f64_e32 vcc, v[55:56], v[27:28]
	v_cndmask_b32_e64 v44, v32, v54, s[2:3]
	v_cndmask_b32_e64 v43, v31, v53, s[2:3]
	s_and_b64 s[6:7], s[6:7], s[2:3]
	v_cndmask_b32_e32 v58, v56, v28, vcc
	v_cndmask_b32_e32 v57, v55, v27, vcc
	v_cmp_nlt_f64_e64 s[2:3], v[57:58], v[51:52]
	s_and_b64 s[6:7], s[6:7], vcc
	v_cndmask_b32_e32 v32, v28, v56, vcc
	v_cndmask_b32_e32 v31, v27, v55, vcc
	v_cndmask_b32_e64 v54, v58, v52, s[2:3]
	v_cndmask_b32_e64 v53, v57, v51, s[2:3]
	v_cndmask_b32_e64 v28, v52, v58, s[2:3]
	v_cndmask_b32_e64 v27, v51, v57, s[2:3]
	s_and_b64 s[2:3], s[6:7], s[2:3]
	s_and_b64 s[2:3], s[2:3], s[8:9]
	;; [unrolled: 1-line block ×3, first 2 shown]
	s_and_b64 s[2:3], exec, s[2:3]
	v_mov_b32_e32 v51, v53
	s_or_b64 s[10:11], s[2:3], s[10:11]
	v_mov_b32_e32 v52, v54
	s_andn2_b64 exec, exec, s[10:11]
	s_cbranch_execnz .LBB167_50
; %bb.51:                               ;   in Loop: Header=BB167_5 Depth=1
	s_or_b64 exec, exec, s[10:11]
	v_add_f64 v[1:2], v[1:2], -1.0
	s_mov_b32 s89, s25
	s_mov_b32 s94, s80
	;; [unrolled: 1-line block ×4, first 2 shown]
	v_cmp_class_f64_e64 s[10:11], v[11:12], s44
	v_cmp_class_f64_e64 s[18:19], v[9:10], s44
	v_add_f64 v[1:2], v[1:2], v[21:22]
	v_add_f64 v[1:2], v[1:2], v[25:26]
	;; [unrolled: 1-line block ×11, first 2 shown]
	v_add_f64 v[21:22], v[1:2], 1.0
	v_cmp_nge_f64_e64 s[6:7], -1.0, v[1:2]
	v_cmp_neq_f64_e64 s[8:9], s[8:9], v[1:2]
	v_frexp_mant_f64_e32 v[25:26], v[21:22]
	v_frexp_exp_i32_f64_e32 v3, v[21:22]
	v_add_f64 v[23:24], v[21:22], -1.0
	v_cmp_gt_f64_e32 vcc, s[24:25], v[25:26]
	v_add_f64 v[27:28], v[23:24], -v[21:22]
	v_add_f64 v[23:24], v[1:2], -v[23:24]
	v_subbrev_co_u32_e32 v3, vcc, 0, v3, vcc
	v_sub_u32_e32 v29, 0, v3
	v_ldexp_f64 v[21:22], v[21:22], v29
	v_add_f64 v[25:26], v[27:28], 1.0
	v_add_f64 v[27:28], v[21:22], 1.0
	v_add_f64 v[23:24], v[23:24], v[25:26]
	v_add_f64 v[43:44], v[21:22], -1.0
	v_add_f64 v[25:26], v[27:28], -1.0
	v_ldexp_f64 v[23:24], v[23:24], v29
	v_add_f64 v[45:46], v[43:44], 1.0
	v_add_f64 v[25:26], v[21:22], -v[25:26]
	v_add_f64 v[21:22], v[21:22], -v[45:46]
	v_add_f64 v[29:30], v[23:24], v[25:26]
	v_add_f64 v[45:46], v[23:24], v[21:22]
	;; [unrolled: 1-line block ×3, first 2 shown]
	v_rcp_f64_e32 v[31:32], v[25:26]
	v_add_f64 v[27:28], v[25:26], -v[27:28]
	v_add_f64 v[29:30], v[29:30], -v[27:28]
	v_fma_f64 v[47:48], -v[25:26], v[31:32], 1.0
	v_fma_f64 v[31:32], v[47:48], v[31:32], v[31:32]
	v_add_f64 v[47:48], v[43:44], v[45:46]
	v_fma_f64 v[21:22], -v[25:26], v[31:32], 1.0
	v_add_f64 v[43:44], v[47:48], -v[43:44]
	v_fma_f64 v[21:22], v[21:22], v[31:32], v[31:32]
	v_add_f64 v[43:44], v[45:46], -v[43:44]
	v_mul_f64 v[23:24], v[47:48], v[21:22]
	v_mul_f64 v[31:32], v[25:26], v[23:24]
	v_fma_f64 v[27:28], v[23:24], v[25:26], -v[31:32]
	v_fma_f64 v[49:50], v[23:24], v[29:30], v[27:28]
	v_add_f64 v[51:52], v[31:32], v[49:50]
	v_add_f64 v[27:28], v[47:48], -v[51:52]
	v_add_f64 v[31:32], v[51:52], -v[31:32]
	v_add_f64 v[47:48], v[47:48], -v[27:28]
	v_add_f64 v[31:32], v[31:32], -v[49:50]
	v_add_f64 v[45:46], v[47:48], -v[51:52]
	v_add_f64 v[43:44], v[43:44], v[45:46]
	v_max_f64 v[45:46], |v[9:10]|, |v[9:10]|
	v_ashrrev_i32_e32 v9, 31, v10
	v_add_f64 v[31:32], v[31:32], v[43:44]
	v_max_f64 v[43:44], |v[11:12]|, |v[11:12]|
	v_add_f64 v[47:48], v[27:28], v[31:32]
	v_max_f64 v[49:50], v[45:46], v[43:44]
	v_min_f64 v[43:44], v[45:46], v[43:44]
	v_mul_f64 v[45:46], v[21:22], v[47:48]
	v_add_f64 v[27:28], v[27:28], -v[47:48]
	v_div_scale_f64 v[51:52], s[2:3], v[49:50], v[49:50], v[43:44]
	s_mov_b32 s2, 0xb5e68a13
	s_mov_b32 s3, 0x3eeba404
	v_mul_f64 v[53:54], v[25:26], v[45:46]
	v_add_f64 v[27:28], v[31:32], v[27:28]
	v_fma_f64 v[25:26], v[45:46], v[25:26], -v[53:54]
	v_rcp_f64_e32 v[55:56], v[51:52]
	v_fma_f64 v[25:26], v[45:46], v[29:30], v[25:26]
	v_add_f64 v[29:30], v[53:54], v[25:26]
	v_fma_f64 v[57:58], -v[51:52], v[55:56], 1.0
	v_add_f64 v[67:68], v[47:48], -v[29:30]
	v_add_f64 v[31:32], v[29:30], -v[53:54]
	v_fma_f64 v[55:56], v[55:56], v[57:58], v[55:56]
	v_div_scale_f64 v[57:58], vcc, v[43:44], v[49:50], v[43:44]
	v_add_f64 v[47:48], v[47:48], -v[67:68]
	v_add_f64 v[25:26], v[31:32], -v[25:26]
	v_fma_f64 v[69:70], -v[51:52], v[55:56], 1.0
	v_add_f64 v[31:32], v[23:24], v[45:46]
	v_add_f64 v[29:30], v[47:48], -v[29:30]
	v_fma_f64 v[47:48], v[55:56], v[69:70], v[55:56]
	v_add_f64 v[23:24], v[31:32], -v[23:24]
	v_add_f64 v[27:28], v[27:28], v[29:30]
	v_mul_f64 v[29:30], v[57:58], v[47:48]
	v_add_f64 v[23:24], v[45:46], -v[23:24]
	v_add_f64 v[25:26], v[25:26], v[27:28]
	v_fma_f64 v[27:28], -v[51:52], v[29:30], v[57:58]
	v_add_f64 v[25:26], v[67:68], v[25:26]
	v_div_fmas_f64 v[27:28], v[27:28], v[47:48], v[29:30]
	v_cmp_gt_i32_e32 vcc, 0, v10
	v_mul_f64 v[21:22], v[21:22], v[25:26]
	v_add_f64 v[21:22], v[23:24], v[21:22]
	v_div_fixup_f64 v[23:24], v[27:28], v[49:50], v[43:44]
	v_add_f64 v[25:26], v[31:32], v[21:22]
	v_mul_f64 v[27:28], v[23:24], v[23:24]
	v_mul_f64 v[29:30], v[25:26], v[25:26]
	v_fma_f64 v[43:44], v[27:28], s[2:3], v[37:38]
	s_mov_b32 s2, 0x69efb384
	s_mov_b32 s3, 0x3f4b2bb0
	v_fma_f64 v[45:46], v[29:30], s[26:27], v[35:36]
	v_mul_f64 v[47:48], v[25:26], v[29:30]
	v_fma_f64 v[43:44], v[27:28], v[43:44], s[2:3]
	v_cmp_eq_f64_e64 s[2:3], 0, v[11:12]
	v_fma_f64 v[45:46], v[29:30], v[45:46], s[28:29]
	v_fma_f64 v[43:44], v[27:28], v[43:44], s[46:47]
	;; [unrolled: 1-line block ×9, first 2 shown]
	v_ldexp_f64 v[45:46], v[25:26], 1
	v_fma_f64 v[43:44], v[27:28], v[43:44], s[54:55]
	v_add_f64 v[25:26], v[25:26], -v[31:32]
	v_mul_f64 v[29:30], v[47:48], v[29:30]
	v_cvt_f64_i32_e32 v[47:48], v3
	v_fma_f64 v[43:44], v[27:28], v[43:44], s[56:57]
	v_add_f64 v[21:22], v[21:22], -v[25:26]
	v_cndmask_b32_e32 v3, v63, v64, vcc
	v_mul_f64 v[49:50], v[47:48], s[38:39]
	v_add_f64 v[31:32], v[45:46], v[29:30]
	v_fma_f64 v[43:44], v[27:28], v[43:44], s[58:59]
	v_ldexp_f64 v[21:22], v[21:22], 1
	v_add_f64 v[25:26], v[31:32], -v[45:46]
	v_fma_f64 v[45:46], v[47:48], s[38:39], -v[49:50]
	v_fma_f64 v[43:44], v[27:28], v[43:44], s[60:61]
	v_add_f64 v[25:26], v[29:30], -v[25:26]
	v_fma_f64 v[29:30], v[27:28], v[43:44], s[62:63]
	v_fma_f64 v[43:44], v[47:48], s[40:41], v[45:46]
	v_add_f64 v[21:22], v[21:22], v[25:26]
	v_fma_f64 v[25:26], v[27:28], v[29:30], s[64:65]
	v_add_f64 v[29:30], v[49:50], v[43:44]
	v_add_f64 v[45:46], v[31:32], v[21:22]
	v_fma_f64 v[25:26], v[27:28], v[25:26], s[66:67]
	v_add_f64 v[49:50], v[29:30], -v[49:50]
	v_add_f64 v[47:48], v[29:30], v[45:46]
	v_add_f64 v[31:32], v[45:46], -v[31:32]
	v_fma_f64 v[25:26], v[27:28], v[25:26], s[68:69]
	v_add_f64 v[43:44], v[43:44], -v[49:50]
	v_add_f64 v[51:52], v[47:48], -v[29:30]
	;; [unrolled: 1-line block ×3, first 2 shown]
	v_fma_f64 v[25:26], v[27:28], v[25:26], s[70:71]
	v_add_f64 v[53:54], v[47:48], -v[51:52]
	v_add_f64 v[31:32], v[45:46], -v[51:52]
	v_fma_f64 v[25:26], v[27:28], v[25:26], s[72:73]
	v_add_f64 v[45:46], v[43:44], v[21:22]
	v_add_f64 v[29:30], v[29:30], -v[53:54]
	v_fma_f64 v[25:26], v[27:28], v[25:26], s[74:75]
	v_add_f64 v[29:30], v[31:32], v[29:30]
	;; [unrolled: 3-line block ×3, first 2 shown]
	v_add_f64 v[45:46], v[45:46], -v[31:32]
	v_fma_f64 v[25:26], v[27:28], v[25:26], s[78:79]
	v_add_f64 v[21:22], v[21:22], -v[31:32]
	v_add_f64 v[49:50], v[47:48], v[29:30]
	v_mul_f64 v[25:26], v[27:28], v[25:26]
	v_add_f64 v[27:28], v[43:44], -v[45:46]
	v_add_f64 v[31:32], v[49:50], -v[47:48]
	v_fma_f64 v[23:24], v[23:24], v[25:26], v[23:24]
	v_add_f64 v[21:22], v[21:22], v[27:28]
	v_add_f64 v[25:26], v[29:30], -v[31:32]
	v_add_f64 v[27:28], -v[23:24], s[80:81]
	v_add_f64 v[21:22], v[21:22], v[25:26]
	v_cndmask_b32_e64 v24, v24, v28, s[0:1]
	v_cndmask_b32_e64 v23, v23, v27, s[0:1]
	v_add_f64 v[25:26], -v[23:24], s[94:95]
	v_and_b32_e32 v28, 0x54442d18, v9
	v_cndmask_b32_e32 v27, v65, v66, vcc
	v_add_f64 v[21:22], v[49:50], v[21:22]
	v_cndmask_b32_e32 v23, v23, v25, vcc
	v_and_b32_e32 v25, 0x400921fb, v9
	v_cndmask_b32_e64 v23, v23, v28, s[2:3]
	v_mul_f64 v[9:10], v[21:22], 0.5
	v_cndmask_b32_e32 v22, v24, v26, vcc
	v_bfi_b32 v21, s42, v27, v12
	v_cndmask_b32_e64 v22, v22, v25, s[2:3]
	s_and_b64 vcc, s[18:19], s[10:11]
	s_and_b64 s[2:3], s[6:7], s[8:9]
	v_cndmask_b32_e32 v24, v22, v21, vcc
	s_mov_b32 s18, 0xb5e68a13
	v_cndmask_b32_e64 v21, 0, v9, s[2:3]
	v_cmp_ngt_f64_e64 s[2:3], -1.0, v[1:2]
	v_cndmask_b32_e64 v10, v60, v10, s[8:9]
	s_mov_b32 s19, 0x3eeba404
	v_cndmask_b32_e32 v23, v23, v3, vcc
	v_cndmask_b32_e64 v9, v61, v10, s[2:3]
	v_cmp_neq_f64_e64 s[2:3], -1.0, v[1:2]
	v_cndmask_b32_e64 v22, v62, v9, s[2:3]
.LBB167_52:                             ;   in Loop: Header=BB167_5 Depth=1
	s_or_b64 exec, exec, s[84:85]
.LBB167_53:                             ;   in Loop: Header=BB167_5 Depth=1
	s_or_b64 exec, exec, s[22:23]
.LBB167_54:                             ;   in Loop: Header=BB167_5 Depth=1
	s_andn2_saveexec_b64 s[8:9], s[20:21]
	s_cbranch_execz .LBB167_56
; %bb.55:                               ;   in Loop: Header=BB167_5 Depth=1
	v_max_f64 v[21:22], |v[11:12]|, |v[11:12]|
	v_max_f64 v[23:24], |v[9:10]|, |v[9:10]|
	v_cmp_class_f64_e64 s[20:21], v[9:10], s44
	v_cmp_class_f64_e64 s[22:23], v[11:12], s44
	s_mov_b32 s89, s25
	s_mov_b32 s94, s80
	v_max_f64 v[25:26], v[23:24], v[21:22]
	v_min_f64 v[21:22], v[23:24], v[21:22]
	v_frexp_exp_i32_f64_e32 v3, v[25:26]
	v_sub_u32_e32 v27, 0, v3
	v_ldexp_f64 v[1:2], |v[11:12]|, v27
	v_ldexp_f64 v[27:28], |v[9:10]|, v27
	v_mul_f64 v[1:2], v[1:2], v[1:2]
	v_fma_f64 v[1:2], v[27:28], v[27:28], v[1:2]
	v_rsq_f64_e32 v[27:28], v[1:2]
	v_cmp_eq_f64_e32 vcc, 0, v[1:2]
	v_mul_f64 v[29:30], v[1:2], v[27:28]
	v_mul_f64 v[27:28], v[27:28], 0.5
	v_fma_f64 v[31:32], -v[27:28], v[29:30], 0.5
	v_fma_f64 v[29:30], v[29:30], v[31:32], v[29:30]
	v_fma_f64 v[27:28], v[27:28], v[31:32], v[27:28]
	v_fma_f64 v[31:32], -v[29:30], v[29:30], v[1:2]
	v_fma_f64 v[27:28], v[31:32], v[27:28], v[29:30]
	v_cndmask_b32_e32 v2, v28, v2, vcc
	v_cndmask_b32_e32 v1, v27, v1, vcc
	v_ldexp_f64 v[1:2], v[1:2], v3
	s_or_b64 vcc, s[20:21], s[22:23]
	v_cndmask_b32_e32 v2, v2, v60, vcc
	v_cndmask_b32_e64 v1, v1, 0, vcc
	v_frexp_mant_f64_e32 v[27:28], v[1:2]
	v_cmp_gt_f64_e64 s[2:3], s[24:25], v[27:28]
	v_cndmask_b32_e64 v3, 0, 1, s[2:3]
	v_ldexp_f64 v[27:28], v[27:28], v3
	v_frexp_exp_i32_f64_e32 v3, v[1:2]
	v_add_f64 v[29:30], v[27:28], 1.0
	v_add_f64 v[45:46], v[27:28], -1.0
	v_rcp_f64_e32 v[31:32], v[29:30]
	v_add_f64 v[49:50], v[29:30], -1.0
	v_add_f64 v[27:28], v[27:28], -v[49:50]
	v_fma_f64 v[43:44], -v[29:30], v[31:32], 1.0
	v_fma_f64 v[23:24], v[43:44], v[31:32], v[31:32]
	v_div_scale_f64 v[31:32], s[6:7], v[25:26], v[25:26], v[21:22]
	s_mov_b32 s6, 0x69efb384
	s_mov_b32 s7, 0x3f4b2bb0
	v_fma_f64 v[43:44], -v[29:30], v[23:24], 1.0
	v_fma_f64 v[23:24], v[43:44], v[23:24], v[23:24]
	v_rcp_f64_e32 v[43:44], v[31:32]
	v_mul_f64 v[47:48], v[45:46], v[23:24]
	v_mul_f64 v[51:52], v[29:30], v[47:48]
	v_fma_f64 v[53:54], -v[31:32], v[43:44], 1.0
	v_fma_f64 v[29:30], v[47:48], v[29:30], -v[51:52]
	v_fma_f64 v[43:44], v[43:44], v[53:54], v[43:44]
	v_fma_f64 v[27:28], v[47:48], v[27:28], v[29:30]
	v_div_scale_f64 v[29:30], vcc, v[21:22], v[25:26], v[21:22]
	v_fma_f64 v[49:50], -v[31:32], v[43:44], 1.0
	v_add_f64 v[53:54], v[51:52], v[27:28]
	v_fma_f64 v[43:44], v[43:44], v[49:50], v[43:44]
	v_add_f64 v[49:50], v[45:46], -v[53:54]
	v_add_f64 v[51:52], v[53:54], -v[51:52]
	v_mul_f64 v[55:56], v[29:30], v[43:44]
	v_add_f64 v[45:46], v[45:46], -v[49:50]
	v_add_f64 v[27:28], v[51:52], -v[27:28]
	v_fma_f64 v[29:30], -v[31:32], v[55:56], v[29:30]
	v_add_f64 v[31:32], v[45:46], -v[53:54]
	v_div_fmas_f64 v[29:30], v[29:30], v[43:44], v[55:56]
	v_subbrev_co_u32_e64 v3, vcc, 0, v3, s[2:3]
	v_cmp_eq_f64_e64 s[2:3], 0, v[11:12]
	v_cmp_gt_i32_e32 vcc, 0, v10
	v_add_f64 v[27:28], v[27:28], v[31:32]
	v_add_f64 v[27:28], v[49:50], v[27:28]
	v_div_fixup_f64 v[21:22], v[29:30], v[25:26], v[21:22]
	v_mul_f64 v[23:24], v[23:24], v[27:28]
	v_mul_f64 v[25:26], v[21:22], v[21:22]
	v_add_f64 v[27:28], v[47:48], v[23:24]
	v_fma_f64 v[29:30], v[25:26], s[18:19], v[37:38]
	v_mul_f64 v[31:32], v[27:28], v[27:28]
	v_fma_f64 v[29:30], v[25:26], v[29:30], s[6:7]
	v_cmp_class_f64_e64 s[6:7], v[1:2], s44
	v_fma_f64 v[43:44], v[31:32], s[26:27], v[35:36]
	v_mul_f64 v[45:46], v[27:28], v[31:32]
	v_fma_f64 v[29:30], v[25:26], v[29:30], s[46:47]
	v_fma_f64 v[43:44], v[31:32], v[43:44], s[28:29]
	;; [unrolled: 1-line block ×10, first 2 shown]
	v_ldexp_f64 v[43:44], v[27:28], 1
	v_add_f64 v[27:28], v[27:28], -v[47:48]
	v_fma_f64 v[29:30], v[25:26], v[29:30], s[56:57]
	v_cvt_f64_i32_e32 v[47:48], v3
	v_ashrrev_i32_e32 v3, 31, v10
	v_mul_f64 v[31:32], v[45:46], v[31:32]
	v_mul_f64 v[49:50], v[47:48], s[38:39]
	v_add_f64 v[23:24], v[23:24], -v[27:28]
	v_fma_f64 v[29:30], v[25:26], v[29:30], s[58:59]
	v_add_f64 v[45:46], v[43:44], v[31:32]
	v_ldexp_f64 v[23:24], v[23:24], 1
	v_fma_f64 v[29:30], v[25:26], v[29:30], s[60:61]
	v_add_f64 v[27:28], v[45:46], -v[43:44]
	v_fma_f64 v[43:44], v[47:48], s[38:39], -v[49:50]
	v_fma_f64 v[29:30], v[25:26], v[29:30], s[62:63]
	v_add_f64 v[27:28], v[31:32], -v[27:28]
	v_fma_f64 v[31:32], v[47:48], s[40:41], v[43:44]
	v_fma_f64 v[29:30], v[25:26], v[29:30], s[64:65]
	v_add_f64 v[23:24], v[23:24], v[27:28]
	v_fma_f64 v[27:28], v[25:26], v[29:30], s[66:67]
	v_add_f64 v[29:30], v[49:50], v[31:32]
	v_add_f64 v[43:44], v[45:46], v[23:24]
	v_fma_f64 v[27:28], v[25:26], v[27:28], s[68:69]
	v_add_f64 v[49:50], v[29:30], -v[49:50]
	v_add_f64 v[47:48], v[29:30], v[43:44]
	v_add_f64 v[45:46], v[43:44], -v[45:46]
	v_fma_f64 v[27:28], v[25:26], v[27:28], s[70:71]
	v_add_f64 v[31:32], v[31:32], -v[49:50]
	v_add_f64 v[51:52], v[47:48], -v[29:30]
	;; [unrolled: 1-line block ×3, first 2 shown]
	v_fma_f64 v[27:28], v[25:26], v[27:28], s[72:73]
	v_add_f64 v[53:54], v[47:48], -v[51:52]
	v_add_f64 v[43:44], v[43:44], -v[51:52]
	v_add_f64 v[45:46], v[31:32], v[23:24]
	v_fma_f64 v[27:28], v[25:26], v[27:28], s[74:75]
	v_add_f64 v[29:30], v[29:30], -v[53:54]
	v_fma_f64 v[27:28], v[25:26], v[27:28], s[76:77]
	v_add_f64 v[29:30], v[43:44], v[29:30]
	v_add_f64 v[43:44], v[45:46], -v[31:32]
	v_fma_f64 v[27:28], v[25:26], v[27:28], s[78:79]
	v_add_f64 v[29:30], v[45:46], v[29:30]
	v_add_f64 v[23:24], v[23:24], -v[43:44]
	v_mul_f64 v[25:26], v[25:26], v[27:28]
	v_add_f64 v[27:28], v[45:46], -v[43:44]
	v_add_f64 v[45:46], v[47:48], v[29:30]
	v_fma_f64 v[21:22], v[21:22], v[25:26], v[21:22]
	v_add_f64 v[25:26], v[31:32], -v[27:28]
	v_add_f64 v[27:28], v[45:46], -v[47:48]
	v_add_f64 v[31:32], -v[21:22], s[80:81]
	v_add_f64 v[23:24], v[23:24], v[25:26]
	v_add_f64 v[25:26], v[29:30], -v[27:28]
	v_cndmask_b32_e64 v22, v22, v32, s[0:1]
	v_cndmask_b32_e64 v21, v21, v31, s[0:1]
	v_add_f64 v[27:28], -v[21:22], s[94:95]
	v_add_f64 v[23:24], v[23:24], v[25:26]
	v_and_b32_e32 v26, 0x54442d18, v3
	v_and_b32_e32 v3, 0x400921fb, v3
	v_cndmask_b32_e32 v25, v63, v64, vcc
	v_cndmask_b32_e32 v21, v21, v27, vcc
	;; [unrolled: 1-line block ×3, first 2 shown]
	v_cndmask_b32_e64 v26, v21, v26, s[2:3]
	v_add_f64 v[9:10], v[45:46], v[23:24]
	v_cndmask_b32_e64 v3, v22, v3, s[2:3]
	v_cmp_ngt_f64_e64 s[2:3], 0, v[1:2]
	v_cndmask_b32_e32 v27, v65, v66, vcc
	v_bfi_b32 v23, s42, v27, v12
	s_and_b64 vcc, s[20:21], s[22:23]
	v_cndmask_b32_e32 v24, v3, v23, vcc
	v_cndmask_b32_e32 v23, v26, v25, vcc
	v_cndmask_b32_e64 v3, v9, v1, s[6:7]
	v_cndmask_b32_e64 v9, v10, v2, s[6:7]
	;; [unrolled: 1-line block ×3, first 2 shown]
	v_cmp_nge_f64_e64 s[2:3], 0, v[1:2]
	v_cndmask_b32_e64 v21, 0, v3, s[2:3]
	v_cmp_neq_f64_e64 s[2:3], 0, v[1:2]
	v_cndmask_b32_e64 v22, v62, v9, s[2:3]
.LBB167_56:                             ;   in Loop: Header=BB167_5 Depth=1
	s_or_b64 exec, exec, s[8:9]
                                        ; implicit-def: $vgpr25_vgpr26
.LBB167_57:                             ;   in Loop: Header=BB167_5 Depth=1
	s_andn2_saveexec_b64 s[8:9], s[90:91]
	s_cbranch_execz .LBB167_63
; %bb.58:                               ;   in Loop: Header=BB167_5 Depth=1
	s_mov_b32 s2, 0x6a3f9475
	s_mov_b32 s3, 0x20ca2fe7
	v_cmp_ngt_f64_e32 vcc, s[2:3], v[25:26]
                                        ; implicit-def: $vgpr21_vgpr22
	s_and_saveexec_b64 s[2:3], vcc
	s_xor_b64 s[20:21], exec, s[2:3]
	s_cbranch_execz .LBB167_60
; %bb.59:                               ;   in Loop: Header=BB167_5 Depth=1
	v_mul_f64 v[1:2], v[25:26], v[25:26]
	s_mov_b32 s89, s25
	s_mov_b32 s94, s80
	;; [unrolled: 1-line block ×3, first 2 shown]
	v_cmp_class_f64_e64 s[10:11], v[11:12], s44
	s_mov_b32 s7, 0x7ff00000
	v_add_f64 v[21:22], v[1:2], 1.0
	v_cmp_neq_f64_e64 s[6:7], s[6:7], v[1:2]
	v_frexp_mant_f64_e32 v[25:26], v[21:22]
	v_frexp_exp_i32_f64_e32 v3, v[21:22]
	v_add_f64 v[23:24], v[21:22], -1.0
	v_cmp_gt_f64_e32 vcc, s[24:25], v[25:26]
	v_add_f64 v[27:28], v[23:24], -v[21:22]
	v_add_f64 v[23:24], v[1:2], -v[23:24]
	v_subbrev_co_u32_e32 v3, vcc, 0, v3, vcc
	v_sub_u32_e32 v29, 0, v3
	v_ldexp_f64 v[21:22], v[21:22], v29
	v_add_f64 v[25:26], v[27:28], 1.0
	v_add_f64 v[27:28], v[21:22], 1.0
	v_add_f64 v[23:24], v[23:24], v[25:26]
	v_add_f64 v[43:44], v[21:22], -1.0
	v_add_f64 v[25:26], v[27:28], -1.0
	v_ldexp_f64 v[23:24], v[23:24], v29
	v_add_f64 v[45:46], v[43:44], 1.0
	v_add_f64 v[25:26], v[21:22], -v[25:26]
	v_add_f64 v[21:22], v[21:22], -v[45:46]
	v_add_f64 v[29:30], v[23:24], v[25:26]
	v_add_f64 v[45:46], v[23:24], v[21:22]
	;; [unrolled: 1-line block ×3, first 2 shown]
	v_rcp_f64_e32 v[31:32], v[25:26]
	v_add_f64 v[27:28], v[27:28], -v[25:26]
	v_add_f64 v[29:30], v[29:30], v[27:28]
	v_fma_f64 v[47:48], -v[25:26], v[31:32], 1.0
	v_fma_f64 v[31:32], v[47:48], v[31:32], v[31:32]
	v_add_f64 v[47:48], v[43:44], v[45:46]
	v_fma_f64 v[21:22], -v[25:26], v[31:32], 1.0
	v_add_f64 v[43:44], v[43:44], -v[47:48]
	v_fma_f64 v[21:22], v[21:22], v[31:32], v[31:32]
	v_add_f64 v[43:44], v[45:46], v[43:44]
	v_mul_f64 v[23:24], v[47:48], v[21:22]
	v_mul_f64 v[31:32], v[25:26], v[23:24]
	v_fma_f64 v[27:28], v[23:24], v[25:26], -v[31:32]
	v_fma_f64 v[49:50], v[23:24], v[29:30], v[27:28]
	v_add_f64 v[51:52], v[31:32], v[49:50]
	v_add_f64 v[27:28], v[47:48], -v[51:52]
	v_add_f64 v[31:32], v[51:52], -v[31:32]
	;; [unrolled: 1-line block ×5, first 2 shown]
	v_add_f64 v[43:44], v[43:44], v[45:46]
	v_max_f64 v[45:46], |v[9:10]|, |v[9:10]|
	v_add_f64 v[31:32], v[31:32], v[43:44]
	v_max_f64 v[43:44], |v[11:12]|, |v[11:12]|
	v_add_f64 v[47:48], v[27:28], v[31:32]
	v_max_f64 v[49:50], v[45:46], v[43:44]
	v_min_f64 v[43:44], v[45:46], v[43:44]
	v_mul_f64 v[45:46], v[21:22], v[47:48]
	v_add_f64 v[27:28], v[27:28], -v[47:48]
	v_div_scale_f64 v[51:52], s[2:3], v[49:50], v[49:50], v[43:44]
	s_mov_b32 s2, 0x69efb384
	s_mov_b32 s3, 0x3f4b2bb0
	v_mul_f64 v[53:54], v[25:26], v[45:46]
	v_add_f64 v[27:28], v[31:32], v[27:28]
	v_fma_f64 v[25:26], v[45:46], v[25:26], -v[53:54]
	v_rcp_f64_e32 v[55:56], v[51:52]
	v_fma_f64 v[25:26], v[45:46], v[29:30], v[25:26]
	v_add_f64 v[29:30], v[53:54], v[25:26]
	v_fma_f64 v[57:58], -v[51:52], v[55:56], 1.0
	v_add_f64 v[67:68], v[47:48], -v[29:30]
	v_add_f64 v[31:32], v[29:30], -v[53:54]
	v_fma_f64 v[55:56], v[55:56], v[57:58], v[55:56]
	v_div_scale_f64 v[57:58], vcc, v[43:44], v[49:50], v[43:44]
	v_add_f64 v[47:48], v[47:48], -v[67:68]
	v_add_f64 v[25:26], v[31:32], -v[25:26]
	v_fma_f64 v[69:70], -v[51:52], v[55:56], 1.0
	v_add_f64 v[31:32], v[23:24], v[45:46]
	v_add_f64 v[29:30], v[47:48], -v[29:30]
	v_fma_f64 v[47:48], v[55:56], v[69:70], v[55:56]
	v_add_f64 v[23:24], v[31:32], -v[23:24]
	v_add_f64 v[27:28], v[27:28], v[29:30]
	v_mul_f64 v[29:30], v[57:58], v[47:48]
	v_add_f64 v[23:24], v[45:46], -v[23:24]
	v_add_f64 v[25:26], v[25:26], v[27:28]
	v_fma_f64 v[27:28], -v[51:52], v[29:30], v[57:58]
	v_add_f64 v[25:26], v[67:68], v[25:26]
	v_div_fmas_f64 v[27:28], v[27:28], v[47:48], v[29:30]
	v_cmp_gt_i32_e32 vcc, 0, v10
	v_mul_f64 v[21:22], v[21:22], v[25:26]
	v_add_f64 v[21:22], v[23:24], v[21:22]
	v_div_fixup_f64 v[23:24], v[27:28], v[49:50], v[43:44]
	v_add_f64 v[25:26], v[31:32], v[21:22]
	v_mul_f64 v[27:28], v[23:24], v[23:24]
	v_mul_f64 v[29:30], v[25:26], v[25:26]
	v_fma_f64 v[43:44], v[27:28], s[18:19], v[37:38]
	v_cmp_class_f64_e64 s[18:19], v[9:10], s44
	v_ashrrev_i32_e32 v9, 31, v10
	v_fma_f64 v[45:46], v[29:30], s[26:27], v[35:36]
	v_mul_f64 v[47:48], v[25:26], v[29:30]
	v_fma_f64 v[43:44], v[27:28], v[43:44], s[2:3]
	v_cmp_eq_f64_e64 s[2:3], 0, v[11:12]
	v_fma_f64 v[45:46], v[29:30], v[45:46], s[28:29]
	v_fma_f64 v[43:44], v[27:28], v[43:44], s[46:47]
	;; [unrolled: 1-line block ×9, first 2 shown]
	v_ldexp_f64 v[45:46], v[25:26], 1
	v_fma_f64 v[43:44], v[27:28], v[43:44], s[54:55]
	v_add_f64 v[25:26], v[25:26], -v[31:32]
	v_mul_f64 v[29:30], v[47:48], v[29:30]
	v_cvt_f64_i32_e32 v[47:48], v3
	v_fma_f64 v[43:44], v[27:28], v[43:44], s[56:57]
	v_add_f64 v[21:22], v[21:22], -v[25:26]
	v_cndmask_b32_e32 v3, v63, v64, vcc
	v_mul_f64 v[49:50], v[47:48], s[38:39]
	v_add_f64 v[31:32], v[45:46], v[29:30]
	v_fma_f64 v[43:44], v[27:28], v[43:44], s[58:59]
	v_ldexp_f64 v[21:22], v[21:22], 1
	v_add_f64 v[25:26], v[31:32], -v[45:46]
	v_fma_f64 v[45:46], v[47:48], s[38:39], -v[49:50]
	v_fma_f64 v[43:44], v[27:28], v[43:44], s[60:61]
	v_add_f64 v[25:26], v[29:30], -v[25:26]
	v_fma_f64 v[29:30], v[27:28], v[43:44], s[62:63]
	v_fma_f64 v[43:44], v[47:48], s[40:41], v[45:46]
	v_add_f64 v[21:22], v[21:22], v[25:26]
	v_fma_f64 v[25:26], v[27:28], v[29:30], s[64:65]
	v_add_f64 v[29:30], v[49:50], v[43:44]
	v_add_f64 v[45:46], v[31:32], v[21:22]
	v_fma_f64 v[25:26], v[27:28], v[25:26], s[66:67]
	v_add_f64 v[49:50], v[29:30], -v[49:50]
	v_add_f64 v[47:48], v[29:30], v[45:46]
	v_add_f64 v[31:32], v[45:46], -v[31:32]
	v_fma_f64 v[25:26], v[27:28], v[25:26], s[68:69]
	v_add_f64 v[43:44], v[43:44], -v[49:50]
	v_add_f64 v[51:52], v[47:48], -v[29:30]
	;; [unrolled: 1-line block ×3, first 2 shown]
	v_fma_f64 v[25:26], v[27:28], v[25:26], s[70:71]
	v_add_f64 v[53:54], v[47:48], -v[51:52]
	v_add_f64 v[31:32], v[45:46], -v[51:52]
	v_fma_f64 v[25:26], v[27:28], v[25:26], s[72:73]
	v_add_f64 v[45:46], v[43:44], v[21:22]
	v_add_f64 v[29:30], v[29:30], -v[53:54]
	v_fma_f64 v[25:26], v[27:28], v[25:26], s[74:75]
	v_add_f64 v[29:30], v[31:32], v[29:30]
	;; [unrolled: 3-line block ×3, first 2 shown]
	v_add_f64 v[45:46], v[45:46], -v[31:32]
	v_fma_f64 v[25:26], v[27:28], v[25:26], s[78:79]
	v_add_f64 v[21:22], v[21:22], -v[31:32]
	v_add_f64 v[49:50], v[47:48], v[29:30]
	v_mul_f64 v[25:26], v[27:28], v[25:26]
	v_add_f64 v[27:28], v[43:44], -v[45:46]
	v_add_f64 v[31:32], v[49:50], -v[47:48]
	v_fma_f64 v[23:24], v[23:24], v[25:26], v[23:24]
	v_add_f64 v[21:22], v[21:22], v[27:28]
	v_add_f64 v[25:26], v[29:30], -v[31:32]
	v_add_f64 v[27:28], -v[23:24], s[80:81]
	v_add_f64 v[21:22], v[21:22], v[25:26]
	v_cndmask_b32_e64 v24, v24, v28, s[0:1]
	v_cndmask_b32_e64 v23, v23, v27, s[0:1]
	v_add_f64 v[25:26], -v[23:24], s[94:95]
	v_and_b32_e32 v27, 0x54442d18, v9
	v_and_b32_e32 v28, 0x400921fb, v9
	v_add_f64 v[21:22], v[49:50], v[21:22]
	v_cndmask_b32_e32 v23, v23, v25, vcc
	v_cndmask_b32_e32 v25, v65, v66, vcc
	;; [unrolled: 1-line block ×3, first 2 shown]
	v_bfi_b32 v1, s42, v25, v12
	v_mul_f64 v[9:10], v[21:22], 0.5
	v_cndmask_b32_e64 v23, v23, v27, s[2:3]
	v_cndmask_b32_e64 v2, v2, v28, s[2:3]
	s_and_b64 vcc, s[18:19], s[10:11]
	s_mov_b32 s18, 0xb5e68a13
	s_mov_b32 s19, 0x3eeba404
	v_cndmask_b32_e32 v24, v2, v1, vcc
	v_cndmask_b32_e32 v23, v23, v3, vcc
	v_cndmask_b32_e64 v22, v60, v10, s[6:7]
	v_cndmask_b32_e64 v21, 0, v9, s[6:7]
                                        ; implicit-def: $vgpr25_vgpr26
.LBB167_60:                             ;   in Loop: Header=BB167_5 Depth=1
	s_andn2_saveexec_b64 s[6:7], s[20:21]
	s_cbranch_execz .LBB167_62
; %bb.61:                               ;   in Loop: Header=BB167_5 Depth=1
	v_max_f64 v[1:2], |v[11:12]|, |v[11:12]|
	v_max_f64 v[21:22], |v[9:10]|, |v[9:10]|
	s_mov_b32 s94, s80
	v_cmp_class_f64_e64 s[10:11], v[11:12], s44
	v_ashrrev_i32_e32 v3, 31, v10
	v_max_f64 v[23:24], v[21:22], v[1:2]
	v_min_f64 v[1:2], v[21:22], v[1:2]
	v_div_scale_f64 v[21:22], s[2:3], v[23:24], v[23:24], v[1:2]
	s_mov_b32 s2, 0x69efb384
	s_mov_b32 s3, 0x3f4b2bb0
	v_rcp_f64_e32 v[27:28], v[21:22]
	v_fma_f64 v[29:30], -v[21:22], v[27:28], 1.0
	v_fma_f64 v[27:28], v[27:28], v[29:30], v[27:28]
	v_div_scale_f64 v[29:30], vcc, v[1:2], v[23:24], v[1:2]
	v_fma_f64 v[31:32], -v[21:22], v[27:28], 1.0
	v_fma_f64 v[27:28], v[27:28], v[31:32], v[27:28]
	v_mul_f64 v[31:32], v[29:30], v[27:28]
	v_fma_f64 v[21:22], -v[21:22], v[31:32], v[29:30]
	v_div_fmas_f64 v[21:22], v[21:22], v[27:28], v[31:32]
	v_mul_f64 v[27:28], v[25:26], 0.5
	v_cmp_gt_i32_e32 vcc, 0, v10
	v_cndmask_b32_e32 v29, v63, v64, vcc
	v_div_fixup_f64 v[1:2], v[21:22], v[23:24], v[1:2]
	v_mul_f64 v[21:22], v[1:2], v[1:2]
	v_fma_f64 v[23:24], v[21:22], s[18:19], v[37:38]
	v_cmp_class_f64_e64 s[18:19], v[9:10], s44
	v_cndmask_b32_e32 v9, v65, v66, vcc
	v_bfi_b32 v9, s42, v9, v12
	v_fma_f64 v[23:24], v[21:22], v[23:24], s[2:3]
	v_cmp_eq_f64_e64 s[2:3], 0, v[11:12]
	v_fma_f64 v[23:24], v[21:22], v[23:24], s[46:47]
	v_fma_f64 v[23:24], v[21:22], v[23:24], s[48:49]
	;; [unrolled: 1-line block ×17, first 2 shown]
	v_mul_f64 v[21:22], v[21:22], v[23:24]
	v_and_b32_e32 v24, 0x54442d18, v3
	v_and_b32_e32 v3, 0x400921fb, v3
	v_fma_f64 v[1:2], v[1:2], v[21:22], v[1:2]
	v_add_f64 v[21:22], -v[1:2], s[80:81]
	v_cndmask_b32_e64 v2, v2, v22, s[0:1]
	v_cndmask_b32_e64 v1, v1, v21, s[0:1]
	v_add_f64 v[22:23], -v[1:2], s[94:95]
	v_cndmask_b32_e32 v1, v1, v22, vcc
	v_mul_f64 v[21:22], v[25:26], v[27:28]
	v_cndmask_b32_e32 v2, v2, v23, vcc
	v_cndmask_b32_e64 v1, v1, v24, s[2:3]
	v_cndmask_b32_e64 v2, v2, v3, s[2:3]
	s_and_b64 vcc, s[18:19], s[10:11]
	s_mov_b32 s18, 0xb5e68a13
	s_mov_b32 s19, 0x3eeba404
	v_cndmask_b32_e32 v24, v2, v9, vcc
	v_cndmask_b32_e32 v23, v1, v29, vcc
.LBB167_62:                             ;   in Loop: Header=BB167_5 Depth=1
	s_or_b64 exec, exec, s[6:7]
.LBB167_63:                             ;   in Loop: Header=BB167_5 Depth=1
	s_or_b64 exec, exec, s[8:9]
.LBB167_64:                             ;   in Loop: Header=BB167_5 Depth=1
	s_andn2_saveexec_b64 s[6:7], s[14:15]
	s_cbranch_execz .LBB167_66
; %bb.65:                               ;   in Loop: Header=BB167_5 Depth=1
	v_div_scale_f64 v[1:2], s[2:3], s[86:87], s[86:87], v[9:10]
	v_div_scale_f64 v[21:22], s[2:3], s[86:87], s[86:87], v[11:12]
	;; [unrolled: 1-line block ×3, first 2 shown]
	s_mov_b32 s89, s25
	s_mov_b32 s94, s80
	v_cmp_class_f64_e64 s[10:11], v[9:10], s44
	v_rcp_f64_e32 v[23:24], v[1:2]
	v_rcp_f64_e32 v[25:26], v[21:22]
	v_fma_f64 v[27:28], -v[1:2], v[23:24], 1.0
	v_fma_f64 v[29:30], -v[21:22], v[25:26], 1.0
	v_fma_f64 v[23:24], v[23:24], v[27:28], v[23:24]
	v_div_scale_f64 v[27:28], vcc, v[9:10], s[86:87], v[9:10]
	v_fma_f64 v[25:26], v[25:26], v[29:30], v[25:26]
	v_fma_f64 v[29:30], -v[1:2], v[23:24], 1.0
	v_fma_f64 v[43:44], -v[21:22], v[25:26], 1.0
	v_fma_f64 v[23:24], v[23:24], v[29:30], v[23:24]
	v_fma_f64 v[25:26], v[25:26], v[43:44], v[25:26]
	v_mul_f64 v[29:30], v[27:28], v[23:24]
	v_mul_f64 v[43:44], v[31:32], v[25:26]
	v_fma_f64 v[1:2], -v[1:2], v[29:30], v[27:28]
	v_fma_f64 v[21:22], -v[21:22], v[43:44], v[31:32]
	v_max_f64 v[31:32], |v[9:10]|, |v[9:10]|
	v_div_fmas_f64 v[1:2], v[1:2], v[23:24], v[29:30]
	s_mov_b64 vcc, s[2:3]
	v_div_fmas_f64 v[21:22], v[21:22], v[25:26], v[43:44]
	v_div_fixup_f64 v[1:2], v[1:2], s[86:87], v[9:10]
	v_ashrrev_i32_e32 v9, 31, v10
	v_div_fixup_f64 v[21:22], v[21:22], s[86:87], v[11:12]
	v_cmp_class_f64_e64 s[2:3], v[1:2], s44
	v_max_f64 v[23:24], |v[1:2]|, |v[21:22]|
	v_cmp_class_f64_e64 s[8:9], v[21:22], s44
	v_frexp_exp_i32_f64_e32 v3, v[23:24]
	v_sub_u32_e32 v25, 0, v3
	v_ldexp_f64 v[23:24], |v[21:22]|, v25
	v_ldexp_f64 v[25:26], |v[1:2]|, v25
	v_mul_f64 v[23:24], v[23:24], v[23:24]
	v_fma_f64 v[23:24], v[25:26], v[25:26], v[23:24]
	v_rsq_f64_e32 v[25:26], v[23:24]
	v_cmp_eq_f64_e32 vcc, 0, v[23:24]
	v_mul_f64 v[27:28], v[23:24], v[25:26]
	v_mul_f64 v[25:26], v[25:26], 0.5
	v_fma_f64 v[29:30], -v[25:26], v[27:28], 0.5
	v_fma_f64 v[27:28], v[27:28], v[29:30], v[27:28]
	v_fma_f64 v[25:26], v[25:26], v[29:30], v[25:26]
	v_fma_f64 v[29:30], -v[27:28], v[27:28], v[23:24]
	v_fma_f64 v[25:26], v[29:30], v[25:26], v[27:28]
	v_max_f64 v[29:30], |v[11:12]|, |v[11:12]|
	v_cndmask_b32_e32 v24, v26, v24, vcc
	v_cndmask_b32_e32 v23, v25, v23, vcc
	v_ldexp_f64 v[23:24], v[23:24], v3
	v_cmp_o_f64_e32 vcc, v[1:2], v[21:22]
	v_cndmask_b32_e32 v1, 0, v23, vcc
	v_cndmask_b32_e32 v2, v61, v24, vcc
	s_or_b64 vcc, s[2:3], s[8:9]
	v_cndmask_b32_e32 v2, v2, v60, vcc
	v_cndmask_b32_e64 v1, v1, 0, vcc
	v_frexp_mant_f64_e32 v[21:22], v[1:2]
	v_cmp_gt_f64_e64 s[2:3], s[24:25], v[21:22]
	v_cndmask_b32_e64 v3, 0, 1, s[2:3]
	v_ldexp_f64 v[21:22], v[21:22], v3
	v_frexp_exp_i32_f64_e32 v3, v[1:2]
	v_add_f64 v[23:24], v[21:22], 1.0
	v_add_f64 v[45:46], v[21:22], -1.0
	v_rcp_f64_e32 v[25:26], v[23:24]
	v_add_f64 v[49:50], v[23:24], -1.0
	v_add_f64 v[21:22], v[21:22], -v[49:50]
	v_fma_f64 v[27:28], -v[23:24], v[25:26], 1.0
	v_fma_f64 v[25:26], v[27:28], v[25:26], v[25:26]
	v_max_f64 v[27:28], v[31:32], v[29:30]
	v_min_f64 v[29:30], v[31:32], v[29:30]
	v_fma_f64 v[31:32], -v[23:24], v[25:26], 1.0
	v_div_scale_f64 v[43:44], s[8:9], v[27:28], v[27:28], v[29:30]
	s_mov_b32 s8, 0x69efb384
	s_mov_b32 s9, 0x3f4b2bb0
	v_fma_f64 v[25:26], v[31:32], v[25:26], v[25:26]
	v_mul_f64 v[31:32], v[45:46], v[25:26]
	v_rcp_f64_e32 v[47:48], v[43:44]
	v_mul_f64 v[51:52], v[23:24], v[31:32]
	v_fma_f64 v[23:24], v[31:32], v[23:24], -v[51:52]
	v_fma_f64 v[49:50], -v[43:44], v[47:48], 1.0
	v_fma_f64 v[21:22], v[31:32], v[21:22], v[23:24]
	v_fma_f64 v[23:24], v[47:48], v[49:50], v[47:48]
	v_div_scale_f64 v[49:50], vcc, v[29:30], v[27:28], v[29:30]
	v_add_f64 v[47:48], v[51:52], v[21:22]
	v_fma_f64 v[53:54], -v[43:44], v[23:24], 1.0
	v_add_f64 v[55:56], v[45:46], -v[47:48]
	v_add_f64 v[51:52], v[47:48], -v[51:52]
	v_fma_f64 v[23:24], v[23:24], v[53:54], v[23:24]
	v_add_f64 v[45:46], v[45:46], -v[55:56]
	v_add_f64 v[21:22], v[51:52], -v[21:22]
	v_mul_f64 v[53:54], v[49:50], v[23:24]
	v_add_f64 v[45:46], v[45:46], -v[47:48]
	v_fma_f64 v[43:44], -v[43:44], v[53:54], v[49:50]
	v_add_f64 v[21:22], v[21:22], v[45:46]
	v_div_fmas_f64 v[23:24], v[43:44], v[23:24], v[53:54]
	v_subbrev_co_u32_e64 v3, vcc, 0, v3, s[2:3]
	v_cmp_gt_i32_e32 vcc, 0, v10
	v_cmp_eq_f64_e64 s[2:3], 0, v[11:12]
	v_add_f64 v[21:22], v[55:56], v[21:22]
	v_mul_f64 v[21:22], v[25:26], v[21:22]
	v_div_fixup_f64 v[23:24], v[23:24], v[27:28], v[29:30]
	v_add_f64 v[25:26], v[31:32], v[21:22]
	v_mul_f64 v[27:28], v[23:24], v[23:24]
	v_mul_f64 v[29:30], v[25:26], v[25:26]
	v_fma_f64 v[43:44], v[27:28], s[18:19], v[37:38]
	v_fma_f64 v[45:46], v[29:30], s[26:27], v[35:36]
	v_mul_f64 v[47:48], v[25:26], v[29:30]
	v_fma_f64 v[43:44], v[27:28], v[43:44], s[8:9]
	v_cmp_class_f64_e64 s[8:9], v[11:12], s44
	v_fma_f64 v[45:46], v[29:30], v[45:46], s[28:29]
	v_fma_f64 v[43:44], v[27:28], v[43:44], s[46:47]
	;; [unrolled: 1-line block ×9, first 2 shown]
	v_ldexp_f64 v[45:46], v[25:26], 1
	v_fma_f64 v[43:44], v[27:28], v[43:44], s[54:55]
	v_add_f64 v[25:26], v[25:26], -v[31:32]
	v_mul_f64 v[29:30], v[47:48], v[29:30]
	v_cvt_f64_i32_e32 v[47:48], v3
	v_fma_f64 v[43:44], v[27:28], v[43:44], s[56:57]
	v_add_f64 v[21:22], v[21:22], -v[25:26]
	v_cndmask_b32_e32 v3, v63, v64, vcc
	v_mul_f64 v[49:50], v[47:48], s[38:39]
	v_add_f64 v[31:32], v[45:46], v[29:30]
	v_fma_f64 v[43:44], v[27:28], v[43:44], s[58:59]
	v_ldexp_f64 v[21:22], v[21:22], 1
	v_add_f64 v[25:26], v[31:32], -v[45:46]
	v_fma_f64 v[45:46], v[47:48], s[38:39], -v[49:50]
	v_fma_f64 v[43:44], v[27:28], v[43:44], s[60:61]
	v_add_f64 v[25:26], v[29:30], -v[25:26]
	v_fma_f64 v[29:30], v[27:28], v[43:44], s[62:63]
	v_fma_f64 v[43:44], v[47:48], s[40:41], v[45:46]
	v_add_f64 v[21:22], v[21:22], v[25:26]
	v_fma_f64 v[25:26], v[27:28], v[29:30], s[64:65]
	v_add_f64 v[29:30], v[49:50], v[43:44]
	v_add_f64 v[45:46], v[31:32], v[21:22]
	v_fma_f64 v[25:26], v[27:28], v[25:26], s[66:67]
	v_add_f64 v[49:50], v[29:30], -v[49:50]
	v_add_f64 v[47:48], v[29:30], v[45:46]
	v_add_f64 v[31:32], v[45:46], -v[31:32]
	v_fma_f64 v[25:26], v[27:28], v[25:26], s[68:69]
	v_add_f64 v[43:44], v[43:44], -v[49:50]
	v_add_f64 v[51:52], v[47:48], -v[29:30]
	;; [unrolled: 1-line block ×3, first 2 shown]
	v_fma_f64 v[25:26], v[27:28], v[25:26], s[70:71]
	v_add_f64 v[53:54], v[47:48], -v[51:52]
	v_add_f64 v[31:32], v[45:46], -v[51:52]
	v_fma_f64 v[25:26], v[27:28], v[25:26], s[72:73]
	v_add_f64 v[45:46], v[43:44], v[21:22]
	v_add_f64 v[29:30], v[29:30], -v[53:54]
	v_fma_f64 v[25:26], v[27:28], v[25:26], s[74:75]
	v_add_f64 v[29:30], v[31:32], v[29:30]
	;; [unrolled: 3-line block ×3, first 2 shown]
	v_add_f64 v[45:46], v[45:46], -v[31:32]
	v_fma_f64 v[25:26], v[27:28], v[25:26], s[78:79]
	v_add_f64 v[21:22], v[21:22], -v[31:32]
	v_add_f64 v[49:50], v[47:48], v[29:30]
	v_mul_f64 v[25:26], v[27:28], v[25:26]
	v_add_f64 v[27:28], v[43:44], -v[45:46]
	v_add_f64 v[31:32], v[49:50], -v[47:48]
	v_fma_f64 v[23:24], v[23:24], v[25:26], v[23:24]
	v_add_f64 v[21:22], v[21:22], v[27:28]
	v_add_f64 v[25:26], v[29:30], -v[31:32]
	v_add_f64 v[27:28], -v[23:24], s[80:81]
	v_add_f64 v[21:22], v[21:22], v[25:26]
	v_cndmask_b32_e64 v24, v24, v28, s[0:1]
	v_cndmask_b32_e64 v23, v23, v27, s[0:1]
	v_add_f64 v[25:26], -v[23:24], s[94:95]
	v_cmp_class_f64_e64 s[0:1], v[1:2], s44
	v_and_b32_e32 v28, 0x54442d18, v9
	v_cndmask_b32_e32 v27, v65, v66, vcc
	v_add_f64 v[21:22], v[49:50], v[21:22]
	v_cndmask_b32_e32 v23, v23, v25, vcc
	v_and_b32_e32 v25, 0x400921fb, v9
	v_cndmask_b32_e64 v23, v23, v28, s[2:3]
	v_cndmask_b32_e64 v10, v22, v2, s[0:1]
	;; [unrolled: 1-line block ×3, first 2 shown]
	v_add_f64 v[9:10], v[9:10], 1.0
	v_cmp_ngt_f64_e64 s[0:1], 0, v[1:2]
	v_cndmask_b32_e32 v22, v24, v26, vcc
	v_bfi_b32 v21, s42, v27, v12
	v_cndmask_b32_e64 v22, v22, v25, s[2:3]
	s_and_b64 vcc, s[10:11], s[8:9]
	v_cndmask_b32_e32 v24, v22, v21, vcc
	v_cndmask_b32_e32 v23, v23, v3, vcc
	v_cndmask_b32_e64 v10, v61, v10, s[0:1]
	v_cmp_nge_f64_e64 s[0:1], 0, v[1:2]
	v_cndmask_b32_e64 v21, 0, v9, s[0:1]
	v_cmp_neq_f64_e64 s[0:1], 0, v[1:2]
	v_cndmask_b32_e64 v22, v62, v10, s[0:1]
.LBB167_66:                             ;   in Loop: Header=BB167_5 Depth=1
	s_or_b64 exec, exec, s[6:7]
.LBB167_67:                             ;   in Loop: Header=BB167_5 Depth=1
	s_andn2_saveexec_b64 s[0:1], s[82:83]
	s_cbranch_execz .LBB167_73
; %bb.68:                               ;   in Loop: Header=BB167_5 Depth=1
	v_cmp_nlt_f64_e64 s[2:3], |v[9:10]|, s[92:93]
	v_cmp_nlt_f64_e64 s[6:7], |v[11:12]|, s[92:93]
                                        ; implicit-def: $vgpr1_vgpr2
	s_or_b64 s[2:3], s[2:3], s[6:7]
	s_and_saveexec_b64 s[6:7], s[2:3]
	s_xor_b64 s[2:3], exec, s[6:7]
	s_cbranch_execz .LBB167_70
; %bb.69:                               ;   in Loop: Header=BB167_5 Depth=1
	v_mul_f64 v[1:2], v[11:12], v[11:12]
	v_fma_f64 v[1:2], v[9:10], v[9:10], v[1:2]
.LBB167_70:                             ;   in Loop: Header=BB167_5 Depth=1
	s_andn2_saveexec_b64 s[2:3], s[2:3]
	s_cbranch_execz .LBB167_72
; %bb.71:                               ;   in Loop: Header=BB167_5 Depth=1
	v_mul_f64 v[1:2], v[11:12], 4.0
	v_mul_f64 v[9:10], v[9:10], 4.0
	v_mul_f64 v[1:2], v[1:2], v[1:2]
	v_fma_f64 v[1:2], v[9:10], v[9:10], v[1:2]
	v_ldexp_f64 v[1:2], v[1:2], -4
.LBB167_72:                             ;   in Loop: Header=BB167_5 Depth=1
	s_or_b64 exec, exec, s[2:3]
	v_frexp_mant_f64_e32 v[9:10], v[1:2]
	s_mov_b32 s89, s25
	v_cmp_gt_f64_e32 vcc, s[24:25], v[9:10]
	v_cndmask_b32_e64 v3, 0, 1, vcc
	v_ldexp_f64 v[9:10], v[9:10], v3
	v_frexp_exp_i32_f64_e32 v3, v[1:2]
	v_add_f64 v[21:22], v[9:10], 1.0
	v_add_f64 v[27:28], v[9:10], -1.0
	v_subbrev_co_u32_e32 v3, vcc, 0, v3, vcc
	v_cmp_class_f64_e64 vcc, v[1:2], s44
	v_rcp_f64_e32 v[23:24], v[21:22]
	v_add_f64 v[29:30], v[21:22], -1.0
	v_add_f64 v[9:10], v[9:10], -v[29:30]
	v_fma_f64 v[25:26], -v[21:22], v[23:24], 1.0
	v_fma_f64 v[23:24], v[25:26], v[23:24], v[23:24]
	v_fma_f64 v[25:26], -v[21:22], v[23:24], 1.0
	v_fma_f64 v[23:24], v[25:26], v[23:24], v[23:24]
	v_mul_f64 v[25:26], v[27:28], v[23:24]
	v_mul_f64 v[31:32], v[21:22], v[25:26]
	v_fma_f64 v[21:22], v[25:26], v[21:22], -v[31:32]
	v_fma_f64 v[9:10], v[25:26], v[9:10], v[21:22]
	v_add_f64 v[21:22], v[31:32], v[9:10]
	v_add_f64 v[29:30], v[27:28], -v[21:22]
	v_add_f64 v[31:32], v[21:22], -v[31:32]
	v_add_f64 v[27:28], v[27:28], -v[29:30]
	v_add_f64 v[9:10], v[31:32], -v[9:10]
	v_add_f64 v[21:22], v[27:28], -v[21:22]
	v_add_f64 v[9:10], v[9:10], v[21:22]
	v_add_f64 v[9:10], v[29:30], v[9:10]
	v_mul_f64 v[9:10], v[23:24], v[9:10]
	v_add_f64 v[21:22], v[25:26], v[9:10]
	v_mul_f64 v[23:24], v[21:22], v[21:22]
	v_fma_f64 v[27:28], v[23:24], s[26:27], v[35:36]
	v_mul_f64 v[29:30], v[21:22], v[23:24]
	v_fma_f64 v[27:28], v[23:24], v[27:28], s[28:29]
	v_fma_f64 v[27:28], v[23:24], v[27:28], s[30:31]
	;; [unrolled: 1-line block ×5, first 2 shown]
	v_ldexp_f64 v[27:28], v[21:22], 1
	v_add_f64 v[21:22], v[21:22], -v[25:26]
	v_mul_f64 v[23:24], v[29:30], v[23:24]
	v_cvt_f64_i32_e32 v[29:30], v3
	v_add_f64 v[9:10], v[9:10], -v[21:22]
	v_mul_f64 v[31:32], v[29:30], s[38:39]
	v_add_f64 v[25:26], v[27:28], v[23:24]
	v_ldexp_f64 v[9:10], v[9:10], 1
	v_add_f64 v[21:22], v[25:26], -v[27:28]
	v_fma_f64 v[27:28], v[29:30], s[38:39], -v[31:32]
	v_add_f64 v[21:22], v[23:24], -v[21:22]
	v_fma_f64 v[23:24], v[29:30], s[40:41], v[27:28]
	v_add_f64 v[9:10], v[9:10], v[21:22]
	v_add_f64 v[21:22], v[31:32], v[23:24]
	;; [unrolled: 1-line block ×3, first 2 shown]
	v_add_f64 v[31:32], v[21:22], -v[31:32]
	v_add_f64 v[29:30], v[21:22], v[27:28]
	v_add_f64 v[25:26], v[27:28], -v[25:26]
	v_add_f64 v[23:24], v[23:24], -v[31:32]
	v_add_f64 v[43:44], v[29:30], -v[21:22]
	v_add_f64 v[9:10], v[9:10], -v[25:26]
	v_add_f64 v[45:46], v[29:30], -v[43:44]
	v_add_f64 v[25:26], v[27:28], -v[43:44]
	v_add_f64 v[27:28], v[23:24], v[9:10]
	v_add_f64 v[21:22], v[21:22], -v[45:46]
	v_add_f64 v[21:22], v[25:26], v[21:22]
	v_add_f64 v[25:26], v[27:28], -v[23:24]
	;; [unrolled: 2-line block ×3, first 2 shown]
	v_add_f64 v[9:10], v[9:10], -v[25:26]
	v_add_f64 v[31:32], v[29:30], v[21:22]
	v_add_f64 v[23:24], v[23:24], -v[27:28]
	v_add_f64 v[25:26], v[31:32], -v[29:30]
	v_add_f64 v[9:10], v[9:10], v[23:24]
	v_mov_b32_e32 v23, 0
	v_mov_b32_e32 v24, 0x7ff80000
	v_add_f64 v[21:22], v[21:22], -v[25:26]
	v_add_f64 v[9:10], v[9:10], v[21:22]
	v_add_f64 v[9:10], v[31:32], v[9:10]
	v_cndmask_b32_e32 v3, v9, v1, vcc
	v_cndmask_b32_e32 v9, v10, v2, vcc
	v_cmp_ngt_f64_e32 vcc, 0, v[1:2]
	v_cndmask_b32_e32 v9, v61, v9, vcc
	v_cmp_nge_f64_e32 vcc, 0, v[1:2]
	v_cndmask_b32_e32 v21, 0, v3, vcc
	v_cmp_neq_f64_e32 vcc, 0, v[1:2]
	v_cndmask_b32_e32 v22, v62, v9, vcc
.LBB167_73:                             ;   in Loop: Header=BB167_5 Depth=1
	s_or_b64 exec, exec, s[0:1]
	s_waitcnt vmcnt(0)
	v_cmp_o_f64_e32 vcc, v[13:14], v[15:16]
                                        ; implicit-def: $vgpr25_vgpr26
	s_and_saveexec_b64 s[0:1], vcc
	s_xor_b64 s[82:83], exec, s[0:1]
	s_cbranch_execz .LBB167_101
; %bb.74:                               ;   in Loop: Header=BB167_5 Depth=1
	v_cmp_lt_f64_e64 s[0:1], |v[13:14]|, |v[15:16]|
	v_and_b32_e32 v1, 0x7fffffff, v14
	v_and_b32_e32 v2, 0x7fffffff, v16
	s_mov_b32 s2, 0x85ebc8a0
	s_mov_b32 s3, 0x7fd1ccf3
	v_mov_b32_e32 v3, v15
                                        ; implicit-def: $vgpr25_vgpr26
	v_cndmask_b32_e64 v10, v2, v1, s[0:1]
	v_cndmask_b32_e64 v9, v15, v13, s[0:1]
	v_cmp_nlt_f64_e32 vcc, s[2:3], v[9:10]
	s_and_saveexec_b64 s[2:3], vcc
	s_xor_b64 s[14:15], exec, s[2:3]
	s_cbranch_execz .LBB167_98
; %bb.75:                               ;   in Loop: Header=BB167_5 Depth=1
	v_cndmask_b32_e64 v30, v1, v2, s[0:1]
	v_cndmask_b32_e64 v29, v13, v3, s[0:1]
	v_cmp_neq_f64_e32 vcc, 1.0, v[29:30]
                                        ; implicit-def: $vgpr25_vgpr26
	s_and_saveexec_b64 s[2:3], vcc
	s_xor_b64 s[90:91], exec, s[2:3]
	s_cbranch_execz .LBB167_91
; %bb.76:                               ;   in Loop: Header=BB167_5 Depth=1
	v_max_f64 v[1:2], v[9:10], v[9:10]
	v_max_f64 v[25:26], v[29:30], v[29:30]
	s_mov_b32 s2, 0x4ad4b81f
	s_mov_b32 s3, 0x358dee7a
	v_min_f64 v[27:28], v[25:26], v[1:2]
	v_max_f64 v[1:2], v[25:26], v[1:2]
	v_cmp_ngt_f64_e32 vcc, s[2:3], v[27:28]
	s_mov_b32 s2, 0xc57e649a
	s_mov_b32 s3, 0x4a511b0e
	v_cmp_nlt_f64_e64 s[2:3], s[2:3], v[1:2]
                                        ; implicit-def: $vgpr25_vgpr26
	s_and_b64 s[2:3], s[2:3], vcc
	s_and_saveexec_b64 s[6:7], s[2:3]
	s_xor_b64 s[20:21], exec, s[6:7]
	s_cbranch_execz .LBB167_88
; %bb.77:                               ;   in Loop: Header=BB167_5 Depth=1
	v_cmp_le_f64_e32 vcc, 1.0, v[29:30]
                                        ; implicit-def: $vgpr25_vgpr26
	s_and_saveexec_b64 s[2:3], vcc
	s_xor_b64 s[22:23], exec, s[2:3]
	s_cbranch_execz .LBB167_79
; %bb.78:                               ;   in Loop: Header=BB167_5 Depth=1
	v_add_f64 v[1:2], v[29:30], -1.0
	v_add_f64 v[25:26], v[29:30], 1.0
	s_mov_b32 s89, s25
	s_mov_b32 s94, s80
	;; [unrolled: 1-line block ×4, first 2 shown]
	v_cmp_class_f64_e64 s[10:11], v[15:16], s44
	v_mul_f64 v[1:2], v[1:2], v[25:26]
	v_fma_f64 v[1:2], v[9:10], v[9:10], v[1:2]
	v_add_f64 v[9:10], v[1:2], 1.0
	v_cmp_nge_f64_e64 s[6:7], -1.0, v[1:2]
	v_cmp_neq_f64_e64 s[8:9], s[8:9], v[1:2]
	v_frexp_mant_f64_e32 v[27:28], v[9:10]
	v_frexp_exp_i32_f64_e32 v3, v[9:10]
	v_add_f64 v[25:26], v[9:10], -1.0
	v_cmp_gt_f64_e32 vcc, s[24:25], v[27:28]
	v_add_f64 v[29:30], v[25:26], -v[9:10]
	v_add_f64 v[25:26], v[1:2], -v[25:26]
	v_subbrev_co_u32_e32 v3, vcc, 0, v3, vcc
	v_sub_u32_e32 v11, 0, v3
	v_ldexp_f64 v[9:10], v[9:10], v11
	v_add_f64 v[27:28], v[29:30], 1.0
	v_add_f64 v[29:30], v[9:10], 1.0
	v_add_f64 v[25:26], v[25:26], v[27:28]
	v_add_f64 v[45:46], v[9:10], -1.0
	v_add_f64 v[27:28], v[29:30], -1.0
	v_ldexp_f64 v[25:26], v[25:26], v11
	v_add_f64 v[47:48], v[45:46], 1.0
	v_ashrrev_i32_e32 v11, 31, v14
	v_add_f64 v[27:28], v[9:10], -v[27:28]
	v_add_f64 v[9:10], v[9:10], -v[47:48]
	v_add_f64 v[31:32], v[25:26], v[27:28]
	v_add_f64 v[47:48], v[25:26], v[9:10]
	;; [unrolled: 1-line block ×3, first 2 shown]
	v_rcp_f64_e32 v[43:44], v[27:28]
	v_add_f64 v[29:30], v[27:28], -v[29:30]
	v_add_f64 v[31:32], v[31:32], -v[29:30]
	v_fma_f64 v[49:50], -v[27:28], v[43:44], 1.0
	v_fma_f64 v[43:44], v[49:50], v[43:44], v[43:44]
	v_add_f64 v[49:50], v[45:46], v[47:48]
	v_fma_f64 v[9:10], -v[27:28], v[43:44], 1.0
	v_add_f64 v[45:46], v[49:50], -v[45:46]
	v_fma_f64 v[9:10], v[9:10], v[43:44], v[43:44]
	v_add_f64 v[45:46], v[47:48], -v[45:46]
	v_mul_f64 v[25:26], v[49:50], v[9:10]
	v_mul_f64 v[43:44], v[27:28], v[25:26]
	v_fma_f64 v[29:30], v[25:26], v[27:28], -v[43:44]
	v_fma_f64 v[51:52], v[25:26], v[31:32], v[29:30]
	v_add_f64 v[53:54], v[43:44], v[51:52]
	v_add_f64 v[29:30], v[49:50], -v[53:54]
	v_add_f64 v[43:44], v[53:54], -v[43:44]
	v_add_f64 v[49:50], v[49:50], -v[29:30]
	v_add_f64 v[43:44], v[43:44], -v[51:52]
	v_add_f64 v[47:48], v[49:50], -v[53:54]
	v_add_f64 v[45:46], v[45:46], v[47:48]
	v_max_f64 v[47:48], |v[13:14]|, |v[13:14]|
	v_add_f64 v[43:44], v[43:44], v[45:46]
	v_max_f64 v[45:46], |v[15:16]|, |v[15:16]|
	v_add_f64 v[49:50], v[29:30], v[43:44]
	v_max_f64 v[51:52], v[47:48], v[45:46]
	v_min_f64 v[45:46], v[47:48], v[45:46]
	v_mul_f64 v[47:48], v[9:10], v[49:50]
	v_add_f64 v[29:30], v[29:30], -v[49:50]
	v_div_scale_f64 v[53:54], s[2:3], v[51:52], v[51:52], v[45:46]
	s_mov_b32 s2, 0x69efb384
	s_mov_b32 s3, 0x3f4b2bb0
	v_mul_f64 v[55:56], v[27:28], v[47:48]
	v_add_f64 v[29:30], v[43:44], v[29:30]
	v_fma_f64 v[27:28], v[47:48], v[27:28], -v[55:56]
	v_rcp_f64_e32 v[57:58], v[53:54]
	v_fma_f64 v[27:28], v[47:48], v[31:32], v[27:28]
	v_add_f64 v[31:32], v[55:56], v[27:28]
	v_fma_f64 v[67:68], -v[53:54], v[57:58], 1.0
	v_add_f64 v[69:70], v[49:50], -v[31:32]
	v_add_f64 v[43:44], v[31:32], -v[55:56]
	v_fma_f64 v[57:58], v[57:58], v[67:68], v[57:58]
	v_div_scale_f64 v[67:68], vcc, v[45:46], v[51:52], v[45:46]
	v_add_f64 v[49:50], v[49:50], -v[69:70]
	v_add_f64 v[27:28], v[43:44], -v[27:28]
	v_fma_f64 v[71:72], -v[53:54], v[57:58], 1.0
	v_add_f64 v[43:44], v[25:26], v[47:48]
	v_add_f64 v[31:32], v[49:50], -v[31:32]
	v_fma_f64 v[49:50], v[57:58], v[71:72], v[57:58]
	v_add_f64 v[25:26], v[43:44], -v[25:26]
	v_add_f64 v[29:30], v[29:30], v[31:32]
	v_mul_f64 v[31:32], v[67:68], v[49:50]
	v_add_f64 v[25:26], v[47:48], -v[25:26]
	v_add_f64 v[27:28], v[27:28], v[29:30]
	v_fma_f64 v[29:30], -v[53:54], v[31:32], v[67:68]
	v_add_f64 v[27:28], v[69:70], v[27:28]
	v_div_fmas_f64 v[29:30], v[29:30], v[49:50], v[31:32]
	v_cmp_gt_i32_e32 vcc, 0, v14
	v_mul_f64 v[9:10], v[9:10], v[27:28]
	v_add_f64 v[9:10], v[25:26], v[9:10]
	v_div_fixup_f64 v[25:26], v[29:30], v[51:52], v[45:46]
	v_add_f64 v[27:28], v[43:44], v[9:10]
	v_mul_f64 v[29:30], v[25:26], v[25:26]
	v_mul_f64 v[31:32], v[27:28], v[27:28]
	v_fma_f64 v[45:46], v[29:30], s[18:19], v[37:38]
	v_cmp_class_f64_e64 s[18:19], v[13:14], s44
	v_and_b32_e32 v14, 0x54442d18, v11
	v_and_b32_e32 v11, 0x400921fb, v11
	v_cndmask_b32_e32 v13, v65, v66, vcc
	v_bfi_b32 v13, s42, v13, v16
	v_fma_f64 v[47:48], v[31:32], s[26:27], v[35:36]
	v_mul_f64 v[49:50], v[27:28], v[31:32]
	v_fma_f64 v[45:46], v[29:30], v[45:46], s[2:3]
	v_cmp_eq_f64_e64 s[2:3], 0, v[15:16]
	v_fma_f64 v[47:48], v[31:32], v[47:48], s[28:29]
	v_fma_f64 v[45:46], v[29:30], v[45:46], s[46:47]
	;; [unrolled: 1-line block ×9, first 2 shown]
	v_ldexp_f64 v[47:48], v[27:28], 1
	v_fma_f64 v[45:46], v[29:30], v[45:46], s[54:55]
	v_add_f64 v[27:28], v[27:28], -v[43:44]
	v_mul_f64 v[31:32], v[49:50], v[31:32]
	v_cvt_f64_i32_e32 v[49:50], v3
	v_fma_f64 v[45:46], v[29:30], v[45:46], s[56:57]
	v_add_f64 v[9:10], v[9:10], -v[27:28]
	v_cndmask_b32_e32 v3, v63, v64, vcc
	v_mul_f64 v[51:52], v[49:50], s[38:39]
	v_add_f64 v[43:44], v[47:48], v[31:32]
	v_fma_f64 v[45:46], v[29:30], v[45:46], s[58:59]
	v_ldexp_f64 v[9:10], v[9:10], 1
	v_add_f64 v[27:28], v[43:44], -v[47:48]
	v_fma_f64 v[47:48], v[49:50], s[38:39], -v[51:52]
	v_fma_f64 v[45:46], v[29:30], v[45:46], s[60:61]
	v_add_f64 v[27:28], v[31:32], -v[27:28]
	v_fma_f64 v[31:32], v[29:30], v[45:46], s[62:63]
	v_fma_f64 v[45:46], v[49:50], s[40:41], v[47:48]
	v_add_f64 v[9:10], v[9:10], v[27:28]
	v_fma_f64 v[27:28], v[29:30], v[31:32], s[64:65]
	v_add_f64 v[31:32], v[51:52], v[45:46]
	v_add_f64 v[47:48], v[43:44], v[9:10]
	v_fma_f64 v[27:28], v[29:30], v[27:28], s[66:67]
	v_add_f64 v[51:52], v[31:32], -v[51:52]
	v_add_f64 v[49:50], v[31:32], v[47:48]
	v_add_f64 v[43:44], v[47:48], -v[43:44]
	v_fma_f64 v[27:28], v[29:30], v[27:28], s[68:69]
	v_add_f64 v[45:46], v[45:46], -v[51:52]
	v_add_f64 v[53:54], v[49:50], -v[31:32]
	;; [unrolled: 1-line block ×3, first 2 shown]
	v_fma_f64 v[27:28], v[29:30], v[27:28], s[70:71]
	v_add_f64 v[55:56], v[49:50], -v[53:54]
	v_add_f64 v[43:44], v[47:48], -v[53:54]
	v_fma_f64 v[27:28], v[29:30], v[27:28], s[72:73]
	v_add_f64 v[47:48], v[45:46], v[9:10]
	v_add_f64 v[31:32], v[31:32], -v[55:56]
	v_fma_f64 v[27:28], v[29:30], v[27:28], s[74:75]
	v_add_f64 v[31:32], v[43:44], v[31:32]
	;; [unrolled: 3-line block ×3, first 2 shown]
	v_add_f64 v[47:48], v[47:48], -v[43:44]
	v_fma_f64 v[27:28], v[29:30], v[27:28], s[78:79]
	v_add_f64 v[9:10], v[9:10], -v[43:44]
	v_add_f64 v[51:52], v[49:50], v[31:32]
	v_mul_f64 v[27:28], v[29:30], v[27:28]
	v_add_f64 v[29:30], v[45:46], -v[47:48]
	v_add_f64 v[43:44], v[51:52], -v[49:50]
	v_fma_f64 v[25:26], v[25:26], v[27:28], v[25:26]
	v_add_f64 v[9:10], v[9:10], v[29:30]
	v_add_f64 v[27:28], v[31:32], -v[43:44]
	v_add_f64 v[29:30], -v[25:26], s[80:81]
	v_add_f64 v[9:10], v[9:10], v[27:28]
	v_cndmask_b32_e64 v26, v26, v30, s[0:1]
	v_cndmask_b32_e64 v25, v25, v29, s[0:1]
	v_add_f64 v[27:28], -v[25:26], s[94:95]
                                        ; implicit-def: $vgpr29_vgpr30
	v_add_f64 v[9:10], v[51:52], v[9:10]
	v_cndmask_b32_e32 v25, v25, v27, vcc
	v_cndmask_b32_e32 v26, v26, v28, vcc
	v_cndmask_b32_e64 v14, v25, v14, s[2:3]
	v_cndmask_b32_e64 v11, v26, v11, s[2:3]
	v_mul_f64 v[9:10], v[9:10], 0.5
	s_and_b64 s[2:3], s[6:7], s[8:9]
	s_and_b64 vcc, s[18:19], s[10:11]
	s_mov_b32 s18, 0xb5e68a13
	s_mov_b32 s19, 0x3eeba404
	v_cndmask_b32_e32 v28, v11, v13, vcc
	v_cndmask_b32_e32 v27, v14, v3, vcc
	v_cndmask_b32_e64 v25, 0, v9, s[2:3]
	v_cmp_ngt_f64_e64 s[2:3], -1.0, v[1:2]
	v_cndmask_b32_e64 v10, v60, v10, s[8:9]
	v_cndmask_b32_e64 v9, v61, v10, s[2:3]
	v_cmp_neq_f64_e64 s[2:3], -1.0, v[1:2]
	v_cndmask_b32_e64 v26, v62, v9, s[2:3]
                                        ; implicit-def: $vgpr9_vgpr10
.LBB167_79:                             ;   in Loop: Header=BB167_5 Depth=1
	s_andn2_saveexec_b64 s[22:23], s[22:23]
	s_cbranch_execz .LBB167_87
; %bb.80:                               ;   in Loop: Header=BB167_5 Depth=1
	v_mul_f64 v[1:2], v[9:10], v[9:10]
	s_mov_b32 s2, 0x66666666
	s_mov_b32 s3, 0x3fe66666
                                        ; implicit-def: $vgpr25_vgpr26
	v_fma_f64 v[1:2], v[29:30], v[29:30], v[1:2]
	v_cmp_ge_f64_e32 vcc, s[2:3], v[1:2]
	s_and_saveexec_b64 s[2:3], vcc
	s_xor_b64 s[8:9], exec, s[2:3]
	s_cbranch_execz .LBB167_82
; %bb.81:                               ;   in Loop: Header=BB167_5 Depth=1
	v_frexp_mant_f64_e32 v[9:10], v[1:2]
	v_max_f64 v[31:32], |v[15:16]|, |v[15:16]|
	v_max_f64 v[43:44], |v[13:14]|, |v[13:14]|
	s_mov_b32 s89, s25
	s_mov_b32 s94, s80
	v_cmp_class_f64_e64 s[10:11], v[15:16], s44
	v_ashrrev_i32_e32 v11, 31, v14
	v_cmp_gt_f64_e64 s[2:3], s[24:25], v[9:10]
	v_cndmask_b32_e64 v3, 0, 1, s[2:3]
	v_ldexp_f64 v[9:10], v[9:10], v3
	v_frexp_exp_i32_f64_e32 v3, v[1:2]
	v_add_f64 v[25:26], v[9:10], 1.0
	v_add_f64 v[47:48], v[9:10], -1.0
	v_rcp_f64_e32 v[27:28], v[25:26]
	v_add_f64 v[51:52], v[25:26], -1.0
	v_add_f64 v[9:10], v[9:10], -v[51:52]
	v_fma_f64 v[29:30], -v[25:26], v[27:28], 1.0
	v_fma_f64 v[27:28], v[29:30], v[27:28], v[27:28]
	v_max_f64 v[29:30], v[43:44], v[31:32]
	v_min_f64 v[31:32], v[43:44], v[31:32]
	v_fma_f64 v[43:44], -v[25:26], v[27:28], 1.0
	v_div_scale_f64 v[45:46], s[6:7], v[29:30], v[29:30], v[31:32]
	s_mov_b32 s6, 0x69efb384
	s_mov_b32 s7, 0x3f4b2bb0
	v_fma_f64 v[27:28], v[43:44], v[27:28], v[27:28]
	v_mul_f64 v[43:44], v[47:48], v[27:28]
	v_rcp_f64_e32 v[49:50], v[45:46]
	v_mul_f64 v[53:54], v[25:26], v[43:44]
	v_fma_f64 v[25:26], v[43:44], v[25:26], -v[53:54]
	v_fma_f64 v[51:52], -v[45:46], v[49:50], 1.0
	v_fma_f64 v[9:10], v[43:44], v[9:10], v[25:26]
	v_fma_f64 v[25:26], v[49:50], v[51:52], v[49:50]
	v_div_scale_f64 v[51:52], vcc, v[31:32], v[29:30], v[31:32]
	v_add_f64 v[49:50], v[53:54], v[9:10]
	v_fma_f64 v[55:56], -v[45:46], v[25:26], 1.0
	v_add_f64 v[57:58], v[47:48], -v[49:50]
	v_add_f64 v[53:54], v[49:50], -v[53:54]
	v_fma_f64 v[25:26], v[25:26], v[55:56], v[25:26]
	v_add_f64 v[47:48], v[47:48], -v[57:58]
	v_add_f64 v[9:10], v[53:54], -v[9:10]
	v_mul_f64 v[55:56], v[51:52], v[25:26]
	v_add_f64 v[47:48], v[47:48], -v[49:50]
	v_fma_f64 v[45:46], -v[45:46], v[55:56], v[51:52]
	v_add_f64 v[9:10], v[9:10], v[47:48]
	v_div_fmas_f64 v[25:26], v[45:46], v[25:26], v[55:56]
	v_subbrev_co_u32_e64 v3, vcc, 0, v3, s[2:3]
	v_cmp_eq_f64_e64 s[2:3], 0, v[15:16]
	v_cmp_gt_i32_e32 vcc, 0, v14
	v_add_f64 v[9:10], v[57:58], v[9:10]
	v_mul_f64 v[9:10], v[27:28], v[9:10]
	v_div_fixup_f64 v[25:26], v[25:26], v[29:30], v[31:32]
	v_add_f64 v[27:28], v[43:44], v[9:10]
	v_mul_f64 v[29:30], v[25:26], v[25:26]
	v_mul_f64 v[31:32], v[27:28], v[27:28]
	v_fma_f64 v[45:46], v[29:30], s[18:19], v[37:38]
	v_cmp_class_f64_e64 s[18:19], v[13:14], s44
	v_and_b32_e32 v13, 0x54442d18, v11
	v_and_b32_e32 v11, 0x400921fb, v11
	v_fma_f64 v[47:48], v[31:32], s[26:27], v[35:36]
	v_mul_f64 v[49:50], v[27:28], v[31:32]
	v_fma_f64 v[45:46], v[29:30], v[45:46], s[6:7]
	v_cmp_neq_f64_e64 s[6:7], 0, v[1:2]
	v_fma_f64 v[47:48], v[31:32], v[47:48], s[28:29]
	v_fma_f64 v[45:46], v[29:30], v[45:46], s[46:47]
	;; [unrolled: 1-line block ×9, first 2 shown]
	v_ldexp_f64 v[47:48], v[27:28], 1
	v_fma_f64 v[45:46], v[29:30], v[45:46], s[54:55]
	v_add_f64 v[27:28], v[27:28], -v[43:44]
	v_mul_f64 v[31:32], v[49:50], v[31:32]
	v_cvt_f64_i32_e32 v[49:50], v3
	v_fma_f64 v[45:46], v[29:30], v[45:46], s[56:57]
	v_add_f64 v[9:10], v[9:10], -v[27:28]
	v_cndmask_b32_e32 v3, v63, v64, vcc
	v_mul_f64 v[51:52], v[49:50], s[38:39]
	v_add_f64 v[43:44], v[47:48], v[31:32]
	v_fma_f64 v[45:46], v[29:30], v[45:46], s[58:59]
	v_ldexp_f64 v[9:10], v[9:10], 1
	v_add_f64 v[27:28], v[43:44], -v[47:48]
	v_fma_f64 v[47:48], v[49:50], s[38:39], -v[51:52]
	v_fma_f64 v[45:46], v[29:30], v[45:46], s[60:61]
	v_add_f64 v[27:28], v[31:32], -v[27:28]
	v_fma_f64 v[31:32], v[29:30], v[45:46], s[62:63]
	v_fma_f64 v[45:46], v[49:50], s[40:41], v[47:48]
	v_add_f64 v[9:10], v[9:10], v[27:28]
	v_fma_f64 v[27:28], v[29:30], v[31:32], s[64:65]
	v_add_f64 v[31:32], v[51:52], v[45:46]
	v_add_f64 v[47:48], v[43:44], v[9:10]
	v_fma_f64 v[27:28], v[29:30], v[27:28], s[66:67]
	v_add_f64 v[51:52], v[31:32], -v[51:52]
	v_add_f64 v[49:50], v[31:32], v[47:48]
	v_add_f64 v[43:44], v[47:48], -v[43:44]
	v_fma_f64 v[27:28], v[29:30], v[27:28], s[68:69]
	v_add_f64 v[45:46], v[45:46], -v[51:52]
	v_add_f64 v[53:54], v[49:50], -v[31:32]
	;; [unrolled: 1-line block ×3, first 2 shown]
	v_fma_f64 v[27:28], v[29:30], v[27:28], s[70:71]
	v_add_f64 v[55:56], v[49:50], -v[53:54]
	v_add_f64 v[43:44], v[47:48], -v[53:54]
	v_fma_f64 v[27:28], v[29:30], v[27:28], s[72:73]
	v_add_f64 v[47:48], v[45:46], v[9:10]
	v_add_f64 v[31:32], v[31:32], -v[55:56]
	v_fma_f64 v[27:28], v[29:30], v[27:28], s[74:75]
	v_add_f64 v[31:32], v[43:44], v[31:32]
	;; [unrolled: 3-line block ×3, first 2 shown]
	v_add_f64 v[47:48], v[47:48], -v[43:44]
	v_fma_f64 v[27:28], v[29:30], v[27:28], s[78:79]
	v_add_f64 v[9:10], v[9:10], -v[43:44]
	v_add_f64 v[51:52], v[49:50], v[31:32]
	v_mul_f64 v[27:28], v[29:30], v[27:28]
	v_add_f64 v[29:30], v[45:46], -v[47:48]
	v_add_f64 v[43:44], v[51:52], -v[49:50]
	v_fma_f64 v[25:26], v[25:26], v[27:28], v[25:26]
	v_add_f64 v[9:10], v[9:10], v[29:30]
	v_add_f64 v[27:28], v[31:32], -v[43:44]
	v_add_f64 v[29:30], -v[25:26], s[80:81]
	v_add_f64 v[9:10], v[9:10], v[27:28]
	v_cndmask_b32_e64 v26, v26, v30, s[0:1]
	v_cndmask_b32_e64 v25, v25, v29, s[0:1]
	v_add_f64 v[27:28], -v[25:26], s[94:95]
                                        ; implicit-def: $vgpr29_vgpr30
	v_add_f64 v[9:10], v[51:52], v[9:10]
	v_cndmask_b32_e32 v14, v25, v27, vcc
	v_cndmask_b32_e32 v25, v65, v66, vcc
	;; [unrolled: 1-line block ×3, first 2 shown]
	v_bfi_b32 v1, s42, v25, v16
	v_mul_f64 v[9:10], v[9:10], 0.5
	v_cndmask_b32_e64 v13, v14, v13, s[2:3]
	v_cndmask_b32_e64 v2, v2, v11, s[2:3]
	s_and_b64 vcc, s[18:19], s[10:11]
	s_mov_b32 s18, 0xb5e68a13
	s_mov_b32 s19, 0x3eeba404
	v_cndmask_b32_e32 v28, v2, v1, vcc
	v_cndmask_b32_e32 v27, v13, v3, vcc
	v_cndmask_b32_e64 v26, v62, v10, s[6:7]
	v_cndmask_b32_e64 v25, 0, v9, s[6:7]
                                        ; implicit-def: $vgpr9_vgpr10
.LBB167_82:                             ;   in Loop: Header=BB167_5 Depth=1
	s_andn2_saveexec_b64 s[84:85], s[8:9]
	s_cbranch_execz .LBB167_86
; %bb.83:                               ;   in Loop: Header=BB167_5 Depth=1
	v_and_b32_e32 v34, 0x7ffffff8, v30
	v_and_b32_e32 v26, 0x7ffffff8, v10
	v_mov_b32_e32 v25, v33
	v_add_f64 v[1:2], v[29:30], -v[33:34]
	v_add_f64 v[9:10], v[9:10], -v[25:26]
	v_mov_b32_e32 v29, v33
	v_mov_b32_e32 v47, v33
	v_add_f64 v[43:44], v[33:34], v[33:34]
	v_add_f64 v[45:46], v[25:26], v[25:26]
	s_mov_b64 s[10:11], 0
	v_and_b32_e32 v30, -8, v2
	v_and_b32_e32 v48, -8, v10
	v_add_f64 v[53:54], v[1:2], -v[29:30]
	v_add_f64 v[55:56], v[9:10], -v[47:48]
	v_add_f64 v[57:58], v[29:30], v[29:30]
	v_add_f64 v[67:68], v[47:48], v[47:48]
	v_mul_f64 v[1:2], v[33:34], v[33:34]
	v_mul_f64 v[9:10], v[25:26], v[25:26]
	;; [unrolled: 1-line block ×12, first 2 shown]
.LBB167_84:                             ;   Parent Loop BB167_5 Depth=1
                                        ; =>  This Inner Loop Header: Depth=2
	v_cmp_nlt_f64_e32 vcc, v[1:2], v[9:10]
	v_cndmask_b32_e32 v56, v2, v10, vcc
	v_cndmask_b32_e32 v55, v1, v9, vcc
	v_cmp_nlt_f64_e64 s[2:3], v[55:56], v[27:28]
	v_cndmask_b32_e32 v2, v10, v2, vcc
	v_cndmask_b32_e32 v1, v9, v1, vcc
	v_cndmask_b32_e64 v58, v56, v28, s[2:3]
	v_cndmask_b32_e64 v57, v55, v27, s[2:3]
	v_cmp_nlt_f64_e64 s[6:7], v[57:58], v[25:26]
	v_cndmask_b32_e64 v10, v28, v56, s[2:3]
	v_cndmask_b32_e64 v9, v27, v55, s[2:3]
	s_and_b64 s[18:19], vcc, s[2:3]
	v_cndmask_b32_e64 v68, v58, v26, s[6:7]
	v_cndmask_b32_e64 v67, v57, v25, s[6:7]
	v_cmp_nlt_f64_e64 s[8:9], v[67:68], v[31:32]
	v_cndmask_b32_e64 v28, v26, v58, s[6:7]
	v_cndmask_b32_e64 v27, v25, v57, s[6:7]
	;; [unrolled: 1-line block ×4, first 2 shown]
	v_cmp_nlt_f64_e32 vcc, v[55:56], v[47:48]
	v_cndmask_b32_e64 v26, v32, v68, s[8:9]
	v_cndmask_b32_e64 v25, v31, v67, s[8:9]
	s_and_b64 s[8:9], s[6:7], s[8:9]
	v_cndmask_b32_e32 v58, v56, v48, vcc
	v_cndmask_b32_e32 v57, v55, v47, vcc
	v_cmp_nlt_f64_e64 s[2:3], v[57:58], v[51:52]
	v_cndmask_b32_e32 v32, v48, v56, vcc
	v_cndmask_b32_e32 v31, v47, v55, vcc
	v_cndmask_b32_e64 v56, v58, v52, s[2:3]
	v_cndmask_b32_e64 v55, v57, v51, s[2:3]
	v_cmp_nlt_f64_e64 s[6:7], v[55:56], v[49:50]
	v_cndmask_b32_e64 v48, v52, v58, s[2:3]
	v_cndmask_b32_e64 v47, v51, v57, s[2:3]
	s_and_b64 s[2:3], vcc, s[2:3]
	v_cndmask_b32_e64 v58, v56, v50, s[6:7]
	v_cndmask_b32_e64 v57, v55, v49, s[6:7]
	v_cmp_nlt_f64_e32 vcc, v[57:58], v[45:46]
	v_cndmask_b32_e64 v52, v50, v56, s[6:7]
	v_cndmask_b32_e64 v51, v49, v55, s[6:7]
	s_and_b64 s[6:7], s[2:3], s[6:7]
	v_cndmask_b32_e32 v56, v58, v46, vcc
	v_cndmask_b32_e32 v55, v57, v45, vcc
	v_cmp_nlt_f64_e64 s[2:3], v[55:56], v[43:44]
	v_cndmask_b32_e32 v50, v46, v58, vcc
	v_cndmask_b32_e32 v49, v45, v57, vcc
	s_and_b64 s[6:7], s[6:7], vcc
	v_cndmask_b32_e64 v58, v56, v44, s[2:3]
	v_cndmask_b32_e64 v57, v55, v43, s[2:3]
	v_cmp_nlt_f64_e32 vcc, v[57:58], v[29:30]
	v_cndmask_b32_e64 v46, v44, v56, s[2:3]
	v_cndmask_b32_e64 v45, v43, v55, s[2:3]
	s_and_b64 s[6:7], s[6:7], s[2:3]
	v_cndmask_b32_e32 v68, v58, v30, vcc
	v_cndmask_b32_e32 v67, v57, v29, vcc
	v_cmp_nlt_f64_e64 s[2:3], v[67:68], v[53:54]
	s_and_b64 s[6:7], s[6:7], vcc
	v_cndmask_b32_e32 v44, v30, v58, vcc
	v_cndmask_b32_e32 v43, v29, v57, vcc
	v_cndmask_b32_e64 v56, v68, v54, s[2:3]
	v_cndmask_b32_e64 v55, v67, v53, s[2:3]
	v_cndmask_b32_e64 v30, v54, v68, s[2:3]
	v_cndmask_b32_e64 v29, v53, v67, s[2:3]
	s_and_b64 s[2:3], s[6:7], s[2:3]
	s_and_b64 s[2:3], s[2:3], s[8:9]
	;; [unrolled: 1-line block ×3, first 2 shown]
	s_and_b64 s[2:3], exec, s[2:3]
	v_mov_b32_e32 v53, v55
	s_or_b64 s[10:11], s[2:3], s[10:11]
	v_mov_b32_e32 v54, v56
	s_andn2_b64 exec, exec, s[10:11]
	s_cbranch_execnz .LBB167_84
; %bb.85:                               ;   in Loop: Header=BB167_5 Depth=1
	s_or_b64 exec, exec, s[10:11]
	v_add_f64 v[1:2], v[1:2], -1.0
	s_mov_b32 s89, s25
	s_mov_b32 s94, s80
	;; [unrolled: 1-line block ×4, first 2 shown]
	v_cmp_class_f64_e64 s[18:19], v[13:14], s44
	v_cmp_class_f64_e64 s[10:11], v[15:16], s44
	v_add_f64 v[1:2], v[1:2], v[9:10]
	v_add_f64 v[1:2], v[1:2], v[27:28]
	;; [unrolled: 1-line block ×11, first 2 shown]
	v_add_f64 v[9:10], v[1:2], 1.0
	v_cmp_nge_f64_e64 s[6:7], -1.0, v[1:2]
	v_cmp_neq_f64_e64 s[8:9], s[8:9], v[1:2]
	v_frexp_mant_f64_e32 v[27:28], v[9:10]
	v_frexp_exp_i32_f64_e32 v3, v[9:10]
	v_add_f64 v[25:26], v[9:10], -1.0
	v_cmp_gt_f64_e32 vcc, s[24:25], v[27:28]
	v_add_f64 v[29:30], v[25:26], -v[9:10]
	v_add_f64 v[25:26], v[1:2], -v[25:26]
	v_subbrev_co_u32_e32 v3, vcc, 0, v3, vcc
	v_sub_u32_e32 v11, 0, v3
	v_ldexp_f64 v[9:10], v[9:10], v11
	v_add_f64 v[27:28], v[29:30], 1.0
	v_add_f64 v[29:30], v[9:10], 1.0
	v_add_f64 v[25:26], v[25:26], v[27:28]
	v_add_f64 v[45:46], v[9:10], -1.0
	v_add_f64 v[27:28], v[29:30], -1.0
	v_ldexp_f64 v[25:26], v[25:26], v11
	v_add_f64 v[47:48], v[45:46], 1.0
	v_ashrrev_i32_e32 v11, 31, v14
	v_add_f64 v[27:28], v[9:10], -v[27:28]
	v_add_f64 v[9:10], v[9:10], -v[47:48]
	v_add_f64 v[31:32], v[25:26], v[27:28]
	v_add_f64 v[47:48], v[25:26], v[9:10]
	;; [unrolled: 1-line block ×3, first 2 shown]
	v_rcp_f64_e32 v[43:44], v[27:28]
	v_add_f64 v[29:30], v[27:28], -v[29:30]
	v_add_f64 v[31:32], v[31:32], -v[29:30]
	v_fma_f64 v[49:50], -v[27:28], v[43:44], 1.0
	v_fma_f64 v[43:44], v[49:50], v[43:44], v[43:44]
	v_add_f64 v[49:50], v[45:46], v[47:48]
	v_fma_f64 v[9:10], -v[27:28], v[43:44], 1.0
	v_add_f64 v[45:46], v[49:50], -v[45:46]
	v_fma_f64 v[9:10], v[9:10], v[43:44], v[43:44]
	v_add_f64 v[45:46], v[47:48], -v[45:46]
	v_mul_f64 v[25:26], v[49:50], v[9:10]
	v_mul_f64 v[43:44], v[27:28], v[25:26]
	v_fma_f64 v[29:30], v[25:26], v[27:28], -v[43:44]
	v_fma_f64 v[51:52], v[25:26], v[31:32], v[29:30]
	v_add_f64 v[53:54], v[43:44], v[51:52]
	v_add_f64 v[29:30], v[49:50], -v[53:54]
	v_add_f64 v[43:44], v[53:54], -v[43:44]
	;; [unrolled: 1-line block ×5, first 2 shown]
	v_add_f64 v[45:46], v[45:46], v[47:48]
	v_max_f64 v[47:48], |v[13:14]|, |v[13:14]|
	v_add_f64 v[43:44], v[43:44], v[45:46]
	v_max_f64 v[45:46], |v[15:16]|, |v[15:16]|
	v_add_f64 v[49:50], v[29:30], v[43:44]
	v_max_f64 v[51:52], v[47:48], v[45:46]
	v_min_f64 v[45:46], v[47:48], v[45:46]
	v_mul_f64 v[47:48], v[9:10], v[49:50]
	v_add_f64 v[29:30], v[29:30], -v[49:50]
	v_div_scale_f64 v[53:54], s[2:3], v[51:52], v[51:52], v[45:46]
	s_mov_b32 s2, 0xb5e68a13
	s_mov_b32 s3, 0x3eeba404
	v_mul_f64 v[55:56], v[27:28], v[47:48]
	v_add_f64 v[29:30], v[43:44], v[29:30]
	v_fma_f64 v[27:28], v[47:48], v[27:28], -v[55:56]
	v_rcp_f64_e32 v[57:58], v[53:54]
	v_fma_f64 v[27:28], v[47:48], v[31:32], v[27:28]
	v_add_f64 v[31:32], v[55:56], v[27:28]
	v_fma_f64 v[67:68], -v[53:54], v[57:58], 1.0
	v_add_f64 v[69:70], v[49:50], -v[31:32]
	v_add_f64 v[43:44], v[31:32], -v[55:56]
	v_fma_f64 v[57:58], v[57:58], v[67:68], v[57:58]
	v_div_scale_f64 v[67:68], vcc, v[45:46], v[51:52], v[45:46]
	v_add_f64 v[49:50], v[49:50], -v[69:70]
	v_add_f64 v[27:28], v[43:44], -v[27:28]
	v_fma_f64 v[71:72], -v[53:54], v[57:58], 1.0
	v_add_f64 v[43:44], v[25:26], v[47:48]
	v_add_f64 v[31:32], v[49:50], -v[31:32]
	v_fma_f64 v[49:50], v[57:58], v[71:72], v[57:58]
	v_add_f64 v[25:26], v[43:44], -v[25:26]
	v_add_f64 v[29:30], v[29:30], v[31:32]
	v_mul_f64 v[31:32], v[67:68], v[49:50]
	v_add_f64 v[25:26], v[47:48], -v[25:26]
	v_add_f64 v[27:28], v[27:28], v[29:30]
	v_fma_f64 v[29:30], -v[53:54], v[31:32], v[67:68]
	v_add_f64 v[27:28], v[69:70], v[27:28]
	v_div_fmas_f64 v[29:30], v[29:30], v[49:50], v[31:32]
	v_cmp_gt_i32_e32 vcc, 0, v14
	v_and_b32_e32 v14, 0x54442d18, v11
	v_and_b32_e32 v11, 0x400921fb, v11
	v_cndmask_b32_e32 v13, v65, v66, vcc
	v_bfi_b32 v13, s42, v13, v16
	v_mul_f64 v[9:10], v[9:10], v[27:28]
	v_add_f64 v[9:10], v[25:26], v[9:10]
	v_div_fixup_f64 v[25:26], v[29:30], v[51:52], v[45:46]
	v_add_f64 v[27:28], v[43:44], v[9:10]
	v_mul_f64 v[29:30], v[25:26], v[25:26]
	v_mul_f64 v[31:32], v[27:28], v[27:28]
	v_fma_f64 v[45:46], v[29:30], s[2:3], v[37:38]
	s_mov_b32 s2, 0x69efb384
	s_mov_b32 s3, 0x3f4b2bb0
	v_fma_f64 v[47:48], v[31:32], s[26:27], v[35:36]
	v_mul_f64 v[49:50], v[27:28], v[31:32]
	v_fma_f64 v[45:46], v[29:30], v[45:46], s[2:3]
	v_cmp_eq_f64_e64 s[2:3], 0, v[15:16]
	v_fma_f64 v[47:48], v[31:32], v[47:48], s[28:29]
	v_fma_f64 v[45:46], v[29:30], v[45:46], s[46:47]
	;; [unrolled: 1-line block ×9, first 2 shown]
	v_ldexp_f64 v[47:48], v[27:28], 1
	v_fma_f64 v[45:46], v[29:30], v[45:46], s[54:55]
	v_add_f64 v[27:28], v[27:28], -v[43:44]
	v_mul_f64 v[31:32], v[49:50], v[31:32]
	v_cvt_f64_i32_e32 v[49:50], v3
	v_fma_f64 v[45:46], v[29:30], v[45:46], s[56:57]
	v_add_f64 v[9:10], v[9:10], -v[27:28]
	v_cndmask_b32_e32 v3, v63, v64, vcc
	v_mul_f64 v[51:52], v[49:50], s[38:39]
	v_add_f64 v[43:44], v[47:48], v[31:32]
	v_fma_f64 v[45:46], v[29:30], v[45:46], s[58:59]
	v_ldexp_f64 v[9:10], v[9:10], 1
	v_add_f64 v[27:28], v[43:44], -v[47:48]
	v_fma_f64 v[47:48], v[49:50], s[38:39], -v[51:52]
	v_fma_f64 v[45:46], v[29:30], v[45:46], s[60:61]
	v_add_f64 v[27:28], v[31:32], -v[27:28]
	v_fma_f64 v[31:32], v[29:30], v[45:46], s[62:63]
	v_fma_f64 v[45:46], v[49:50], s[40:41], v[47:48]
	v_add_f64 v[9:10], v[9:10], v[27:28]
	v_fma_f64 v[27:28], v[29:30], v[31:32], s[64:65]
	v_add_f64 v[31:32], v[51:52], v[45:46]
	v_add_f64 v[47:48], v[43:44], v[9:10]
	v_fma_f64 v[27:28], v[29:30], v[27:28], s[66:67]
	v_add_f64 v[51:52], v[31:32], -v[51:52]
	v_add_f64 v[49:50], v[31:32], v[47:48]
	v_add_f64 v[43:44], v[47:48], -v[43:44]
	v_fma_f64 v[27:28], v[29:30], v[27:28], s[68:69]
	v_add_f64 v[45:46], v[45:46], -v[51:52]
	v_add_f64 v[53:54], v[49:50], -v[31:32]
	;; [unrolled: 1-line block ×3, first 2 shown]
	v_fma_f64 v[27:28], v[29:30], v[27:28], s[70:71]
	v_add_f64 v[55:56], v[49:50], -v[53:54]
	v_add_f64 v[43:44], v[47:48], -v[53:54]
	v_fma_f64 v[27:28], v[29:30], v[27:28], s[72:73]
	v_add_f64 v[47:48], v[45:46], v[9:10]
	v_add_f64 v[31:32], v[31:32], -v[55:56]
	v_fma_f64 v[27:28], v[29:30], v[27:28], s[74:75]
	v_add_f64 v[31:32], v[43:44], v[31:32]
	;; [unrolled: 3-line block ×3, first 2 shown]
	v_add_f64 v[47:48], v[47:48], -v[43:44]
	v_fma_f64 v[27:28], v[29:30], v[27:28], s[78:79]
	v_add_f64 v[9:10], v[9:10], -v[43:44]
	v_add_f64 v[51:52], v[49:50], v[31:32]
	v_mul_f64 v[27:28], v[29:30], v[27:28]
	v_add_f64 v[29:30], v[45:46], -v[47:48]
	v_add_f64 v[43:44], v[51:52], -v[49:50]
	v_fma_f64 v[25:26], v[25:26], v[27:28], v[25:26]
	v_add_f64 v[9:10], v[9:10], v[29:30]
	v_add_f64 v[27:28], v[31:32], -v[43:44]
	v_add_f64 v[29:30], -v[25:26], s[80:81]
	v_add_f64 v[9:10], v[9:10], v[27:28]
	v_cndmask_b32_e64 v26, v26, v30, s[0:1]
	v_cndmask_b32_e64 v25, v25, v29, s[0:1]
	v_add_f64 v[27:28], -v[25:26], s[94:95]
	v_add_f64 v[9:10], v[51:52], v[9:10]
	v_cndmask_b32_e32 v25, v25, v27, vcc
	v_cndmask_b32_e32 v26, v26, v28, vcc
	v_cndmask_b32_e64 v14, v25, v14, s[2:3]
	v_cndmask_b32_e64 v11, v26, v11, s[2:3]
	v_mul_f64 v[9:10], v[9:10], 0.5
	s_and_b64 s[2:3], s[6:7], s[8:9]
	s_and_b64 vcc, s[18:19], s[10:11]
	s_mov_b32 s18, 0xb5e68a13
	s_mov_b32 s19, 0x3eeba404
	v_cndmask_b32_e32 v28, v11, v13, vcc
	v_cndmask_b32_e32 v27, v14, v3, vcc
	v_cndmask_b32_e64 v25, 0, v9, s[2:3]
	v_cmp_ngt_f64_e64 s[2:3], -1.0, v[1:2]
	v_cndmask_b32_e64 v10, v60, v10, s[8:9]
	v_cndmask_b32_e64 v9, v61, v10, s[2:3]
	v_cmp_neq_f64_e64 s[2:3], -1.0, v[1:2]
	v_cndmask_b32_e64 v26, v62, v9, s[2:3]
.LBB167_86:                             ;   in Loop: Header=BB167_5 Depth=1
	s_or_b64 exec, exec, s[84:85]
.LBB167_87:                             ;   in Loop: Header=BB167_5 Depth=1
	s_or_b64 exec, exec, s[22:23]
.LBB167_88:                             ;   in Loop: Header=BB167_5 Depth=1
	s_andn2_saveexec_b64 s[8:9], s[20:21]
	s_cbranch_execz .LBB167_90
; %bb.89:                               ;   in Loop: Header=BB167_5 Depth=1
	v_max_f64 v[25:26], |v[15:16]|, |v[15:16]|
	v_max_f64 v[27:28], |v[13:14]|, |v[13:14]|
	v_cmp_class_f64_e64 s[20:21], v[13:14], s44
	v_cmp_class_f64_e64 s[22:23], v[15:16], s44
	s_mov_b32 s89, s25
	s_mov_b32 s94, s80
	v_max_f64 v[9:10], v[27:28], v[25:26]
	v_min_f64 v[25:26], v[27:28], v[25:26]
	v_frexp_exp_i32_f64_e32 v3, v[9:10]
	v_sub_u32_e32 v11, 0, v3
	v_ldexp_f64 v[1:2], |v[15:16]|, v11
	v_ldexp_f64 v[29:30], |v[13:14]|, v11
	v_ashrrev_i32_e32 v11, 31, v14
	v_mul_f64 v[1:2], v[1:2], v[1:2]
	v_fma_f64 v[1:2], v[29:30], v[29:30], v[1:2]
	v_rsq_f64_e32 v[29:30], v[1:2]
	v_cmp_eq_f64_e32 vcc, 0, v[1:2]
	v_mul_f64 v[31:32], v[1:2], v[29:30]
	v_mul_f64 v[29:30], v[29:30], 0.5
	v_fma_f64 v[43:44], -v[29:30], v[31:32], 0.5
	v_fma_f64 v[31:32], v[31:32], v[43:44], v[31:32]
	v_fma_f64 v[29:30], v[29:30], v[43:44], v[29:30]
	v_fma_f64 v[43:44], -v[31:32], v[31:32], v[1:2]
	v_fma_f64 v[29:30], v[43:44], v[29:30], v[31:32]
	v_cndmask_b32_e32 v2, v30, v2, vcc
	v_cndmask_b32_e32 v1, v29, v1, vcc
	v_ldexp_f64 v[1:2], v[1:2], v3
	s_or_b64 vcc, s[20:21], s[22:23]
	v_cndmask_b32_e32 v2, v2, v60, vcc
	v_cndmask_b32_e64 v1, v1, 0, vcc
	v_frexp_mant_f64_e32 v[29:30], v[1:2]
	v_cmp_gt_f64_e64 s[2:3], s[24:25], v[29:30]
	v_cndmask_b32_e64 v3, 0, 1, s[2:3]
	v_ldexp_f64 v[29:30], v[29:30], v3
	v_frexp_exp_i32_f64_e32 v3, v[1:2]
	v_add_f64 v[31:32], v[29:30], 1.0
	v_add_f64 v[47:48], v[29:30], -1.0
	v_rcp_f64_e32 v[43:44], v[31:32]
	v_add_f64 v[51:52], v[31:32], -1.0
	v_add_f64 v[29:30], v[29:30], -v[51:52]
	v_fma_f64 v[45:46], -v[31:32], v[43:44], 1.0
	v_fma_f64 v[27:28], v[45:46], v[43:44], v[43:44]
	v_div_scale_f64 v[43:44], s[6:7], v[9:10], v[9:10], v[25:26]
	s_mov_b32 s6, 0x69efb384
	s_mov_b32 s7, 0x3f4b2bb0
	v_fma_f64 v[45:46], -v[31:32], v[27:28], 1.0
	v_fma_f64 v[27:28], v[45:46], v[27:28], v[27:28]
	v_rcp_f64_e32 v[45:46], v[43:44]
	v_mul_f64 v[49:50], v[47:48], v[27:28]
	v_mul_f64 v[53:54], v[31:32], v[49:50]
	v_fma_f64 v[55:56], -v[43:44], v[45:46], 1.0
	v_fma_f64 v[31:32], v[49:50], v[31:32], -v[53:54]
	v_fma_f64 v[45:46], v[45:46], v[55:56], v[45:46]
	v_fma_f64 v[29:30], v[49:50], v[29:30], v[31:32]
	v_div_scale_f64 v[31:32], vcc, v[25:26], v[9:10], v[25:26]
	v_fma_f64 v[51:52], -v[43:44], v[45:46], 1.0
	v_add_f64 v[55:56], v[53:54], v[29:30]
	v_fma_f64 v[45:46], v[45:46], v[51:52], v[45:46]
	v_add_f64 v[51:52], v[47:48], -v[55:56]
	v_add_f64 v[53:54], v[55:56], -v[53:54]
	v_mul_f64 v[57:58], v[31:32], v[45:46]
	v_add_f64 v[47:48], v[47:48], -v[51:52]
	v_add_f64 v[29:30], v[53:54], -v[29:30]
	v_fma_f64 v[31:32], -v[43:44], v[57:58], v[31:32]
	v_add_f64 v[43:44], v[47:48], -v[55:56]
	v_div_fmas_f64 v[31:32], v[31:32], v[45:46], v[57:58]
	v_subbrev_co_u32_e64 v3, vcc, 0, v3, s[2:3]
	v_cmp_eq_f64_e64 s[2:3], 0, v[15:16]
	v_cmp_gt_i32_e32 vcc, 0, v14
	v_add_f64 v[29:30], v[29:30], v[43:44]
	v_add_f64 v[29:30], v[51:52], v[29:30]
	v_div_fixup_f64 v[9:10], v[31:32], v[9:10], v[25:26]
	v_mul_f64 v[25:26], v[27:28], v[29:30]
	v_mul_f64 v[27:28], v[9:10], v[9:10]
	v_add_f64 v[29:30], v[49:50], v[25:26]
	v_fma_f64 v[31:32], v[27:28], s[18:19], v[37:38]
	v_mul_f64 v[43:44], v[29:30], v[29:30]
	v_fma_f64 v[31:32], v[27:28], v[31:32], s[6:7]
	v_cmp_class_f64_e64 s[6:7], v[1:2], s44
	v_fma_f64 v[45:46], v[43:44], s[26:27], v[35:36]
	v_mul_f64 v[47:48], v[29:30], v[43:44]
	v_fma_f64 v[31:32], v[27:28], v[31:32], s[46:47]
	v_fma_f64 v[45:46], v[43:44], v[45:46], s[28:29]
	;; [unrolled: 1-line block ×10, first 2 shown]
	v_ldexp_f64 v[45:46], v[29:30], 1
	v_add_f64 v[29:30], v[29:30], -v[49:50]
	v_fma_f64 v[31:32], v[27:28], v[31:32], s[56:57]
	v_cvt_f64_i32_e32 v[49:50], v3
	v_cndmask_b32_e32 v3, v63, v64, vcc
	v_mul_f64 v[43:44], v[47:48], v[43:44]
	v_mul_f64 v[51:52], v[49:50], s[38:39]
	v_add_f64 v[25:26], v[25:26], -v[29:30]
	v_fma_f64 v[31:32], v[27:28], v[31:32], s[58:59]
	v_add_f64 v[47:48], v[45:46], v[43:44]
	v_ldexp_f64 v[25:26], v[25:26], 1
	v_fma_f64 v[31:32], v[27:28], v[31:32], s[60:61]
	v_add_f64 v[29:30], v[47:48], -v[45:46]
	v_fma_f64 v[45:46], v[49:50], s[38:39], -v[51:52]
	v_fma_f64 v[31:32], v[27:28], v[31:32], s[62:63]
	v_add_f64 v[29:30], v[43:44], -v[29:30]
	v_fma_f64 v[43:44], v[49:50], s[40:41], v[45:46]
	v_fma_f64 v[31:32], v[27:28], v[31:32], s[64:65]
	v_add_f64 v[25:26], v[25:26], v[29:30]
	v_fma_f64 v[29:30], v[27:28], v[31:32], s[66:67]
	v_add_f64 v[31:32], v[51:52], v[43:44]
	v_add_f64 v[45:46], v[47:48], v[25:26]
	v_fma_f64 v[29:30], v[27:28], v[29:30], s[68:69]
	v_add_f64 v[51:52], v[31:32], -v[51:52]
	v_add_f64 v[49:50], v[31:32], v[45:46]
	v_add_f64 v[47:48], v[45:46], -v[47:48]
	v_fma_f64 v[29:30], v[27:28], v[29:30], s[70:71]
	v_add_f64 v[43:44], v[43:44], -v[51:52]
	v_add_f64 v[53:54], v[49:50], -v[31:32]
	;; [unrolled: 1-line block ×3, first 2 shown]
	v_fma_f64 v[29:30], v[27:28], v[29:30], s[72:73]
	v_add_f64 v[55:56], v[49:50], -v[53:54]
	v_add_f64 v[45:46], v[45:46], -v[53:54]
	v_add_f64 v[47:48], v[43:44], v[25:26]
	v_fma_f64 v[29:30], v[27:28], v[29:30], s[74:75]
	v_add_f64 v[31:32], v[31:32], -v[55:56]
	v_fma_f64 v[29:30], v[27:28], v[29:30], s[76:77]
	v_add_f64 v[31:32], v[45:46], v[31:32]
	v_add_f64 v[45:46], v[47:48], -v[43:44]
	v_fma_f64 v[29:30], v[27:28], v[29:30], s[78:79]
	v_add_f64 v[31:32], v[47:48], v[31:32]
	v_add_f64 v[25:26], v[25:26], -v[45:46]
	v_mul_f64 v[27:28], v[27:28], v[29:30]
	v_add_f64 v[29:30], v[47:48], -v[45:46]
	v_add_f64 v[47:48], v[49:50], v[31:32]
	v_fma_f64 v[9:10], v[9:10], v[27:28], v[9:10]
	v_add_f64 v[27:28], v[43:44], -v[29:30]
	v_add_f64 v[29:30], v[47:48], -v[49:50]
	v_add_f64 v[43:44], -v[9:10], s[80:81]
	v_add_f64 v[25:26], v[25:26], v[27:28]
	v_add_f64 v[27:28], v[31:32], -v[29:30]
	v_cndmask_b32_e64 v10, v10, v44, s[0:1]
	v_cndmask_b32_e64 v9, v9, v43, s[0:1]
	v_add_f64 v[29:30], -v[9:10], s[94:95]
	v_add_f64 v[25:26], v[25:26], v[27:28]
	v_and_b32_e32 v27, 0x54442d18, v11
	v_and_b32_e32 v11, 0x400921fb, v11
	v_cndmask_b32_e32 v28, v65, v66, vcc
	v_cndmask_b32_e32 v9, v9, v29, vcc
	;; [unrolled: 1-line block ×3, first 2 shown]
	v_cndmask_b32_e64 v9, v9, v27, s[2:3]
	v_add_f64 v[13:14], v[47:48], v[25:26]
	v_cndmask_b32_e64 v10, v10, v11, s[2:3]
	v_cmp_ngt_f64_e64 s[2:3], 0, v[1:2]
	v_bfi_b32 v25, s42, v28, v16
	s_and_b64 vcc, s[20:21], s[22:23]
	v_cndmask_b32_e32 v28, v10, v25, vcc
	v_cndmask_b32_e32 v27, v9, v3, vcc
	v_cndmask_b32_e64 v11, v14, v2, s[6:7]
	v_cndmask_b32_e64 v10, v13, v1, s[6:7]
	v_cndmask_b32_e64 v11, v61, v11, s[2:3]
	v_cmp_nge_f64_e64 s[2:3], 0, v[1:2]
	v_cndmask_b32_e64 v25, 0, v10, s[2:3]
	v_cmp_neq_f64_e64 s[2:3], 0, v[1:2]
	v_cndmask_b32_e64 v26, v62, v11, s[2:3]
.LBB167_90:                             ;   in Loop: Header=BB167_5 Depth=1
	s_or_b64 exec, exec, s[8:9]
                                        ; implicit-def: $vgpr9_vgpr10
.LBB167_91:                             ;   in Loop: Header=BB167_5 Depth=1
	s_andn2_saveexec_b64 s[8:9], s[90:91]
	s_cbranch_execz .LBB167_97
; %bb.92:                               ;   in Loop: Header=BB167_5 Depth=1
	s_mov_b32 s2, 0x6a3f9475
	s_mov_b32 s3, 0x20ca2fe7
	v_cmp_ngt_f64_e32 vcc, s[2:3], v[9:10]
                                        ; implicit-def: $vgpr25_vgpr26
	s_and_saveexec_b64 s[2:3], vcc
	s_xor_b64 s[20:21], exec, s[2:3]
	s_cbranch_execz .LBB167_94
; %bb.93:                               ;   in Loop: Header=BB167_5 Depth=1
	v_mul_f64 v[1:2], v[9:10], v[9:10]
	s_mov_b32 s89, s25
	s_mov_b32 s94, s80
	s_mov_b32 s6, 0
	v_cmp_class_f64_e64 s[10:11], v[15:16], s44
	s_mov_b32 s7, 0x7ff00000
	v_add_f64 v[9:10], v[1:2], 1.0
	v_cmp_neq_f64_e64 s[6:7], s[6:7], v[1:2]
	v_frexp_mant_f64_e32 v[27:28], v[9:10]
	v_frexp_exp_i32_f64_e32 v3, v[9:10]
	v_add_f64 v[25:26], v[9:10], -1.0
	v_cmp_gt_f64_e32 vcc, s[24:25], v[27:28]
	v_add_f64 v[29:30], v[25:26], -v[9:10]
	v_add_f64 v[25:26], v[1:2], -v[25:26]
	v_subbrev_co_u32_e32 v3, vcc, 0, v3, vcc
	v_sub_u32_e32 v11, 0, v3
	v_ldexp_f64 v[9:10], v[9:10], v11
	v_add_f64 v[27:28], v[29:30], 1.0
	v_add_f64 v[29:30], v[9:10], 1.0
	v_add_f64 v[25:26], v[25:26], v[27:28]
	v_add_f64 v[45:46], v[9:10], -1.0
	v_add_f64 v[27:28], v[29:30], -1.0
	v_ldexp_f64 v[25:26], v[25:26], v11
	v_add_f64 v[47:48], v[45:46], 1.0
	v_ashrrev_i32_e32 v11, 31, v14
	v_add_f64 v[27:28], v[9:10], -v[27:28]
	v_add_f64 v[9:10], v[9:10], -v[47:48]
	v_add_f64 v[31:32], v[25:26], v[27:28]
	v_add_f64 v[47:48], v[25:26], v[9:10]
	;; [unrolled: 1-line block ×3, first 2 shown]
	v_rcp_f64_e32 v[43:44], v[27:28]
	v_add_f64 v[29:30], v[29:30], -v[27:28]
	v_add_f64 v[31:32], v[31:32], v[29:30]
	v_fma_f64 v[49:50], -v[27:28], v[43:44], 1.0
	v_fma_f64 v[43:44], v[49:50], v[43:44], v[43:44]
	v_add_f64 v[49:50], v[45:46], v[47:48]
	v_fma_f64 v[9:10], -v[27:28], v[43:44], 1.0
	v_add_f64 v[45:46], v[45:46], -v[49:50]
	v_fma_f64 v[9:10], v[9:10], v[43:44], v[43:44]
	v_add_f64 v[45:46], v[47:48], v[45:46]
	v_mul_f64 v[25:26], v[49:50], v[9:10]
	v_mul_f64 v[43:44], v[27:28], v[25:26]
	v_fma_f64 v[29:30], v[25:26], v[27:28], -v[43:44]
	v_fma_f64 v[51:52], v[25:26], v[31:32], v[29:30]
	v_add_f64 v[53:54], v[43:44], v[51:52]
	v_add_f64 v[29:30], v[49:50], -v[53:54]
	v_add_f64 v[43:44], v[53:54], -v[43:44]
	;; [unrolled: 1-line block ×5, first 2 shown]
	v_add_f64 v[45:46], v[45:46], v[47:48]
	v_max_f64 v[47:48], |v[13:14]|, |v[13:14]|
	v_add_f64 v[43:44], v[43:44], v[45:46]
	v_max_f64 v[45:46], |v[15:16]|, |v[15:16]|
	v_add_f64 v[49:50], v[29:30], v[43:44]
	v_max_f64 v[51:52], v[47:48], v[45:46]
	v_min_f64 v[45:46], v[47:48], v[45:46]
	v_mul_f64 v[47:48], v[9:10], v[49:50]
	v_add_f64 v[29:30], v[29:30], -v[49:50]
	v_div_scale_f64 v[53:54], s[2:3], v[51:52], v[51:52], v[45:46]
	s_mov_b32 s2, 0x69efb384
	s_mov_b32 s3, 0x3f4b2bb0
	v_mul_f64 v[55:56], v[27:28], v[47:48]
	v_add_f64 v[29:30], v[43:44], v[29:30]
	v_fma_f64 v[27:28], v[47:48], v[27:28], -v[55:56]
	v_rcp_f64_e32 v[57:58], v[53:54]
	v_fma_f64 v[27:28], v[47:48], v[31:32], v[27:28]
	v_add_f64 v[31:32], v[55:56], v[27:28]
	v_fma_f64 v[67:68], -v[53:54], v[57:58], 1.0
	v_add_f64 v[69:70], v[49:50], -v[31:32]
	v_add_f64 v[43:44], v[31:32], -v[55:56]
	v_fma_f64 v[57:58], v[57:58], v[67:68], v[57:58]
	v_div_scale_f64 v[67:68], vcc, v[45:46], v[51:52], v[45:46]
	v_add_f64 v[49:50], v[49:50], -v[69:70]
	v_add_f64 v[27:28], v[43:44], -v[27:28]
	v_fma_f64 v[71:72], -v[53:54], v[57:58], 1.0
	v_add_f64 v[43:44], v[25:26], v[47:48]
	v_add_f64 v[31:32], v[49:50], -v[31:32]
	v_fma_f64 v[49:50], v[57:58], v[71:72], v[57:58]
	v_add_f64 v[25:26], v[43:44], -v[25:26]
	v_add_f64 v[29:30], v[29:30], v[31:32]
	v_mul_f64 v[31:32], v[67:68], v[49:50]
	v_add_f64 v[25:26], v[47:48], -v[25:26]
	v_add_f64 v[27:28], v[27:28], v[29:30]
	v_fma_f64 v[29:30], -v[53:54], v[31:32], v[67:68]
	v_add_f64 v[27:28], v[69:70], v[27:28]
	v_div_fmas_f64 v[29:30], v[29:30], v[49:50], v[31:32]
	v_cmp_gt_i32_e32 vcc, 0, v14
	v_mul_f64 v[9:10], v[9:10], v[27:28]
	v_add_f64 v[9:10], v[25:26], v[9:10]
	v_div_fixup_f64 v[25:26], v[29:30], v[51:52], v[45:46]
	v_add_f64 v[27:28], v[43:44], v[9:10]
	v_mul_f64 v[29:30], v[25:26], v[25:26]
	v_mul_f64 v[31:32], v[27:28], v[27:28]
	v_fma_f64 v[45:46], v[29:30], s[18:19], v[37:38]
	v_cmp_class_f64_e64 s[18:19], v[13:14], s44
	v_and_b32_e32 v13, 0x54442d18, v11
	v_and_b32_e32 v11, 0x400921fb, v11
	v_fma_f64 v[47:48], v[31:32], s[26:27], v[35:36]
	v_mul_f64 v[49:50], v[27:28], v[31:32]
	v_fma_f64 v[45:46], v[29:30], v[45:46], s[2:3]
	v_cmp_eq_f64_e64 s[2:3], 0, v[15:16]
	v_fma_f64 v[47:48], v[31:32], v[47:48], s[28:29]
	v_fma_f64 v[45:46], v[29:30], v[45:46], s[46:47]
	;; [unrolled: 1-line block ×9, first 2 shown]
	v_ldexp_f64 v[47:48], v[27:28], 1
	v_fma_f64 v[45:46], v[29:30], v[45:46], s[54:55]
	v_add_f64 v[27:28], v[27:28], -v[43:44]
	v_mul_f64 v[31:32], v[49:50], v[31:32]
	v_cvt_f64_i32_e32 v[49:50], v3
	v_fma_f64 v[45:46], v[29:30], v[45:46], s[56:57]
	v_add_f64 v[9:10], v[9:10], -v[27:28]
	v_cndmask_b32_e32 v3, v63, v64, vcc
	v_mul_f64 v[51:52], v[49:50], s[38:39]
	v_add_f64 v[43:44], v[47:48], v[31:32]
	v_fma_f64 v[45:46], v[29:30], v[45:46], s[58:59]
	v_ldexp_f64 v[9:10], v[9:10], 1
	v_add_f64 v[27:28], v[43:44], -v[47:48]
	v_fma_f64 v[47:48], v[49:50], s[38:39], -v[51:52]
	v_fma_f64 v[45:46], v[29:30], v[45:46], s[60:61]
	v_add_f64 v[27:28], v[31:32], -v[27:28]
	v_fma_f64 v[31:32], v[29:30], v[45:46], s[62:63]
	v_fma_f64 v[45:46], v[49:50], s[40:41], v[47:48]
	v_add_f64 v[9:10], v[9:10], v[27:28]
	v_fma_f64 v[27:28], v[29:30], v[31:32], s[64:65]
	v_add_f64 v[31:32], v[51:52], v[45:46]
	v_add_f64 v[47:48], v[43:44], v[9:10]
	v_fma_f64 v[27:28], v[29:30], v[27:28], s[66:67]
	v_add_f64 v[51:52], v[31:32], -v[51:52]
	v_add_f64 v[49:50], v[31:32], v[47:48]
	v_add_f64 v[43:44], v[47:48], -v[43:44]
	v_fma_f64 v[27:28], v[29:30], v[27:28], s[68:69]
	v_add_f64 v[45:46], v[45:46], -v[51:52]
	v_add_f64 v[53:54], v[49:50], -v[31:32]
	;; [unrolled: 1-line block ×3, first 2 shown]
	v_fma_f64 v[27:28], v[29:30], v[27:28], s[70:71]
	v_add_f64 v[55:56], v[49:50], -v[53:54]
	v_add_f64 v[43:44], v[47:48], -v[53:54]
	v_fma_f64 v[27:28], v[29:30], v[27:28], s[72:73]
	v_add_f64 v[47:48], v[45:46], v[9:10]
	v_add_f64 v[31:32], v[31:32], -v[55:56]
	v_fma_f64 v[27:28], v[29:30], v[27:28], s[74:75]
	v_add_f64 v[31:32], v[43:44], v[31:32]
	;; [unrolled: 3-line block ×3, first 2 shown]
	v_add_f64 v[47:48], v[47:48], -v[43:44]
	v_fma_f64 v[27:28], v[29:30], v[27:28], s[78:79]
	v_add_f64 v[9:10], v[9:10], -v[43:44]
	v_add_f64 v[51:52], v[49:50], v[31:32]
	v_mul_f64 v[27:28], v[29:30], v[27:28]
	v_add_f64 v[29:30], v[45:46], -v[47:48]
	v_add_f64 v[43:44], v[51:52], -v[49:50]
	v_fma_f64 v[25:26], v[25:26], v[27:28], v[25:26]
	v_add_f64 v[9:10], v[9:10], v[29:30]
	v_add_f64 v[27:28], v[31:32], -v[43:44]
	v_add_f64 v[29:30], -v[25:26], s[80:81]
	v_add_f64 v[9:10], v[9:10], v[27:28]
	v_cndmask_b32_e64 v26, v26, v30, s[0:1]
	v_cndmask_b32_e64 v25, v25, v29, s[0:1]
	v_add_f64 v[27:28], -v[25:26], s[94:95]
	v_add_f64 v[9:10], v[51:52], v[9:10]
	v_cndmask_b32_e32 v14, v25, v27, vcc
	v_cndmask_b32_e32 v25, v65, v66, vcc
	;; [unrolled: 1-line block ×3, first 2 shown]
	v_bfi_b32 v1, s42, v25, v16
	v_mul_f64 v[9:10], v[9:10], 0.5
	v_cndmask_b32_e64 v13, v14, v13, s[2:3]
	v_cndmask_b32_e64 v2, v2, v11, s[2:3]
	s_and_b64 vcc, s[18:19], s[10:11]
	s_mov_b32 s18, 0xb5e68a13
	s_mov_b32 s19, 0x3eeba404
	v_cndmask_b32_e32 v28, v2, v1, vcc
	v_cndmask_b32_e32 v27, v13, v3, vcc
	v_cndmask_b32_e64 v26, v60, v10, s[6:7]
	v_cndmask_b32_e64 v25, 0, v9, s[6:7]
                                        ; implicit-def: $vgpr9_vgpr10
.LBB167_94:                             ;   in Loop: Header=BB167_5 Depth=1
	s_andn2_saveexec_b64 s[6:7], s[20:21]
	s_cbranch_execz .LBB167_96
; %bb.95:                               ;   in Loop: Header=BB167_5 Depth=1
	v_max_f64 v[1:2], |v[15:16]|, |v[15:16]|
	v_max_f64 v[25:26], |v[13:14]|, |v[13:14]|
	s_mov_b32 s94, s80
	v_cmp_class_f64_e64 s[10:11], v[15:16], s44
	v_ashrrev_i32_e32 v3, 31, v14
	v_max_f64 v[27:28], v[25:26], v[1:2]
	v_min_f64 v[1:2], v[25:26], v[1:2]
	v_div_scale_f64 v[25:26], s[2:3], v[27:28], v[27:28], v[1:2]
	s_mov_b32 s2, 0x69efb384
	s_mov_b32 s3, 0x3f4b2bb0
	v_rcp_f64_e32 v[29:30], v[25:26]
	v_fma_f64 v[31:32], -v[25:26], v[29:30], 1.0
	v_fma_f64 v[29:30], v[29:30], v[31:32], v[29:30]
	v_div_scale_f64 v[31:32], vcc, v[1:2], v[27:28], v[1:2]
	v_fma_f64 v[43:44], -v[25:26], v[29:30], 1.0
	v_fma_f64 v[29:30], v[29:30], v[43:44], v[29:30]
	v_mul_f64 v[43:44], v[31:32], v[29:30]
	v_fma_f64 v[25:26], -v[25:26], v[43:44], v[31:32]
	v_div_fmas_f64 v[25:26], v[25:26], v[29:30], v[43:44]
	v_cmp_gt_i32_e32 vcc, 0, v14
	v_and_b32_e32 v30, 0x54442d18, v3
	v_and_b32_e32 v3, 0x400921fb, v3
	v_cndmask_b32_e32 v11, v63, v64, vcc
	v_div_fixup_f64 v[1:2], v[25:26], v[27:28], v[1:2]
	v_mul_f64 v[25:26], v[1:2], v[1:2]
	v_fma_f64 v[27:28], v[25:26], s[18:19], v[37:38]
	v_cmp_class_f64_e64 s[18:19], v[13:14], s44
	v_cndmask_b32_e32 v13, v65, v66, vcc
	v_fma_f64 v[27:28], v[25:26], v[27:28], s[2:3]
	v_cmp_eq_f64_e64 s[2:3], 0, v[15:16]
	v_fma_f64 v[27:28], v[25:26], v[27:28], s[46:47]
	v_fma_f64 v[27:28], v[25:26], v[27:28], s[48:49]
	;; [unrolled: 1-line block ×17, first 2 shown]
	v_mul_f64 v[25:26], v[25:26], v[27:28]
	v_mul_f64 v[28:29], v[9:10], 0.5
	v_fma_f64 v[1:2], v[1:2], v[25:26], v[1:2]
	v_add_f64 v[25:26], -v[1:2], s[80:81]
	v_cndmask_b32_e64 v2, v2, v26, s[0:1]
	v_cndmask_b32_e64 v1, v1, v25, s[0:1]
	v_add_f64 v[26:27], -v[1:2], s[94:95]
	v_cndmask_b32_e32 v1, v1, v26, vcc
	v_mul_f64 v[25:26], v[9:10], v[28:29]
	v_cndmask_b32_e32 v2, v2, v27, vcc
	v_bfi_b32 v9, s42, v13, v16
	v_cndmask_b32_e64 v1, v1, v30, s[2:3]
	v_cndmask_b32_e64 v2, v2, v3, s[2:3]
	s_and_b64 vcc, s[18:19], s[10:11]
	s_mov_b32 s18, 0xb5e68a13
	s_mov_b32 s19, 0x3eeba404
	v_cndmask_b32_e32 v28, v2, v9, vcc
	v_cndmask_b32_e32 v27, v1, v11, vcc
.LBB167_96:                             ;   in Loop: Header=BB167_5 Depth=1
	s_or_b64 exec, exec, s[6:7]
.LBB167_97:                             ;   in Loop: Header=BB167_5 Depth=1
	s_or_b64 exec, exec, s[8:9]
.LBB167_98:                             ;   in Loop: Header=BB167_5 Depth=1
	s_andn2_saveexec_b64 s[6:7], s[14:15]
	s_cbranch_execz .LBB167_100
; %bb.99:                               ;   in Loop: Header=BB167_5 Depth=1
	v_div_scale_f64 v[1:2], s[2:3], s[86:87], s[86:87], v[13:14]
	v_div_scale_f64 v[9:10], s[2:3], s[86:87], s[86:87], v[15:16]
	v_div_scale_f64 v[43:44], s[2:3], v[15:16], s[86:87], v[15:16]
	s_mov_b32 s89, s25
	s_mov_b32 s94, s80
	v_cmp_class_f64_e64 s[10:11], v[13:14], s44
	v_rcp_f64_e32 v[25:26], v[1:2]
	v_rcp_f64_e32 v[27:28], v[9:10]
	v_fma_f64 v[29:30], -v[1:2], v[25:26], 1.0
	v_fma_f64 v[31:32], -v[9:10], v[27:28], 1.0
	v_fma_f64 v[25:26], v[25:26], v[29:30], v[25:26]
	v_div_scale_f64 v[29:30], vcc, v[13:14], s[86:87], v[13:14]
	v_fma_f64 v[27:28], v[27:28], v[31:32], v[27:28]
	v_fma_f64 v[31:32], -v[1:2], v[25:26], 1.0
	v_fma_f64 v[45:46], -v[9:10], v[27:28], 1.0
	v_fma_f64 v[25:26], v[25:26], v[31:32], v[25:26]
	v_fma_f64 v[27:28], v[27:28], v[45:46], v[27:28]
	v_mul_f64 v[31:32], v[29:30], v[25:26]
	v_mul_f64 v[45:46], v[43:44], v[27:28]
	v_fma_f64 v[1:2], -v[1:2], v[31:32], v[29:30]
	v_fma_f64 v[9:10], -v[9:10], v[45:46], v[43:44]
	v_max_f64 v[43:44], |v[13:14]|, |v[13:14]|
	v_div_fmas_f64 v[1:2], v[1:2], v[25:26], v[31:32]
	s_mov_b64 vcc, s[2:3]
	v_div_fmas_f64 v[9:10], v[9:10], v[27:28], v[45:46]
	v_div_fixup_f64 v[1:2], v[1:2], s[86:87], v[13:14]
	v_div_fixup_f64 v[9:10], v[9:10], s[86:87], v[15:16]
	v_cmp_class_f64_e64 s[2:3], v[1:2], s44
	v_max_f64 v[25:26], |v[1:2]|, |v[9:10]|
	v_cmp_class_f64_e64 s[8:9], v[9:10], s44
	v_frexp_exp_i32_f64_e32 v3, v[25:26]
	v_sub_u32_e32 v11, 0, v3
	v_ldexp_f64 v[25:26], |v[9:10]|, v11
	v_ldexp_f64 v[27:28], |v[1:2]|, v11
	v_ashrrev_i32_e32 v11, 31, v14
	v_mul_f64 v[25:26], v[25:26], v[25:26]
	v_fma_f64 v[25:26], v[27:28], v[27:28], v[25:26]
	v_rsq_f64_e32 v[27:28], v[25:26]
	v_cmp_eq_f64_e32 vcc, 0, v[25:26]
	v_mul_f64 v[29:30], v[25:26], v[27:28]
	v_mul_f64 v[27:28], v[27:28], 0.5
	v_fma_f64 v[31:32], -v[27:28], v[29:30], 0.5
	v_fma_f64 v[29:30], v[29:30], v[31:32], v[29:30]
	v_fma_f64 v[27:28], v[27:28], v[31:32], v[27:28]
	v_fma_f64 v[31:32], -v[29:30], v[29:30], v[25:26]
	v_fma_f64 v[27:28], v[31:32], v[27:28], v[29:30]
	v_max_f64 v[31:32], |v[15:16]|, |v[15:16]|
	v_cndmask_b32_e32 v26, v28, v26, vcc
	v_cndmask_b32_e32 v25, v27, v25, vcc
	v_ldexp_f64 v[25:26], v[25:26], v3
	v_cmp_o_f64_e32 vcc, v[1:2], v[9:10]
	v_cndmask_b32_e32 v1, 0, v25, vcc
	v_cndmask_b32_e32 v2, v61, v26, vcc
	s_or_b64 vcc, s[2:3], s[8:9]
	v_cndmask_b32_e32 v2, v2, v60, vcc
	v_cndmask_b32_e64 v1, v1, 0, vcc
	v_frexp_mant_f64_e32 v[9:10], v[1:2]
	v_cmp_gt_f64_e64 s[2:3], s[24:25], v[9:10]
	v_cndmask_b32_e64 v3, 0, 1, s[2:3]
	v_ldexp_f64 v[9:10], v[9:10], v3
	v_frexp_exp_i32_f64_e32 v3, v[1:2]
	v_add_f64 v[25:26], v[9:10], 1.0
	v_add_f64 v[47:48], v[9:10], -1.0
	v_rcp_f64_e32 v[27:28], v[25:26]
	v_add_f64 v[51:52], v[25:26], -1.0
	v_add_f64 v[9:10], v[9:10], -v[51:52]
	v_fma_f64 v[29:30], -v[25:26], v[27:28], 1.0
	v_fma_f64 v[27:28], v[29:30], v[27:28], v[27:28]
	v_max_f64 v[29:30], v[43:44], v[31:32]
	v_min_f64 v[31:32], v[43:44], v[31:32]
	v_fma_f64 v[43:44], -v[25:26], v[27:28], 1.0
	v_div_scale_f64 v[45:46], s[8:9], v[29:30], v[29:30], v[31:32]
	s_mov_b32 s8, 0x69efb384
	s_mov_b32 s9, 0x3f4b2bb0
	v_fma_f64 v[27:28], v[43:44], v[27:28], v[27:28]
	v_mul_f64 v[43:44], v[47:48], v[27:28]
	v_rcp_f64_e32 v[49:50], v[45:46]
	v_mul_f64 v[53:54], v[25:26], v[43:44]
	v_fma_f64 v[25:26], v[43:44], v[25:26], -v[53:54]
	v_fma_f64 v[51:52], -v[45:46], v[49:50], 1.0
	v_fma_f64 v[9:10], v[43:44], v[9:10], v[25:26]
	v_fma_f64 v[25:26], v[49:50], v[51:52], v[49:50]
	v_div_scale_f64 v[51:52], vcc, v[31:32], v[29:30], v[31:32]
	v_add_f64 v[49:50], v[53:54], v[9:10]
	v_fma_f64 v[55:56], -v[45:46], v[25:26], 1.0
	v_add_f64 v[57:58], v[47:48], -v[49:50]
	v_add_f64 v[53:54], v[49:50], -v[53:54]
	v_fma_f64 v[25:26], v[25:26], v[55:56], v[25:26]
	v_add_f64 v[47:48], v[47:48], -v[57:58]
	v_add_f64 v[9:10], v[53:54], -v[9:10]
	v_mul_f64 v[55:56], v[51:52], v[25:26]
	v_add_f64 v[47:48], v[47:48], -v[49:50]
	v_fma_f64 v[45:46], -v[45:46], v[55:56], v[51:52]
	v_add_f64 v[9:10], v[9:10], v[47:48]
	v_div_fmas_f64 v[25:26], v[45:46], v[25:26], v[55:56]
	v_subbrev_co_u32_e64 v3, vcc, 0, v3, s[2:3]
	v_cmp_eq_f64_e64 s[2:3], 0, v[15:16]
	v_cmp_gt_i32_e32 vcc, 0, v14
	v_and_b32_e32 v14, 0x54442d18, v11
	v_add_f64 v[9:10], v[57:58], v[9:10]
	v_cndmask_b32_e32 v13, v65, v66, vcc
	v_and_b32_e32 v11, 0x400921fb, v11
	v_bfi_b32 v13, s42, v13, v16
	v_mul_f64 v[9:10], v[27:28], v[9:10]
	v_div_fixup_f64 v[25:26], v[25:26], v[29:30], v[31:32]
	v_add_f64 v[27:28], v[43:44], v[9:10]
	v_mul_f64 v[29:30], v[25:26], v[25:26]
	v_mul_f64 v[31:32], v[27:28], v[27:28]
	v_fma_f64 v[45:46], v[29:30], s[18:19], v[37:38]
	v_fma_f64 v[47:48], v[31:32], s[26:27], v[35:36]
	v_mul_f64 v[49:50], v[27:28], v[31:32]
	v_fma_f64 v[45:46], v[29:30], v[45:46], s[8:9]
	v_cmp_class_f64_e64 s[8:9], v[15:16], s44
	v_fma_f64 v[47:48], v[31:32], v[47:48], s[28:29]
	v_fma_f64 v[45:46], v[29:30], v[45:46], s[46:47]
	;; [unrolled: 1-line block ×9, first 2 shown]
	v_ldexp_f64 v[47:48], v[27:28], 1
	v_fma_f64 v[45:46], v[29:30], v[45:46], s[54:55]
	v_add_f64 v[27:28], v[27:28], -v[43:44]
	v_mul_f64 v[31:32], v[49:50], v[31:32]
	v_cvt_f64_i32_e32 v[49:50], v3
	v_fma_f64 v[45:46], v[29:30], v[45:46], s[56:57]
	v_add_f64 v[9:10], v[9:10], -v[27:28]
	v_cndmask_b32_e32 v3, v63, v64, vcc
	v_mul_f64 v[51:52], v[49:50], s[38:39]
	v_add_f64 v[43:44], v[47:48], v[31:32]
	v_fma_f64 v[45:46], v[29:30], v[45:46], s[58:59]
	v_ldexp_f64 v[9:10], v[9:10], 1
	v_add_f64 v[27:28], v[43:44], -v[47:48]
	v_fma_f64 v[47:48], v[49:50], s[38:39], -v[51:52]
	v_fma_f64 v[45:46], v[29:30], v[45:46], s[60:61]
	v_add_f64 v[27:28], v[31:32], -v[27:28]
	v_fma_f64 v[31:32], v[29:30], v[45:46], s[62:63]
	v_fma_f64 v[45:46], v[49:50], s[40:41], v[47:48]
	v_add_f64 v[9:10], v[9:10], v[27:28]
	v_fma_f64 v[27:28], v[29:30], v[31:32], s[64:65]
	v_add_f64 v[31:32], v[51:52], v[45:46]
	v_add_f64 v[47:48], v[43:44], v[9:10]
	v_fma_f64 v[27:28], v[29:30], v[27:28], s[66:67]
	v_add_f64 v[51:52], v[31:32], -v[51:52]
	v_add_f64 v[49:50], v[31:32], v[47:48]
	v_add_f64 v[43:44], v[47:48], -v[43:44]
	v_fma_f64 v[27:28], v[29:30], v[27:28], s[68:69]
	v_add_f64 v[45:46], v[45:46], -v[51:52]
	v_add_f64 v[53:54], v[49:50], -v[31:32]
	;; [unrolled: 1-line block ×3, first 2 shown]
	v_fma_f64 v[27:28], v[29:30], v[27:28], s[70:71]
	v_add_f64 v[55:56], v[49:50], -v[53:54]
	v_add_f64 v[43:44], v[47:48], -v[53:54]
	v_fma_f64 v[27:28], v[29:30], v[27:28], s[72:73]
	v_add_f64 v[47:48], v[45:46], v[9:10]
	v_add_f64 v[31:32], v[31:32], -v[55:56]
	v_fma_f64 v[27:28], v[29:30], v[27:28], s[74:75]
	v_add_f64 v[31:32], v[43:44], v[31:32]
	;; [unrolled: 3-line block ×3, first 2 shown]
	v_add_f64 v[47:48], v[47:48], -v[43:44]
	v_fma_f64 v[27:28], v[29:30], v[27:28], s[78:79]
	v_add_f64 v[9:10], v[9:10], -v[43:44]
	v_add_f64 v[51:52], v[49:50], v[31:32]
	v_mul_f64 v[27:28], v[29:30], v[27:28]
	v_add_f64 v[29:30], v[45:46], -v[47:48]
	v_add_f64 v[43:44], v[51:52], -v[49:50]
	v_fma_f64 v[25:26], v[25:26], v[27:28], v[25:26]
	v_add_f64 v[9:10], v[9:10], v[29:30]
	v_add_f64 v[27:28], v[31:32], -v[43:44]
	v_add_f64 v[29:30], -v[25:26], s[80:81]
	v_add_f64 v[9:10], v[9:10], v[27:28]
	v_cndmask_b32_e64 v26, v26, v30, s[0:1]
	v_cndmask_b32_e64 v25, v25, v29, s[0:1]
	v_cmp_class_f64_e64 s[0:1], v[1:2], s44
	v_add_f64 v[27:28], -v[25:26], s[94:95]
	v_add_f64 v[9:10], v[51:52], v[9:10]
	v_cndmask_b32_e32 v25, v25, v27, vcc
	v_cndmask_b32_e64 v14, v25, v14, s[2:3]
	v_cndmask_b32_e32 v26, v26, v28, vcc
	v_cndmask_b32_e64 v10, v10, v2, s[0:1]
	v_cndmask_b32_e64 v9, v9, v1, s[0:1]
	v_add_f64 v[9:10], v[9:10], 1.0
	v_cmp_ngt_f64_e64 s[0:1], 0, v[1:2]
	v_cndmask_b32_e64 v11, v26, v11, s[2:3]
	s_and_b64 vcc, s[10:11], s[8:9]
	v_cndmask_b32_e32 v28, v11, v13, vcc
	v_cndmask_b32_e32 v27, v14, v3, vcc
	v_cndmask_b32_e64 v10, v61, v10, s[0:1]
	v_cmp_nge_f64_e64 s[0:1], 0, v[1:2]
	v_cndmask_b32_e64 v25, 0, v9, s[0:1]
	v_cmp_neq_f64_e64 s[0:1], 0, v[1:2]
	v_cndmask_b32_e64 v26, v62, v10, s[0:1]
.LBB167_100:                            ;   in Loop: Header=BB167_5 Depth=1
	s_or_b64 exec, exec, s[6:7]
.LBB167_101:                            ;   in Loop: Header=BB167_5 Depth=1
	s_andn2_saveexec_b64 s[0:1], s[82:83]
	s_cbranch_execz .LBB167_107
; %bb.102:                              ;   in Loop: Header=BB167_5 Depth=1
	v_cmp_nlt_f64_e64 s[2:3], |v[13:14]|, s[92:93]
	v_cmp_nlt_f64_e64 s[6:7], |v[15:16]|, s[92:93]
                                        ; implicit-def: $vgpr1_vgpr2
	s_or_b64 s[2:3], s[2:3], s[6:7]
	s_and_saveexec_b64 s[6:7], s[2:3]
	s_xor_b64 s[2:3], exec, s[6:7]
	s_cbranch_execz .LBB167_104
; %bb.103:                              ;   in Loop: Header=BB167_5 Depth=1
	v_mul_f64 v[1:2], v[15:16], v[15:16]
	v_fma_f64 v[1:2], v[13:14], v[13:14], v[1:2]
.LBB167_104:                            ;   in Loop: Header=BB167_5 Depth=1
	s_andn2_saveexec_b64 s[2:3], s[2:3]
	s_cbranch_execz .LBB167_106
; %bb.105:                              ;   in Loop: Header=BB167_5 Depth=1
	v_mul_f64 v[1:2], v[15:16], 4.0
	v_mul_f64 v[9:10], v[13:14], 4.0
	v_mul_f64 v[1:2], v[1:2], v[1:2]
	v_fma_f64 v[1:2], v[9:10], v[9:10], v[1:2]
	v_ldexp_f64 v[1:2], v[1:2], -4
.LBB167_106:                            ;   in Loop: Header=BB167_5 Depth=1
	s_or_b64 exec, exec, s[2:3]
	v_frexp_mant_f64_e32 v[9:10], v[1:2]
	s_mov_b32 s89, s25
	v_cmp_gt_f64_e32 vcc, s[24:25], v[9:10]
	v_cndmask_b32_e64 v3, 0, 1, vcc
	v_ldexp_f64 v[9:10], v[9:10], v3
	v_frexp_exp_i32_f64_e32 v3, v[1:2]
	v_add_f64 v[13:14], v[9:10], 1.0
	v_add_f64 v[29:30], v[9:10], -1.0
	v_subbrev_co_u32_e32 v3, vcc, 0, v3, vcc
	v_cmp_class_f64_e64 vcc, v[1:2], s44
	v_rcp_f64_e32 v[25:26], v[13:14]
	v_add_f64 v[31:32], v[13:14], -1.0
	v_add_f64 v[9:10], v[9:10], -v[31:32]
	v_fma_f64 v[27:28], -v[13:14], v[25:26], 1.0
	v_fma_f64 v[25:26], v[27:28], v[25:26], v[25:26]
	v_fma_f64 v[27:28], -v[13:14], v[25:26], 1.0
	v_fma_f64 v[25:26], v[27:28], v[25:26], v[25:26]
	v_mul_f64 v[27:28], v[29:30], v[25:26]
	v_mul_f64 v[43:44], v[13:14], v[27:28]
	v_fma_f64 v[13:14], v[27:28], v[13:14], -v[43:44]
	v_fma_f64 v[9:10], v[27:28], v[9:10], v[13:14]
	v_add_f64 v[13:14], v[43:44], v[9:10]
	v_add_f64 v[31:32], v[29:30], -v[13:14]
	v_add_f64 v[43:44], v[13:14], -v[43:44]
	;; [unrolled: 1-line block ×5, first 2 shown]
	v_add_f64 v[9:10], v[9:10], v[13:14]
	v_add_f64 v[9:10], v[31:32], v[9:10]
	v_mul_f64 v[9:10], v[25:26], v[9:10]
	v_add_f64 v[13:14], v[27:28], v[9:10]
	v_mul_f64 v[25:26], v[13:14], v[13:14]
	v_fma_f64 v[29:30], v[25:26], s[26:27], v[35:36]
	v_mul_f64 v[31:32], v[13:14], v[25:26]
	v_fma_f64 v[29:30], v[25:26], v[29:30], s[28:29]
	v_fma_f64 v[29:30], v[25:26], v[29:30], s[30:31]
	;; [unrolled: 1-line block ×5, first 2 shown]
	v_ldexp_f64 v[29:30], v[13:14], 1
	v_add_f64 v[13:14], v[13:14], -v[27:28]
	v_mul_f64 v[25:26], v[31:32], v[25:26]
	v_cvt_f64_i32_e32 v[31:32], v3
	v_add_f64 v[9:10], v[9:10], -v[13:14]
	v_mul_f64 v[43:44], v[31:32], s[38:39]
	v_add_f64 v[27:28], v[29:30], v[25:26]
	v_ldexp_f64 v[9:10], v[9:10], 1
	v_add_f64 v[13:14], v[27:28], -v[29:30]
	v_fma_f64 v[29:30], v[31:32], s[38:39], -v[43:44]
	v_add_f64 v[13:14], v[25:26], -v[13:14]
	v_fma_f64 v[25:26], v[31:32], s[40:41], v[29:30]
	v_add_f64 v[9:10], v[9:10], v[13:14]
	v_add_f64 v[13:14], v[43:44], v[25:26]
	;; [unrolled: 1-line block ×3, first 2 shown]
	v_add_f64 v[43:44], v[13:14], -v[43:44]
	v_add_f64 v[31:32], v[13:14], v[29:30]
	v_add_f64 v[27:28], v[29:30], -v[27:28]
	v_add_f64 v[25:26], v[25:26], -v[43:44]
	;; [unrolled: 1-line block ×6, first 2 shown]
	v_add_f64 v[29:30], v[25:26], v[9:10]
	v_add_f64 v[13:14], v[13:14], -v[47:48]
	v_add_f64 v[13:14], v[27:28], v[13:14]
	v_add_f64 v[27:28], v[29:30], -v[25:26]
	v_add_f64 v[13:14], v[29:30], v[13:14]
	v_add_f64 v[29:30], v[29:30], -v[27:28]
	v_add_f64 v[9:10], v[9:10], -v[27:28]
	v_add_f64 v[43:44], v[31:32], v[13:14]
	v_add_f64 v[25:26], v[25:26], -v[29:30]
	v_add_f64 v[27:28], v[43:44], -v[31:32]
	v_add_f64 v[9:10], v[9:10], v[25:26]
	v_add_f64 v[13:14], v[13:14], -v[27:28]
	v_mov_b32_e32 v27, 0
	v_mov_b32_e32 v28, 0x7ff80000
	v_add_f64 v[9:10], v[9:10], v[13:14]
	v_add_f64 v[9:10], v[43:44], v[9:10]
	v_cndmask_b32_e32 v3, v9, v1, vcc
	v_cndmask_b32_e32 v9, v10, v2, vcc
	v_cmp_ngt_f64_e32 vcc, 0, v[1:2]
	v_cndmask_b32_e32 v9, v61, v9, vcc
	v_cmp_nge_f64_e32 vcc, 0, v[1:2]
	v_cndmask_b32_e32 v25, 0, v3, vcc
	v_cmp_neq_f64_e32 vcc, 0, v[1:2]
	v_cndmask_b32_e32 v26, v62, v9, vcc
.LBB167_107:                            ;   in Loop: Header=BB167_5 Depth=1
	s_or_b64 exec, exec, s[0:1]
	v_cmp_o_f64_e32 vcc, v[5:6], v[7:8]
                                        ; implicit-def: $vgpr29_vgpr30
	s_and_saveexec_b64 s[0:1], vcc
	s_xor_b64 s[82:83], exec, s[0:1]
	s_cbranch_execz .LBB167_135
; %bb.108:                              ;   in Loop: Header=BB167_5 Depth=1
	v_cmp_lt_f64_e64 s[0:1], |v[5:6]|, |v[7:8]|
	v_and_b32_e32 v1, 0x7fffffff, v6
	v_and_b32_e32 v2, 0x7fffffff, v8
	s_mov_b32 s2, 0x85ebc8a0
	s_mov_b32 s3, 0x7fd1ccf3
	v_mov_b32_e32 v3, v7
                                        ; implicit-def: $vgpr29_vgpr30
	v_cndmask_b32_e64 v10, v2, v1, s[0:1]
	v_cndmask_b32_e64 v9, v7, v5, s[0:1]
	v_cmp_nlt_f64_e32 vcc, s[2:3], v[9:10]
	s_and_saveexec_b64 s[2:3], vcc
	s_xor_b64 s[14:15], exec, s[2:3]
	s_cbranch_execz .LBB167_132
; %bb.109:                              ;   in Loop: Header=BB167_5 Depth=1
	v_cndmask_b32_e64 v14, v1, v2, s[0:1]
	v_cndmask_b32_e64 v13, v5, v3, s[0:1]
	v_cmp_neq_f64_e32 vcc, 1.0, v[13:14]
                                        ; implicit-def: $vgpr29_vgpr30
	s_and_saveexec_b64 s[2:3], vcc
	s_xor_b64 s[90:91], exec, s[2:3]
	s_cbranch_execz .LBB167_125
; %bb.110:                              ;   in Loop: Header=BB167_5 Depth=1
	v_max_f64 v[1:2], v[9:10], v[9:10]
	v_max_f64 v[29:30], v[13:14], v[13:14]
	s_mov_b32 s2, 0x4ad4b81f
	s_mov_b32 s3, 0x358dee7a
	v_min_f64 v[31:32], v[29:30], v[1:2]
	v_max_f64 v[1:2], v[29:30], v[1:2]
	v_cmp_ngt_f64_e32 vcc, s[2:3], v[31:32]
	s_mov_b32 s2, 0xc57e649a
	s_mov_b32 s3, 0x4a511b0e
	v_cmp_nlt_f64_e64 s[2:3], s[2:3], v[1:2]
                                        ; implicit-def: $vgpr29_vgpr30
	s_and_b64 s[2:3], s[2:3], vcc
	s_and_saveexec_b64 s[6:7], s[2:3]
	s_xor_b64 s[20:21], exec, s[6:7]
	s_cbranch_execz .LBB167_122
; %bb.111:                              ;   in Loop: Header=BB167_5 Depth=1
	v_cmp_le_f64_e32 vcc, 1.0, v[13:14]
                                        ; implicit-def: $vgpr29_vgpr30
	s_and_saveexec_b64 s[2:3], vcc
	s_xor_b64 s[22:23], exec, s[2:3]
	s_cbranch_execz .LBB167_113
; %bb.112:                              ;   in Loop: Header=BB167_5 Depth=1
	v_add_f64 v[1:2], v[13:14], -1.0
	v_add_f64 v[13:14], v[13:14], 1.0
	s_mov_b32 s89, s25
	s_mov_b32 s94, s80
	;; [unrolled: 1-line block ×4, first 2 shown]
	v_cmp_class_f64_e64 s[10:11], v[7:8], s44
	v_mul_f64 v[1:2], v[1:2], v[13:14]
	v_fma_f64 v[1:2], v[9:10], v[9:10], v[1:2]
	v_add_f64 v[9:10], v[1:2], 1.0
	v_cmp_nge_f64_e64 s[6:7], -1.0, v[1:2]
	v_cmp_neq_f64_e64 s[8:9], s[8:9], v[1:2]
	v_frexp_mant_f64_e32 v[29:30], v[9:10]
	v_frexp_exp_i32_f64_e32 v3, v[9:10]
	v_add_f64 v[13:14], v[9:10], -1.0
	v_cmp_gt_f64_e32 vcc, s[24:25], v[29:30]
	v_add_f64 v[31:32], v[13:14], -v[9:10]
	v_add_f64 v[13:14], v[1:2], -v[13:14]
	v_subbrev_co_u32_e32 v3, vcc, 0, v3, vcc
	v_sub_u32_e32 v11, 0, v3
	v_ldexp_f64 v[9:10], v[9:10], v11
	v_add_f64 v[29:30], v[31:32], 1.0
	v_add_f64 v[31:32], v[9:10], 1.0
	v_add_f64 v[13:14], v[13:14], v[29:30]
	v_add_f64 v[47:48], v[9:10], -1.0
	v_add_f64 v[29:30], v[31:32], -1.0
	v_ldexp_f64 v[13:14], v[13:14], v11
	v_add_f64 v[49:50], v[47:48], 1.0
	v_add_f64 v[29:30], v[9:10], -v[29:30]
	v_add_f64 v[9:10], v[9:10], -v[49:50]
	v_add_f64 v[43:44], v[13:14], v[29:30]
	v_add_f64 v[49:50], v[13:14], v[9:10]
	;; [unrolled: 1-line block ×3, first 2 shown]
	v_rcp_f64_e32 v[45:46], v[29:30]
	v_add_f64 v[31:32], v[29:30], -v[31:32]
	v_add_f64 v[43:44], v[43:44], -v[31:32]
	v_fma_f64 v[51:52], -v[29:30], v[45:46], 1.0
	v_fma_f64 v[45:46], v[51:52], v[45:46], v[45:46]
	v_add_f64 v[51:52], v[47:48], v[49:50]
	v_fma_f64 v[9:10], -v[29:30], v[45:46], 1.0
	v_add_f64 v[47:48], v[51:52], -v[47:48]
	v_fma_f64 v[9:10], v[9:10], v[45:46], v[45:46]
	v_add_f64 v[47:48], v[49:50], -v[47:48]
	v_mul_f64 v[13:14], v[51:52], v[9:10]
	v_mul_f64 v[45:46], v[29:30], v[13:14]
	v_fma_f64 v[31:32], v[13:14], v[29:30], -v[45:46]
	v_fma_f64 v[53:54], v[13:14], v[43:44], v[31:32]
	v_add_f64 v[55:56], v[45:46], v[53:54]
	v_add_f64 v[31:32], v[51:52], -v[55:56]
	v_add_f64 v[45:46], v[55:56], -v[45:46]
	;; [unrolled: 1-line block ×5, first 2 shown]
	v_add_f64 v[47:48], v[47:48], v[49:50]
	v_max_f64 v[49:50], |v[5:6]|, |v[5:6]|
	v_add_f64 v[45:46], v[45:46], v[47:48]
	v_max_f64 v[47:48], |v[7:8]|, |v[7:8]|
	v_add_f64 v[51:52], v[31:32], v[45:46]
	v_max_f64 v[53:54], v[49:50], v[47:48]
	v_min_f64 v[47:48], v[49:50], v[47:48]
	v_mul_f64 v[49:50], v[9:10], v[51:52]
	v_add_f64 v[31:32], v[31:32], -v[51:52]
	v_div_scale_f64 v[55:56], s[2:3], v[53:54], v[53:54], v[47:48]
	s_mov_b32 s2, 0x69efb384
	s_mov_b32 s3, 0x3f4b2bb0
	v_mul_f64 v[57:58], v[29:30], v[49:50]
	v_add_f64 v[31:32], v[45:46], v[31:32]
	v_fma_f64 v[29:30], v[49:50], v[29:30], -v[57:58]
	v_rcp_f64_e32 v[67:68], v[55:56]
	v_fma_f64 v[29:30], v[49:50], v[43:44], v[29:30]
	v_add_f64 v[43:44], v[57:58], v[29:30]
	v_fma_f64 v[69:70], -v[55:56], v[67:68], 1.0
	v_add_f64 v[71:72], v[51:52], -v[43:44]
	v_add_f64 v[45:46], v[43:44], -v[57:58]
	v_fma_f64 v[67:68], v[67:68], v[69:70], v[67:68]
	v_div_scale_f64 v[69:70], vcc, v[47:48], v[53:54], v[47:48]
	v_add_f64 v[51:52], v[51:52], -v[71:72]
	v_add_f64 v[29:30], v[45:46], -v[29:30]
	v_fma_f64 v[73:74], -v[55:56], v[67:68], 1.0
	v_add_f64 v[45:46], v[13:14], v[49:50]
	v_add_f64 v[43:44], v[51:52], -v[43:44]
	v_fma_f64 v[51:52], v[67:68], v[73:74], v[67:68]
	v_add_f64 v[13:14], v[45:46], -v[13:14]
	v_add_f64 v[31:32], v[31:32], v[43:44]
	v_mul_f64 v[43:44], v[69:70], v[51:52]
	v_add_f64 v[13:14], v[49:50], -v[13:14]
	v_add_f64 v[29:30], v[29:30], v[31:32]
	v_fma_f64 v[31:32], -v[55:56], v[43:44], v[69:70]
	v_add_f64 v[29:30], v[71:72], v[29:30]
	v_div_fmas_f64 v[31:32], v[31:32], v[51:52], v[43:44]
	v_cmp_gt_i32_e32 vcc, 0, v6
	v_cndmask_b32_e32 v11, v65, v66, vcc
	v_mul_f64 v[9:10], v[9:10], v[29:30]
	v_add_f64 v[9:10], v[13:14], v[9:10]
	v_div_fixup_f64 v[13:14], v[31:32], v[53:54], v[47:48]
	v_add_f64 v[29:30], v[45:46], v[9:10]
	v_mul_f64 v[31:32], v[13:14], v[13:14]
	v_mul_f64 v[43:44], v[29:30], v[29:30]
	v_fma_f64 v[47:48], v[31:32], s[18:19], v[37:38]
	v_cmp_class_f64_e64 s[18:19], v[5:6], s44
	v_ashrrev_i32_e32 v5, 31, v6
	v_and_b32_e32 v15, 0x54442d18, v5
	v_fma_f64 v[49:50], v[43:44], s[26:27], v[35:36]
	v_mul_f64 v[51:52], v[29:30], v[43:44]
	v_fma_f64 v[47:48], v[31:32], v[47:48], s[2:3]
	v_cmp_eq_f64_e64 s[2:3], 0, v[7:8]
	v_fma_f64 v[49:50], v[43:44], v[49:50], s[28:29]
	v_fma_f64 v[47:48], v[31:32], v[47:48], s[46:47]
	;; [unrolled: 1-line block ×9, first 2 shown]
	v_ldexp_f64 v[49:50], v[29:30], 1
	v_fma_f64 v[47:48], v[31:32], v[47:48], s[54:55]
	v_add_f64 v[29:30], v[29:30], -v[45:46]
	v_mul_f64 v[43:44], v[51:52], v[43:44]
	v_cvt_f64_i32_e32 v[51:52], v3
	v_fma_f64 v[47:48], v[31:32], v[47:48], s[56:57]
	v_add_f64 v[9:10], v[9:10], -v[29:30]
	v_cndmask_b32_e32 v3, v63, v64, vcc
	v_mul_f64 v[53:54], v[51:52], s[38:39]
	v_add_f64 v[45:46], v[49:50], v[43:44]
	v_fma_f64 v[47:48], v[31:32], v[47:48], s[58:59]
	v_ldexp_f64 v[9:10], v[9:10], 1
	v_add_f64 v[29:30], v[45:46], -v[49:50]
	v_fma_f64 v[49:50], v[51:52], s[38:39], -v[53:54]
	v_fma_f64 v[47:48], v[31:32], v[47:48], s[60:61]
	v_add_f64 v[29:30], v[43:44], -v[29:30]
	v_fma_f64 v[43:44], v[31:32], v[47:48], s[62:63]
	v_fma_f64 v[47:48], v[51:52], s[40:41], v[49:50]
	v_add_f64 v[9:10], v[9:10], v[29:30]
	v_fma_f64 v[29:30], v[31:32], v[43:44], s[64:65]
	v_add_f64 v[43:44], v[53:54], v[47:48]
	v_add_f64 v[49:50], v[45:46], v[9:10]
	v_fma_f64 v[29:30], v[31:32], v[29:30], s[66:67]
	v_add_f64 v[53:54], v[43:44], -v[53:54]
	v_add_f64 v[51:52], v[43:44], v[49:50]
	v_add_f64 v[45:46], v[49:50], -v[45:46]
	v_fma_f64 v[29:30], v[31:32], v[29:30], s[68:69]
	v_add_f64 v[47:48], v[47:48], -v[53:54]
	v_add_f64 v[55:56], v[51:52], -v[43:44]
	;; [unrolled: 1-line block ×3, first 2 shown]
	v_fma_f64 v[29:30], v[31:32], v[29:30], s[70:71]
	v_add_f64 v[57:58], v[51:52], -v[55:56]
	v_add_f64 v[45:46], v[49:50], -v[55:56]
	v_fma_f64 v[29:30], v[31:32], v[29:30], s[72:73]
	v_add_f64 v[49:50], v[47:48], v[9:10]
	v_add_f64 v[43:44], v[43:44], -v[57:58]
	v_fma_f64 v[29:30], v[31:32], v[29:30], s[74:75]
	v_add_f64 v[43:44], v[45:46], v[43:44]
	;; [unrolled: 3-line block ×3, first 2 shown]
	v_add_f64 v[49:50], v[49:50], -v[45:46]
	v_fma_f64 v[29:30], v[31:32], v[29:30], s[78:79]
	v_add_f64 v[9:10], v[9:10], -v[45:46]
	v_add_f64 v[53:54], v[51:52], v[43:44]
	v_mul_f64 v[29:30], v[31:32], v[29:30]
	v_add_f64 v[31:32], v[47:48], -v[49:50]
	v_add_f64 v[45:46], v[53:54], -v[51:52]
	v_fma_f64 v[13:14], v[13:14], v[29:30], v[13:14]
	v_add_f64 v[9:10], v[9:10], v[31:32]
	v_add_f64 v[29:30], v[43:44], -v[45:46]
	v_add_f64 v[31:32], -v[13:14], s[80:81]
	v_add_f64 v[9:10], v[9:10], v[29:30]
	v_cndmask_b32_e64 v14, v14, v32, s[0:1]
	v_cndmask_b32_e64 v13, v13, v31, s[0:1]
	v_add_f64 v[29:30], -v[13:14], s[94:95]
	v_add_f64 v[9:10], v[53:54], v[9:10]
	v_cndmask_b32_e32 v13, v13, v29, vcc
	v_and_b32_e32 v29, 0x400921fb, v5
	v_mul_f64 v[5:6], v[9:10], 0.5
	v_cndmask_b32_e32 v10, v14, v30, vcc
	v_bfi_b32 v9, s42, v11, v8
	v_cndmask_b32_e64 v11, v13, v15, s[2:3]
	v_cndmask_b32_e64 v10, v10, v29, s[2:3]
	s_and_b64 s[2:3], s[6:7], s[8:9]
	s_and_b64 vcc, s[18:19], s[10:11]
	s_mov_b32 s18, 0xb5e68a13
	v_cndmask_b32_e64 v29, 0, v5, s[2:3]
	v_cmp_ngt_f64_e64 s[2:3], -1.0, v[1:2]
	v_cndmask_b32_e64 v6, v60, v6, s[8:9]
	s_mov_b32 s19, 0x3eeba404
	v_cndmask_b32_e32 v32, v10, v9, vcc
	v_cndmask_b32_e32 v31, v11, v3, vcc
                                        ; implicit-def: $vgpr9_vgpr10
                                        ; implicit-def: $vgpr13_vgpr14
	v_cndmask_b32_e64 v5, v61, v6, s[2:3]
	v_cmp_neq_f64_e64 s[2:3], -1.0, v[1:2]
	v_cndmask_b32_e64 v30, v62, v5, s[2:3]
.LBB167_113:                            ;   in Loop: Header=BB167_5 Depth=1
	s_andn2_saveexec_b64 s[22:23], s[22:23]
	s_cbranch_execz .LBB167_121
; %bb.114:                              ;   in Loop: Header=BB167_5 Depth=1
	v_mul_f64 v[1:2], v[9:10], v[9:10]
	s_mov_b32 s2, 0x66666666
	s_mov_b32 s3, 0x3fe66666
                                        ; implicit-def: $vgpr29_vgpr30
	v_fma_f64 v[1:2], v[13:14], v[13:14], v[1:2]
	v_cmp_ge_f64_e32 vcc, s[2:3], v[1:2]
	s_and_saveexec_b64 s[2:3], vcc
	s_xor_b64 s[8:9], exec, s[2:3]
	s_cbranch_execz .LBB167_116
; %bb.115:                              ;   in Loop: Header=BB167_5 Depth=1
	v_frexp_mant_f64_e32 v[9:10], v[1:2]
	v_max_f64 v[43:44], |v[7:8]|, |v[7:8]|
	v_max_f64 v[45:46], |v[5:6]|, |v[5:6]|
	s_mov_b32 s89, s25
	s_mov_b32 s94, s80
	v_cmp_class_f64_e64 s[10:11], v[7:8], s44
	v_cmp_gt_f64_e64 s[2:3], s[24:25], v[9:10]
	v_cndmask_b32_e64 v3, 0, 1, s[2:3]
	v_ldexp_f64 v[9:10], v[9:10], v3
	v_frexp_exp_i32_f64_e32 v3, v[1:2]
	v_add_f64 v[13:14], v[9:10], 1.0
	v_add_f64 v[49:50], v[9:10], -1.0
	v_rcp_f64_e32 v[29:30], v[13:14]
	v_add_f64 v[53:54], v[13:14], -1.0
	v_add_f64 v[9:10], v[9:10], -v[53:54]
	v_fma_f64 v[31:32], -v[13:14], v[29:30], 1.0
	v_fma_f64 v[29:30], v[31:32], v[29:30], v[29:30]
	v_max_f64 v[31:32], v[45:46], v[43:44]
	v_min_f64 v[43:44], v[45:46], v[43:44]
	v_fma_f64 v[45:46], -v[13:14], v[29:30], 1.0
	v_div_scale_f64 v[47:48], s[6:7], v[31:32], v[31:32], v[43:44]
	s_mov_b32 s6, 0x69efb384
	s_mov_b32 s7, 0x3f4b2bb0
	v_fma_f64 v[29:30], v[45:46], v[29:30], v[29:30]
	v_mul_f64 v[45:46], v[49:50], v[29:30]
	v_rcp_f64_e32 v[51:52], v[47:48]
	v_mul_f64 v[55:56], v[13:14], v[45:46]
	v_fma_f64 v[13:14], v[45:46], v[13:14], -v[55:56]
	v_fma_f64 v[53:54], -v[47:48], v[51:52], 1.0
	v_fma_f64 v[9:10], v[45:46], v[9:10], v[13:14]
	v_fma_f64 v[13:14], v[51:52], v[53:54], v[51:52]
	v_div_scale_f64 v[53:54], vcc, v[43:44], v[31:32], v[43:44]
	v_add_f64 v[51:52], v[55:56], v[9:10]
	v_fma_f64 v[57:58], -v[47:48], v[13:14], 1.0
	v_add_f64 v[67:68], v[49:50], -v[51:52]
	v_add_f64 v[55:56], v[51:52], -v[55:56]
	v_fma_f64 v[13:14], v[13:14], v[57:58], v[13:14]
	v_add_f64 v[49:50], v[49:50], -v[67:68]
	v_add_f64 v[9:10], v[55:56], -v[9:10]
	v_mul_f64 v[57:58], v[53:54], v[13:14]
	v_add_f64 v[49:50], v[49:50], -v[51:52]
	v_fma_f64 v[47:48], -v[47:48], v[57:58], v[53:54]
	v_add_f64 v[9:10], v[9:10], v[49:50]
	v_div_fmas_f64 v[13:14], v[47:48], v[13:14], v[57:58]
	v_subbrev_co_u32_e64 v3, vcc, 0, v3, s[2:3]
	v_cmp_gt_i32_e32 vcc, 0, v6
	v_cmp_eq_f64_e64 s[2:3], 0, v[7:8]
	v_cndmask_b32_e32 v15, v65, v66, vcc
	v_add_f64 v[9:10], v[67:68], v[9:10]
	v_mul_f64 v[9:10], v[29:30], v[9:10]
	v_div_fixup_f64 v[13:14], v[13:14], v[31:32], v[43:44]
	v_add_f64 v[29:30], v[45:46], v[9:10]
	v_mul_f64 v[31:32], v[13:14], v[13:14]
	v_mul_f64 v[43:44], v[29:30], v[29:30]
	v_fma_f64 v[47:48], v[31:32], s[18:19], v[37:38]
	v_cmp_class_f64_e64 s[18:19], v[5:6], s44
	v_ashrrev_i32_e32 v5, 31, v6
	v_and_b32_e32 v11, 0x54442d18, v5
	v_fma_f64 v[49:50], v[43:44], s[26:27], v[35:36]
	v_mul_f64 v[51:52], v[29:30], v[43:44]
	v_fma_f64 v[47:48], v[31:32], v[47:48], s[6:7]
	v_cmp_neq_f64_e64 s[6:7], 0, v[1:2]
	v_bfi_b32 v1, s42, v15, v8
	v_fma_f64 v[49:50], v[43:44], v[49:50], s[28:29]
	v_fma_f64 v[47:48], v[31:32], v[47:48], s[46:47]
	;; [unrolled: 1-line block ×9, first 2 shown]
	v_ldexp_f64 v[49:50], v[29:30], 1
	v_fma_f64 v[47:48], v[31:32], v[47:48], s[54:55]
	v_add_f64 v[29:30], v[29:30], -v[45:46]
	v_mul_f64 v[43:44], v[51:52], v[43:44]
	v_cvt_f64_i32_e32 v[51:52], v3
	v_fma_f64 v[47:48], v[31:32], v[47:48], s[56:57]
	v_add_f64 v[9:10], v[9:10], -v[29:30]
	v_cndmask_b32_e32 v3, v63, v64, vcc
	v_mul_f64 v[53:54], v[51:52], s[38:39]
	v_add_f64 v[45:46], v[49:50], v[43:44]
	v_fma_f64 v[47:48], v[31:32], v[47:48], s[58:59]
	v_ldexp_f64 v[9:10], v[9:10], 1
	v_add_f64 v[29:30], v[45:46], -v[49:50]
	v_fma_f64 v[49:50], v[51:52], s[38:39], -v[53:54]
	v_fma_f64 v[47:48], v[31:32], v[47:48], s[60:61]
	v_add_f64 v[29:30], v[43:44], -v[29:30]
	v_fma_f64 v[43:44], v[31:32], v[47:48], s[62:63]
	v_fma_f64 v[47:48], v[51:52], s[40:41], v[49:50]
	v_add_f64 v[9:10], v[9:10], v[29:30]
	v_fma_f64 v[29:30], v[31:32], v[43:44], s[64:65]
	v_add_f64 v[43:44], v[53:54], v[47:48]
	v_add_f64 v[49:50], v[45:46], v[9:10]
	v_fma_f64 v[29:30], v[31:32], v[29:30], s[66:67]
	v_add_f64 v[53:54], v[43:44], -v[53:54]
	v_add_f64 v[51:52], v[43:44], v[49:50]
	v_add_f64 v[45:46], v[49:50], -v[45:46]
	v_fma_f64 v[29:30], v[31:32], v[29:30], s[68:69]
	v_add_f64 v[47:48], v[47:48], -v[53:54]
	v_add_f64 v[55:56], v[51:52], -v[43:44]
	;; [unrolled: 1-line block ×3, first 2 shown]
	v_fma_f64 v[29:30], v[31:32], v[29:30], s[70:71]
	v_add_f64 v[57:58], v[51:52], -v[55:56]
	v_add_f64 v[45:46], v[49:50], -v[55:56]
	v_fma_f64 v[29:30], v[31:32], v[29:30], s[72:73]
	v_add_f64 v[49:50], v[47:48], v[9:10]
	v_add_f64 v[43:44], v[43:44], -v[57:58]
	v_fma_f64 v[29:30], v[31:32], v[29:30], s[74:75]
	v_add_f64 v[43:44], v[45:46], v[43:44]
	;; [unrolled: 3-line block ×3, first 2 shown]
	v_add_f64 v[49:50], v[49:50], -v[45:46]
	v_fma_f64 v[29:30], v[31:32], v[29:30], s[78:79]
	v_add_f64 v[9:10], v[9:10], -v[45:46]
	v_add_f64 v[53:54], v[51:52], v[43:44]
	v_mul_f64 v[29:30], v[31:32], v[29:30]
	v_add_f64 v[31:32], v[47:48], -v[49:50]
	v_add_f64 v[45:46], v[53:54], -v[51:52]
	v_fma_f64 v[13:14], v[13:14], v[29:30], v[13:14]
	v_add_f64 v[9:10], v[9:10], v[31:32]
	v_add_f64 v[29:30], v[43:44], -v[45:46]
	v_add_f64 v[31:32], -v[13:14], s[80:81]
	v_add_f64 v[9:10], v[9:10], v[29:30]
	v_cndmask_b32_e64 v14, v14, v32, s[0:1]
	v_cndmask_b32_e64 v13, v13, v31, s[0:1]
	v_add_f64 v[29:30], -v[13:14], s[94:95]
	v_add_f64 v[9:10], v[53:54], v[9:10]
	v_cndmask_b32_e32 v13, v13, v29, vcc
	v_and_b32_e32 v29, 0x400921fb, v5
	v_cndmask_b32_e32 v2, v14, v30, vcc
	v_cndmask_b32_e64 v2, v2, v29, s[2:3]
	v_mul_f64 v[5:6], v[9:10], 0.5
	v_cndmask_b32_e64 v9, v13, v11, s[2:3]
	s_and_b64 vcc, s[18:19], s[10:11]
	s_mov_b32 s18, 0xb5e68a13
	s_mov_b32 s19, 0x3eeba404
	v_cndmask_b32_e32 v32, v2, v1, vcc
	v_cndmask_b32_e32 v31, v9, v3, vcc
                                        ; implicit-def: $vgpr13_vgpr14
                                        ; implicit-def: $vgpr9_vgpr10
	v_cndmask_b32_e64 v30, v62, v6, s[6:7]
	v_cndmask_b32_e64 v29, 0, v5, s[6:7]
.LBB167_116:                            ;   in Loop: Header=BB167_5 Depth=1
	s_andn2_saveexec_b64 s[84:85], s[8:9]
	s_cbranch_execz .LBB167_120
; %bb.117:                              ;   in Loop: Header=BB167_5 Depth=1
	v_and_b32_e32 v34, 0x7ffffff8, v14
	v_add_f64 v[1:2], v[13:14], -v[33:34]
	v_and_b32_e32 v14, 0x7ffffff8, v10
	v_mov_b32_e32 v13, v33
	v_add_f64 v[9:10], v[9:10], -v[13:14]
	v_mov_b32_e32 v31, v33
	v_mov_b32_e32 v45, v33
	v_add_f64 v[47:48], v[33:34], v[33:34]
	v_add_f64 v[49:50], v[13:14], v[13:14]
	v_and_b32_e32 v32, -8, v2
	v_add_f64 v[55:56], v[1:2], -v[31:32]
	v_add_f64 v[67:68], v[31:32], v[31:32]
	v_and_b32_e32 v46, -8, v10
	v_add_f64 v[57:58], v[9:10], -v[45:46]
	v_add_f64 v[69:70], v[45:46], v[45:46]
	v_mul_f64 v[1:2], v[33:34], v[33:34]
	v_mul_f64 v[9:10], v[13:14], v[13:14]
	;; [unrolled: 1-line block ×12, first 2 shown]
	s_mov_b64 s[10:11], 0
.LBB167_118:                            ;   Parent Loop BB167_5 Depth=1
                                        ; =>  This Inner Loop Header: Depth=2
	v_cmp_nlt_f64_e32 vcc, v[1:2], v[9:10]
	v_cndmask_b32_e32 v58, v2, v10, vcc
	v_cndmask_b32_e32 v57, v1, v9, vcc
	v_cmp_nlt_f64_e64 s[2:3], v[57:58], v[29:30]
	v_cndmask_b32_e32 v2, v10, v2, vcc
	v_cndmask_b32_e32 v1, v9, v1, vcc
	v_cndmask_b32_e64 v68, v58, v30, s[2:3]
	v_cndmask_b32_e64 v67, v57, v29, s[2:3]
	v_cmp_nlt_f64_e64 s[6:7], v[67:68], v[13:14]
	v_cndmask_b32_e64 v10, v30, v58, s[2:3]
	v_cndmask_b32_e64 v9, v29, v57, s[2:3]
	s_and_b64 s[18:19], vcc, s[2:3]
	v_cndmask_b32_e64 v70, v68, v14, s[6:7]
	v_cndmask_b32_e64 v69, v67, v13, s[6:7]
	v_cmp_nlt_f64_e64 s[8:9], v[69:70], v[43:44]
	v_cndmask_b32_e64 v30, v14, v68, s[6:7]
	v_cndmask_b32_e64 v29, v13, v67, s[6:7]
	;; [unrolled: 1-line block ×4, first 2 shown]
	v_cmp_nlt_f64_e32 vcc, v[57:58], v[45:46]
	v_cndmask_b32_e64 v14, v44, v70, s[8:9]
	v_cndmask_b32_e64 v13, v43, v69, s[8:9]
	s_and_b64 s[8:9], s[6:7], s[8:9]
	v_cndmask_b32_e32 v68, v58, v46, vcc
	v_cndmask_b32_e32 v67, v57, v45, vcc
	v_cmp_nlt_f64_e64 s[2:3], v[67:68], v[53:54]
	v_cndmask_b32_e32 v44, v46, v58, vcc
	v_cndmask_b32_e32 v43, v45, v57, vcc
	v_cndmask_b32_e64 v58, v68, v54, s[2:3]
	v_cndmask_b32_e64 v57, v67, v53, s[2:3]
	v_cmp_nlt_f64_e64 s[6:7], v[57:58], v[51:52]
	v_cndmask_b32_e64 v46, v54, v68, s[2:3]
	v_cndmask_b32_e64 v45, v53, v67, s[2:3]
	s_and_b64 s[2:3], vcc, s[2:3]
	v_cndmask_b32_e64 v68, v58, v52, s[6:7]
	v_cndmask_b32_e64 v67, v57, v51, s[6:7]
	v_cmp_nlt_f64_e32 vcc, v[67:68], v[49:50]
	v_cndmask_b32_e64 v54, v52, v58, s[6:7]
	v_cndmask_b32_e64 v53, v51, v57, s[6:7]
	s_and_b64 s[6:7], s[2:3], s[6:7]
	v_cndmask_b32_e32 v58, v68, v50, vcc
	v_cndmask_b32_e32 v57, v67, v49, vcc
	v_cmp_nlt_f64_e64 s[2:3], v[57:58], v[47:48]
	v_cndmask_b32_e32 v52, v50, v68, vcc
	v_cndmask_b32_e32 v51, v49, v67, vcc
	s_and_b64 s[6:7], s[6:7], vcc
	v_cndmask_b32_e64 v68, v58, v48, s[2:3]
	v_cndmask_b32_e64 v67, v57, v47, s[2:3]
	v_cmp_nlt_f64_e32 vcc, v[67:68], v[31:32]
	v_cndmask_b32_e64 v50, v48, v58, s[2:3]
	v_cndmask_b32_e64 v49, v47, v57, s[2:3]
	s_and_b64 s[6:7], s[6:7], s[2:3]
	v_cndmask_b32_e32 v70, v68, v32, vcc
	v_cndmask_b32_e32 v69, v67, v31, vcc
	v_cmp_nlt_f64_e64 s[2:3], v[69:70], v[55:56]
	s_and_b64 s[6:7], s[6:7], vcc
	v_cndmask_b32_e32 v48, v32, v68, vcc
	v_cndmask_b32_e32 v47, v31, v67, vcc
	v_cndmask_b32_e64 v58, v70, v56, s[2:3]
	v_cndmask_b32_e64 v57, v69, v55, s[2:3]
	;; [unrolled: 1-line block ×4, first 2 shown]
	s_and_b64 s[2:3], s[6:7], s[2:3]
	s_and_b64 s[2:3], s[2:3], s[8:9]
	;; [unrolled: 1-line block ×3, first 2 shown]
	s_and_b64 s[2:3], exec, s[2:3]
	v_mov_b32_e32 v55, v57
	s_or_b64 s[10:11], s[2:3], s[10:11]
	v_mov_b32_e32 v56, v58
	s_andn2_b64 exec, exec, s[10:11]
	s_cbranch_execnz .LBB167_118
; %bb.119:                              ;   in Loop: Header=BB167_5 Depth=1
	s_or_b64 exec, exec, s[10:11]
	v_add_f64 v[1:2], v[1:2], -1.0
	s_mov_b32 s89, s25
	s_mov_b32 s94, s80
	;; [unrolled: 1-line block ×4, first 2 shown]
	v_cmp_class_f64_e64 s[18:19], v[5:6], s44
	v_cmp_class_f64_e64 s[10:11], v[7:8], s44
	v_add_f64 v[1:2], v[1:2], v[9:10]
	v_add_f64 v[1:2], v[1:2], v[29:30]
	;; [unrolled: 1-line block ×11, first 2 shown]
	v_add_f64 v[9:10], v[1:2], 1.0
	v_cmp_nge_f64_e64 s[6:7], -1.0, v[1:2]
	v_cmp_neq_f64_e64 s[8:9], s[8:9], v[1:2]
	v_frexp_mant_f64_e32 v[29:30], v[9:10]
	v_frexp_exp_i32_f64_e32 v3, v[9:10]
	v_add_f64 v[13:14], v[9:10], -1.0
	v_cmp_gt_f64_e32 vcc, s[24:25], v[29:30]
	v_add_f64 v[31:32], v[13:14], -v[9:10]
	v_add_f64 v[13:14], v[1:2], -v[13:14]
	v_subbrev_co_u32_e32 v3, vcc, 0, v3, vcc
	v_sub_u32_e32 v11, 0, v3
	v_ldexp_f64 v[9:10], v[9:10], v11
	v_add_f64 v[29:30], v[31:32], 1.0
	v_add_f64 v[31:32], v[9:10], 1.0
	v_add_f64 v[13:14], v[13:14], v[29:30]
	v_add_f64 v[47:48], v[9:10], -1.0
	v_add_f64 v[29:30], v[31:32], -1.0
	v_ldexp_f64 v[13:14], v[13:14], v11
	v_add_f64 v[49:50], v[47:48], 1.0
	v_add_f64 v[29:30], v[9:10], -v[29:30]
	v_add_f64 v[9:10], v[9:10], -v[49:50]
	v_add_f64 v[43:44], v[13:14], v[29:30]
	v_add_f64 v[49:50], v[13:14], v[9:10]
	;; [unrolled: 1-line block ×3, first 2 shown]
	v_rcp_f64_e32 v[45:46], v[29:30]
	v_add_f64 v[31:32], v[29:30], -v[31:32]
	v_add_f64 v[43:44], v[43:44], -v[31:32]
	v_fma_f64 v[51:52], -v[29:30], v[45:46], 1.0
	v_fma_f64 v[45:46], v[51:52], v[45:46], v[45:46]
	v_add_f64 v[51:52], v[47:48], v[49:50]
	v_fma_f64 v[9:10], -v[29:30], v[45:46], 1.0
	v_add_f64 v[47:48], v[51:52], -v[47:48]
	v_fma_f64 v[9:10], v[9:10], v[45:46], v[45:46]
	v_add_f64 v[47:48], v[49:50], -v[47:48]
	v_mul_f64 v[13:14], v[51:52], v[9:10]
	v_mul_f64 v[45:46], v[29:30], v[13:14]
	v_fma_f64 v[31:32], v[13:14], v[29:30], -v[45:46]
	v_fma_f64 v[53:54], v[13:14], v[43:44], v[31:32]
	v_add_f64 v[55:56], v[45:46], v[53:54]
	v_add_f64 v[31:32], v[51:52], -v[55:56]
	v_add_f64 v[45:46], v[55:56], -v[45:46]
	;; [unrolled: 1-line block ×5, first 2 shown]
	v_add_f64 v[47:48], v[47:48], v[49:50]
	v_max_f64 v[49:50], |v[5:6]|, |v[5:6]|
	v_ashrrev_i32_e32 v5, 31, v6
	v_and_b32_e32 v15, 0x54442d18, v5
	v_add_f64 v[45:46], v[45:46], v[47:48]
	v_max_f64 v[47:48], |v[7:8]|, |v[7:8]|
	v_add_f64 v[51:52], v[31:32], v[45:46]
	v_max_f64 v[53:54], v[49:50], v[47:48]
	v_min_f64 v[47:48], v[49:50], v[47:48]
	v_mul_f64 v[49:50], v[9:10], v[51:52]
	v_add_f64 v[31:32], v[31:32], -v[51:52]
	v_div_scale_f64 v[55:56], s[2:3], v[53:54], v[53:54], v[47:48]
	s_mov_b32 s2, 0xb5e68a13
	s_mov_b32 s3, 0x3eeba404
	v_mul_f64 v[57:58], v[29:30], v[49:50]
	v_add_f64 v[31:32], v[45:46], v[31:32]
	v_fma_f64 v[29:30], v[49:50], v[29:30], -v[57:58]
	v_rcp_f64_e32 v[67:68], v[55:56]
	v_fma_f64 v[29:30], v[49:50], v[43:44], v[29:30]
	v_add_f64 v[43:44], v[57:58], v[29:30]
	v_fma_f64 v[69:70], -v[55:56], v[67:68], 1.0
	v_add_f64 v[71:72], v[51:52], -v[43:44]
	v_add_f64 v[45:46], v[43:44], -v[57:58]
	v_fma_f64 v[67:68], v[67:68], v[69:70], v[67:68]
	v_div_scale_f64 v[69:70], vcc, v[47:48], v[53:54], v[47:48]
	v_add_f64 v[51:52], v[51:52], -v[71:72]
	v_add_f64 v[29:30], v[45:46], -v[29:30]
	v_fma_f64 v[73:74], -v[55:56], v[67:68], 1.0
	v_add_f64 v[45:46], v[13:14], v[49:50]
	v_add_f64 v[43:44], v[51:52], -v[43:44]
	v_fma_f64 v[51:52], v[67:68], v[73:74], v[67:68]
	v_add_f64 v[13:14], v[45:46], -v[13:14]
	v_add_f64 v[31:32], v[31:32], v[43:44]
	v_mul_f64 v[43:44], v[69:70], v[51:52]
	v_add_f64 v[13:14], v[49:50], -v[13:14]
	v_add_f64 v[29:30], v[29:30], v[31:32]
	v_fma_f64 v[31:32], -v[55:56], v[43:44], v[69:70]
	v_add_f64 v[29:30], v[71:72], v[29:30]
	v_div_fmas_f64 v[31:32], v[31:32], v[51:52], v[43:44]
	v_cmp_gt_i32_e32 vcc, 0, v6
	v_cndmask_b32_e32 v11, v65, v66, vcc
	v_mul_f64 v[9:10], v[9:10], v[29:30]
	v_add_f64 v[9:10], v[13:14], v[9:10]
	v_div_fixup_f64 v[13:14], v[31:32], v[53:54], v[47:48]
	v_add_f64 v[29:30], v[45:46], v[9:10]
	v_mul_f64 v[31:32], v[13:14], v[13:14]
	v_mul_f64 v[43:44], v[29:30], v[29:30]
	v_fma_f64 v[47:48], v[31:32], s[2:3], v[37:38]
	s_mov_b32 s2, 0x69efb384
	s_mov_b32 s3, 0x3f4b2bb0
	v_fma_f64 v[49:50], v[43:44], s[26:27], v[35:36]
	v_mul_f64 v[51:52], v[29:30], v[43:44]
	v_fma_f64 v[47:48], v[31:32], v[47:48], s[2:3]
	v_cmp_eq_f64_e64 s[2:3], 0, v[7:8]
	v_fma_f64 v[49:50], v[43:44], v[49:50], s[28:29]
	v_fma_f64 v[47:48], v[31:32], v[47:48], s[46:47]
	;; [unrolled: 1-line block ×9, first 2 shown]
	v_ldexp_f64 v[49:50], v[29:30], 1
	v_fma_f64 v[47:48], v[31:32], v[47:48], s[54:55]
	v_add_f64 v[29:30], v[29:30], -v[45:46]
	v_mul_f64 v[43:44], v[51:52], v[43:44]
	v_cvt_f64_i32_e32 v[51:52], v3
	v_fma_f64 v[47:48], v[31:32], v[47:48], s[56:57]
	v_add_f64 v[9:10], v[9:10], -v[29:30]
	v_cndmask_b32_e32 v3, v63, v64, vcc
	v_mul_f64 v[53:54], v[51:52], s[38:39]
	v_add_f64 v[45:46], v[49:50], v[43:44]
	v_fma_f64 v[47:48], v[31:32], v[47:48], s[58:59]
	v_ldexp_f64 v[9:10], v[9:10], 1
	v_add_f64 v[29:30], v[45:46], -v[49:50]
	v_fma_f64 v[49:50], v[51:52], s[38:39], -v[53:54]
	v_fma_f64 v[47:48], v[31:32], v[47:48], s[60:61]
	v_add_f64 v[29:30], v[43:44], -v[29:30]
	v_fma_f64 v[43:44], v[31:32], v[47:48], s[62:63]
	v_fma_f64 v[47:48], v[51:52], s[40:41], v[49:50]
	v_add_f64 v[9:10], v[9:10], v[29:30]
	v_fma_f64 v[29:30], v[31:32], v[43:44], s[64:65]
	v_add_f64 v[43:44], v[53:54], v[47:48]
	v_add_f64 v[49:50], v[45:46], v[9:10]
	v_fma_f64 v[29:30], v[31:32], v[29:30], s[66:67]
	v_add_f64 v[53:54], v[43:44], -v[53:54]
	v_add_f64 v[51:52], v[43:44], v[49:50]
	v_add_f64 v[45:46], v[49:50], -v[45:46]
	v_fma_f64 v[29:30], v[31:32], v[29:30], s[68:69]
	v_add_f64 v[47:48], v[47:48], -v[53:54]
	v_add_f64 v[55:56], v[51:52], -v[43:44]
	;; [unrolled: 1-line block ×3, first 2 shown]
	v_fma_f64 v[29:30], v[31:32], v[29:30], s[70:71]
	v_add_f64 v[57:58], v[51:52], -v[55:56]
	v_add_f64 v[45:46], v[49:50], -v[55:56]
	v_fma_f64 v[29:30], v[31:32], v[29:30], s[72:73]
	v_add_f64 v[49:50], v[47:48], v[9:10]
	v_add_f64 v[43:44], v[43:44], -v[57:58]
	v_fma_f64 v[29:30], v[31:32], v[29:30], s[74:75]
	v_add_f64 v[43:44], v[45:46], v[43:44]
	;; [unrolled: 3-line block ×3, first 2 shown]
	v_add_f64 v[49:50], v[49:50], -v[45:46]
	v_fma_f64 v[29:30], v[31:32], v[29:30], s[78:79]
	v_add_f64 v[9:10], v[9:10], -v[45:46]
	v_add_f64 v[53:54], v[51:52], v[43:44]
	v_mul_f64 v[29:30], v[31:32], v[29:30]
	v_add_f64 v[31:32], v[47:48], -v[49:50]
	v_add_f64 v[45:46], v[53:54], -v[51:52]
	v_fma_f64 v[13:14], v[13:14], v[29:30], v[13:14]
	v_add_f64 v[9:10], v[9:10], v[31:32]
	v_add_f64 v[29:30], v[43:44], -v[45:46]
	v_add_f64 v[31:32], -v[13:14], s[80:81]
	v_add_f64 v[9:10], v[9:10], v[29:30]
	v_cndmask_b32_e64 v14, v14, v32, s[0:1]
	v_cndmask_b32_e64 v13, v13, v31, s[0:1]
	v_add_f64 v[29:30], -v[13:14], s[94:95]
	v_add_f64 v[9:10], v[53:54], v[9:10]
	v_cndmask_b32_e32 v13, v13, v29, vcc
	v_and_b32_e32 v29, 0x400921fb, v5
	v_mul_f64 v[5:6], v[9:10], 0.5
	v_cndmask_b32_e32 v10, v14, v30, vcc
	v_bfi_b32 v9, s42, v11, v8
	v_cndmask_b32_e64 v11, v13, v15, s[2:3]
	v_cndmask_b32_e64 v10, v10, v29, s[2:3]
	s_and_b64 s[2:3], s[6:7], s[8:9]
	s_and_b64 vcc, s[18:19], s[10:11]
	s_mov_b32 s18, 0xb5e68a13
	v_cndmask_b32_e64 v29, 0, v5, s[2:3]
	v_cmp_ngt_f64_e64 s[2:3], -1.0, v[1:2]
	v_cndmask_b32_e64 v6, v60, v6, s[8:9]
	s_mov_b32 s19, 0x3eeba404
	v_cndmask_b32_e32 v32, v10, v9, vcc
	v_cndmask_b32_e32 v31, v11, v3, vcc
	v_cndmask_b32_e64 v5, v61, v6, s[2:3]
	v_cmp_neq_f64_e64 s[2:3], -1.0, v[1:2]
	v_cndmask_b32_e64 v30, v62, v5, s[2:3]
.LBB167_120:                            ;   in Loop: Header=BB167_5 Depth=1
	s_or_b64 exec, exec, s[84:85]
.LBB167_121:                            ;   in Loop: Header=BB167_5 Depth=1
	s_or_b64 exec, exec, s[22:23]
.LBB167_122:                            ;   in Loop: Header=BB167_5 Depth=1
	s_andn2_saveexec_b64 s[8:9], s[20:21]
	s_cbranch_execz .LBB167_124
; %bb.123:                              ;   in Loop: Header=BB167_5 Depth=1
	v_max_f64 v[13:14], |v[7:8]|, |v[7:8]|
	v_max_f64 v[29:30], |v[5:6]|, |v[5:6]|
	v_cmp_class_f64_e64 s[20:21], v[5:6], s44
	v_cmp_class_f64_e64 s[22:23], v[7:8], s44
	s_mov_b32 s89, s25
	s_mov_b32 s94, s80
	v_max_f64 v[9:10], v[29:30], v[13:14]
	v_min_f64 v[13:14], v[29:30], v[13:14]
	v_frexp_exp_i32_f64_e32 v3, v[9:10]
	v_sub_u32_e32 v11, 0, v3
	v_ldexp_f64 v[1:2], |v[7:8]|, v11
	v_ldexp_f64 v[31:32], |v[5:6]|, v11
	v_ashrrev_i32_e32 v5, 31, v6
	v_and_b32_e32 v11, 0x54442d18, v5
	v_mul_f64 v[1:2], v[1:2], v[1:2]
	v_fma_f64 v[1:2], v[31:32], v[31:32], v[1:2]
	v_rsq_f64_e32 v[31:32], v[1:2]
	v_cmp_eq_f64_e32 vcc, 0, v[1:2]
	v_mul_f64 v[43:44], v[1:2], v[31:32]
	v_mul_f64 v[31:32], v[31:32], 0.5
	v_fma_f64 v[45:46], -v[31:32], v[43:44], 0.5
	v_fma_f64 v[43:44], v[43:44], v[45:46], v[43:44]
	v_fma_f64 v[31:32], v[31:32], v[45:46], v[31:32]
	v_fma_f64 v[45:46], -v[43:44], v[43:44], v[1:2]
	v_fma_f64 v[31:32], v[45:46], v[31:32], v[43:44]
	v_cndmask_b32_e32 v2, v32, v2, vcc
	v_cndmask_b32_e32 v1, v31, v1, vcc
	v_ldexp_f64 v[1:2], v[1:2], v3
	s_or_b64 vcc, s[20:21], s[22:23]
	v_cndmask_b32_e32 v2, v2, v60, vcc
	v_cndmask_b32_e64 v1, v1, 0, vcc
	v_frexp_mant_f64_e32 v[31:32], v[1:2]
	v_cmp_gt_f64_e64 s[2:3], s[24:25], v[31:32]
	v_cndmask_b32_e64 v3, 0, 1, s[2:3]
	v_ldexp_f64 v[31:32], v[31:32], v3
	v_frexp_exp_i32_f64_e32 v3, v[1:2]
	v_add_f64 v[43:44], v[31:32], 1.0
	v_add_f64 v[49:50], v[31:32], -1.0
	v_rcp_f64_e32 v[45:46], v[43:44]
	v_add_f64 v[53:54], v[43:44], -1.0
	v_add_f64 v[31:32], v[31:32], -v[53:54]
	v_fma_f64 v[47:48], -v[43:44], v[45:46], 1.0
	v_fma_f64 v[29:30], v[47:48], v[45:46], v[45:46]
	v_div_scale_f64 v[45:46], s[6:7], v[9:10], v[9:10], v[13:14]
	s_mov_b32 s6, 0x69efb384
	s_mov_b32 s7, 0x3f4b2bb0
	v_fma_f64 v[47:48], -v[43:44], v[29:30], 1.0
	v_fma_f64 v[29:30], v[47:48], v[29:30], v[29:30]
	v_rcp_f64_e32 v[47:48], v[45:46]
	v_mul_f64 v[51:52], v[49:50], v[29:30]
	v_mul_f64 v[55:56], v[43:44], v[51:52]
	v_fma_f64 v[57:58], -v[45:46], v[47:48], 1.0
	v_fma_f64 v[43:44], v[51:52], v[43:44], -v[55:56]
	v_fma_f64 v[47:48], v[47:48], v[57:58], v[47:48]
	v_fma_f64 v[31:32], v[51:52], v[31:32], v[43:44]
	v_div_scale_f64 v[43:44], vcc, v[13:14], v[9:10], v[13:14]
	v_fma_f64 v[53:54], -v[45:46], v[47:48], 1.0
	v_add_f64 v[57:58], v[55:56], v[31:32]
	v_fma_f64 v[47:48], v[47:48], v[53:54], v[47:48]
	v_add_f64 v[53:54], v[49:50], -v[57:58]
	v_add_f64 v[55:56], v[57:58], -v[55:56]
	v_mul_f64 v[67:68], v[43:44], v[47:48]
	v_add_f64 v[49:50], v[49:50], -v[53:54]
	v_add_f64 v[31:32], v[55:56], -v[31:32]
	v_fma_f64 v[43:44], -v[45:46], v[67:68], v[43:44]
	v_add_f64 v[45:46], v[49:50], -v[57:58]
	v_div_fmas_f64 v[43:44], v[43:44], v[47:48], v[67:68]
	v_subbrev_co_u32_e64 v3, vcc, 0, v3, s[2:3]
	v_cmp_eq_f64_e64 s[2:3], 0, v[7:8]
	v_cmp_gt_i32_e32 vcc, 0, v6
	v_add_f64 v[31:32], v[31:32], v[45:46]
	v_cndmask_b32_e32 v15, v65, v66, vcc
	v_add_f64 v[31:32], v[53:54], v[31:32]
	v_div_fixup_f64 v[9:10], v[43:44], v[9:10], v[13:14]
	v_mul_f64 v[13:14], v[29:30], v[31:32]
	v_mul_f64 v[29:30], v[9:10], v[9:10]
	v_add_f64 v[31:32], v[51:52], v[13:14]
	v_fma_f64 v[43:44], v[29:30], s[18:19], v[37:38]
	v_mul_f64 v[45:46], v[31:32], v[31:32]
	v_fma_f64 v[43:44], v[29:30], v[43:44], s[6:7]
	v_cmp_class_f64_e64 s[6:7], v[1:2], s44
	v_fma_f64 v[47:48], v[45:46], s[26:27], v[35:36]
	v_mul_f64 v[49:50], v[31:32], v[45:46]
	v_fma_f64 v[43:44], v[29:30], v[43:44], s[46:47]
	v_fma_f64 v[47:48], v[45:46], v[47:48], s[28:29]
	;; [unrolled: 1-line block ×10, first 2 shown]
	v_ldexp_f64 v[47:48], v[31:32], 1
	v_add_f64 v[31:32], v[31:32], -v[51:52]
	v_fma_f64 v[43:44], v[29:30], v[43:44], s[56:57]
	v_cvt_f64_i32_e32 v[51:52], v3
	v_cndmask_b32_e32 v3, v63, v64, vcc
	v_mul_f64 v[45:46], v[49:50], v[45:46]
	v_mul_f64 v[53:54], v[51:52], s[38:39]
	v_add_f64 v[13:14], v[13:14], -v[31:32]
	v_fma_f64 v[43:44], v[29:30], v[43:44], s[58:59]
	v_add_f64 v[49:50], v[47:48], v[45:46]
	v_ldexp_f64 v[13:14], v[13:14], 1
	v_fma_f64 v[43:44], v[29:30], v[43:44], s[60:61]
	v_add_f64 v[31:32], v[49:50], -v[47:48]
	v_fma_f64 v[47:48], v[51:52], s[38:39], -v[53:54]
	v_fma_f64 v[43:44], v[29:30], v[43:44], s[62:63]
	v_add_f64 v[31:32], v[45:46], -v[31:32]
	v_fma_f64 v[45:46], v[51:52], s[40:41], v[47:48]
	v_fma_f64 v[43:44], v[29:30], v[43:44], s[64:65]
	v_add_f64 v[13:14], v[13:14], v[31:32]
	v_fma_f64 v[31:32], v[29:30], v[43:44], s[66:67]
	v_add_f64 v[43:44], v[53:54], v[45:46]
	v_add_f64 v[47:48], v[49:50], v[13:14]
	v_fma_f64 v[31:32], v[29:30], v[31:32], s[68:69]
	v_add_f64 v[53:54], v[43:44], -v[53:54]
	v_add_f64 v[51:52], v[43:44], v[47:48]
	v_add_f64 v[49:50], v[47:48], -v[49:50]
	v_fma_f64 v[31:32], v[29:30], v[31:32], s[70:71]
	v_add_f64 v[45:46], v[45:46], -v[53:54]
	v_add_f64 v[55:56], v[51:52], -v[43:44]
	;; [unrolled: 1-line block ×3, first 2 shown]
	v_fma_f64 v[31:32], v[29:30], v[31:32], s[72:73]
	v_add_f64 v[57:58], v[51:52], -v[55:56]
	v_add_f64 v[47:48], v[47:48], -v[55:56]
	v_add_f64 v[49:50], v[45:46], v[13:14]
	v_fma_f64 v[31:32], v[29:30], v[31:32], s[74:75]
	v_add_f64 v[43:44], v[43:44], -v[57:58]
	v_fma_f64 v[31:32], v[29:30], v[31:32], s[76:77]
	v_add_f64 v[43:44], v[47:48], v[43:44]
	v_add_f64 v[47:48], v[49:50], -v[45:46]
	v_fma_f64 v[31:32], v[29:30], v[31:32], s[78:79]
	v_add_f64 v[43:44], v[49:50], v[43:44]
	v_add_f64 v[13:14], v[13:14], -v[47:48]
	v_mul_f64 v[29:30], v[29:30], v[31:32]
	v_add_f64 v[31:32], v[49:50], -v[47:48]
	v_add_f64 v[49:50], v[51:52], v[43:44]
	v_fma_f64 v[9:10], v[9:10], v[29:30], v[9:10]
	v_add_f64 v[29:30], v[45:46], -v[31:32]
	v_add_f64 v[31:32], v[49:50], -v[51:52]
	v_add_f64 v[45:46], -v[9:10], s[80:81]
	v_add_f64 v[13:14], v[13:14], v[29:30]
	v_add_f64 v[29:30], v[43:44], -v[31:32]
	v_cndmask_b32_e64 v10, v10, v46, s[0:1]
	v_cndmask_b32_e64 v9, v9, v45, s[0:1]
	v_add_f64 v[31:32], -v[9:10], s[94:95]
	v_add_f64 v[13:14], v[13:14], v[29:30]
	v_and_b32_e32 v29, 0x400921fb, v5
	v_cndmask_b32_e32 v9, v9, v31, vcc
	v_cndmask_b32_e32 v10, v10, v32, vcc
	v_cndmask_b32_e64 v9, v9, v11, s[2:3]
	v_add_f64 v[5:6], v[49:50], v[13:14]
	v_cndmask_b32_e64 v10, v10, v29, s[2:3]
	v_cmp_ngt_f64_e64 s[2:3], 0, v[1:2]
	v_bfi_b32 v13, s42, v15, v8
	s_and_b64 vcc, s[20:21], s[22:23]
	v_cndmask_b32_e32 v32, v10, v13, vcc
	v_cndmask_b32_e32 v31, v9, v3, vcc
	v_cndmask_b32_e64 v6, v6, v2, s[6:7]
	v_cndmask_b32_e64 v5, v5, v1, s[6:7]
	;; [unrolled: 1-line block ×3, first 2 shown]
	v_cmp_nge_f64_e64 s[2:3], 0, v[1:2]
	v_cndmask_b32_e64 v29, 0, v5, s[2:3]
	v_cmp_neq_f64_e64 s[2:3], 0, v[1:2]
	v_cndmask_b32_e64 v30, v62, v6, s[2:3]
.LBB167_124:                            ;   in Loop: Header=BB167_5 Depth=1
	s_or_b64 exec, exec, s[8:9]
                                        ; implicit-def: $vgpr9_vgpr10
.LBB167_125:                            ;   in Loop: Header=BB167_5 Depth=1
	s_andn2_saveexec_b64 s[8:9], s[90:91]
	s_cbranch_execz .LBB167_131
; %bb.126:                              ;   in Loop: Header=BB167_5 Depth=1
	s_mov_b32 s2, 0x6a3f9475
	s_mov_b32 s3, 0x20ca2fe7
	v_cmp_ngt_f64_e32 vcc, s[2:3], v[9:10]
                                        ; implicit-def: $vgpr29_vgpr30
	s_and_saveexec_b64 s[2:3], vcc
	s_xor_b64 s[20:21], exec, s[2:3]
	s_cbranch_execz .LBB167_128
; %bb.127:                              ;   in Loop: Header=BB167_5 Depth=1
	v_mul_f64 v[1:2], v[9:10], v[9:10]
	s_mov_b32 s89, s25
	s_mov_b32 s94, s80
	;; [unrolled: 1-line block ×3, first 2 shown]
	v_cmp_class_f64_e64 s[10:11], v[7:8], s44
	s_mov_b32 s7, 0x7ff00000
	v_add_f64 v[9:10], v[1:2], 1.0
	v_cmp_neq_f64_e64 s[6:7], s[6:7], v[1:2]
	v_frexp_mant_f64_e32 v[29:30], v[9:10]
	v_frexp_exp_i32_f64_e32 v3, v[9:10]
	v_add_f64 v[13:14], v[9:10], -1.0
	v_cmp_gt_f64_e32 vcc, s[24:25], v[29:30]
	v_add_f64 v[31:32], v[13:14], -v[9:10]
	v_add_f64 v[13:14], v[1:2], -v[13:14]
	v_subbrev_co_u32_e32 v3, vcc, 0, v3, vcc
	v_sub_u32_e32 v11, 0, v3
	v_ldexp_f64 v[9:10], v[9:10], v11
	v_add_f64 v[29:30], v[31:32], 1.0
	v_add_f64 v[31:32], v[9:10], 1.0
	v_add_f64 v[13:14], v[13:14], v[29:30]
	v_add_f64 v[47:48], v[9:10], -1.0
	v_add_f64 v[29:30], v[31:32], -1.0
	v_ldexp_f64 v[13:14], v[13:14], v11
	v_add_f64 v[49:50], v[47:48], 1.0
	v_add_f64 v[29:30], v[9:10], -v[29:30]
	v_add_f64 v[9:10], v[9:10], -v[49:50]
	v_add_f64 v[43:44], v[13:14], v[29:30]
	v_add_f64 v[49:50], v[13:14], v[9:10]
	;; [unrolled: 1-line block ×3, first 2 shown]
	v_rcp_f64_e32 v[45:46], v[29:30]
	v_add_f64 v[31:32], v[31:32], -v[29:30]
	v_add_f64 v[43:44], v[43:44], v[31:32]
	v_fma_f64 v[51:52], -v[29:30], v[45:46], 1.0
	v_fma_f64 v[45:46], v[51:52], v[45:46], v[45:46]
	v_add_f64 v[51:52], v[47:48], v[49:50]
	v_fma_f64 v[9:10], -v[29:30], v[45:46], 1.0
	v_add_f64 v[47:48], v[47:48], -v[51:52]
	v_fma_f64 v[9:10], v[9:10], v[45:46], v[45:46]
	v_add_f64 v[47:48], v[49:50], v[47:48]
	v_mul_f64 v[13:14], v[51:52], v[9:10]
	v_mul_f64 v[45:46], v[29:30], v[13:14]
	v_fma_f64 v[31:32], v[13:14], v[29:30], -v[45:46]
	v_fma_f64 v[53:54], v[13:14], v[43:44], v[31:32]
	v_add_f64 v[55:56], v[45:46], v[53:54]
	v_add_f64 v[31:32], v[51:52], -v[55:56]
	v_add_f64 v[45:46], v[55:56], -v[45:46]
	;; [unrolled: 1-line block ×5, first 2 shown]
	v_add_f64 v[47:48], v[47:48], v[49:50]
	v_max_f64 v[49:50], |v[5:6]|, |v[5:6]|
	v_add_f64 v[45:46], v[45:46], v[47:48]
	v_max_f64 v[47:48], |v[7:8]|, |v[7:8]|
	v_add_f64 v[51:52], v[31:32], v[45:46]
	v_max_f64 v[53:54], v[49:50], v[47:48]
	v_min_f64 v[47:48], v[49:50], v[47:48]
	v_mul_f64 v[49:50], v[9:10], v[51:52]
	v_add_f64 v[31:32], v[31:32], -v[51:52]
	v_div_scale_f64 v[55:56], s[2:3], v[53:54], v[53:54], v[47:48]
	s_mov_b32 s2, 0x69efb384
	s_mov_b32 s3, 0x3f4b2bb0
	v_mul_f64 v[57:58], v[29:30], v[49:50]
	v_add_f64 v[31:32], v[45:46], v[31:32]
	v_fma_f64 v[29:30], v[49:50], v[29:30], -v[57:58]
	v_rcp_f64_e32 v[67:68], v[55:56]
	v_fma_f64 v[29:30], v[49:50], v[43:44], v[29:30]
	v_add_f64 v[43:44], v[57:58], v[29:30]
	v_fma_f64 v[69:70], -v[55:56], v[67:68], 1.0
	v_add_f64 v[71:72], v[51:52], -v[43:44]
	v_add_f64 v[45:46], v[43:44], -v[57:58]
	v_fma_f64 v[67:68], v[67:68], v[69:70], v[67:68]
	v_div_scale_f64 v[69:70], vcc, v[47:48], v[53:54], v[47:48]
	v_add_f64 v[51:52], v[51:52], -v[71:72]
	v_add_f64 v[29:30], v[45:46], -v[29:30]
	v_fma_f64 v[73:74], -v[55:56], v[67:68], 1.0
	v_add_f64 v[45:46], v[13:14], v[49:50]
	v_add_f64 v[43:44], v[51:52], -v[43:44]
	v_fma_f64 v[51:52], v[67:68], v[73:74], v[67:68]
	v_add_f64 v[13:14], v[45:46], -v[13:14]
	v_add_f64 v[31:32], v[31:32], v[43:44]
	v_mul_f64 v[43:44], v[69:70], v[51:52]
	v_add_f64 v[13:14], v[49:50], -v[13:14]
	v_add_f64 v[29:30], v[29:30], v[31:32]
	v_fma_f64 v[31:32], -v[55:56], v[43:44], v[69:70]
	v_add_f64 v[29:30], v[71:72], v[29:30]
	v_div_fmas_f64 v[31:32], v[31:32], v[51:52], v[43:44]
	v_cmp_gt_i32_e32 vcc, 0, v6
	v_cndmask_b32_e32 v15, v65, v66, vcc
	v_bfi_b32 v1, s42, v15, v8
	v_mul_f64 v[9:10], v[9:10], v[29:30]
	v_add_f64 v[9:10], v[13:14], v[9:10]
	v_div_fixup_f64 v[13:14], v[31:32], v[53:54], v[47:48]
	v_add_f64 v[29:30], v[45:46], v[9:10]
	v_mul_f64 v[31:32], v[13:14], v[13:14]
	v_mul_f64 v[43:44], v[29:30], v[29:30]
	v_fma_f64 v[47:48], v[31:32], s[18:19], v[37:38]
	v_cmp_class_f64_e64 s[18:19], v[5:6], s44
	v_ashrrev_i32_e32 v5, 31, v6
	v_and_b32_e32 v11, 0x54442d18, v5
	v_fma_f64 v[49:50], v[43:44], s[26:27], v[35:36]
	v_mul_f64 v[51:52], v[29:30], v[43:44]
	v_fma_f64 v[47:48], v[31:32], v[47:48], s[2:3]
	v_cmp_eq_f64_e64 s[2:3], 0, v[7:8]
	v_fma_f64 v[49:50], v[43:44], v[49:50], s[28:29]
	v_fma_f64 v[47:48], v[31:32], v[47:48], s[46:47]
	;; [unrolled: 1-line block ×9, first 2 shown]
	v_ldexp_f64 v[49:50], v[29:30], 1
	v_fma_f64 v[47:48], v[31:32], v[47:48], s[54:55]
	v_add_f64 v[29:30], v[29:30], -v[45:46]
	v_mul_f64 v[43:44], v[51:52], v[43:44]
	v_cvt_f64_i32_e32 v[51:52], v3
	v_fma_f64 v[47:48], v[31:32], v[47:48], s[56:57]
	v_add_f64 v[9:10], v[9:10], -v[29:30]
	v_cndmask_b32_e32 v3, v63, v64, vcc
	v_mul_f64 v[53:54], v[51:52], s[38:39]
	v_add_f64 v[45:46], v[49:50], v[43:44]
	v_fma_f64 v[47:48], v[31:32], v[47:48], s[58:59]
	v_ldexp_f64 v[9:10], v[9:10], 1
	v_add_f64 v[29:30], v[45:46], -v[49:50]
	v_fma_f64 v[49:50], v[51:52], s[38:39], -v[53:54]
	v_fma_f64 v[47:48], v[31:32], v[47:48], s[60:61]
	v_add_f64 v[29:30], v[43:44], -v[29:30]
	v_fma_f64 v[43:44], v[31:32], v[47:48], s[62:63]
	v_fma_f64 v[47:48], v[51:52], s[40:41], v[49:50]
	v_add_f64 v[9:10], v[9:10], v[29:30]
	v_fma_f64 v[29:30], v[31:32], v[43:44], s[64:65]
	v_add_f64 v[43:44], v[53:54], v[47:48]
	v_add_f64 v[49:50], v[45:46], v[9:10]
	v_fma_f64 v[29:30], v[31:32], v[29:30], s[66:67]
	v_add_f64 v[53:54], v[43:44], -v[53:54]
	v_add_f64 v[51:52], v[43:44], v[49:50]
	v_add_f64 v[45:46], v[49:50], -v[45:46]
	v_fma_f64 v[29:30], v[31:32], v[29:30], s[68:69]
	v_add_f64 v[47:48], v[47:48], -v[53:54]
	v_add_f64 v[55:56], v[51:52], -v[43:44]
	;; [unrolled: 1-line block ×3, first 2 shown]
	v_fma_f64 v[29:30], v[31:32], v[29:30], s[70:71]
	v_add_f64 v[57:58], v[51:52], -v[55:56]
	v_add_f64 v[45:46], v[49:50], -v[55:56]
	v_fma_f64 v[29:30], v[31:32], v[29:30], s[72:73]
	v_add_f64 v[49:50], v[47:48], v[9:10]
	v_add_f64 v[43:44], v[43:44], -v[57:58]
	v_fma_f64 v[29:30], v[31:32], v[29:30], s[74:75]
	v_add_f64 v[43:44], v[45:46], v[43:44]
	;; [unrolled: 3-line block ×3, first 2 shown]
	v_add_f64 v[49:50], v[49:50], -v[45:46]
	v_fma_f64 v[29:30], v[31:32], v[29:30], s[78:79]
	v_add_f64 v[9:10], v[9:10], -v[45:46]
	v_add_f64 v[53:54], v[51:52], v[43:44]
	v_mul_f64 v[29:30], v[31:32], v[29:30]
	v_add_f64 v[31:32], v[47:48], -v[49:50]
	v_add_f64 v[45:46], v[53:54], -v[51:52]
	v_fma_f64 v[13:14], v[13:14], v[29:30], v[13:14]
	v_add_f64 v[9:10], v[9:10], v[31:32]
	v_add_f64 v[29:30], v[43:44], -v[45:46]
	v_add_f64 v[31:32], -v[13:14], s[80:81]
	v_add_f64 v[9:10], v[9:10], v[29:30]
	v_cndmask_b32_e64 v14, v14, v32, s[0:1]
	v_cndmask_b32_e64 v13, v13, v31, s[0:1]
	v_add_f64 v[29:30], -v[13:14], s[94:95]
	v_add_f64 v[9:10], v[53:54], v[9:10]
	v_cndmask_b32_e32 v13, v13, v29, vcc
	v_and_b32_e32 v29, 0x400921fb, v5
	v_cndmask_b32_e32 v2, v14, v30, vcc
	v_cndmask_b32_e64 v2, v2, v29, s[2:3]
	v_mul_f64 v[5:6], v[9:10], 0.5
	v_cndmask_b32_e64 v9, v13, v11, s[2:3]
	s_and_b64 vcc, s[18:19], s[10:11]
	s_mov_b32 s18, 0xb5e68a13
	s_mov_b32 s19, 0x3eeba404
	v_cndmask_b32_e32 v32, v2, v1, vcc
	v_cndmask_b32_e32 v31, v9, v3, vcc
                                        ; implicit-def: $vgpr9_vgpr10
	v_cndmask_b32_e64 v30, v60, v6, s[6:7]
	v_cndmask_b32_e64 v29, 0, v5, s[6:7]
.LBB167_128:                            ;   in Loop: Header=BB167_5 Depth=1
	s_andn2_saveexec_b64 s[6:7], s[20:21]
	s_cbranch_execz .LBB167_130
; %bb.129:                              ;   in Loop: Header=BB167_5 Depth=1
	v_max_f64 v[1:2], |v[7:8]|, |v[7:8]|
	v_max_f64 v[13:14], |v[5:6]|, |v[5:6]|
	s_mov_b32 s94, s80
	v_cmp_class_f64_e64 s[10:11], v[7:8], s44
	v_ashrrev_i32_e32 v3, 31, v6
	v_and_b32_e32 v15, 0x54442d18, v3
	v_and_b32_e32 v3, 0x400921fb, v3
	v_max_f64 v[29:30], v[13:14], v[1:2]
	v_min_f64 v[1:2], v[13:14], v[1:2]
	v_div_scale_f64 v[13:14], s[2:3], v[29:30], v[29:30], v[1:2]
	s_mov_b32 s2, 0x69efb384
	s_mov_b32 s3, 0x3f4b2bb0
	v_rcp_f64_e32 v[31:32], v[13:14]
	v_fma_f64 v[43:44], -v[13:14], v[31:32], 1.0
	v_fma_f64 v[31:32], v[31:32], v[43:44], v[31:32]
	v_div_scale_f64 v[43:44], vcc, v[1:2], v[29:30], v[1:2]
	v_fma_f64 v[45:46], -v[13:14], v[31:32], 1.0
	v_fma_f64 v[31:32], v[31:32], v[45:46], v[31:32]
	v_mul_f64 v[45:46], v[43:44], v[31:32]
	v_fma_f64 v[13:14], -v[13:14], v[45:46], v[43:44]
	v_div_fmas_f64 v[13:14], v[13:14], v[31:32], v[45:46]
	v_cmp_gt_i32_e32 vcc, 0, v6
	v_cndmask_b32_e32 v11, v63, v64, vcc
	v_div_fixup_f64 v[1:2], v[13:14], v[29:30], v[1:2]
	v_mul_f64 v[13:14], v[1:2], v[1:2]
	v_fma_f64 v[29:30], v[13:14], s[18:19], v[37:38]
	v_cmp_class_f64_e64 s[18:19], v[5:6], s44
	v_cndmask_b32_e32 v5, v65, v66, vcc
	v_bfi_b32 v5, s42, v5, v8
	v_fma_f64 v[29:30], v[13:14], v[29:30], s[2:3]
	v_cmp_eq_f64_e64 s[2:3], 0, v[7:8]
	v_fma_f64 v[29:30], v[13:14], v[29:30], s[46:47]
	v_fma_f64 v[29:30], v[13:14], v[29:30], s[48:49]
	;; [unrolled: 1-line block ×17, first 2 shown]
	v_mul_f64 v[13:14], v[13:14], v[29:30]
	v_mul_f64 v[29:30], v[9:10], 0.5
	v_fma_f64 v[1:2], v[1:2], v[13:14], v[1:2]
	v_mul_f64 v[29:30], v[9:10], v[29:30]
	v_add_f64 v[13:14], -v[1:2], s[80:81]
	v_cndmask_b32_e64 v2, v2, v14, s[0:1]
	v_cndmask_b32_e64 v1, v1, v13, s[0:1]
	v_add_f64 v[13:14], -v[1:2], s[94:95]
	v_cndmask_b32_e32 v1, v1, v13, vcc
	v_cndmask_b32_e32 v2, v2, v14, vcc
	v_cndmask_b32_e64 v1, v1, v15, s[2:3]
	v_cndmask_b32_e64 v2, v2, v3, s[2:3]
	s_and_b64 vcc, s[18:19], s[10:11]
	s_mov_b32 s18, 0xb5e68a13
	s_mov_b32 s19, 0x3eeba404
	v_cndmask_b32_e32 v32, v2, v5, vcc
	v_cndmask_b32_e32 v31, v1, v11, vcc
.LBB167_130:                            ;   in Loop: Header=BB167_5 Depth=1
	s_or_b64 exec, exec, s[6:7]
.LBB167_131:                            ;   in Loop: Header=BB167_5 Depth=1
	s_or_b64 exec, exec, s[8:9]
.LBB167_132:                            ;   in Loop: Header=BB167_5 Depth=1
	s_andn2_saveexec_b64 s[6:7], s[14:15]
	s_cbranch_execz .LBB167_134
; %bb.133:                              ;   in Loop: Header=BB167_5 Depth=1
	v_div_scale_f64 v[1:2], s[2:3], s[86:87], s[86:87], v[5:6]
	v_div_scale_f64 v[9:10], s[2:3], s[86:87], s[86:87], v[7:8]
	;; [unrolled: 1-line block ×3, first 2 shown]
	s_mov_b32 s89, s25
	s_mov_b32 s94, s80
	v_cmp_class_f64_e64 s[10:11], v[5:6], s44
	v_rcp_f64_e32 v[13:14], v[1:2]
	v_rcp_f64_e32 v[29:30], v[9:10]
	v_fma_f64 v[31:32], -v[1:2], v[13:14], 1.0
	v_fma_f64 v[43:44], -v[9:10], v[29:30], 1.0
	v_fma_f64 v[13:14], v[13:14], v[31:32], v[13:14]
	v_div_scale_f64 v[31:32], vcc, v[5:6], s[86:87], v[5:6]
	v_fma_f64 v[29:30], v[29:30], v[43:44], v[29:30]
	v_fma_f64 v[43:44], -v[1:2], v[13:14], 1.0
	v_fma_f64 v[47:48], -v[9:10], v[29:30], 1.0
	v_fma_f64 v[13:14], v[13:14], v[43:44], v[13:14]
	v_fma_f64 v[29:30], v[29:30], v[47:48], v[29:30]
	v_mul_f64 v[43:44], v[31:32], v[13:14]
	v_mul_f64 v[47:48], v[45:46], v[29:30]
	v_fma_f64 v[1:2], -v[1:2], v[43:44], v[31:32]
	v_fma_f64 v[9:10], -v[9:10], v[47:48], v[45:46]
	v_max_f64 v[45:46], |v[5:6]|, |v[5:6]|
	v_div_fmas_f64 v[1:2], v[1:2], v[13:14], v[43:44]
	s_mov_b64 vcc, s[2:3]
	v_div_fmas_f64 v[9:10], v[9:10], v[29:30], v[47:48]
	v_div_fixup_f64 v[1:2], v[1:2], s[86:87], v[5:6]
	v_ashrrev_i32_e32 v5, 31, v6
	v_and_b32_e32 v15, 0x54442d18, v5
	v_div_fixup_f64 v[9:10], v[9:10], s[86:87], v[7:8]
	v_cmp_class_f64_e64 s[2:3], v[1:2], s44
	v_max_f64 v[13:14], |v[1:2]|, |v[9:10]|
	v_cmp_class_f64_e64 s[8:9], v[9:10], s44
	v_frexp_exp_i32_f64_e32 v3, v[13:14]
	v_sub_u32_e32 v11, 0, v3
	v_ldexp_f64 v[13:14], |v[9:10]|, v11
	v_ldexp_f64 v[29:30], |v[1:2]|, v11
	v_mul_f64 v[13:14], v[13:14], v[13:14]
	v_fma_f64 v[13:14], v[29:30], v[29:30], v[13:14]
	v_rsq_f64_e32 v[29:30], v[13:14]
	v_cmp_eq_f64_e32 vcc, 0, v[13:14]
	v_mul_f64 v[31:32], v[13:14], v[29:30]
	v_mul_f64 v[29:30], v[29:30], 0.5
	v_fma_f64 v[43:44], -v[29:30], v[31:32], 0.5
	v_fma_f64 v[31:32], v[31:32], v[43:44], v[31:32]
	v_fma_f64 v[29:30], v[29:30], v[43:44], v[29:30]
	v_fma_f64 v[43:44], -v[31:32], v[31:32], v[13:14]
	v_fma_f64 v[29:30], v[43:44], v[29:30], v[31:32]
	v_max_f64 v[43:44], |v[7:8]|, |v[7:8]|
	v_cndmask_b32_e32 v14, v30, v14, vcc
	v_cndmask_b32_e32 v13, v29, v13, vcc
	v_ldexp_f64 v[13:14], v[13:14], v3
	v_cmp_o_f64_e32 vcc, v[1:2], v[9:10]
	v_cndmask_b32_e32 v1, 0, v13, vcc
	v_cndmask_b32_e32 v2, v61, v14, vcc
	s_or_b64 vcc, s[2:3], s[8:9]
	v_cndmask_b32_e32 v2, v2, v60, vcc
	v_cndmask_b32_e64 v1, v1, 0, vcc
	v_frexp_mant_f64_e32 v[9:10], v[1:2]
	v_cmp_gt_f64_e64 s[2:3], s[24:25], v[9:10]
	v_cndmask_b32_e64 v3, 0, 1, s[2:3]
	v_ldexp_f64 v[9:10], v[9:10], v3
	v_frexp_exp_i32_f64_e32 v3, v[1:2]
	v_add_f64 v[13:14], v[9:10], 1.0
	v_add_f64 v[49:50], v[9:10], -1.0
	v_rcp_f64_e32 v[29:30], v[13:14]
	v_add_f64 v[53:54], v[13:14], -1.0
	v_add_f64 v[9:10], v[9:10], -v[53:54]
	v_fma_f64 v[31:32], -v[13:14], v[29:30], 1.0
	v_fma_f64 v[29:30], v[31:32], v[29:30], v[29:30]
	v_max_f64 v[31:32], v[45:46], v[43:44]
	v_min_f64 v[43:44], v[45:46], v[43:44]
	v_fma_f64 v[45:46], -v[13:14], v[29:30], 1.0
	v_div_scale_f64 v[47:48], s[8:9], v[31:32], v[31:32], v[43:44]
	s_mov_b32 s8, 0x69efb384
	s_mov_b32 s9, 0x3f4b2bb0
	v_fma_f64 v[29:30], v[45:46], v[29:30], v[29:30]
	v_mul_f64 v[45:46], v[49:50], v[29:30]
	v_rcp_f64_e32 v[51:52], v[47:48]
	v_mul_f64 v[55:56], v[13:14], v[45:46]
	v_fma_f64 v[13:14], v[45:46], v[13:14], -v[55:56]
	v_fma_f64 v[53:54], -v[47:48], v[51:52], 1.0
	v_fma_f64 v[9:10], v[45:46], v[9:10], v[13:14]
	v_fma_f64 v[13:14], v[51:52], v[53:54], v[51:52]
	v_div_scale_f64 v[53:54], vcc, v[43:44], v[31:32], v[43:44]
	v_add_f64 v[51:52], v[55:56], v[9:10]
	v_fma_f64 v[57:58], -v[47:48], v[13:14], 1.0
	v_add_f64 v[67:68], v[49:50], -v[51:52]
	v_add_f64 v[55:56], v[51:52], -v[55:56]
	v_fma_f64 v[13:14], v[13:14], v[57:58], v[13:14]
	v_add_f64 v[49:50], v[49:50], -v[67:68]
	v_add_f64 v[9:10], v[55:56], -v[9:10]
	v_mul_f64 v[57:58], v[53:54], v[13:14]
	v_add_f64 v[49:50], v[49:50], -v[51:52]
	v_fma_f64 v[47:48], -v[47:48], v[57:58], v[53:54]
	v_add_f64 v[9:10], v[9:10], v[49:50]
	v_div_fmas_f64 v[13:14], v[47:48], v[13:14], v[57:58]
	v_subbrev_co_u32_e64 v3, vcc, 0, v3, s[2:3]
	v_cmp_gt_i32_e32 vcc, 0, v6
	v_cmp_eq_f64_e64 s[2:3], 0, v[7:8]
	v_cndmask_b32_e32 v11, v65, v66, vcc
	v_add_f64 v[9:10], v[67:68], v[9:10]
	v_mul_f64 v[9:10], v[29:30], v[9:10]
	v_div_fixup_f64 v[13:14], v[13:14], v[31:32], v[43:44]
	v_add_f64 v[29:30], v[45:46], v[9:10]
	v_mul_f64 v[31:32], v[13:14], v[13:14]
	v_mul_f64 v[43:44], v[29:30], v[29:30]
	v_fma_f64 v[47:48], v[31:32], s[18:19], v[37:38]
	v_fma_f64 v[49:50], v[43:44], s[26:27], v[35:36]
	v_mul_f64 v[51:52], v[29:30], v[43:44]
	v_fma_f64 v[47:48], v[31:32], v[47:48], s[8:9]
	v_cmp_class_f64_e64 s[8:9], v[7:8], s44
	v_fma_f64 v[49:50], v[43:44], v[49:50], s[28:29]
	v_fma_f64 v[47:48], v[31:32], v[47:48], s[46:47]
	;; [unrolled: 1-line block ×9, first 2 shown]
	v_ldexp_f64 v[49:50], v[29:30], 1
	v_fma_f64 v[47:48], v[31:32], v[47:48], s[54:55]
	v_add_f64 v[29:30], v[29:30], -v[45:46]
	v_mul_f64 v[43:44], v[51:52], v[43:44]
	v_cvt_f64_i32_e32 v[51:52], v3
	v_fma_f64 v[47:48], v[31:32], v[47:48], s[56:57]
	v_add_f64 v[9:10], v[9:10], -v[29:30]
	v_cndmask_b32_e32 v3, v63, v64, vcc
	v_mul_f64 v[53:54], v[51:52], s[38:39]
	v_add_f64 v[45:46], v[49:50], v[43:44]
	v_fma_f64 v[47:48], v[31:32], v[47:48], s[58:59]
	v_ldexp_f64 v[9:10], v[9:10], 1
	v_add_f64 v[29:30], v[45:46], -v[49:50]
	v_fma_f64 v[49:50], v[51:52], s[38:39], -v[53:54]
	v_fma_f64 v[47:48], v[31:32], v[47:48], s[60:61]
	v_add_f64 v[29:30], v[43:44], -v[29:30]
	v_fma_f64 v[43:44], v[31:32], v[47:48], s[62:63]
	v_fma_f64 v[47:48], v[51:52], s[40:41], v[49:50]
	v_add_f64 v[9:10], v[9:10], v[29:30]
	v_fma_f64 v[29:30], v[31:32], v[43:44], s[64:65]
	v_add_f64 v[43:44], v[53:54], v[47:48]
	v_add_f64 v[49:50], v[45:46], v[9:10]
	v_fma_f64 v[29:30], v[31:32], v[29:30], s[66:67]
	v_add_f64 v[53:54], v[43:44], -v[53:54]
	v_add_f64 v[51:52], v[43:44], v[49:50]
	v_add_f64 v[45:46], v[49:50], -v[45:46]
	v_fma_f64 v[29:30], v[31:32], v[29:30], s[68:69]
	v_add_f64 v[47:48], v[47:48], -v[53:54]
	v_add_f64 v[55:56], v[51:52], -v[43:44]
	;; [unrolled: 1-line block ×3, first 2 shown]
	v_fma_f64 v[29:30], v[31:32], v[29:30], s[70:71]
	v_add_f64 v[57:58], v[51:52], -v[55:56]
	v_add_f64 v[45:46], v[49:50], -v[55:56]
	v_fma_f64 v[29:30], v[31:32], v[29:30], s[72:73]
	v_add_f64 v[49:50], v[47:48], v[9:10]
	v_add_f64 v[43:44], v[43:44], -v[57:58]
	v_fma_f64 v[29:30], v[31:32], v[29:30], s[74:75]
	v_add_f64 v[43:44], v[45:46], v[43:44]
	;; [unrolled: 3-line block ×3, first 2 shown]
	v_add_f64 v[49:50], v[49:50], -v[45:46]
	v_fma_f64 v[29:30], v[31:32], v[29:30], s[78:79]
	v_add_f64 v[9:10], v[9:10], -v[45:46]
	v_add_f64 v[53:54], v[51:52], v[43:44]
	v_mul_f64 v[29:30], v[31:32], v[29:30]
	v_add_f64 v[31:32], v[47:48], -v[49:50]
	v_add_f64 v[45:46], v[53:54], -v[51:52]
	v_fma_f64 v[13:14], v[13:14], v[29:30], v[13:14]
	v_add_f64 v[9:10], v[9:10], v[31:32]
	v_add_f64 v[29:30], v[43:44], -v[45:46]
	v_add_f64 v[31:32], -v[13:14], s[80:81]
	v_add_f64 v[9:10], v[9:10], v[29:30]
	v_cndmask_b32_e64 v14, v14, v32, s[0:1]
	v_cndmask_b32_e64 v13, v13, v31, s[0:1]
	v_add_f64 v[29:30], -v[13:14], s[94:95]
	v_cmp_class_f64_e64 s[0:1], v[1:2], s44
	v_add_f64 v[9:10], v[53:54], v[9:10]
	v_cndmask_b32_e32 v13, v13, v29, vcc
	v_and_b32_e32 v29, 0x400921fb, v5
	v_cndmask_b32_e64 v6, v10, v2, s[0:1]
	v_cndmask_b32_e64 v5, v9, v1, s[0:1]
	v_add_f64 v[5:6], v[5:6], 1.0
	v_cmp_ngt_f64_e64 s[0:1], 0, v[1:2]
	v_cndmask_b32_e32 v10, v14, v30, vcc
	v_cndmask_b32_e64 v10, v10, v29, s[2:3]
	v_bfi_b32 v9, s42, v11, v8
	v_cndmask_b32_e64 v11, v13, v15, s[2:3]
	s_and_b64 vcc, s[10:11], s[8:9]
	v_cndmask_b32_e32 v32, v10, v9, vcc
	v_cndmask_b32_e32 v31, v11, v3, vcc
	v_cndmask_b32_e64 v6, v61, v6, s[0:1]
	v_cmp_nge_f64_e64 s[0:1], 0, v[1:2]
	v_cndmask_b32_e64 v29, 0, v5, s[0:1]
	v_cmp_neq_f64_e64 s[0:1], 0, v[1:2]
	v_cndmask_b32_e64 v30, v62, v6, s[0:1]
.LBB167_134:                            ;   in Loop: Header=BB167_5 Depth=1
	s_or_b64 exec, exec, s[6:7]
.LBB167_135:                            ;   in Loop: Header=BB167_5 Depth=1
	s_andn2_saveexec_b64 s[0:1], s[82:83]
	s_cbranch_execz .LBB167_4
; %bb.136:                              ;   in Loop: Header=BB167_5 Depth=1
	v_cmp_nlt_f64_e64 s[2:3], |v[5:6]|, s[92:93]
	v_cmp_nlt_f64_e64 s[6:7], |v[7:8]|, s[92:93]
                                        ; implicit-def: $vgpr1_vgpr2
	s_or_b64 s[2:3], s[2:3], s[6:7]
	s_and_saveexec_b64 s[6:7], s[2:3]
	s_xor_b64 s[2:3], exec, s[6:7]
	s_cbranch_execz .LBB167_138
; %bb.137:                              ;   in Loop: Header=BB167_5 Depth=1
	v_mul_f64 v[1:2], v[7:8], v[7:8]
	v_fma_f64 v[1:2], v[5:6], v[5:6], v[1:2]
.LBB167_138:                            ;   in Loop: Header=BB167_5 Depth=1
	s_andn2_saveexec_b64 s[2:3], s[2:3]
	s_cbranch_execz .LBB167_3
; %bb.139:                              ;   in Loop: Header=BB167_5 Depth=1
	v_mul_f64 v[1:2], v[7:8], 4.0
	v_mul_f64 v[5:6], v[5:6], 4.0
	v_mul_f64 v[1:2], v[1:2], v[1:2]
	v_fma_f64 v[1:2], v[5:6], v[5:6], v[1:2]
	v_ldexp_f64 v[1:2], v[1:2], -4
	s_branch .LBB167_3
.LBB167_140:
	v_readlane_b32 s0, v78, 4
	v_readlane_b32 s1, v78, 5
	s_or_b64 exec, exec, s[0:1]
	v_readlane_b32 s4, v78, 0
	v_readlane_b32 s10, v78, 2
	s_mov_b64 s[0:1], 0
	s_mov_b32 s59, s45
	v_readlane_b32 s5, v78, 1
	v_readlane_b32 s11, v78, 3
.LBB167_141:
	s_andn2_b64 vcc, exec, s[0:1]
	s_cbranch_vccnz .LBB167_297
; %bb.142:
	v_cmp_lt_i64_e64 s[0:1], s[10:11], 1
	s_and_b64 vcc, exec, s[0:1]
	s_cbranch_vccnz .LBB167_297
; %bb.143:
	v_mov_b32_e32 v1, 0x10000
	s_load_dword s2, s[4:5], 0xc5c
	v_mov_b32_e32 v2, 0
	v_cmp_lt_i64_e32 vcc, s[10:11], v[1:2]
	s_mov_b32 s26, 0x55555555
	s_and_b64 s[0:1], vcc, exec
	v_cmp_lt_u64_e32 vcc, s[10:11], v[1:2]
	s_cselect_b32 s17, s11, 0
	s_cselect_b32 s16, s10, 0x10000
	s_waitcnt lgkmcnt(0)
	s_and_b32 s54, s2, 0xffff
	s_and_b64 s[0:1], vcc, exec
	s_mov_b32 s28, 0xbf559e2b
	s_mov_b32 s30, 0xd7f4df2e
	;; [unrolled: 1-line block ×23, first 2 shown]
	v_mov_b32_e32 v33, 0
	s_cselect_b32 s19, s11, 0
	s_cselect_b32 s18, s10, 0x10000
	s_mov_b32 s27, 0x3fe55555
	s_mov_b32 s29, 0x3fc3ab76
	;; [unrolled: 1-line block ×23, first 2 shown]
	v_mov_b32_e32 v35, 0x6b47b09a
	v_mov_b32_e32 v36, 0x3fc38538
	;; [unrolled: 1-line block ×11, first 2 shown]
	s_lshl_b32 s55, s54, 1
	s_lshl_b32 s56, s54, 2
	s_brev_b32 s57, -2
	s_movk_i32 s58, 0x204
	s_mov_b64 s[90:91], 0
	s_mov_b32 s92, 0x55555780
	s_brev_b32 s85, 4
	s_mov_b32 s83, 0x400921fb
	s_branch .LBB167_145
.LBB167_144:                            ;   in Loop: Header=BB167_145 Depth=1
	s_or_b64 exec, exec, s[0:1]
	s_add_u32 s90, s90, s56
	v_mov_b32_e32 v1, s16
	s_addc_u32 s91, s91, 0
	v_mov_b32_e32 v2, s17
	v_cmp_ge_i64_e32 vcc, s[90:91], v[1:2]
	s_cbranch_vccnz .LBB167_297
.LBB167_145:                            ; =>This Loop Header: Depth=1
                                        ;     Child Loop BB167_164 Depth 2
                                        ;     Child Loop BB167_198 Depth 2
	;; [unrolled: 1-line block ×4, first 2 shown]
	v_mov_b32_e32 v1, s91
	v_add_co_u32_e32 v39, vcc, s90, v0
	v_addc_co_u32_e32 v40, vcc, 0, v1, vcc
	v_cmp_gt_u64_e64 s[0:1], s[18:19], v[39:40]
	v_mov_b32_e32 v3, 0
	v_mov_b32_e32 v7, 0
	;; [unrolled: 1-line block ×6, first 2 shown]
	s_and_saveexec_b64 s[2:3], s[0:1]
	s_cbranch_execz .LBB167_147
; %bb.146:                              ;   in Loop: Header=BB167_145 Depth=1
	v_lshlrev_b64 v[1:2], 4, v[39:40]
	v_mov_b32_e32 v5, s59
	v_add_co_u32_e32 v1, vcc, s33, v1
	v_addc_co_u32_e32 v2, vcc, v5, v2, vcc
	global_load_dwordx4 v[5:8], v[1:2], off
.LBB167_147:                            ;   in Loop: Header=BB167_145 Depth=1
	s_or_b64 exec, exec, s[2:3]
	v_add_co_u32_e32 v41, vcc, s54, v39
	v_addc_co_u32_e32 v42, vcc, 0, v40, vcc
	v_cmp_gt_u64_e64 s[2:3], s[18:19], v[41:42]
	v_mov_b32_e32 v1, 0
	v_mov_b32_e32 v2, 0
	s_and_saveexec_b64 s[4:5], s[2:3]
	s_cbranch_execz .LBB167_149
; %bb.148:                              ;   in Loop: Header=BB167_145 Depth=1
	v_lshlrev_b64 v[1:2], 4, v[41:42]
	v_mov_b32_e32 v3, s59
	v_add_co_u32_e32 v1, vcc, s33, v1
	v_addc_co_u32_e32 v2, vcc, v3, v2, vcc
	global_load_dwordx4 v[1:4], v[1:2], off
.LBB167_149:                            ;   in Loop: Header=BB167_145 Depth=1
	s_or_b64 exec, exec, s[4:5]
	v_add_co_u32_e32 v43, vcc, s55, v39
	v_addc_co_u32_e32 v44, vcc, 0, v40, vcc
	v_cmp_gt_u64_e64 s[4:5], s[18:19], v[43:44]
	v_mov_b32_e32 v11, 0
	v_mov_b32_e32 v15, 0
	;; [unrolled: 1-line block ×6, first 2 shown]
	s_and_saveexec_b64 s[6:7], s[4:5]
	s_cbranch_execz .LBB167_151
; %bb.150:                              ;   in Loop: Header=BB167_145 Depth=1
	v_lshlrev_b64 v[9:10], 4, v[43:44]
	v_mov_b32_e32 v13, s59
	v_add_co_u32_e32 v9, vcc, s33, v9
	v_addc_co_u32_e32 v10, vcc, v13, v10, vcc
	global_load_dwordx4 v[13:16], v[9:10], off
.LBB167_151:                            ;   in Loop: Header=BB167_145 Depth=1
	s_or_b64 exec, exec, s[6:7]
	s_mul_i32 s6, s54, 3
	v_add_co_u32_e32 v45, vcc, s6, v39
	v_addc_co_u32_e32 v46, vcc, 0, v40, vcc
	v_cmp_gt_u64_e64 s[6:7], s[18:19], v[45:46]
	v_mov_b32_e32 v9, 0
	v_mov_b32_e32 v10, 0
	s_and_saveexec_b64 s[8:9], s[6:7]
	s_cbranch_execz .LBB167_153
; %bb.152:                              ;   in Loop: Header=BB167_145 Depth=1
	v_lshlrev_b64 v[9:10], 4, v[45:46]
	v_mov_b32_e32 v11, s59
	v_add_co_u32_e32 v9, vcc, s33, v9
	v_addc_co_u32_e32 v10, vcc, v11, v10, vcc
	global_load_dwordx4 v[9:12], v[9:10], off
.LBB167_153:                            ;   in Loop: Header=BB167_145 Depth=1
	s_or_b64 exec, exec, s[8:9]
	s_waitcnt vmcnt(0)
	v_cmp_o_f64_e32 vcc, v[5:6], v[7:8]
                                        ; implicit-def: $vgpr17_vgpr18
	s_and_saveexec_b64 s[8:9], vcc
	s_xor_b64 s[22:23], exec, s[8:9]
	s_cbranch_execz .LBB167_181
; %bb.154:                              ;   in Loop: Header=BB167_145 Depth=1
	v_cmp_lt_f64_e64 s[8:9], |v[5:6]|, |v[7:8]|
	v_and_b32_e32 v19, 0x7fffffff, v6
	v_and_b32_e32 v20, 0x7fffffff, v8
	s_mov_b32 s10, 0x85ebc8a0
	s_mov_b32 s11, 0x7fd1ccf3
	v_mov_b32_e32 v23, v7
                                        ; implicit-def: $vgpr17_vgpr18
	v_cndmask_b32_e64 v22, v20, v19, s[8:9]
	v_cndmask_b32_e64 v21, v7, v5, s[8:9]
	v_cmp_nlt_f64_e32 vcc, s[10:11], v[21:22]
	s_and_saveexec_b64 s[10:11], vcc
	s_xor_b64 s[24:25], exec, s[10:11]
	s_cbranch_execz .LBB167_178
; %bb.155:                              ;   in Loop: Header=BB167_145 Depth=1
	v_cndmask_b32_e64 v24, v19, v20, s[8:9]
	v_cndmask_b32_e64 v23, v5, v23, s[8:9]
	v_cmp_neq_f64_e32 vcc, 1.0, v[23:24]
                                        ; implicit-def: $vgpr17_vgpr18
	s_and_saveexec_b64 s[10:11], vcc
	s_xor_b64 s[86:87], exec, s[10:11]
	s_cbranch_execz .LBB167_171
; %bb.156:                              ;   in Loop: Header=BB167_145 Depth=1
	v_max_f64 v[17:18], v[21:22], v[21:22]
	v_max_f64 v[19:20], v[23:24], v[23:24]
	s_mov_b32 s10, 0x4ad4b81f
	s_mov_b32 s11, 0x358dee7a
	v_min_f64 v[25:26], v[19:20], v[17:18]
	v_max_f64 v[17:18], v[19:20], v[17:18]
	v_cmp_ngt_f64_e32 vcc, s[10:11], v[25:26]
	s_mov_b32 s10, 0xc57e649a
	s_mov_b32 s11, 0x4a511b0e
	v_cmp_nlt_f64_e64 s[10:11], s[10:11], v[17:18]
                                        ; implicit-def: $vgpr17_vgpr18
	s_and_b64 s[10:11], s[10:11], vcc
	s_and_saveexec_b64 s[12:13], s[10:11]
	s_xor_b64 s[20:21], exec, s[12:13]
	s_cbranch_execz .LBB167_168
; %bb.157:                              ;   in Loop: Header=BB167_145 Depth=1
	v_cmp_le_f64_e32 vcc, 1.0, v[23:24]
                                        ; implicit-def: $vgpr17_vgpr18
	s_and_saveexec_b64 s[10:11], vcc
	s_xor_b64 s[44:45], exec, s[10:11]
	s_cbranch_execz .LBB167_159
; %bb.158:                              ;   in Loop: Header=BB167_145 Depth=1
	v_add_f64 v[17:18], v[23:24], -1.0
	v_add_f64 v[19:20], v[23:24], 1.0
	s_mov_b32 s93, s27
	s_mov_b32 s82, s94
	;; [unrolled: 1-line block ×4, first 2 shown]
	v_cmp_class_f64_e64 s[46:47], v[7:8], s58
	v_mul_f64 v[17:18], v[17:18], v[19:20]
	v_fma_f64 v[18:19], v[21:22], v[21:22], v[17:18]
	v_add_f64 v[20:21], v[18:19], 1.0
	v_cmp_nge_f64_e64 s[12:13], -1.0, v[18:19]
	v_cmp_neq_f64_e64 s[14:15], s[14:15], v[18:19]
	v_frexp_mant_f64_e32 v[24:25], v[20:21]
	v_frexp_exp_i32_f64_e32 v17, v[20:21]
	v_add_f64 v[22:23], v[20:21], -1.0
	v_cmp_gt_f64_e32 vcc, s[26:27], v[24:25]
	v_add_f64 v[26:27], v[22:23], -v[20:21]
	v_add_f64 v[22:23], v[18:19], -v[22:23]
	v_subbrev_co_u32_e32 v17, vcc, 0, v17, vcc
	v_sub_u32_e32 v28, 0, v17
	v_ldexp_f64 v[20:21], v[20:21], v28
	v_add_f64 v[24:25], v[26:27], 1.0
	v_add_f64 v[26:27], v[20:21], 1.0
	v_add_f64 v[22:23], v[22:23], v[24:25]
	v_add_f64 v[47:48], v[20:21], -1.0
	v_add_f64 v[24:25], v[26:27], -1.0
	v_ldexp_f64 v[22:23], v[22:23], v28
	v_add_f64 v[49:50], v[47:48], 1.0
	v_add_f64 v[24:25], v[20:21], -v[24:25]
	v_add_f64 v[20:21], v[20:21], -v[49:50]
	v_add_f64 v[28:29], v[22:23], v[24:25]
	v_add_f64 v[49:50], v[22:23], v[20:21]
	;; [unrolled: 1-line block ×3, first 2 shown]
	v_rcp_f64_e32 v[30:31], v[24:25]
	v_add_f64 v[26:27], v[24:25], -v[26:27]
	v_add_f64 v[28:29], v[28:29], -v[26:27]
	v_fma_f64 v[51:52], -v[24:25], v[30:31], 1.0
	v_fma_f64 v[30:31], v[51:52], v[30:31], v[30:31]
	v_add_f64 v[51:52], v[47:48], v[49:50]
	v_fma_f64 v[20:21], -v[24:25], v[30:31], 1.0
	v_add_f64 v[47:48], v[51:52], -v[47:48]
	v_fma_f64 v[20:21], v[20:21], v[30:31], v[30:31]
	v_add_f64 v[47:48], v[49:50], -v[47:48]
	v_mul_f64 v[22:23], v[51:52], v[20:21]
	v_mul_f64 v[30:31], v[24:25], v[22:23]
	v_fma_f64 v[26:27], v[22:23], v[24:25], -v[30:31]
	v_fma_f64 v[53:54], v[22:23], v[28:29], v[26:27]
	v_add_f64 v[55:56], v[30:31], v[53:54]
	v_add_f64 v[26:27], v[51:52], -v[55:56]
	v_add_f64 v[30:31], v[55:56], -v[30:31]
	;; [unrolled: 1-line block ×5, first 2 shown]
	v_add_f64 v[47:48], v[47:48], v[49:50]
	v_max_f64 v[49:50], |v[5:6]|, |v[5:6]|
	v_add_f64 v[30:31], v[30:31], v[47:48]
	v_max_f64 v[47:48], |v[7:8]|, |v[7:8]|
	v_add_f64 v[51:52], v[26:27], v[30:31]
	v_max_f64 v[53:54], v[49:50], v[47:48]
	v_min_f64 v[47:48], v[49:50], v[47:48]
	v_mul_f64 v[49:50], v[20:21], v[51:52]
	v_add_f64 v[26:27], v[26:27], -v[51:52]
	v_div_scale_f64 v[55:56], s[10:11], v[53:54], v[53:54], v[47:48]
	s_mov_b32 s10, 0xaf56de9b
	s_mov_b32 s11, 0xbf67952d
	v_mul_f64 v[57:58], v[24:25], v[49:50]
	v_add_f64 v[26:27], v[30:31], v[26:27]
	v_fma_f64 v[24:25], v[49:50], v[24:25], -v[57:58]
	v_rcp_f64_e32 v[59:60], v[55:56]
	v_fma_f64 v[24:25], v[49:50], v[28:29], v[24:25]
	v_add_f64 v[28:29], v[57:58], v[24:25]
	v_fma_f64 v[61:62], -v[55:56], v[59:60], 1.0
	v_add_f64 v[70:71], v[51:52], -v[28:29]
	v_add_f64 v[30:31], v[28:29], -v[57:58]
	v_fma_f64 v[59:60], v[59:60], v[61:62], v[59:60]
	v_div_scale_f64 v[61:62], vcc, v[47:48], v[53:54], v[47:48]
	v_add_f64 v[51:52], v[51:52], -v[70:71]
	v_add_f64 v[24:25], v[30:31], -v[24:25]
	v_fma_f64 v[72:73], -v[55:56], v[59:60], 1.0
	v_add_f64 v[30:31], v[22:23], v[49:50]
	v_add_f64 v[28:29], v[51:52], -v[28:29]
	v_fma_f64 v[51:52], v[59:60], v[72:73], v[59:60]
	v_add_f64 v[22:23], v[30:31], -v[22:23]
	v_add_f64 v[26:27], v[26:27], v[28:29]
	v_mul_f64 v[28:29], v[61:62], v[51:52]
	v_add_f64 v[22:23], v[49:50], -v[22:23]
	v_add_f64 v[24:25], v[24:25], v[26:27]
	v_fma_f64 v[26:27], -v[55:56], v[28:29], v[61:62]
	v_add_f64 v[24:25], v[70:71], v[24:25]
	v_div_fmas_f64 v[26:27], v[26:27], v[51:52], v[28:29]
	v_cmp_gt_i32_e32 vcc, 0, v6
	v_mul_f64 v[20:21], v[20:21], v[24:25]
	v_add_f64 v[20:21], v[22:23], v[20:21]
	v_div_fixup_f64 v[22:23], v[26:27], v[53:54], v[47:48]
	v_add_f64 v[24:25], v[30:31], v[20:21]
	v_mul_f64 v[26:27], v[22:23], v[22:23]
	v_mul_f64 v[28:29], v[24:25], v[24:25]
	v_fma_f64 v[47:48], v[26:27], s[50:51], v[37:38]
	v_fma_f64 v[49:50], v[28:29], s[28:29], v[35:36]
	v_mul_f64 v[51:52], v[24:25], v[28:29]
	v_fma_f64 v[47:48], v[26:27], v[47:48], s[48:49]
	v_cmp_class_f64_e64 s[48:49], v[5:6], s58
	v_ashrrev_i32_e32 v5, 31, v6
	v_fma_f64 v[49:50], v[28:29], v[49:50], s[30:31]
	v_fma_f64 v[47:48], v[26:27], v[47:48], s[10:11]
	s_mov_b32 s10, 0xa595c56f
	s_mov_b32 s11, 0x3f7d6d43
	v_fma_f64 v[49:50], v[28:29], v[49:50], s[34:35]
	v_fma_f64 v[47:48], v[26:27], v[47:48], s[10:11]
	s_mov_b32 s10, 0xa57d9582
	s_mov_b32 s11, 0xbf8c6ea4
	;; [unrolled: 4-line block ×4, first 2 shown]
	v_fma_f64 v[28:29], v[28:29], v[49:50], s[92:93]
	v_ldexp_f64 v[49:50], v[24:25], 1
	v_fma_f64 v[47:48], v[26:27], v[47:48], s[10:11]
	s_mov_b32 s10, 0x5711927a
	s_mov_b32 s11, 0x3fa2c15b
	v_add_f64 v[24:25], v[24:25], -v[30:31]
	v_mul_f64 v[28:29], v[51:52], v[28:29]
	v_cvt_f64_i32_e32 v[51:52], v17
	v_fma_f64 v[47:48], v[26:27], v[47:48], s[10:11]
	v_cmp_eq_f64_e64 s[10:11], 0, v[7:8]
	v_cndmask_b32_e32 v17, v68, v69, vcc
	v_mul_f64 v[53:54], v[51:52], s[40:41]
	v_add_f64 v[20:21], v[20:21], -v[24:25]
	v_bfi_b32 v17, s57, v17, v8
	v_add_f64 v[30:31], v[49:50], v[28:29]
	v_fma_f64 v[47:48], v[26:27], v[47:48], s[60:61]
	v_ldexp_f64 v[20:21], v[20:21], 1
	v_add_f64 v[24:25], v[30:31], -v[49:50]
	v_fma_f64 v[49:50], v[51:52], s[40:41], -v[53:54]
	v_fma_f64 v[47:48], v[26:27], v[47:48], s[62:63]
	v_add_f64 v[24:25], v[28:29], -v[24:25]
	v_fma_f64 v[28:29], v[26:27], v[47:48], s[64:65]
	v_fma_f64 v[47:48], v[51:52], s[42:43], v[49:50]
	v_add_f64 v[20:21], v[20:21], v[24:25]
	v_fma_f64 v[24:25], v[26:27], v[28:29], s[66:67]
	v_add_f64 v[28:29], v[53:54], v[47:48]
	v_add_f64 v[49:50], v[30:31], v[20:21]
	v_fma_f64 v[24:25], v[26:27], v[24:25], s[68:69]
	v_add_f64 v[53:54], v[28:29], -v[53:54]
	v_add_f64 v[51:52], v[28:29], v[49:50]
	v_add_f64 v[30:31], v[49:50], -v[30:31]
	v_fma_f64 v[24:25], v[26:27], v[24:25], s[70:71]
	v_add_f64 v[47:48], v[47:48], -v[53:54]
	v_add_f64 v[55:56], v[51:52], -v[28:29]
	;; [unrolled: 1-line block ×3, first 2 shown]
	v_fma_f64 v[24:25], v[26:27], v[24:25], s[72:73]
	v_add_f64 v[57:58], v[51:52], -v[55:56]
	v_add_f64 v[30:31], v[49:50], -v[55:56]
	v_fma_f64 v[24:25], v[26:27], v[24:25], s[74:75]
	v_add_f64 v[49:50], v[47:48], v[20:21]
	v_add_f64 v[28:29], v[28:29], -v[57:58]
	v_fma_f64 v[24:25], v[26:27], v[24:25], s[76:77]
	v_add_f64 v[28:29], v[30:31], v[28:29]
	;; [unrolled: 3-line block ×3, first 2 shown]
	v_add_f64 v[49:50], v[49:50], -v[30:31]
	v_fma_f64 v[24:25], v[26:27], v[24:25], s[80:81]
	v_add_f64 v[20:21], v[20:21], -v[30:31]
	v_add_f64 v[53:54], v[51:52], v[28:29]
	v_mul_f64 v[24:25], v[26:27], v[24:25]
	v_add_f64 v[26:27], v[47:48], -v[49:50]
	v_add_f64 v[30:31], v[53:54], -v[51:52]
	v_fma_f64 v[22:23], v[22:23], v[24:25], v[22:23]
	v_add_f64 v[20:21], v[20:21], v[26:27]
	v_add_f64 v[24:25], v[28:29], -v[30:31]
	v_add_f64 v[26:27], -v[22:23], s[94:95]
	v_add_f64 v[20:21], v[20:21], v[24:25]
	v_cndmask_b32_e64 v23, v23, v27, s[8:9]
	v_cndmask_b32_e64 v22, v22, v26, s[8:9]
	v_add_f64 v[24:25], -v[22:23], s[82:83]
	v_and_b32_e32 v27, 0x54442d18, v5
	v_cndmask_b32_e32 v26, v66, v67, vcc
	v_add_f64 v[20:21], v[53:54], v[20:21]
	v_cndmask_b32_e32 v22, v22, v24, vcc
	v_and_b32_e32 v24, 0x400921fb, v5
	v_mul_f64 v[5:6], v[20:21], 0.5
	v_cndmask_b32_e32 v20, v23, v25, vcc
	v_cndmask_b32_e64 v21, v22, v27, s[10:11]
	v_cndmask_b32_e64 v20, v20, v24, s[10:11]
	s_and_b64 vcc, s[46:47], s[48:49]
	s_and_b64 s[10:11], s[12:13], s[14:15]
	v_cndmask_b32_e32 v20, v20, v17, vcc
	s_mov_b32 s48, 0x69efb384
	v_cndmask_b32_e64 v17, 0, v5, s[10:11]
	v_cmp_ngt_f64_e64 s[10:11], -1.0, v[18:19]
	v_cndmask_b32_e64 v6, v63, v6, s[14:15]
	s_mov_b32 s49, 0x3f4b2bb0
                                        ; implicit-def: $vgpr23_vgpr24
	v_cndmask_b32_e64 v5, v64, v6, s[10:11]
	v_cmp_neq_f64_e64 s[10:11], -1.0, v[18:19]
	v_cndmask_b32_e32 v19, v21, v26, vcc
                                        ; implicit-def: $vgpr21_vgpr22
	v_cndmask_b32_e64 v18, v65, v5, s[10:11]
.LBB167_159:                            ;   in Loop: Header=BB167_145 Depth=1
	s_andn2_saveexec_b64 s[44:45], s[44:45]
	s_cbranch_execz .LBB167_167
; %bb.160:                              ;   in Loop: Header=BB167_145 Depth=1
	v_mul_f64 v[17:18], v[21:22], v[21:22]
	s_mov_b32 s10, 0x66666666
	s_mov_b32 s11, 0x3fe66666
	v_fma_f64 v[19:20], v[23:24], v[23:24], v[17:18]
                                        ; implicit-def: $vgpr17_vgpr18
	v_cmp_ge_f64_e32 vcc, s[10:11], v[19:20]
	s_and_saveexec_b64 s[10:11], vcc
	s_xor_b64 s[14:15], exec, s[10:11]
	s_cbranch_execz .LBB167_162
; %bb.161:                              ;   in Loop: Header=BB167_145 Depth=1
	v_frexp_mant_f64_e32 v[17:18], v[19:20]
	v_max_f64 v[27:28], |v[7:8]|, |v[7:8]|
	v_max_f64 v[29:30], |v[5:6]|, |v[5:6]|
	s_mov_b32 s93, s27
	v_frexp_exp_i32_f64_e32 v34, v[19:20]
	s_mov_b32 s82, s94
	v_cmp_class_f64_e64 s[46:47], v[7:8], s58
	v_cmp_gt_f64_e64 s[10:11], s[26:27], v[17:18]
	v_cndmask_b32_e64 v21, 0, 1, s[10:11]
	v_ldexp_f64 v[17:18], v[17:18], v21
	v_add_f64 v[21:22], v[17:18], 1.0
	v_add_f64 v[47:48], v[17:18], -1.0
	v_rcp_f64_e32 v[23:24], v[21:22]
	v_add_f64 v[51:52], v[21:22], -1.0
	v_add_f64 v[17:18], v[17:18], -v[51:52]
	v_fma_f64 v[25:26], -v[21:22], v[23:24], 1.0
	v_fma_f64 v[23:24], v[25:26], v[23:24], v[23:24]
	v_max_f64 v[25:26], v[29:30], v[27:28]
	v_min_f64 v[27:28], v[29:30], v[27:28]
	v_fma_f64 v[29:30], -v[21:22], v[23:24], 1.0
	v_div_scale_f64 v[31:32], s[12:13], v[25:26], v[25:26], v[27:28]
	s_mov_b32 s12, 0xaf56de9b
	s_mov_b32 s13, 0xbf67952d
	v_fma_f64 v[23:24], v[29:30], v[23:24], v[23:24]
	v_mul_f64 v[29:30], v[47:48], v[23:24]
	v_rcp_f64_e32 v[49:50], v[31:32]
	v_mul_f64 v[53:54], v[21:22], v[29:30]
	v_fma_f64 v[21:22], v[29:30], v[21:22], -v[53:54]
	v_fma_f64 v[51:52], -v[31:32], v[49:50], 1.0
	v_fma_f64 v[17:18], v[29:30], v[17:18], v[21:22]
	v_fma_f64 v[21:22], v[49:50], v[51:52], v[49:50]
	v_div_scale_f64 v[51:52], vcc, v[27:28], v[25:26], v[27:28]
	v_add_f64 v[49:50], v[53:54], v[17:18]
	v_fma_f64 v[55:56], -v[31:32], v[21:22], 1.0
	v_add_f64 v[57:58], v[47:48], -v[49:50]
	v_add_f64 v[53:54], v[49:50], -v[53:54]
	v_fma_f64 v[21:22], v[21:22], v[55:56], v[21:22]
	v_add_f64 v[47:48], v[47:48], -v[57:58]
	v_add_f64 v[17:18], v[53:54], -v[17:18]
	v_mul_f64 v[55:56], v[51:52], v[21:22]
	v_add_f64 v[47:48], v[47:48], -v[49:50]
	v_fma_f64 v[31:32], -v[31:32], v[55:56], v[51:52]
	v_add_f64 v[17:18], v[17:18], v[47:48]
	v_div_fmas_f64 v[21:22], v[31:32], v[21:22], v[55:56]
	v_subbrev_co_u32_e64 v34, vcc, 0, v34, s[10:11]
	v_cmp_eq_f64_e64 s[10:11], 0, v[7:8]
	v_cmp_gt_i32_e32 vcc, 0, v6
	v_add_f64 v[17:18], v[57:58], v[17:18]
	v_mul_f64 v[17:18], v[23:24], v[17:18]
	v_div_fixup_f64 v[21:22], v[21:22], v[25:26], v[27:28]
	v_add_f64 v[23:24], v[29:30], v[17:18]
	v_mul_f64 v[25:26], v[21:22], v[21:22]
	v_mul_f64 v[27:28], v[23:24], v[23:24]
	v_fma_f64 v[31:32], v[25:26], s[50:51], v[37:38]
	v_fma_f64 v[47:48], v[27:28], s[28:29], v[35:36]
	v_mul_f64 v[49:50], v[23:24], v[27:28]
	v_fma_f64 v[31:32], v[25:26], v[31:32], s[48:49]
	v_cmp_class_f64_e64 s[48:49], v[5:6], s58
	v_ashrrev_i32_e32 v5, 31, v6
	v_fma_f64 v[47:48], v[27:28], v[47:48], s[30:31]
	v_fma_f64 v[31:32], v[25:26], v[31:32], s[12:13]
	s_mov_b32 s12, 0xa595c56f
	s_mov_b32 s13, 0x3f7d6d43
	v_fma_f64 v[47:48], v[27:28], v[47:48], s[34:35]
	v_fma_f64 v[31:32], v[25:26], v[31:32], s[12:13]
	s_mov_b32 s12, 0xa57d9582
	s_mov_b32 s13, 0xbf8c6ea4
	;; [unrolled: 4-line block ×4, first 2 shown]
	v_fma_f64 v[27:28], v[27:28], v[47:48], s[92:93]
	v_ldexp_f64 v[47:48], v[23:24], 1
	v_fma_f64 v[31:32], v[25:26], v[31:32], s[12:13]
	s_mov_b32 s12, 0x5711927a
	s_mov_b32 s13, 0x3fa2c15b
	v_add_f64 v[23:24], v[23:24], -v[29:30]
	v_mul_f64 v[27:28], v[49:50], v[27:28]
	v_cvt_f64_i32_e32 v[49:50], v34
	v_fma_f64 v[31:32], v[25:26], v[31:32], s[12:13]
	v_cmp_neq_f64_e64 s[12:13], 0, v[19:20]
	v_mul_f64 v[51:52], v[49:50], s[40:41]
	v_add_f64 v[17:18], v[17:18], -v[23:24]
	v_add_f64 v[29:30], v[47:48], v[27:28]
	v_fma_f64 v[31:32], v[25:26], v[31:32], s[60:61]
	v_ldexp_f64 v[17:18], v[17:18], 1
	v_add_f64 v[23:24], v[29:30], -v[47:48]
	v_fma_f64 v[47:48], v[49:50], s[40:41], -v[51:52]
	v_fma_f64 v[31:32], v[25:26], v[31:32], s[62:63]
	v_add_f64 v[23:24], v[27:28], -v[23:24]
	v_fma_f64 v[27:28], v[25:26], v[31:32], s[64:65]
	v_fma_f64 v[31:32], v[49:50], s[42:43], v[47:48]
	v_add_f64 v[17:18], v[17:18], v[23:24]
	v_fma_f64 v[23:24], v[25:26], v[27:28], s[66:67]
	v_add_f64 v[27:28], v[51:52], v[31:32]
	v_add_f64 v[47:48], v[29:30], v[17:18]
	v_fma_f64 v[23:24], v[25:26], v[23:24], s[68:69]
	v_add_f64 v[51:52], v[27:28], -v[51:52]
	v_add_f64 v[49:50], v[27:28], v[47:48]
	v_add_f64 v[29:30], v[47:48], -v[29:30]
	v_fma_f64 v[23:24], v[25:26], v[23:24], s[70:71]
	v_add_f64 v[31:32], v[31:32], -v[51:52]
	v_add_f64 v[53:54], v[49:50], -v[27:28]
	;; [unrolled: 1-line block ×3, first 2 shown]
	v_fma_f64 v[23:24], v[25:26], v[23:24], s[72:73]
	v_add_f64 v[55:56], v[49:50], -v[53:54]
	v_add_f64 v[29:30], v[47:48], -v[53:54]
	v_fma_f64 v[23:24], v[25:26], v[23:24], s[74:75]
	v_add_f64 v[47:48], v[31:32], v[17:18]
	v_add_f64 v[27:28], v[27:28], -v[55:56]
	v_fma_f64 v[23:24], v[25:26], v[23:24], s[76:77]
	v_add_f64 v[27:28], v[29:30], v[27:28]
	;; [unrolled: 3-line block ×3, first 2 shown]
	v_add_f64 v[47:48], v[47:48], -v[29:30]
	v_fma_f64 v[23:24], v[25:26], v[23:24], s[80:81]
	v_add_f64 v[17:18], v[17:18], -v[29:30]
	v_add_f64 v[51:52], v[49:50], v[27:28]
	v_mul_f64 v[23:24], v[25:26], v[23:24]
	v_add_f64 v[25:26], v[31:32], -v[47:48]
	v_add_f64 v[29:30], v[51:52], -v[49:50]
	v_fma_f64 v[21:22], v[21:22], v[23:24], v[21:22]
	v_add_f64 v[17:18], v[17:18], v[25:26]
	v_add_f64 v[23:24], v[27:28], -v[29:30]
	v_and_b32_e32 v27, 0x400921fb, v5
	v_add_f64 v[25:26], -v[21:22], s[94:95]
	v_add_f64 v[17:18], v[17:18], v[23:24]
	v_cndmask_b32_e64 v22, v22, v26, s[8:9]
	v_cndmask_b32_e64 v21, v21, v25, s[8:9]
	v_add_f64 v[23:24], -v[21:22], s[82:83]
	v_and_b32_e32 v26, 0x54442d18, v5
	v_cndmask_b32_e32 v25, v66, v67, vcc
	v_add_f64 v[17:18], v[51:52], v[17:18]
	v_cndmask_b32_e32 v21, v21, v23, vcc
	v_cndmask_b32_e32 v23, v68, v69, vcc
	v_cndmask_b32_e64 v19, v21, v26, s[10:11]
	v_mul_f64 v[5:6], v[17:18], 0.5
	v_cndmask_b32_e32 v18, v22, v24, vcc
	v_bfi_b32 v17, s57, v23, v8
	v_cndmask_b32_e64 v18, v18, v27, s[10:11]
	s_and_b64 vcc, s[46:47], s[48:49]
	s_mov_b32 s48, 0x69efb384
	s_mov_b32 s49, 0x3f4b2bb0
	v_cndmask_b32_e32 v20, v18, v17, vcc
	v_cndmask_b32_e64 v18, v65, v6, s[12:13]
	v_cndmask_b32_e64 v17, 0, v5, s[12:13]
	v_cndmask_b32_e32 v19, v19, v25, vcc
                                        ; implicit-def: $vgpr23_vgpr24
                                        ; implicit-def: $vgpr21_vgpr22
.LBB167_162:                            ;   in Loop: Header=BB167_145 Depth=1
	s_andn2_saveexec_b64 s[46:47], s[14:15]
	s_cbranch_execz .LBB167_166
; %bb.163:                              ;   in Loop: Header=BB167_145 Depth=1
	v_and_b32_e32 v34, 0x7ffffff8, v24
	v_and_b32_e32 v20, 0x7ffffff8, v22
	v_mov_b32_e32 v19, v33
	v_add_f64 v[17:18], v[23:24], -v[33:34]
	v_add_f64 v[21:22], v[21:22], -v[19:20]
	v_mov_b32_e32 v25, v33
	v_mov_b32_e32 v29, v33
	v_add_f64 v[31:32], v[33:34], v[33:34]
	v_add_f64 v[47:48], v[19:20], v[19:20]
	v_mul_f64 v[19:20], v[19:20], v[19:20]
	s_mov_b64 s[48:49], 0
	v_and_b32_e32 v26, -8, v18
	v_and_b32_e32 v30, -8, v22
	v_add_f64 v[53:54], v[17:18], -v[25:26]
	v_add_f64 v[55:56], v[21:22], -v[29:30]
	v_add_f64 v[57:58], v[25:26], v[25:26]
	v_add_f64 v[59:60], v[29:30], v[29:30]
	v_mul_f64 v[17:18], v[33:34], v[33:34]
	v_mul_f64 v[23:24], v[31:32], v[25:26]
	v_mul_f64 v[21:22], v[47:48], v[29:30]
	v_mul_f64 v[27:28], v[25:26], v[25:26]
	v_mul_f64 v[29:30], v[29:30], v[29:30]
	v_mul_f64 v[51:52], v[31:32], v[53:54]
	v_mul_f64 v[49:50], v[47:48], v[55:56]
	v_mul_f64 v[47:48], v[57:58], v[53:54]
	v_mul_f64 v[31:32], v[59:60], v[55:56]
	v_mul_f64 v[25:26], v[53:54], v[53:54]
	v_mul_f64 v[53:54], v[55:56], v[55:56]
.LBB167_164:                            ;   Parent Loop BB167_145 Depth=1
                                        ; =>  This Inner Loop Header: Depth=2
	v_cmp_nlt_f64_e32 vcc, v[17:18], v[19:20]
	v_cndmask_b32_e32 v56, v18, v20, vcc
	v_cndmask_b32_e32 v55, v17, v19, vcc
	v_cmp_nlt_f64_e64 s[10:11], v[55:56], v[23:24]
	v_cndmask_b32_e32 v18, v20, v18, vcc
	v_cndmask_b32_e32 v17, v19, v17, vcc
	v_cndmask_b32_e64 v58, v56, v24, s[10:11]
	v_cndmask_b32_e64 v57, v55, v23, s[10:11]
	v_cmp_nlt_f64_e64 s[12:13], v[57:58], v[21:22]
	v_cndmask_b32_e64 v20, v24, v56, s[10:11]
	v_cndmask_b32_e64 v19, v23, v55, s[10:11]
	s_and_b64 s[50:51], vcc, s[10:11]
	v_cndmask_b32_e64 v60, v58, v22, s[12:13]
	v_cndmask_b32_e64 v59, v57, v21, s[12:13]
	v_cmp_nlt_f64_e64 s[14:15], v[59:60], v[27:28]
	v_cndmask_b32_e64 v24, v22, v58, s[12:13]
	v_cndmask_b32_e64 v23, v21, v57, s[12:13]
	;; [unrolled: 1-line block ×4, first 2 shown]
	v_cmp_nlt_f64_e32 vcc, v[55:56], v[29:30]
	v_cndmask_b32_e64 v22, v28, v60, s[14:15]
	v_cndmask_b32_e64 v21, v27, v59, s[14:15]
	s_and_b64 s[14:15], s[12:13], s[14:15]
	v_cndmask_b32_e32 v58, v56, v30, vcc
	v_cndmask_b32_e32 v57, v55, v29, vcc
	v_cmp_nlt_f64_e64 s[10:11], v[57:58], v[51:52]
	v_cndmask_b32_e32 v28, v30, v56, vcc
	v_cndmask_b32_e32 v27, v29, v55, vcc
	v_cndmask_b32_e64 v56, v58, v52, s[10:11]
	v_cndmask_b32_e64 v55, v57, v51, s[10:11]
	v_cmp_nlt_f64_e64 s[12:13], v[55:56], v[49:50]
	v_cndmask_b32_e64 v30, v52, v58, s[10:11]
	v_cndmask_b32_e64 v29, v51, v57, s[10:11]
	s_and_b64 s[10:11], vcc, s[10:11]
	v_cndmask_b32_e64 v58, v56, v50, s[12:13]
	v_cndmask_b32_e64 v57, v55, v49, s[12:13]
	v_cmp_nlt_f64_e32 vcc, v[57:58], v[47:48]
	v_cndmask_b32_e64 v52, v50, v56, s[12:13]
	v_cndmask_b32_e64 v51, v49, v55, s[12:13]
	s_and_b64 s[12:13], s[10:11], s[12:13]
	v_cndmask_b32_e32 v56, v58, v48, vcc
	v_cndmask_b32_e32 v55, v57, v47, vcc
	v_cmp_nlt_f64_e64 s[10:11], v[55:56], v[31:32]
	v_cndmask_b32_e32 v50, v48, v58, vcc
	v_cndmask_b32_e32 v49, v47, v57, vcc
	s_and_b64 s[12:13], s[12:13], vcc
	v_cndmask_b32_e64 v58, v56, v32, s[10:11]
	v_cndmask_b32_e64 v57, v55, v31, s[10:11]
	v_cmp_nlt_f64_e32 vcc, v[57:58], v[25:26]
	v_cndmask_b32_e64 v48, v32, v56, s[10:11]
	v_cndmask_b32_e64 v47, v31, v55, s[10:11]
	s_and_b64 s[12:13], s[12:13], s[10:11]
	v_cndmask_b32_e32 v60, v58, v26, vcc
	v_cndmask_b32_e32 v59, v57, v25, vcc
	v_cmp_nlt_f64_e64 s[10:11], v[59:60], v[53:54]
	s_and_b64 s[12:13], s[12:13], vcc
	v_cndmask_b32_e32 v32, v26, v58, vcc
	v_cndmask_b32_e32 v31, v25, v57, vcc
	v_cndmask_b32_e64 v56, v60, v54, s[10:11]
	v_cndmask_b32_e64 v55, v59, v53, s[10:11]
	;; [unrolled: 1-line block ×4, first 2 shown]
	s_and_b64 s[10:11], s[12:13], s[10:11]
	s_and_b64 s[10:11], s[10:11], s[14:15]
	;; [unrolled: 1-line block ×3, first 2 shown]
	s_and_b64 s[10:11], exec, s[10:11]
	v_mov_b32_e32 v53, v55
	s_or_b64 s[48:49], s[10:11], s[48:49]
	v_mov_b32_e32 v54, v56
	s_andn2_b64 exec, exec, s[48:49]
	s_cbranch_execnz .LBB167_164
; %bb.165:                              ;   in Loop: Header=BB167_145 Depth=1
	s_or_b64 exec, exec, s[48:49]
	v_add_f64 v[17:18], v[17:18], -1.0
	s_mov_b32 s93, s27
	s_mov_b32 s82, s94
	;; [unrolled: 1-line block ×4, first 2 shown]
	v_cmp_class_f64_e64 s[48:49], v[7:8], s58
	v_cmp_class_f64_e64 s[50:51], v[5:6], s58
	v_add_f64 v[17:18], v[17:18], v[19:20]
	v_add_f64 v[17:18], v[17:18], v[23:24]
	;; [unrolled: 1-line block ×11, first 2 shown]
	v_add_f64 v[20:21], v[18:19], 1.0
	v_cmp_nge_f64_e64 s[12:13], -1.0, v[18:19]
	v_cmp_neq_f64_e64 s[14:15], s[14:15], v[18:19]
	v_frexp_mant_f64_e32 v[24:25], v[20:21]
	v_frexp_exp_i32_f64_e32 v17, v[20:21]
	v_add_f64 v[22:23], v[20:21], -1.0
	v_cmp_gt_f64_e32 vcc, s[26:27], v[24:25]
	v_add_f64 v[26:27], v[22:23], -v[20:21]
	v_add_f64 v[22:23], v[18:19], -v[22:23]
	v_subbrev_co_u32_e32 v17, vcc, 0, v17, vcc
	v_sub_u32_e32 v28, 0, v17
	v_ldexp_f64 v[20:21], v[20:21], v28
	v_add_f64 v[24:25], v[26:27], 1.0
	v_add_f64 v[26:27], v[20:21], 1.0
	v_add_f64 v[22:23], v[22:23], v[24:25]
	v_add_f64 v[47:48], v[20:21], -1.0
	v_add_f64 v[24:25], v[26:27], -1.0
	v_ldexp_f64 v[22:23], v[22:23], v28
	v_add_f64 v[49:50], v[47:48], 1.0
	v_add_f64 v[24:25], v[20:21], -v[24:25]
	v_add_f64 v[20:21], v[20:21], -v[49:50]
	v_add_f64 v[28:29], v[22:23], v[24:25]
	v_add_f64 v[49:50], v[22:23], v[20:21]
	;; [unrolled: 1-line block ×3, first 2 shown]
	v_rcp_f64_e32 v[30:31], v[24:25]
	v_add_f64 v[26:27], v[24:25], -v[26:27]
	v_add_f64 v[28:29], v[28:29], -v[26:27]
	v_fma_f64 v[51:52], -v[24:25], v[30:31], 1.0
	v_fma_f64 v[30:31], v[51:52], v[30:31], v[30:31]
	v_add_f64 v[51:52], v[47:48], v[49:50]
	v_fma_f64 v[20:21], -v[24:25], v[30:31], 1.0
	v_add_f64 v[47:48], v[51:52], -v[47:48]
	v_fma_f64 v[20:21], v[20:21], v[30:31], v[30:31]
	v_add_f64 v[47:48], v[49:50], -v[47:48]
	v_mul_f64 v[22:23], v[51:52], v[20:21]
	v_mul_f64 v[30:31], v[24:25], v[22:23]
	v_fma_f64 v[26:27], v[22:23], v[24:25], -v[30:31]
	v_fma_f64 v[53:54], v[22:23], v[28:29], v[26:27]
	v_add_f64 v[55:56], v[30:31], v[53:54]
	v_add_f64 v[26:27], v[51:52], -v[55:56]
	v_add_f64 v[30:31], v[55:56], -v[30:31]
	;; [unrolled: 1-line block ×5, first 2 shown]
	v_add_f64 v[47:48], v[47:48], v[49:50]
	v_max_f64 v[49:50], |v[5:6]|, |v[5:6]|
	v_ashrrev_i32_e32 v5, 31, v6
	v_add_f64 v[30:31], v[30:31], v[47:48]
	v_max_f64 v[47:48], |v[7:8]|, |v[7:8]|
	v_add_f64 v[51:52], v[26:27], v[30:31]
	v_max_f64 v[53:54], v[49:50], v[47:48]
	v_min_f64 v[47:48], v[49:50], v[47:48]
	v_mul_f64 v[49:50], v[20:21], v[51:52]
	v_add_f64 v[26:27], v[26:27], -v[51:52]
	v_div_scale_f64 v[55:56], s[10:11], v[53:54], v[53:54], v[47:48]
	s_mov_b32 s10, 0xb5e68a13
	s_mov_b32 s11, 0x3eeba404
	v_mul_f64 v[57:58], v[24:25], v[49:50]
	v_add_f64 v[26:27], v[30:31], v[26:27]
	v_fma_f64 v[24:25], v[49:50], v[24:25], -v[57:58]
	v_rcp_f64_e32 v[59:60], v[55:56]
	v_fma_f64 v[24:25], v[49:50], v[28:29], v[24:25]
	v_add_f64 v[28:29], v[57:58], v[24:25]
	v_fma_f64 v[61:62], -v[55:56], v[59:60], 1.0
	v_add_f64 v[70:71], v[51:52], -v[28:29]
	v_add_f64 v[30:31], v[28:29], -v[57:58]
	v_fma_f64 v[59:60], v[59:60], v[61:62], v[59:60]
	v_div_scale_f64 v[61:62], vcc, v[47:48], v[53:54], v[47:48]
	v_add_f64 v[51:52], v[51:52], -v[70:71]
	v_add_f64 v[24:25], v[30:31], -v[24:25]
	v_fma_f64 v[72:73], -v[55:56], v[59:60], 1.0
	v_add_f64 v[30:31], v[22:23], v[49:50]
	v_add_f64 v[28:29], v[51:52], -v[28:29]
	v_fma_f64 v[51:52], v[59:60], v[72:73], v[59:60]
	v_add_f64 v[22:23], v[30:31], -v[22:23]
	v_add_f64 v[26:27], v[26:27], v[28:29]
	v_mul_f64 v[28:29], v[61:62], v[51:52]
	v_add_f64 v[22:23], v[49:50], -v[22:23]
	v_add_f64 v[24:25], v[24:25], v[26:27]
	v_fma_f64 v[26:27], -v[55:56], v[28:29], v[61:62]
	v_add_f64 v[24:25], v[70:71], v[24:25]
	v_div_fmas_f64 v[26:27], v[26:27], v[51:52], v[28:29]
	v_cmp_gt_i32_e32 vcc, 0, v6
	v_mul_f64 v[20:21], v[20:21], v[24:25]
	v_add_f64 v[20:21], v[22:23], v[20:21]
	v_div_fixup_f64 v[22:23], v[26:27], v[53:54], v[47:48]
	v_add_f64 v[24:25], v[30:31], v[20:21]
	v_mul_f64 v[26:27], v[22:23], v[22:23]
	v_mul_f64 v[28:29], v[24:25], v[24:25]
	v_fma_f64 v[47:48], v[26:27], s[10:11], v[37:38]
	s_mov_b32 s10, 0x69efb384
	s_mov_b32 s11, 0x3f4b2bb0
	v_fma_f64 v[49:50], v[28:29], s[28:29], v[35:36]
	v_mul_f64 v[51:52], v[24:25], v[28:29]
	v_fma_f64 v[47:48], v[26:27], v[47:48], s[10:11]
	s_mov_b32 s10, 0xaf56de9b
	s_mov_b32 s11, 0xbf67952d
	v_fma_f64 v[49:50], v[28:29], v[49:50], s[30:31]
	v_fma_f64 v[47:48], v[26:27], v[47:48], s[10:11]
	s_mov_b32 s10, 0xa595c56f
	s_mov_b32 s11, 0x3f7d6d43
	v_fma_f64 v[49:50], v[28:29], v[49:50], s[34:35]
	;; [unrolled: 4-line block ×5, first 2 shown]
	v_ldexp_f64 v[49:50], v[24:25], 1
	v_fma_f64 v[47:48], v[26:27], v[47:48], s[10:11]
	s_mov_b32 s10, 0x5711927a
	s_mov_b32 s11, 0x3fa2c15b
	v_add_f64 v[24:25], v[24:25], -v[30:31]
	v_mul_f64 v[28:29], v[51:52], v[28:29]
	v_cvt_f64_i32_e32 v[51:52], v17
	v_fma_f64 v[47:48], v[26:27], v[47:48], s[10:11]
	v_cmp_eq_f64_e64 s[10:11], 0, v[7:8]
	v_cndmask_b32_e32 v17, v68, v69, vcc
	v_mul_f64 v[53:54], v[51:52], s[40:41]
	v_add_f64 v[20:21], v[20:21], -v[24:25]
	v_bfi_b32 v17, s57, v17, v8
	v_add_f64 v[30:31], v[49:50], v[28:29]
	v_fma_f64 v[47:48], v[26:27], v[47:48], s[60:61]
	v_ldexp_f64 v[20:21], v[20:21], 1
	v_add_f64 v[24:25], v[30:31], -v[49:50]
	v_fma_f64 v[49:50], v[51:52], s[40:41], -v[53:54]
	v_fma_f64 v[47:48], v[26:27], v[47:48], s[62:63]
	v_add_f64 v[24:25], v[28:29], -v[24:25]
	v_fma_f64 v[28:29], v[26:27], v[47:48], s[64:65]
	v_fma_f64 v[47:48], v[51:52], s[42:43], v[49:50]
	v_add_f64 v[20:21], v[20:21], v[24:25]
	v_fma_f64 v[24:25], v[26:27], v[28:29], s[66:67]
	v_add_f64 v[28:29], v[53:54], v[47:48]
	v_add_f64 v[49:50], v[30:31], v[20:21]
	v_fma_f64 v[24:25], v[26:27], v[24:25], s[68:69]
	v_add_f64 v[53:54], v[28:29], -v[53:54]
	v_add_f64 v[51:52], v[28:29], v[49:50]
	v_add_f64 v[30:31], v[49:50], -v[30:31]
	v_fma_f64 v[24:25], v[26:27], v[24:25], s[70:71]
	v_add_f64 v[47:48], v[47:48], -v[53:54]
	v_add_f64 v[55:56], v[51:52], -v[28:29]
	;; [unrolled: 1-line block ×3, first 2 shown]
	v_fma_f64 v[24:25], v[26:27], v[24:25], s[72:73]
	v_add_f64 v[57:58], v[51:52], -v[55:56]
	v_add_f64 v[30:31], v[49:50], -v[55:56]
	v_fma_f64 v[24:25], v[26:27], v[24:25], s[74:75]
	v_add_f64 v[49:50], v[47:48], v[20:21]
	v_add_f64 v[28:29], v[28:29], -v[57:58]
	v_fma_f64 v[24:25], v[26:27], v[24:25], s[76:77]
	v_add_f64 v[28:29], v[30:31], v[28:29]
	;; [unrolled: 3-line block ×3, first 2 shown]
	v_add_f64 v[49:50], v[49:50], -v[30:31]
	v_fma_f64 v[24:25], v[26:27], v[24:25], s[80:81]
	v_add_f64 v[20:21], v[20:21], -v[30:31]
	v_add_f64 v[53:54], v[51:52], v[28:29]
	v_mul_f64 v[24:25], v[26:27], v[24:25]
	v_add_f64 v[26:27], v[47:48], -v[49:50]
	v_add_f64 v[30:31], v[53:54], -v[51:52]
	v_fma_f64 v[22:23], v[22:23], v[24:25], v[22:23]
	v_add_f64 v[20:21], v[20:21], v[26:27]
	v_add_f64 v[24:25], v[28:29], -v[30:31]
	v_add_f64 v[26:27], -v[22:23], s[94:95]
	v_add_f64 v[20:21], v[20:21], v[24:25]
	v_cndmask_b32_e64 v23, v23, v27, s[8:9]
	v_cndmask_b32_e64 v22, v22, v26, s[8:9]
	v_add_f64 v[24:25], -v[22:23], s[82:83]
	v_and_b32_e32 v27, 0x54442d18, v5
	v_cndmask_b32_e32 v26, v66, v67, vcc
	v_add_f64 v[20:21], v[53:54], v[20:21]
	v_cndmask_b32_e32 v22, v22, v24, vcc
	v_and_b32_e32 v24, 0x400921fb, v5
	v_mul_f64 v[5:6], v[20:21], 0.5
	v_cndmask_b32_e32 v20, v23, v25, vcc
	v_cndmask_b32_e64 v21, v22, v27, s[10:11]
	v_cndmask_b32_e64 v20, v20, v24, s[10:11]
	s_and_b64 vcc, s[48:49], s[50:51]
	s_and_b64 s[10:11], s[12:13], s[14:15]
	v_cndmask_b32_e32 v20, v20, v17, vcc
	s_mov_b32 s48, 0x69efb384
	v_cndmask_b32_e64 v17, 0, v5, s[10:11]
	v_cmp_ngt_f64_e64 s[10:11], -1.0, v[18:19]
	v_cndmask_b32_e64 v6, v63, v6, s[14:15]
	s_mov_b32 s50, 0xb5e68a13
	s_mov_b32 s49, 0x3f4b2bb0
	;; [unrolled: 1-line block ×3, first 2 shown]
	v_cndmask_b32_e64 v5, v64, v6, s[10:11]
	v_cmp_neq_f64_e64 s[10:11], -1.0, v[18:19]
	v_cndmask_b32_e32 v19, v21, v26, vcc
	v_cndmask_b32_e64 v18, v65, v5, s[10:11]
.LBB167_166:                            ;   in Loop: Header=BB167_145 Depth=1
	s_or_b64 exec, exec, s[46:47]
.LBB167_167:                            ;   in Loop: Header=BB167_145 Depth=1
	s_or_b64 exec, exec, s[44:45]
.LBB167_168:                            ;   in Loop: Header=BB167_145 Depth=1
	s_andn2_saveexec_b64 s[14:15], s[20:21]
	s_cbranch_execz .LBB167_170
; %bb.169:                              ;   in Loop: Header=BB167_145 Depth=1
	v_max_f64 v[22:23], |v[7:8]|, |v[7:8]|
	v_max_f64 v[24:25], |v[5:6]|, |v[5:6]|
	v_cmp_class_f64_e64 s[20:21], v[5:6], s58
	v_cmp_class_f64_e64 s[44:45], v[7:8], s58
	s_mov_b32 s93, s27
	s_mov_b32 s82, s94
	v_max_f64 v[20:21], v[24:25], v[22:23]
	v_min_f64 v[22:23], v[24:25], v[22:23]
	v_frexp_exp_i32_f64_e32 v19, v[20:21]
	v_sub_u32_e32 v26, 0, v19
	v_ldexp_f64 v[17:18], |v[7:8]|, v26
	v_ldexp_f64 v[26:27], |v[5:6]|, v26
	v_mul_f64 v[17:18], v[17:18], v[17:18]
	v_fma_f64 v[17:18], v[26:27], v[26:27], v[17:18]
	v_rsq_f64_e32 v[26:27], v[17:18]
	v_cmp_eq_f64_e32 vcc, 0, v[17:18]
	v_mul_f64 v[28:29], v[17:18], v[26:27]
	v_mul_f64 v[26:27], v[26:27], 0.5
	v_fma_f64 v[30:31], -v[26:27], v[28:29], 0.5
	v_fma_f64 v[28:29], v[28:29], v[30:31], v[28:29]
	v_fma_f64 v[26:27], v[26:27], v[30:31], v[26:27]
	v_fma_f64 v[30:31], -v[28:29], v[28:29], v[17:18]
	v_fma_f64 v[26:27], v[30:31], v[26:27], v[28:29]
	v_cndmask_b32_e32 v18, v27, v18, vcc
	v_cndmask_b32_e32 v17, v26, v17, vcc
	v_ldexp_f64 v[17:18], v[17:18], v19
	s_or_b64 vcc, s[44:45], s[20:21]
	v_cndmask_b32_e32 v19, v18, v63, vcc
	v_cndmask_b32_e64 v18, v17, 0, vcc
	v_frexp_mant_f64_e32 v[26:27], v[18:19]
	v_cmp_gt_f64_e64 s[10:11], s[26:27], v[26:27]
	v_cndmask_b32_e64 v5, 0, 1, s[10:11]
	v_ldexp_f64 v[26:27], v[26:27], v5
	v_frexp_exp_i32_f64_e32 v5, v[18:19]
	v_add_f64 v[28:29], v[26:27], 1.0
	v_add_f64 v[49:50], v[26:27], -1.0
	v_rcp_f64_e32 v[30:31], v[28:29]
	v_add_f64 v[53:54], v[28:29], -1.0
	v_add_f64 v[26:27], v[26:27], -v[53:54]
	v_fma_f64 v[47:48], -v[28:29], v[30:31], 1.0
	v_fma_f64 v[24:25], v[47:48], v[30:31], v[30:31]
	v_div_scale_f64 v[30:31], s[12:13], v[20:21], v[20:21], v[22:23]
	s_mov_b32 s12, 0xaf56de9b
	s_mov_b32 s13, 0xbf67952d
	v_fma_f64 v[47:48], -v[28:29], v[24:25], 1.0
	v_fma_f64 v[24:25], v[47:48], v[24:25], v[24:25]
	v_rcp_f64_e32 v[47:48], v[30:31]
	v_mul_f64 v[51:52], v[49:50], v[24:25]
	v_mul_f64 v[55:56], v[28:29], v[51:52]
	v_fma_f64 v[57:58], -v[30:31], v[47:48], 1.0
	v_fma_f64 v[28:29], v[51:52], v[28:29], -v[55:56]
	v_fma_f64 v[47:48], v[47:48], v[57:58], v[47:48]
	v_fma_f64 v[26:27], v[51:52], v[26:27], v[28:29]
	v_div_scale_f64 v[28:29], vcc, v[22:23], v[20:21], v[22:23]
	v_fma_f64 v[53:54], -v[30:31], v[47:48], 1.0
	v_add_f64 v[57:58], v[55:56], v[26:27]
	v_fma_f64 v[47:48], v[47:48], v[53:54], v[47:48]
	v_add_f64 v[53:54], v[49:50], -v[57:58]
	v_add_f64 v[55:56], v[57:58], -v[55:56]
	v_mul_f64 v[59:60], v[28:29], v[47:48]
	v_add_f64 v[49:50], v[49:50], -v[53:54]
	v_add_f64 v[26:27], v[55:56], -v[26:27]
	v_fma_f64 v[28:29], -v[30:31], v[59:60], v[28:29]
	v_add_f64 v[30:31], v[49:50], -v[57:58]
	v_div_fmas_f64 v[28:29], v[28:29], v[47:48], v[59:60]
	v_subbrev_co_u32_e64 v5, vcc, 0, v5, s[10:11]
	v_cmp_eq_f64_e64 s[10:11], 0, v[7:8]
	v_cmp_gt_i32_e32 vcc, 0, v6
	v_add_f64 v[26:27], v[26:27], v[30:31]
	v_add_f64 v[26:27], v[53:54], v[26:27]
	v_div_fixup_f64 v[20:21], v[28:29], v[20:21], v[22:23]
	v_mul_f64 v[22:23], v[24:25], v[26:27]
	v_mul_f64 v[24:25], v[20:21], v[20:21]
	v_add_f64 v[26:27], v[51:52], v[22:23]
	v_fma_f64 v[28:29], v[24:25], s[50:51], v[37:38]
	v_mul_f64 v[30:31], v[26:27], v[26:27]
	v_fma_f64 v[28:29], v[24:25], v[28:29], s[48:49]
	v_fma_f64 v[47:48], v[30:31], s[28:29], v[35:36]
	v_mul_f64 v[49:50], v[26:27], v[30:31]
	v_fma_f64 v[28:29], v[24:25], v[28:29], s[12:13]
	s_mov_b32 s12, 0xa595c56f
	s_mov_b32 s13, 0x3f7d6d43
	v_fma_f64 v[47:48], v[30:31], v[47:48], s[30:31]
	v_fma_f64 v[28:29], v[24:25], v[28:29], s[12:13]
	s_mov_b32 s12, 0xa57d9582
	s_mov_b32 s13, 0xbf8c6ea4
	v_fma_f64 v[47:48], v[30:31], v[47:48], s[34:35]
	;; [unrolled: 4-line block ×5, first 2 shown]
	v_ldexp_f64 v[47:48], v[26:27], 1
	v_add_f64 v[26:27], v[26:27], -v[51:52]
	v_fma_f64 v[28:29], v[24:25], v[28:29], s[12:13]
	v_cvt_f64_i32_e32 v[51:52], v5
	v_ashrrev_i32_e32 v5, 31, v6
	v_and_b32_e32 v17, 0x54442d18, v5
	v_cmp_class_f64_e64 s[12:13], v[18:19], s58
	v_mul_f64 v[30:31], v[49:50], v[30:31]
	v_mul_f64 v[53:54], v[51:52], s[40:41]
	v_add_f64 v[22:23], v[22:23], -v[26:27]
	v_fma_f64 v[28:29], v[24:25], v[28:29], s[60:61]
	v_add_f64 v[49:50], v[47:48], v[30:31]
	v_ldexp_f64 v[22:23], v[22:23], 1
	v_fma_f64 v[28:29], v[24:25], v[28:29], s[62:63]
	v_add_f64 v[26:27], v[49:50], -v[47:48]
	v_fma_f64 v[47:48], v[51:52], s[40:41], -v[53:54]
	v_fma_f64 v[28:29], v[24:25], v[28:29], s[64:65]
	v_add_f64 v[26:27], v[30:31], -v[26:27]
	v_fma_f64 v[30:31], v[51:52], s[42:43], v[47:48]
	v_fma_f64 v[28:29], v[24:25], v[28:29], s[66:67]
	v_add_f64 v[22:23], v[22:23], v[26:27]
	v_fma_f64 v[26:27], v[24:25], v[28:29], s[68:69]
	v_add_f64 v[28:29], v[53:54], v[30:31]
	v_add_f64 v[47:48], v[49:50], v[22:23]
	v_fma_f64 v[26:27], v[24:25], v[26:27], s[70:71]
	v_add_f64 v[53:54], v[28:29], -v[53:54]
	v_add_f64 v[51:52], v[28:29], v[47:48]
	v_add_f64 v[49:50], v[47:48], -v[49:50]
	v_fma_f64 v[26:27], v[24:25], v[26:27], s[72:73]
	v_add_f64 v[30:31], v[30:31], -v[53:54]
	v_add_f64 v[55:56], v[51:52], -v[28:29]
	;; [unrolled: 1-line block ×3, first 2 shown]
	v_fma_f64 v[26:27], v[24:25], v[26:27], s[74:75]
	v_add_f64 v[57:58], v[51:52], -v[55:56]
	v_add_f64 v[47:48], v[47:48], -v[55:56]
	v_add_f64 v[49:50], v[30:31], v[22:23]
	v_fma_f64 v[26:27], v[24:25], v[26:27], s[76:77]
	v_add_f64 v[28:29], v[28:29], -v[57:58]
	v_fma_f64 v[26:27], v[24:25], v[26:27], s[78:79]
	v_add_f64 v[28:29], v[47:48], v[28:29]
	v_add_f64 v[47:48], v[49:50], -v[30:31]
	v_fma_f64 v[26:27], v[24:25], v[26:27], s[80:81]
	v_add_f64 v[28:29], v[49:50], v[28:29]
	v_add_f64 v[22:23], v[22:23], -v[47:48]
	v_mul_f64 v[24:25], v[24:25], v[26:27]
	v_add_f64 v[26:27], v[49:50], -v[47:48]
	v_add_f64 v[49:50], v[51:52], v[28:29]
	v_fma_f64 v[20:21], v[20:21], v[24:25], v[20:21]
	v_add_f64 v[24:25], v[30:31], -v[26:27]
	v_add_f64 v[26:27], v[49:50], -v[51:52]
	v_add_f64 v[30:31], -v[20:21], s[94:95]
	v_add_f64 v[22:23], v[22:23], v[24:25]
	v_add_f64 v[24:25], v[28:29], -v[26:27]
	v_cndmask_b32_e64 v21, v21, v31, s[8:9]
	v_cndmask_b32_e64 v20, v20, v30, s[8:9]
	v_add_f64 v[26:27], -v[20:21], s[82:83]
	v_add_f64 v[22:23], v[22:23], v[24:25]
	v_cndmask_b32_e32 v25, v68, v69, vcc
	v_cndmask_b32_e32 v24, v66, v67, vcc
	;; [unrolled: 1-line block ×3, first 2 shown]
	v_and_b32_e32 v26, 0x400921fb, v5
	v_cndmask_b32_e32 v21, v21, v27, vcc
	v_add_f64 v[5:6], v[49:50], v[22:23]
	v_cndmask_b32_e64 v23, v20, v17, s[10:11]
	v_cndmask_b32_e64 v17, v21, v26, s[10:11]
	v_cmp_ngt_f64_e64 s[10:11], 0, v[18:19]
	v_bfi_b32 v22, s57, v25, v8
	s_and_b64 vcc, s[44:45], s[20:21]
	v_cndmask_b32_e32 v20, v17, v22, vcc
	v_cndmask_b32_e64 v6, v6, v19, s[12:13]
	v_cndmask_b32_e64 v5, v5, v18, s[12:13]
	;; [unrolled: 1-line block ×3, first 2 shown]
	v_cmp_nge_f64_e64 s[10:11], 0, v[18:19]
	v_cndmask_b32_e64 v17, 0, v5, s[10:11]
	v_cmp_neq_f64_e64 s[10:11], 0, v[18:19]
	v_cndmask_b32_e32 v19, v23, v24, vcc
	v_cndmask_b32_e64 v18, v65, v6, s[10:11]
.LBB167_170:                            ;   in Loop: Header=BB167_145 Depth=1
	s_or_b64 exec, exec, s[14:15]
                                        ; implicit-def: $vgpr21_vgpr22
.LBB167_171:                            ;   in Loop: Header=BB167_145 Depth=1
	s_andn2_saveexec_b64 s[14:15], s[86:87]
	s_cbranch_execz .LBB167_177
; %bb.172:                              ;   in Loop: Header=BB167_145 Depth=1
	s_mov_b32 s10, 0x6a3f9475
	s_mov_b32 s11, 0x20ca2fe7
	v_cmp_ngt_f64_e32 vcc, s[10:11], v[21:22]
                                        ; implicit-def: $vgpr17_vgpr18
	s_and_saveexec_b64 s[10:11], vcc
	s_xor_b64 s[20:21], exec, s[10:11]
	s_cbranch_execz .LBB167_174
; %bb.173:                              ;   in Loop: Header=BB167_145 Depth=1
	v_mul_f64 v[17:18], v[21:22], v[21:22]
	s_mov_b32 s93, s27
	s_mov_b32 s82, s94
	;; [unrolled: 1-line block ×3, first 2 shown]
	v_cmp_class_f64_e64 s[44:45], v[7:8], s58
	v_cmp_class_f64_e64 s[46:47], v[5:6], s58
	s_mov_b32 s13, 0x7ff00000
	v_add_f64 v[19:20], v[17:18], 1.0
	v_cmp_neq_f64_e64 s[12:13], s[12:13], v[17:18]
	v_frexp_mant_f64_e32 v[23:24], v[19:20]
	v_frexp_exp_i32_f64_e32 v27, v[19:20]
	v_add_f64 v[21:22], v[19:20], -1.0
	v_cmp_gt_f64_e32 vcc, s[26:27], v[23:24]
	v_add_f64 v[25:26], v[21:22], -v[19:20]
	v_add_f64 v[21:22], v[17:18], -v[21:22]
	v_subbrev_co_u32_e32 v31, vcc, 0, v27, vcc
	v_sub_u32_e32 v27, 0, v31
	v_ldexp_f64 v[19:20], v[19:20], v27
	v_add_f64 v[23:24], v[25:26], 1.0
	v_cvt_f64_i32_e32 v[31:32], v31
	v_add_f64 v[25:26], v[19:20], 1.0
	v_add_f64 v[21:22], v[21:22], v[23:24]
	v_add_f64 v[47:48], v[19:20], -1.0
	v_add_f64 v[23:24], v[25:26], -1.0
	v_ldexp_f64 v[21:22], v[21:22], v27
	v_add_f64 v[49:50], v[47:48], 1.0
	v_add_f64 v[23:24], v[19:20], -v[23:24]
	v_add_f64 v[19:20], v[19:20], -v[49:50]
	v_add_f64 v[27:28], v[21:22], v[23:24]
	v_add_f64 v[49:50], v[21:22], v[19:20]
	;; [unrolled: 1-line block ×3, first 2 shown]
	v_rcp_f64_e32 v[29:30], v[23:24]
	v_add_f64 v[25:26], v[25:26], -v[23:24]
	v_add_f64 v[27:28], v[27:28], v[25:26]
	v_fma_f64 v[51:52], -v[23:24], v[29:30], 1.0
	v_fma_f64 v[29:30], v[51:52], v[29:30], v[29:30]
	v_add_f64 v[51:52], v[47:48], v[49:50]
	v_fma_f64 v[19:20], -v[23:24], v[29:30], 1.0
	v_add_f64 v[47:48], v[47:48], -v[51:52]
	v_fma_f64 v[19:20], v[19:20], v[29:30], v[29:30]
	v_add_f64 v[47:48], v[49:50], v[47:48]
	v_mul_f64 v[21:22], v[51:52], v[19:20]
	v_mul_f64 v[29:30], v[23:24], v[21:22]
	v_fma_f64 v[25:26], v[21:22], v[23:24], -v[29:30]
	v_fma_f64 v[53:54], v[21:22], v[27:28], v[25:26]
	v_add_f64 v[55:56], v[29:30], v[53:54]
	v_add_f64 v[25:26], v[51:52], -v[55:56]
	v_add_f64 v[29:30], v[55:56], -v[29:30]
	;; [unrolled: 1-line block ×5, first 2 shown]
	v_add_f64 v[47:48], v[47:48], v[49:50]
	v_max_f64 v[49:50], |v[5:6]|, |v[5:6]|
	v_ashrrev_i32_e32 v5, 31, v6
	v_add_f64 v[29:30], v[29:30], v[47:48]
	v_max_f64 v[47:48], |v[7:8]|, |v[7:8]|
	v_add_f64 v[51:52], v[25:26], v[29:30]
	v_max_f64 v[53:54], v[49:50], v[47:48]
	v_min_f64 v[47:48], v[49:50], v[47:48]
	v_mul_f64 v[49:50], v[19:20], v[51:52]
	v_add_f64 v[25:26], v[25:26], -v[51:52]
	v_div_scale_f64 v[55:56], s[10:11], v[53:54], v[53:54], v[47:48]
	s_mov_b32 s10, 0xaf56de9b
	s_mov_b32 s11, 0xbf67952d
	v_mul_f64 v[57:58], v[23:24], v[49:50]
	v_add_f64 v[25:26], v[29:30], v[25:26]
	v_fma_f64 v[23:24], v[49:50], v[23:24], -v[57:58]
	v_rcp_f64_e32 v[59:60], v[55:56]
	v_fma_f64 v[23:24], v[49:50], v[27:28], v[23:24]
	v_add_f64 v[27:28], v[57:58], v[23:24]
	v_fma_f64 v[61:62], -v[55:56], v[59:60], 1.0
	v_add_f64 v[70:71], v[51:52], -v[27:28]
	v_add_f64 v[29:30], v[27:28], -v[57:58]
	v_fma_f64 v[59:60], v[59:60], v[61:62], v[59:60]
	v_div_scale_f64 v[61:62], vcc, v[47:48], v[53:54], v[47:48]
	v_add_f64 v[51:52], v[51:52], -v[70:71]
	v_add_f64 v[23:24], v[29:30], -v[23:24]
	v_fma_f64 v[72:73], -v[55:56], v[59:60], 1.0
	v_add_f64 v[29:30], v[21:22], v[49:50]
	v_add_f64 v[27:28], v[51:52], -v[27:28]
	v_fma_f64 v[51:52], v[59:60], v[72:73], v[59:60]
	v_add_f64 v[21:22], v[29:30], -v[21:22]
	v_add_f64 v[25:26], v[25:26], v[27:28]
	v_mul_f64 v[27:28], v[61:62], v[51:52]
	v_add_f64 v[21:22], v[49:50], -v[21:22]
	v_add_f64 v[23:24], v[23:24], v[25:26]
	v_fma_f64 v[25:26], -v[55:56], v[27:28], v[61:62]
	v_add_f64 v[23:24], v[70:71], v[23:24]
	v_div_fmas_f64 v[25:26], v[25:26], v[51:52], v[27:28]
	v_cmp_gt_i32_e32 vcc, 0, v6
	v_mul_f64 v[19:20], v[19:20], v[23:24]
	v_add_f64 v[19:20], v[21:22], v[19:20]
	v_div_fixup_f64 v[21:22], v[25:26], v[53:54], v[47:48]
	v_add_f64 v[23:24], v[29:30], v[19:20]
	v_mul_f64 v[25:26], v[21:22], v[21:22]
	v_mul_f64 v[27:28], v[23:24], v[23:24]
	v_fma_f64 v[47:48], v[25:26], s[50:51], v[37:38]
	v_fma_f64 v[49:50], v[27:28], s[28:29], v[35:36]
	v_mul_f64 v[51:52], v[23:24], v[27:28]
	v_fma_f64 v[47:48], v[25:26], v[47:48], s[48:49]
	v_fma_f64 v[49:50], v[27:28], v[49:50], s[30:31]
	;; [unrolled: 1-line block ×3, first 2 shown]
	s_mov_b32 s10, 0xa595c56f
	s_mov_b32 s11, 0x3f7d6d43
	v_fma_f64 v[49:50], v[27:28], v[49:50], s[34:35]
	v_fma_f64 v[47:48], v[25:26], v[47:48], s[10:11]
	s_mov_b32 s10, 0xa57d9582
	s_mov_b32 s11, 0xbf8c6ea4
	v_fma_f64 v[49:50], v[27:28], v[49:50], s[36:37]
	v_fma_f64 v[47:48], v[25:26], v[47:48], s[10:11]
	;; [unrolled: 4-line block ×3, first 2 shown]
	s_mov_b32 s10, 0xfc27006a
	s_mov_b32 s11, 0xbf9e9ae6
	v_fma_f64 v[27:28], v[27:28], v[49:50], s[92:93]
	v_ldexp_f64 v[49:50], v[23:24], 1
	v_fma_f64 v[47:48], v[25:26], v[47:48], s[10:11]
	s_mov_b32 s10, 0x5711927a
	s_mov_b32 s11, 0x3fa2c15b
	v_add_f64 v[23:24], v[23:24], -v[29:30]
	v_mul_f64 v[27:28], v[51:52], v[27:28]
	v_mul_f64 v[51:52], v[31:32], s[40:41]
	v_fma_f64 v[47:48], v[25:26], v[47:48], s[10:11]
	v_cmp_eq_f64_e64 s[10:11], 0, v[7:8]
	v_add_f64 v[19:20], v[19:20], -v[23:24]
	v_add_f64 v[29:30], v[49:50], v[27:28]
	v_fma_f64 v[47:48], v[25:26], v[47:48], s[60:61]
	v_ldexp_f64 v[19:20], v[19:20], 1
	v_add_f64 v[23:24], v[29:30], -v[49:50]
	v_fma_f64 v[49:50], v[31:32], s[40:41], -v[51:52]
	v_fma_f64 v[47:48], v[25:26], v[47:48], s[62:63]
	v_add_f64 v[23:24], v[27:28], -v[23:24]
	v_fma_f64 v[31:32], v[31:32], s[42:43], v[49:50]
	v_fma_f64 v[27:28], v[25:26], v[47:48], s[64:65]
	v_add_f64 v[19:20], v[19:20], v[23:24]
	v_fma_f64 v[23:24], v[25:26], v[27:28], s[66:67]
	v_add_f64 v[27:28], v[51:52], v[31:32]
	v_add_f64 v[47:48], v[29:30], v[19:20]
	v_fma_f64 v[23:24], v[25:26], v[23:24], s[68:69]
	v_add_f64 v[51:52], v[27:28], -v[51:52]
	v_add_f64 v[49:50], v[27:28], v[47:48]
	v_add_f64 v[29:30], v[47:48], -v[29:30]
	v_fma_f64 v[23:24], v[25:26], v[23:24], s[70:71]
	v_add_f64 v[31:32], v[31:32], -v[51:52]
	v_add_f64 v[53:54], v[49:50], -v[27:28]
	;; [unrolled: 1-line block ×3, first 2 shown]
	v_fma_f64 v[23:24], v[25:26], v[23:24], s[72:73]
	v_add_f64 v[55:56], v[49:50], -v[53:54]
	v_add_f64 v[29:30], v[47:48], -v[53:54]
	v_fma_f64 v[23:24], v[25:26], v[23:24], s[74:75]
	v_add_f64 v[47:48], v[31:32], v[19:20]
	v_add_f64 v[27:28], v[27:28], -v[55:56]
	v_fma_f64 v[23:24], v[25:26], v[23:24], s[76:77]
	v_add_f64 v[27:28], v[29:30], v[27:28]
	;; [unrolled: 3-line block ×3, first 2 shown]
	v_add_f64 v[47:48], v[47:48], -v[29:30]
	v_fma_f64 v[23:24], v[25:26], v[23:24], s[80:81]
	v_add_f64 v[19:20], v[19:20], -v[29:30]
	v_add_f64 v[51:52], v[49:50], v[27:28]
	v_mul_f64 v[23:24], v[25:26], v[23:24]
	v_add_f64 v[25:26], v[31:32], -v[47:48]
	v_add_f64 v[29:30], v[51:52], -v[49:50]
	v_fma_f64 v[21:22], v[21:22], v[23:24], v[21:22]
	v_add_f64 v[19:20], v[19:20], v[25:26]
	v_add_f64 v[23:24], v[27:28], -v[29:30]
	v_and_b32_e32 v27, 0x400921fb, v5
	v_add_f64 v[25:26], -v[21:22], s[94:95]
	v_add_f64 v[19:20], v[19:20], v[23:24]
	v_cndmask_b32_e64 v22, v22, v26, s[8:9]
	v_cndmask_b32_e64 v21, v21, v25, s[8:9]
	v_add_f64 v[23:24], -v[21:22], s[82:83]
	v_and_b32_e32 v26, 0x54442d18, v5
	v_cndmask_b32_e32 v25, v66, v67, vcc
	v_add_f64 v[19:20], v[51:52], v[19:20]
	v_cndmask_b32_e32 v21, v21, v23, vcc
	v_cndmask_b32_e32 v23, v68, v69, vcc
	;; [unrolled: 1-line block ×3, first 2 shown]
	v_bfi_b32 v17, s57, v23, v8
	v_mul_f64 v[5:6], v[19:20], 0.5
	v_cndmask_b32_e64 v19, v21, v26, s[10:11]
	v_cndmask_b32_e64 v18, v18, v27, s[10:11]
	s_and_b64 vcc, s[44:45], s[46:47]
	v_cndmask_b32_e32 v20, v18, v17, vcc
	v_cndmask_b32_e32 v19, v19, v25, vcc
                                        ; implicit-def: $vgpr21_vgpr22
	v_cndmask_b32_e64 v18, v63, v6, s[12:13]
	v_cndmask_b32_e64 v17, 0, v5, s[12:13]
.LBB167_174:                            ;   in Loop: Header=BB167_145 Depth=1
	s_andn2_saveexec_b64 s[12:13], s[20:21]
	s_cbranch_execz .LBB167_176
; %bb.175:                              ;   in Loop: Header=BB167_145 Depth=1
	v_max_f64 v[17:18], |v[7:8]|, |v[7:8]|
	v_max_f64 v[19:20], |v[5:6]|, |v[5:6]|
	s_mov_b32 s82, s94
	v_cmp_class_f64_e64 s[20:21], v[7:8], s58
	v_cmp_class_f64_e64 s[44:45], v[5:6], s58
	v_max_f64 v[23:24], v[19:20], v[17:18]
	v_min_f64 v[17:18], v[19:20], v[17:18]
	v_div_scale_f64 v[19:20], s[10:11], v[23:24], v[23:24], v[17:18]
	s_mov_b32 s10, 0xaf56de9b
	s_mov_b32 s11, 0xbf67952d
	v_rcp_f64_e32 v[25:26], v[19:20]
	v_fma_f64 v[27:28], -v[19:20], v[25:26], 1.0
	v_fma_f64 v[25:26], v[25:26], v[27:28], v[25:26]
	v_div_scale_f64 v[27:28], vcc, v[17:18], v[23:24], v[17:18]
	v_fma_f64 v[29:30], -v[19:20], v[25:26], 1.0
	v_fma_f64 v[25:26], v[25:26], v[29:30], v[25:26]
	v_mul_f64 v[29:30], v[27:28], v[25:26]
	v_fma_f64 v[19:20], -v[19:20], v[29:30], v[27:28]
	v_div_fmas_f64 v[19:20], v[19:20], v[25:26], v[29:30]
	v_ashrrev_i32_e32 v25, 31, v6
	v_cmp_gt_i32_e32 vcc, 0, v6
	v_and_b32_e32 v27, 0x54442d18, v25
	v_cndmask_b32_e32 v5, v68, v69, vcc
	v_and_b32_e32 v6, 0x400921fb, v25
	v_cndmask_b32_e32 v26, v66, v67, vcc
	v_bfi_b32 v5, s57, v5, v8
	v_div_fixup_f64 v[17:18], v[19:20], v[23:24], v[17:18]
	v_mul_f64 v[19:20], v[17:18], v[17:18]
	v_fma_f64 v[23:24], v[19:20], s[50:51], v[37:38]
	v_fma_f64 v[23:24], v[19:20], v[23:24], s[48:49]
	;; [unrolled: 1-line block ×3, first 2 shown]
	s_mov_b32 s10, 0xa595c56f
	s_mov_b32 s11, 0x3f7d6d43
	v_fma_f64 v[23:24], v[19:20], v[23:24], s[10:11]
	s_mov_b32 s10, 0xa57d9582
	s_mov_b32 s11, 0xbf8c6ea4
	v_fma_f64 v[23:24], v[19:20], v[23:24], s[10:11]
	;; [unrolled: 3-line block ×5, first 2 shown]
	v_cmp_eq_f64_e64 s[10:11], 0, v[7:8]
	v_fma_f64 v[23:24], v[19:20], v[23:24], s[60:61]
	v_fma_f64 v[23:24], v[19:20], v[23:24], s[62:63]
	;; [unrolled: 1-line block ×11, first 2 shown]
	v_mul_f64 v[19:20], v[19:20], v[23:24]
	v_fma_f64 v[17:18], v[17:18], v[19:20], v[17:18]
	v_add_f64 v[19:20], -v[17:18], s[94:95]
	v_cndmask_b32_e64 v20, v18, v20, s[8:9]
	v_cndmask_b32_e64 v19, v17, v19, s[8:9]
	v_mul_f64 v[17:18], v[21:22], 0.5
	v_add_f64 v[23:24], -v[19:20], s[82:83]
	v_mul_f64 v[17:18], v[21:22], v[17:18]
	v_cndmask_b32_e32 v19, v19, v23, vcc
	v_cndmask_b32_e32 v20, v20, v24, vcc
	v_cndmask_b32_e64 v19, v19, v27, s[10:11]
	v_cndmask_b32_e64 v6, v20, v6, s[10:11]
	s_and_b64 vcc, s[20:21], s[44:45]
	v_cndmask_b32_e32 v20, v6, v5, vcc
	v_cndmask_b32_e32 v19, v19, v26, vcc
.LBB167_176:                            ;   in Loop: Header=BB167_145 Depth=1
	s_or_b64 exec, exec, s[12:13]
.LBB167_177:                            ;   in Loop: Header=BB167_145 Depth=1
	s_or_b64 exec, exec, s[14:15]
.LBB167_178:                            ;   in Loop: Header=BB167_145 Depth=1
	s_andn2_saveexec_b64 s[12:13], s[24:25]
	s_cbranch_execz .LBB167_180
; %bb.179:                              ;   in Loop: Header=BB167_145 Depth=1
	v_div_scale_f64 v[17:18], s[10:11], s[88:89], s[88:89], v[5:6]
	v_div_scale_f64 v[19:20], s[10:11], s[88:89], s[88:89], v[7:8]
	;; [unrolled: 1-line block ×3, first 2 shown]
	s_mov_b32 s93, s27
	s_mov_b32 s82, s94
	v_cmp_class_f64_e64 s[20:21], v[5:6], s58
	v_rcp_f64_e32 v[21:22], v[17:18]
	v_rcp_f64_e32 v[23:24], v[19:20]
	v_fma_f64 v[25:26], -v[17:18], v[21:22], 1.0
	v_fma_f64 v[27:28], -v[19:20], v[23:24], 1.0
	v_fma_f64 v[21:22], v[21:22], v[25:26], v[21:22]
	v_div_scale_f64 v[25:26], vcc, v[5:6], s[88:89], v[5:6]
	v_fma_f64 v[23:24], v[23:24], v[27:28], v[23:24]
	v_fma_f64 v[27:28], -v[17:18], v[21:22], 1.0
	v_fma_f64 v[31:32], -v[19:20], v[23:24], 1.0
	v_fma_f64 v[21:22], v[21:22], v[27:28], v[21:22]
	v_fma_f64 v[23:24], v[23:24], v[31:32], v[23:24]
	v_mul_f64 v[27:28], v[25:26], v[21:22]
	v_mul_f64 v[31:32], v[29:30], v[23:24]
	v_fma_f64 v[17:18], -v[17:18], v[27:28], v[25:26]
	v_fma_f64 v[19:20], -v[19:20], v[31:32], v[29:30]
	v_div_fmas_f64 v[17:18], v[17:18], v[21:22], v[27:28]
	s_mov_b64 vcc, s[10:11]
	v_div_fmas_f64 v[19:20], v[19:20], v[23:24], v[31:32]
	v_max_f64 v[30:31], |v[5:6]|, |v[5:6]|
	v_div_fixup_f64 v[17:18], v[17:18], s[88:89], v[5:6]
	v_ashrrev_i32_e32 v5, 31, v6
	v_div_fixup_f64 v[19:20], v[19:20], s[88:89], v[7:8]
	v_cmp_class_f64_e64 s[10:11], v[17:18], s58
	v_max_f64 v[21:22], |v[17:18]|, |v[19:20]|
	v_cmp_class_f64_e64 s[14:15], v[19:20], s58
	v_frexp_exp_i32_f64_e32 v29, v[21:22]
	v_sub_u32_e32 v23, 0, v29
	v_ldexp_f64 v[21:22], |v[19:20]|, v23
	v_ldexp_f64 v[23:24], |v[17:18]|, v23
	v_mul_f64 v[21:22], v[21:22], v[21:22]
	v_fma_f64 v[21:22], v[23:24], v[23:24], v[21:22]
	v_rsq_f64_e32 v[23:24], v[21:22]
	v_cmp_eq_f64_e32 vcc, 0, v[21:22]
	v_mul_f64 v[25:26], v[21:22], v[23:24]
	v_mul_f64 v[23:24], v[23:24], 0.5
	v_fma_f64 v[27:28], -v[23:24], v[25:26], 0.5
	v_fma_f64 v[25:26], v[25:26], v[27:28], v[25:26]
	v_fma_f64 v[23:24], v[23:24], v[27:28], v[23:24]
	v_fma_f64 v[27:28], -v[25:26], v[25:26], v[21:22]
	v_fma_f64 v[23:24], v[27:28], v[23:24], v[25:26]
	v_cndmask_b32_e32 v22, v24, v22, vcc
	v_cndmask_b32_e32 v21, v23, v21, vcc
	v_ldexp_f64 v[21:22], v[21:22], v29
	v_cmp_o_f64_e32 vcc, v[17:18], v[19:20]
	v_max_f64 v[28:29], |v[7:8]|, |v[7:8]|
	v_cndmask_b32_e32 v17, 0, v21, vcc
	v_cndmask_b32_e32 v18, v64, v22, vcc
	s_or_b64 vcc, s[14:15], s[10:11]
	v_cndmask_b32_e32 v19, v18, v63, vcc
	v_cndmask_b32_e64 v18, v17, 0, vcc
	v_frexp_mant_f64_e32 v[20:21], v[18:19]
	v_cmp_gt_f64_e64 s[10:11], s[26:27], v[20:21]
	v_cndmask_b32_e64 v17, 0, 1, s[10:11]
	v_ldexp_f64 v[20:21], v[20:21], v17
	v_frexp_exp_i32_f64_e32 v17, v[18:19]
	v_add_f64 v[22:23], v[20:21], 1.0
	v_add_f64 v[49:50], v[20:21], -1.0
	v_rcp_f64_e32 v[24:25], v[22:23]
	v_add_f64 v[53:54], v[22:23], -1.0
	v_add_f64 v[20:21], v[20:21], -v[53:54]
	v_fma_f64 v[26:27], -v[22:23], v[24:25], 1.0
	v_fma_f64 v[24:25], v[26:27], v[24:25], v[24:25]
	v_max_f64 v[26:27], v[30:31], v[28:29]
	v_min_f64 v[28:29], v[30:31], v[28:29]
	v_fma_f64 v[30:31], -v[22:23], v[24:25], 1.0
	v_div_scale_f64 v[47:48], s[14:15], v[26:27], v[26:27], v[28:29]
	s_mov_b32 s14, 0xaf56de9b
	s_mov_b32 s15, 0xbf67952d
	v_fma_f64 v[24:25], v[30:31], v[24:25], v[24:25]
	v_mul_f64 v[30:31], v[49:50], v[24:25]
	v_rcp_f64_e32 v[51:52], v[47:48]
	v_mul_f64 v[55:56], v[22:23], v[30:31]
	v_fma_f64 v[22:23], v[30:31], v[22:23], -v[55:56]
	v_fma_f64 v[53:54], -v[47:48], v[51:52], 1.0
	v_fma_f64 v[20:21], v[30:31], v[20:21], v[22:23]
	v_fma_f64 v[22:23], v[51:52], v[53:54], v[51:52]
	v_div_scale_f64 v[53:54], vcc, v[28:29], v[26:27], v[28:29]
	v_add_f64 v[51:52], v[55:56], v[20:21]
	v_fma_f64 v[57:58], -v[47:48], v[22:23], 1.0
	v_add_f64 v[59:60], v[49:50], -v[51:52]
	v_add_f64 v[55:56], v[51:52], -v[55:56]
	v_fma_f64 v[22:23], v[22:23], v[57:58], v[22:23]
	v_add_f64 v[49:50], v[49:50], -v[59:60]
	v_add_f64 v[20:21], v[55:56], -v[20:21]
	v_mul_f64 v[57:58], v[53:54], v[22:23]
	v_add_f64 v[49:50], v[49:50], -v[51:52]
	v_fma_f64 v[47:48], -v[47:48], v[57:58], v[53:54]
	v_add_f64 v[20:21], v[20:21], v[49:50]
	v_div_fmas_f64 v[22:23], v[47:48], v[22:23], v[57:58]
	v_subbrev_co_u32_e64 v17, vcc, 0, v17, s[10:11]
	v_cmp_gt_i32_e32 vcc, 0, v6
	v_cmp_eq_f64_e64 s[10:11], 0, v[7:8]
	v_add_f64 v[20:21], v[59:60], v[20:21]
	v_mul_f64 v[20:21], v[24:25], v[20:21]
	v_div_fixup_f64 v[22:23], v[22:23], v[26:27], v[28:29]
	v_add_f64 v[24:25], v[30:31], v[20:21]
	v_mul_f64 v[26:27], v[22:23], v[22:23]
	v_mul_f64 v[28:29], v[24:25], v[24:25]
	v_fma_f64 v[47:48], v[26:27], s[50:51], v[37:38]
	v_fma_f64 v[49:50], v[28:29], s[28:29], v[35:36]
	v_mul_f64 v[51:52], v[24:25], v[28:29]
	v_fma_f64 v[47:48], v[26:27], v[47:48], s[48:49]
	v_fma_f64 v[49:50], v[28:29], v[49:50], s[30:31]
	;; [unrolled: 1-line block ×3, first 2 shown]
	s_mov_b32 s14, 0xa595c56f
	s_mov_b32 s15, 0x3f7d6d43
	v_fma_f64 v[49:50], v[28:29], v[49:50], s[34:35]
	v_fma_f64 v[47:48], v[26:27], v[47:48], s[14:15]
	s_mov_b32 s14, 0xa57d9582
	s_mov_b32 s15, 0xbf8c6ea4
	v_fma_f64 v[49:50], v[28:29], v[49:50], s[36:37]
	v_fma_f64 v[47:48], v[26:27], v[47:48], s[14:15]
	;; [unrolled: 4-line block ×3, first 2 shown]
	s_mov_b32 s14, 0xfc27006a
	s_mov_b32 s15, 0xbf9e9ae6
	v_fma_f64 v[28:29], v[28:29], v[49:50], s[92:93]
	v_ldexp_f64 v[49:50], v[24:25], 1
	v_fma_f64 v[47:48], v[26:27], v[47:48], s[14:15]
	s_mov_b32 s14, 0x5711927a
	s_mov_b32 s15, 0x3fa2c15b
	v_add_f64 v[24:25], v[24:25], -v[30:31]
	v_mul_f64 v[28:29], v[51:52], v[28:29]
	v_cvt_f64_i32_e32 v[51:52], v17
	v_fma_f64 v[47:48], v[26:27], v[47:48], s[14:15]
	v_cmp_class_f64_e64 s[14:15], v[7:8], s58
	v_cndmask_b32_e32 v17, v68, v69, vcc
	v_mul_f64 v[53:54], v[51:52], s[40:41]
	v_add_f64 v[20:21], v[20:21], -v[24:25]
	v_bfi_b32 v17, s57, v17, v8
	v_add_f64 v[30:31], v[49:50], v[28:29]
	v_fma_f64 v[47:48], v[26:27], v[47:48], s[60:61]
	v_ldexp_f64 v[20:21], v[20:21], 1
	v_add_f64 v[24:25], v[30:31], -v[49:50]
	v_fma_f64 v[49:50], v[51:52], s[40:41], -v[53:54]
	v_fma_f64 v[47:48], v[26:27], v[47:48], s[62:63]
	v_add_f64 v[24:25], v[28:29], -v[24:25]
	v_fma_f64 v[28:29], v[26:27], v[47:48], s[64:65]
	v_fma_f64 v[47:48], v[51:52], s[42:43], v[49:50]
	v_add_f64 v[20:21], v[20:21], v[24:25]
	v_fma_f64 v[24:25], v[26:27], v[28:29], s[66:67]
	v_add_f64 v[28:29], v[53:54], v[47:48]
	v_add_f64 v[49:50], v[30:31], v[20:21]
	v_fma_f64 v[24:25], v[26:27], v[24:25], s[68:69]
	v_add_f64 v[53:54], v[28:29], -v[53:54]
	v_add_f64 v[51:52], v[28:29], v[49:50]
	v_add_f64 v[30:31], v[49:50], -v[30:31]
	v_fma_f64 v[24:25], v[26:27], v[24:25], s[70:71]
	v_add_f64 v[47:48], v[47:48], -v[53:54]
	v_add_f64 v[55:56], v[51:52], -v[28:29]
	;; [unrolled: 1-line block ×3, first 2 shown]
	v_fma_f64 v[24:25], v[26:27], v[24:25], s[72:73]
	v_add_f64 v[57:58], v[51:52], -v[55:56]
	v_add_f64 v[30:31], v[49:50], -v[55:56]
	v_fma_f64 v[24:25], v[26:27], v[24:25], s[74:75]
	v_add_f64 v[49:50], v[47:48], v[20:21]
	v_add_f64 v[28:29], v[28:29], -v[57:58]
	v_fma_f64 v[24:25], v[26:27], v[24:25], s[76:77]
	v_add_f64 v[28:29], v[30:31], v[28:29]
	;; [unrolled: 3-line block ×3, first 2 shown]
	v_add_f64 v[49:50], v[49:50], -v[30:31]
	v_fma_f64 v[24:25], v[26:27], v[24:25], s[80:81]
	v_add_f64 v[20:21], v[20:21], -v[30:31]
	v_add_f64 v[53:54], v[51:52], v[28:29]
	v_mul_f64 v[24:25], v[26:27], v[24:25]
	v_add_f64 v[26:27], v[47:48], -v[49:50]
	v_add_f64 v[30:31], v[53:54], -v[51:52]
	v_fma_f64 v[22:23], v[22:23], v[24:25], v[22:23]
	v_add_f64 v[20:21], v[20:21], v[26:27]
	v_add_f64 v[24:25], v[28:29], -v[30:31]
	v_add_f64 v[26:27], -v[22:23], s[94:95]
	v_add_f64 v[20:21], v[20:21], v[24:25]
	v_cndmask_b32_e64 v23, v23, v27, s[8:9]
	v_cndmask_b32_e64 v22, v22, v26, s[8:9]
	v_add_f64 v[24:25], -v[22:23], s[82:83]
	v_cmp_class_f64_e64 s[8:9], v[18:19], s58
	v_and_b32_e32 v27, 0x54442d18, v5
	v_cndmask_b32_e32 v26, v66, v67, vcc
	v_add_f64 v[20:21], v[53:54], v[20:21]
	v_cndmask_b32_e32 v22, v22, v24, vcc
	v_and_b32_e32 v24, 0x400921fb, v5
	v_cndmask_b32_e64 v6, v21, v19, s[8:9]
	v_cndmask_b32_e64 v5, v20, v18, s[8:9]
	v_add_f64 v[5:6], v[5:6], 1.0
	v_cmp_ngt_f64_e64 s[8:9], 0, v[18:19]
	v_cndmask_b32_e32 v20, v23, v25, vcc
	v_cndmask_b32_e64 v20, v20, v24, s[10:11]
	s_and_b64 vcc, s[14:15], s[20:21]
	v_cndmask_b32_e32 v20, v20, v17, vcc
	v_cndmask_b32_e64 v21, v22, v27, s[10:11]
	v_cndmask_b32_e64 v6, v64, v6, s[8:9]
	v_cmp_nge_f64_e64 s[8:9], 0, v[18:19]
	v_cndmask_b32_e64 v17, 0, v5, s[8:9]
	v_cmp_neq_f64_e64 s[8:9], 0, v[18:19]
	v_cndmask_b32_e32 v19, v21, v26, vcc
	v_cndmask_b32_e64 v18, v65, v6, s[8:9]
.LBB167_180:                            ;   in Loop: Header=BB167_145 Depth=1
	s_or_b64 exec, exec, s[12:13]
.LBB167_181:                            ;   in Loop: Header=BB167_145 Depth=1
	s_andn2_saveexec_b64 s[8:9], s[22:23]
	s_cbranch_execz .LBB167_187
; %bb.182:                              ;   in Loop: Header=BB167_145 Depth=1
	v_cmp_nlt_f64_e64 s[10:11], |v[5:6]|, s[84:85]
	v_cmp_nlt_f64_e64 s[12:13], |v[7:8]|, s[84:85]
                                        ; implicit-def: $vgpr21_vgpr22
	s_or_b64 s[10:11], s[12:13], s[10:11]
	s_and_saveexec_b64 s[12:13], s[10:11]
	s_xor_b64 s[10:11], exec, s[12:13]
	s_cbranch_execz .LBB167_184
; %bb.183:                              ;   in Loop: Header=BB167_145 Depth=1
	v_mul_f64 v[5:6], v[5:6], v[5:6]
	v_fma_f64 v[21:22], v[7:8], v[7:8], v[5:6]
.LBB167_184:                            ;   in Loop: Header=BB167_145 Depth=1
	s_andn2_saveexec_b64 s[10:11], s[10:11]
	s_cbranch_execz .LBB167_186
; %bb.185:                              ;   in Loop: Header=BB167_145 Depth=1
	v_mul_f64 v[5:6], v[5:6], 4.0
	v_mul_f64 v[17:18], v[7:8], 4.0
	v_mul_f64 v[5:6], v[5:6], v[5:6]
	v_fma_f64 v[5:6], v[17:18], v[17:18], v[5:6]
	v_ldexp_f64 v[21:22], v[5:6], -4
.LBB167_186:                            ;   in Loop: Header=BB167_145 Depth=1
	s_or_b64 exec, exec, s[10:11]
	v_frexp_mant_f64_e32 v[5:6], v[21:22]
	s_mov_b32 s93, s27
	v_cmp_gt_f64_e32 vcc, s[26:27], v[5:6]
	v_cndmask_b32_e64 v7, 0, 1, vcc
	v_ldexp_f64 v[5:6], v[5:6], v7
	v_frexp_exp_i32_f64_e32 v7, v[21:22]
	v_add_f64 v[17:18], v[5:6], 1.0
	v_add_f64 v[25:26], v[5:6], -1.0
	v_subbrev_co_u32_e32 v7, vcc, 0, v7, vcc
	v_cmp_class_f64_e64 vcc, v[21:22], s58
	v_rcp_f64_e32 v[19:20], v[17:18]
	v_add_f64 v[27:28], v[17:18], -1.0
	v_add_f64 v[5:6], v[5:6], -v[27:28]
	v_fma_f64 v[23:24], -v[17:18], v[19:20], 1.0
	v_fma_f64 v[19:20], v[23:24], v[19:20], v[19:20]
	v_fma_f64 v[23:24], -v[17:18], v[19:20], 1.0
	v_fma_f64 v[19:20], v[23:24], v[19:20], v[19:20]
	v_mul_f64 v[23:24], v[25:26], v[19:20]
	v_mul_f64 v[29:30], v[17:18], v[23:24]
	v_fma_f64 v[17:18], v[23:24], v[17:18], -v[29:30]
	v_fma_f64 v[5:6], v[23:24], v[5:6], v[17:18]
	v_add_f64 v[17:18], v[29:30], v[5:6]
	v_add_f64 v[27:28], v[25:26], -v[17:18]
	v_add_f64 v[29:30], v[17:18], -v[29:30]
	;; [unrolled: 1-line block ×5, first 2 shown]
	v_add_f64 v[5:6], v[5:6], v[17:18]
	v_add_f64 v[5:6], v[27:28], v[5:6]
	v_mul_f64 v[5:6], v[19:20], v[5:6]
	v_add_f64 v[17:18], v[23:24], v[5:6]
	v_mul_f64 v[19:20], v[17:18], v[17:18]
	v_fma_f64 v[25:26], v[19:20], s[28:29], v[35:36]
	v_mul_f64 v[27:28], v[17:18], v[19:20]
	v_fma_f64 v[25:26], v[19:20], v[25:26], s[30:31]
	v_fma_f64 v[25:26], v[19:20], v[25:26], s[34:35]
	;; [unrolled: 1-line block ×5, first 2 shown]
	v_ldexp_f64 v[25:26], v[17:18], 1
	v_add_f64 v[17:18], v[17:18], -v[23:24]
	v_mul_f64 v[19:20], v[27:28], v[19:20]
	v_cvt_f64_i32_e32 v[27:28], v7
	v_add_f64 v[5:6], v[5:6], -v[17:18]
	v_mul_f64 v[29:30], v[27:28], s[40:41]
	v_add_f64 v[23:24], v[25:26], v[19:20]
	v_ldexp_f64 v[5:6], v[5:6], 1
	v_add_f64 v[17:18], v[23:24], -v[25:26]
	v_fma_f64 v[25:26], v[27:28], s[40:41], -v[29:30]
	v_add_f64 v[17:18], v[19:20], -v[17:18]
	v_fma_f64 v[19:20], v[27:28], s[42:43], v[25:26]
	v_add_f64 v[5:6], v[5:6], v[17:18]
	v_add_f64 v[17:18], v[29:30], v[19:20]
	;; [unrolled: 1-line block ×3, first 2 shown]
	v_add_f64 v[29:30], v[17:18], -v[29:30]
	v_add_f64 v[27:28], v[17:18], v[25:26]
	v_add_f64 v[23:24], v[25:26], -v[23:24]
	v_add_f64 v[19:20], v[19:20], -v[29:30]
	;; [unrolled: 1-line block ×6, first 2 shown]
	v_add_f64 v[25:26], v[19:20], v[5:6]
	v_add_f64 v[17:18], v[17:18], -v[47:48]
	v_add_f64 v[17:18], v[23:24], v[17:18]
	v_add_f64 v[23:24], v[25:26], -v[19:20]
	;; [unrolled: 2-line block ×3, first 2 shown]
	v_add_f64 v[5:6], v[5:6], -v[23:24]
	v_add_f64 v[29:30], v[27:28], v[17:18]
	v_add_f64 v[19:20], v[19:20], -v[25:26]
	v_add_f64 v[23:24], v[29:30], -v[27:28]
	v_add_f64 v[5:6], v[5:6], v[19:20]
	v_mov_b32_e32 v19, 0
	v_mov_b32_e32 v20, 0x7ff80000
	v_add_f64 v[17:18], v[17:18], -v[23:24]
	v_add_f64 v[5:6], v[5:6], v[17:18]
	v_add_f64 v[5:6], v[29:30], v[5:6]
	v_cndmask_b32_e32 v5, v5, v21, vcc
	v_cndmask_b32_e32 v6, v6, v22, vcc
	v_cmp_ngt_f64_e32 vcc, 0, v[21:22]
	v_cndmask_b32_e32 v6, v64, v6, vcc
	v_cmp_nge_f64_e32 vcc, 0, v[21:22]
	v_cndmask_b32_e32 v17, 0, v5, vcc
	v_cmp_neq_f64_e32 vcc, 0, v[21:22]
	v_cndmask_b32_e32 v18, v65, v6, vcc
.LBB167_187:                            ;   in Loop: Header=BB167_145 Depth=1
	s_or_b64 exec, exec, s[8:9]
	v_cmp_o_f64_e32 vcc, v[1:2], v[3:4]
                                        ; implicit-def: $vgpr21_vgpr22
	s_and_saveexec_b64 s[8:9], vcc
	s_xor_b64 s[22:23], exec, s[8:9]
	s_cbranch_execz .LBB167_215
; %bb.188:                              ;   in Loop: Header=BB167_145 Depth=1
	v_cmp_lt_f64_e64 s[8:9], |v[1:2]|, |v[3:4]|
	v_and_b32_e32 v5, 0x7fffffff, v2
	v_and_b32_e32 v6, 0x7fffffff, v4
	s_mov_b32 s10, 0x85ebc8a0
	s_mov_b32 s11, 0x7fd1ccf3
	v_mov_b32_e32 v7, v3
                                        ; implicit-def: $vgpr21_vgpr22
	v_cndmask_b32_e64 v26, v6, v5, s[8:9]
	v_cndmask_b32_e64 v25, v3, v1, s[8:9]
	v_cmp_nlt_f64_e32 vcc, s[10:11], v[25:26]
	s_and_saveexec_b64 s[10:11], vcc
	s_xor_b64 s[24:25], exec, s[10:11]
	s_cbranch_execz .LBB167_212
; %bb.189:                              ;   in Loop: Header=BB167_145 Depth=1
	v_cndmask_b32_e64 v28, v5, v6, s[8:9]
	v_cndmask_b32_e64 v27, v1, v7, s[8:9]
	v_cmp_neq_f64_e32 vcc, 1.0, v[27:28]
                                        ; implicit-def: $vgpr21_vgpr22
	s_and_saveexec_b64 s[10:11], vcc
	s_xor_b64 s[86:87], exec, s[10:11]
	s_cbranch_execz .LBB167_205
; %bb.190:                              ;   in Loop: Header=BB167_145 Depth=1
	v_max_f64 v[5:6], v[25:26], v[25:26]
	v_max_f64 v[21:22], v[27:28], v[27:28]
	s_mov_b32 s10, 0x4ad4b81f
	s_mov_b32 s11, 0x358dee7a
	v_min_f64 v[23:24], v[21:22], v[5:6]
	v_max_f64 v[5:6], v[21:22], v[5:6]
	v_cmp_ngt_f64_e32 vcc, s[10:11], v[23:24]
	s_mov_b32 s10, 0xc57e649a
	s_mov_b32 s11, 0x4a511b0e
	v_cmp_nlt_f64_e64 s[10:11], s[10:11], v[5:6]
                                        ; implicit-def: $vgpr21_vgpr22
	s_and_b64 s[10:11], s[10:11], vcc
	s_and_saveexec_b64 s[12:13], s[10:11]
	s_xor_b64 s[20:21], exec, s[12:13]
	s_cbranch_execz .LBB167_202
; %bb.191:                              ;   in Loop: Header=BB167_145 Depth=1
	v_cmp_le_f64_e32 vcc, 1.0, v[27:28]
                                        ; implicit-def: $vgpr21_vgpr22
	s_and_saveexec_b64 s[10:11], vcc
	s_xor_b64 s[44:45], exec, s[10:11]
	s_cbranch_execz .LBB167_193
; %bb.192:                              ;   in Loop: Header=BB167_145 Depth=1
	v_add_f64 v[5:6], v[27:28], -1.0
	v_add_f64 v[21:22], v[27:28], 1.0
	s_mov_b32 s93, s27
	s_mov_b32 s82, s94
	;; [unrolled: 1-line block ×4, first 2 shown]
	v_cmp_class_f64_e64 s[46:47], v[3:4], s58
	v_mul_f64 v[5:6], v[5:6], v[21:22]
	v_fma_f64 v[5:6], v[25:26], v[25:26], v[5:6]
	v_add_f64 v[21:22], v[5:6], 1.0
	v_cmp_nge_f64_e64 s[12:13], -1.0, v[5:6]
	v_cmp_neq_f64_e64 s[14:15], s[14:15], v[5:6]
	v_frexp_mant_f64_e32 v[25:26], v[21:22]
	v_frexp_exp_i32_f64_e32 v7, v[21:22]
	v_add_f64 v[23:24], v[21:22], -1.0
	v_cmp_gt_f64_e32 vcc, s[26:27], v[25:26]
	v_add_f64 v[27:28], v[23:24], -v[21:22]
	v_add_f64 v[23:24], v[5:6], -v[23:24]
	v_subbrev_co_u32_e32 v7, vcc, 0, v7, vcc
	v_sub_u32_e32 v29, 0, v7
	v_ldexp_f64 v[21:22], v[21:22], v29
	v_add_f64 v[25:26], v[27:28], 1.0
	v_add_f64 v[27:28], v[21:22], 1.0
	v_add_f64 v[23:24], v[23:24], v[25:26]
	v_add_f64 v[47:48], v[21:22], -1.0
	v_add_f64 v[25:26], v[27:28], -1.0
	v_ldexp_f64 v[23:24], v[23:24], v29
	v_add_f64 v[49:50], v[47:48], 1.0
	v_add_f64 v[25:26], v[21:22], -v[25:26]
	v_add_f64 v[21:22], v[21:22], -v[49:50]
	v_add_f64 v[29:30], v[23:24], v[25:26]
	v_add_f64 v[49:50], v[23:24], v[21:22]
	;; [unrolled: 1-line block ×3, first 2 shown]
	v_rcp_f64_e32 v[31:32], v[25:26]
	v_add_f64 v[27:28], v[25:26], -v[27:28]
	v_add_f64 v[29:30], v[29:30], -v[27:28]
	v_fma_f64 v[51:52], -v[25:26], v[31:32], 1.0
	v_fma_f64 v[31:32], v[51:52], v[31:32], v[31:32]
	v_add_f64 v[51:52], v[47:48], v[49:50]
	v_fma_f64 v[21:22], -v[25:26], v[31:32], 1.0
	v_add_f64 v[47:48], v[51:52], -v[47:48]
	v_fma_f64 v[21:22], v[21:22], v[31:32], v[31:32]
	v_add_f64 v[47:48], v[49:50], -v[47:48]
	v_mul_f64 v[23:24], v[51:52], v[21:22]
	v_mul_f64 v[31:32], v[25:26], v[23:24]
	v_fma_f64 v[27:28], v[23:24], v[25:26], -v[31:32]
	v_fma_f64 v[53:54], v[23:24], v[29:30], v[27:28]
	v_add_f64 v[55:56], v[31:32], v[53:54]
	v_add_f64 v[27:28], v[51:52], -v[55:56]
	v_add_f64 v[31:32], v[55:56], -v[31:32]
	;; [unrolled: 1-line block ×5, first 2 shown]
	v_add_f64 v[47:48], v[47:48], v[49:50]
	v_max_f64 v[49:50], |v[1:2]|, |v[1:2]|
	v_add_f64 v[31:32], v[31:32], v[47:48]
	v_max_f64 v[47:48], |v[3:4]|, |v[3:4]|
	v_add_f64 v[51:52], v[27:28], v[31:32]
	v_max_f64 v[53:54], v[49:50], v[47:48]
	v_min_f64 v[47:48], v[49:50], v[47:48]
	v_mul_f64 v[49:50], v[21:22], v[51:52]
	v_add_f64 v[27:28], v[27:28], -v[51:52]
	v_div_scale_f64 v[55:56], s[10:11], v[53:54], v[53:54], v[47:48]
	s_mov_b32 s10, 0xaf56de9b
	s_mov_b32 s11, 0xbf67952d
	v_mul_f64 v[57:58], v[25:26], v[49:50]
	v_add_f64 v[27:28], v[31:32], v[27:28]
	v_fma_f64 v[25:26], v[49:50], v[25:26], -v[57:58]
	v_rcp_f64_e32 v[59:60], v[55:56]
	v_fma_f64 v[25:26], v[49:50], v[29:30], v[25:26]
	v_add_f64 v[29:30], v[57:58], v[25:26]
	v_fma_f64 v[61:62], -v[55:56], v[59:60], 1.0
	v_add_f64 v[70:71], v[51:52], -v[29:30]
	v_add_f64 v[31:32], v[29:30], -v[57:58]
	v_fma_f64 v[59:60], v[59:60], v[61:62], v[59:60]
	v_div_scale_f64 v[61:62], vcc, v[47:48], v[53:54], v[47:48]
	v_add_f64 v[51:52], v[51:52], -v[70:71]
	v_add_f64 v[25:26], v[31:32], -v[25:26]
	v_fma_f64 v[72:73], -v[55:56], v[59:60], 1.0
	v_add_f64 v[31:32], v[23:24], v[49:50]
	v_add_f64 v[29:30], v[51:52], -v[29:30]
	v_fma_f64 v[51:52], v[59:60], v[72:73], v[59:60]
	v_add_f64 v[23:24], v[31:32], -v[23:24]
	v_add_f64 v[27:28], v[27:28], v[29:30]
	v_mul_f64 v[29:30], v[61:62], v[51:52]
	v_add_f64 v[23:24], v[49:50], -v[23:24]
	v_add_f64 v[25:26], v[25:26], v[27:28]
	v_fma_f64 v[27:28], -v[55:56], v[29:30], v[61:62]
	v_add_f64 v[25:26], v[70:71], v[25:26]
	v_div_fmas_f64 v[27:28], v[27:28], v[51:52], v[29:30]
	v_cmp_gt_i32_e32 vcc, 0, v2
	v_mul_f64 v[21:22], v[21:22], v[25:26]
	v_add_f64 v[21:22], v[23:24], v[21:22]
	v_div_fixup_f64 v[23:24], v[27:28], v[53:54], v[47:48]
	v_add_f64 v[25:26], v[31:32], v[21:22]
	v_mul_f64 v[27:28], v[23:24], v[23:24]
	v_mul_f64 v[29:30], v[25:26], v[25:26]
	v_fma_f64 v[47:48], v[27:28], s[50:51], v[37:38]
	v_fma_f64 v[49:50], v[29:30], s[28:29], v[35:36]
	v_mul_f64 v[51:52], v[25:26], v[29:30]
	v_fma_f64 v[47:48], v[27:28], v[47:48], s[48:49]
	v_cmp_class_f64_e64 s[48:49], v[1:2], s58
	v_ashrrev_i32_e32 v1, 31, v2
	v_fma_f64 v[49:50], v[29:30], v[49:50], s[30:31]
	v_fma_f64 v[47:48], v[27:28], v[47:48], s[10:11]
	s_mov_b32 s10, 0xa595c56f
	s_mov_b32 s11, 0x3f7d6d43
	v_fma_f64 v[49:50], v[29:30], v[49:50], s[34:35]
	v_fma_f64 v[47:48], v[27:28], v[47:48], s[10:11]
	s_mov_b32 s10, 0xa57d9582
	s_mov_b32 s11, 0xbf8c6ea4
	;; [unrolled: 4-line block ×4, first 2 shown]
	v_fma_f64 v[29:30], v[29:30], v[49:50], s[92:93]
	v_ldexp_f64 v[49:50], v[25:26], 1
	v_fma_f64 v[47:48], v[27:28], v[47:48], s[10:11]
	s_mov_b32 s10, 0x5711927a
	s_mov_b32 s11, 0x3fa2c15b
	v_add_f64 v[25:26], v[25:26], -v[31:32]
	v_mul_f64 v[29:30], v[51:52], v[29:30]
	v_cvt_f64_i32_e32 v[51:52], v7
	v_fma_f64 v[47:48], v[27:28], v[47:48], s[10:11]
	v_cmp_eq_f64_e64 s[10:11], 0, v[3:4]
	v_cndmask_b32_e32 v7, v66, v67, vcc
	v_mul_f64 v[53:54], v[51:52], s[40:41]
	v_add_f64 v[21:22], v[21:22], -v[25:26]
	v_add_f64 v[31:32], v[49:50], v[29:30]
	v_fma_f64 v[47:48], v[27:28], v[47:48], s[60:61]
	v_ldexp_f64 v[21:22], v[21:22], 1
	v_add_f64 v[25:26], v[31:32], -v[49:50]
	v_fma_f64 v[49:50], v[51:52], s[40:41], -v[53:54]
	v_fma_f64 v[47:48], v[27:28], v[47:48], s[62:63]
	v_add_f64 v[25:26], v[29:30], -v[25:26]
	v_fma_f64 v[29:30], v[27:28], v[47:48], s[64:65]
	v_fma_f64 v[47:48], v[51:52], s[42:43], v[49:50]
	v_add_f64 v[21:22], v[21:22], v[25:26]
	v_fma_f64 v[25:26], v[27:28], v[29:30], s[66:67]
	v_add_f64 v[29:30], v[53:54], v[47:48]
	v_add_f64 v[49:50], v[31:32], v[21:22]
	v_fma_f64 v[25:26], v[27:28], v[25:26], s[68:69]
	v_add_f64 v[53:54], v[29:30], -v[53:54]
	v_add_f64 v[51:52], v[29:30], v[49:50]
	v_add_f64 v[31:32], v[49:50], -v[31:32]
	v_fma_f64 v[25:26], v[27:28], v[25:26], s[70:71]
	v_add_f64 v[47:48], v[47:48], -v[53:54]
	v_add_f64 v[55:56], v[51:52], -v[29:30]
	;; [unrolled: 1-line block ×3, first 2 shown]
	v_fma_f64 v[25:26], v[27:28], v[25:26], s[72:73]
	v_add_f64 v[57:58], v[51:52], -v[55:56]
	v_add_f64 v[31:32], v[49:50], -v[55:56]
	v_fma_f64 v[25:26], v[27:28], v[25:26], s[74:75]
	v_add_f64 v[49:50], v[47:48], v[21:22]
	v_add_f64 v[29:30], v[29:30], -v[57:58]
	v_fma_f64 v[25:26], v[27:28], v[25:26], s[76:77]
	v_add_f64 v[29:30], v[31:32], v[29:30]
	v_add_f64 v[31:32], v[49:50], -v[47:48]
	v_fma_f64 v[25:26], v[27:28], v[25:26], s[78:79]
	v_add_f64 v[29:30], v[49:50], v[29:30]
	v_add_f64 v[49:50], v[49:50], -v[31:32]
	v_fma_f64 v[25:26], v[27:28], v[25:26], s[80:81]
	v_add_f64 v[21:22], v[21:22], -v[31:32]
	v_add_f64 v[53:54], v[51:52], v[29:30]
	v_mul_f64 v[25:26], v[27:28], v[25:26]
	v_add_f64 v[27:28], v[47:48], -v[49:50]
	v_add_f64 v[31:32], v[53:54], -v[51:52]
	v_fma_f64 v[23:24], v[23:24], v[25:26], v[23:24]
	v_add_f64 v[21:22], v[21:22], v[27:28]
	v_add_f64 v[25:26], v[29:30], -v[31:32]
	v_add_f64 v[27:28], -v[23:24], s[94:95]
	v_add_f64 v[21:22], v[21:22], v[25:26]
	v_cndmask_b32_e64 v24, v24, v28, s[8:9]
	v_cndmask_b32_e64 v23, v23, v27, s[8:9]
	v_add_f64 v[25:26], -v[23:24], s[82:83]
	v_and_b32_e32 v28, 0x54442d18, v1
	v_cndmask_b32_e32 v27, v68, v69, vcc
	v_add_f64 v[21:22], v[53:54], v[21:22]
	v_cndmask_b32_e32 v23, v23, v25, vcc
	v_and_b32_e32 v25, 0x400921fb, v1
	v_cndmask_b32_e64 v23, v23, v28, s[10:11]
	v_mul_f64 v[1:2], v[21:22], 0.5
	v_cndmask_b32_e32 v22, v24, v26, vcc
	v_bfi_b32 v21, s57, v27, v4
	v_cndmask_b32_e64 v22, v22, v25, s[10:11]
	s_and_b64 vcc, s[46:47], s[48:49]
	s_and_b64 s[10:11], s[12:13], s[14:15]
	v_cndmask_b32_e32 v24, v22, v21, vcc
	s_mov_b32 s48, 0x69efb384
	v_cndmask_b32_e64 v21, 0, v1, s[10:11]
	v_cmp_ngt_f64_e64 s[10:11], -1.0, v[5:6]
	v_cndmask_b32_e64 v2, v63, v2, s[14:15]
	s_mov_b32 s49, 0x3f4b2bb0
	v_cndmask_b32_e32 v23, v23, v7, vcc
                                        ; implicit-def: $vgpr25_vgpr26
                                        ; implicit-def: $vgpr27_vgpr28
	v_cndmask_b32_e64 v1, v64, v2, s[10:11]
	v_cmp_neq_f64_e64 s[10:11], -1.0, v[5:6]
	v_cndmask_b32_e64 v22, v65, v1, s[10:11]
.LBB167_193:                            ;   in Loop: Header=BB167_145 Depth=1
	s_andn2_saveexec_b64 s[44:45], s[44:45]
	s_cbranch_execz .LBB167_201
; %bb.194:                              ;   in Loop: Header=BB167_145 Depth=1
	v_mul_f64 v[5:6], v[25:26], v[25:26]
	s_mov_b32 s10, 0x66666666
	s_mov_b32 s11, 0x3fe66666
                                        ; implicit-def: $vgpr21_vgpr22
	v_fma_f64 v[5:6], v[27:28], v[27:28], v[5:6]
	v_cmp_ge_f64_e32 vcc, s[10:11], v[5:6]
	s_and_saveexec_b64 s[10:11], vcc
	s_xor_b64 s[14:15], exec, s[10:11]
	s_cbranch_execz .LBB167_196
; %bb.195:                              ;   in Loop: Header=BB167_145 Depth=1
	v_frexp_mant_f64_e32 v[21:22], v[5:6]
	v_max_f64 v[29:30], |v[3:4]|, |v[3:4]|
	v_max_f64 v[31:32], |v[1:2]|, |v[1:2]|
	s_mov_b32 s93, s27
	s_mov_b32 s82, s94
	v_cmp_class_f64_e64 s[46:47], v[3:4], s58
	v_cmp_gt_f64_e64 s[10:11], s[26:27], v[21:22]
	v_cndmask_b32_e64 v7, 0, 1, s[10:11]
	v_ldexp_f64 v[21:22], v[21:22], v7
	v_frexp_exp_i32_f64_e32 v7, v[5:6]
	v_add_f64 v[23:24], v[21:22], 1.0
	v_add_f64 v[49:50], v[21:22], -1.0
	v_rcp_f64_e32 v[25:26], v[23:24]
	v_add_f64 v[53:54], v[23:24], -1.0
	v_add_f64 v[21:22], v[21:22], -v[53:54]
	v_fma_f64 v[27:28], -v[23:24], v[25:26], 1.0
	v_fma_f64 v[25:26], v[27:28], v[25:26], v[25:26]
	v_max_f64 v[27:28], v[31:32], v[29:30]
	v_min_f64 v[29:30], v[31:32], v[29:30]
	v_fma_f64 v[31:32], -v[23:24], v[25:26], 1.0
	v_div_scale_f64 v[47:48], s[12:13], v[27:28], v[27:28], v[29:30]
	s_mov_b32 s12, 0xaf56de9b
	s_mov_b32 s13, 0xbf67952d
	v_fma_f64 v[25:26], v[31:32], v[25:26], v[25:26]
	v_mul_f64 v[31:32], v[49:50], v[25:26]
	v_rcp_f64_e32 v[51:52], v[47:48]
	v_mul_f64 v[55:56], v[23:24], v[31:32]
	v_fma_f64 v[23:24], v[31:32], v[23:24], -v[55:56]
	v_fma_f64 v[53:54], -v[47:48], v[51:52], 1.0
	v_fma_f64 v[21:22], v[31:32], v[21:22], v[23:24]
	v_fma_f64 v[23:24], v[51:52], v[53:54], v[51:52]
	v_div_scale_f64 v[53:54], vcc, v[29:30], v[27:28], v[29:30]
	v_add_f64 v[51:52], v[55:56], v[21:22]
	v_fma_f64 v[57:58], -v[47:48], v[23:24], 1.0
	v_add_f64 v[59:60], v[49:50], -v[51:52]
	v_add_f64 v[55:56], v[51:52], -v[55:56]
	v_fma_f64 v[23:24], v[23:24], v[57:58], v[23:24]
	v_add_f64 v[49:50], v[49:50], -v[59:60]
	v_add_f64 v[21:22], v[55:56], -v[21:22]
	v_mul_f64 v[57:58], v[53:54], v[23:24]
	v_add_f64 v[49:50], v[49:50], -v[51:52]
	v_fma_f64 v[47:48], -v[47:48], v[57:58], v[53:54]
	v_add_f64 v[21:22], v[21:22], v[49:50]
	v_div_fmas_f64 v[23:24], v[47:48], v[23:24], v[57:58]
	v_subbrev_co_u32_e64 v7, vcc, 0, v7, s[10:11]
	v_cmp_eq_f64_e64 s[10:11], 0, v[3:4]
	v_cmp_gt_i32_e32 vcc, 0, v2
	v_add_f64 v[21:22], v[59:60], v[21:22]
	v_mul_f64 v[21:22], v[25:26], v[21:22]
	v_div_fixup_f64 v[23:24], v[23:24], v[27:28], v[29:30]
	v_add_f64 v[25:26], v[31:32], v[21:22]
	v_mul_f64 v[27:28], v[23:24], v[23:24]
	v_mul_f64 v[29:30], v[25:26], v[25:26]
	v_fma_f64 v[47:48], v[27:28], s[50:51], v[37:38]
	v_fma_f64 v[49:50], v[29:30], s[28:29], v[35:36]
	v_mul_f64 v[51:52], v[25:26], v[29:30]
	v_fma_f64 v[47:48], v[27:28], v[47:48], s[48:49]
	v_cmp_class_f64_e64 s[48:49], v[1:2], s58
	v_ashrrev_i32_e32 v1, 31, v2
	v_fma_f64 v[49:50], v[29:30], v[49:50], s[30:31]
	v_fma_f64 v[47:48], v[27:28], v[47:48], s[12:13]
	s_mov_b32 s12, 0xa595c56f
	s_mov_b32 s13, 0x3f7d6d43
	v_fma_f64 v[49:50], v[29:30], v[49:50], s[34:35]
	v_fma_f64 v[47:48], v[27:28], v[47:48], s[12:13]
	s_mov_b32 s12, 0xa57d9582
	s_mov_b32 s13, 0xbf8c6ea4
	;; [unrolled: 4-line block ×4, first 2 shown]
	v_fma_f64 v[29:30], v[29:30], v[49:50], s[92:93]
	v_ldexp_f64 v[49:50], v[25:26], 1
	v_fma_f64 v[47:48], v[27:28], v[47:48], s[12:13]
	s_mov_b32 s12, 0x5711927a
	s_mov_b32 s13, 0x3fa2c15b
	v_add_f64 v[25:26], v[25:26], -v[31:32]
	v_mul_f64 v[29:30], v[51:52], v[29:30]
	v_cvt_f64_i32_e32 v[51:52], v7
	v_fma_f64 v[47:48], v[27:28], v[47:48], s[12:13]
	v_cmp_neq_f64_e64 s[12:13], 0, v[5:6]
	v_cndmask_b32_e32 v7, v66, v67, vcc
	v_mul_f64 v[53:54], v[51:52], s[40:41]
	v_add_f64 v[21:22], v[21:22], -v[25:26]
	v_add_f64 v[31:32], v[49:50], v[29:30]
	v_fma_f64 v[47:48], v[27:28], v[47:48], s[60:61]
	v_ldexp_f64 v[21:22], v[21:22], 1
	v_add_f64 v[25:26], v[31:32], -v[49:50]
	v_fma_f64 v[49:50], v[51:52], s[40:41], -v[53:54]
	v_fma_f64 v[47:48], v[27:28], v[47:48], s[62:63]
	v_add_f64 v[25:26], v[29:30], -v[25:26]
	v_fma_f64 v[29:30], v[27:28], v[47:48], s[64:65]
	v_fma_f64 v[47:48], v[51:52], s[42:43], v[49:50]
	v_add_f64 v[21:22], v[21:22], v[25:26]
	v_fma_f64 v[25:26], v[27:28], v[29:30], s[66:67]
	v_add_f64 v[29:30], v[53:54], v[47:48]
	v_add_f64 v[49:50], v[31:32], v[21:22]
	v_fma_f64 v[25:26], v[27:28], v[25:26], s[68:69]
	v_add_f64 v[53:54], v[29:30], -v[53:54]
	v_add_f64 v[51:52], v[29:30], v[49:50]
	v_add_f64 v[31:32], v[49:50], -v[31:32]
	v_fma_f64 v[25:26], v[27:28], v[25:26], s[70:71]
	v_add_f64 v[47:48], v[47:48], -v[53:54]
	v_add_f64 v[55:56], v[51:52], -v[29:30]
	;; [unrolled: 1-line block ×3, first 2 shown]
	v_fma_f64 v[25:26], v[27:28], v[25:26], s[72:73]
	v_add_f64 v[57:58], v[51:52], -v[55:56]
	v_add_f64 v[31:32], v[49:50], -v[55:56]
	v_fma_f64 v[25:26], v[27:28], v[25:26], s[74:75]
	v_add_f64 v[49:50], v[47:48], v[21:22]
	v_add_f64 v[29:30], v[29:30], -v[57:58]
	v_fma_f64 v[25:26], v[27:28], v[25:26], s[76:77]
	v_add_f64 v[29:30], v[31:32], v[29:30]
	;; [unrolled: 3-line block ×3, first 2 shown]
	v_add_f64 v[49:50], v[49:50], -v[31:32]
	v_fma_f64 v[25:26], v[27:28], v[25:26], s[80:81]
	v_add_f64 v[21:22], v[21:22], -v[31:32]
	v_add_f64 v[53:54], v[51:52], v[29:30]
	v_mul_f64 v[25:26], v[27:28], v[25:26]
	v_add_f64 v[27:28], v[47:48], -v[49:50]
	v_add_f64 v[31:32], v[53:54], -v[51:52]
	v_fma_f64 v[23:24], v[23:24], v[25:26], v[23:24]
	v_add_f64 v[21:22], v[21:22], v[27:28]
	v_add_f64 v[25:26], v[29:30], -v[31:32]
	v_add_f64 v[27:28], -v[23:24], s[94:95]
	v_add_f64 v[21:22], v[21:22], v[25:26]
	v_cndmask_b32_e64 v24, v24, v28, s[8:9]
	v_cndmask_b32_e64 v23, v23, v27, s[8:9]
	v_add_f64 v[25:26], -v[23:24], s[82:83]
	v_and_b32_e32 v27, 0x54442d18, v1
	v_and_b32_e32 v28, 0x400921fb, v1
	v_add_f64 v[21:22], v[53:54], v[21:22]
	v_cndmask_b32_e32 v23, v23, v25, vcc
	v_cndmask_b32_e32 v25, v68, v69, vcc
	;; [unrolled: 1-line block ×3, first 2 shown]
	v_bfi_b32 v5, s57, v25, v4
	v_mul_f64 v[1:2], v[21:22], 0.5
	v_cndmask_b32_e64 v23, v23, v27, s[10:11]
	v_cndmask_b32_e64 v6, v6, v28, s[10:11]
	s_and_b64 vcc, s[46:47], s[48:49]
	s_mov_b32 s48, 0x69efb384
	s_mov_b32 s49, 0x3f4b2bb0
	v_cndmask_b32_e32 v24, v6, v5, vcc
	v_cndmask_b32_e32 v23, v23, v7, vcc
	v_cndmask_b32_e64 v22, v65, v2, s[12:13]
	v_cndmask_b32_e64 v21, 0, v1, s[12:13]
                                        ; implicit-def: $vgpr27_vgpr28
                                        ; implicit-def: $vgpr25_vgpr26
.LBB167_196:                            ;   in Loop: Header=BB167_145 Depth=1
	s_andn2_saveexec_b64 s[46:47], s[14:15]
	s_cbranch_execz .LBB167_200
; %bb.197:                              ;   in Loop: Header=BB167_145 Depth=1
	v_and_b32_e32 v34, 0x7ffffff8, v28
	v_and_b32_e32 v22, 0x7ffffff8, v26
	v_mov_b32_e32 v21, v33
	v_add_f64 v[5:6], v[27:28], -v[33:34]
	v_add_f64 v[23:24], v[25:26], -v[21:22]
	v_mov_b32_e32 v27, v33
	v_mov_b32_e32 v49, v33
	v_add_f64 v[31:32], v[33:34], v[33:34]
	v_add_f64 v[47:48], v[21:22], v[21:22]
	v_mul_f64 v[21:22], v[21:22], v[21:22]
	s_mov_b64 s[48:49], 0
	v_and_b32_e32 v28, -8, v6
	v_and_b32_e32 v50, -8, v24
	v_add_f64 v[55:56], v[5:6], -v[27:28]
	v_add_f64 v[57:58], v[23:24], -v[49:50]
	v_add_f64 v[59:60], v[27:28], v[27:28]
	v_add_f64 v[61:62], v[49:50], v[49:50]
	v_mul_f64 v[5:6], v[33:34], v[33:34]
	v_mul_f64 v[25:26], v[31:32], v[27:28]
	;; [unrolled: 1-line block ×11, first 2 shown]
.LBB167_198:                            ;   Parent Loop BB167_145 Depth=1
                                        ; =>  This Inner Loop Header: Depth=2
	v_cmp_nlt_f64_e32 vcc, v[5:6], v[21:22]
	v_cndmask_b32_e32 v58, v6, v22, vcc
	v_cndmask_b32_e32 v57, v5, v21, vcc
	v_cmp_nlt_f64_e64 s[10:11], v[57:58], v[25:26]
	v_cndmask_b32_e32 v6, v22, v6, vcc
	v_cndmask_b32_e32 v5, v21, v5, vcc
	v_cndmask_b32_e64 v60, v58, v26, s[10:11]
	v_cndmask_b32_e64 v59, v57, v25, s[10:11]
	v_cmp_nlt_f64_e64 s[12:13], v[59:60], v[23:24]
	v_cndmask_b32_e64 v22, v26, v58, s[10:11]
	v_cndmask_b32_e64 v21, v25, v57, s[10:11]
	s_and_b64 s[50:51], vcc, s[10:11]
	v_cndmask_b32_e64 v62, v60, v24, s[12:13]
	v_cndmask_b32_e64 v61, v59, v23, s[12:13]
	v_cmp_nlt_f64_e64 s[14:15], v[61:62], v[29:30]
	v_cndmask_b32_e64 v26, v24, v60, s[12:13]
	v_cndmask_b32_e64 v25, v23, v59, s[12:13]
	;; [unrolled: 1-line block ×4, first 2 shown]
	v_cmp_nlt_f64_e32 vcc, v[57:58], v[49:50]
	v_cndmask_b32_e64 v24, v30, v62, s[14:15]
	v_cndmask_b32_e64 v23, v29, v61, s[14:15]
	s_and_b64 s[14:15], s[12:13], s[14:15]
	v_cndmask_b32_e32 v60, v58, v50, vcc
	v_cndmask_b32_e32 v59, v57, v49, vcc
	v_cmp_nlt_f64_e64 s[10:11], v[59:60], v[53:54]
	v_cndmask_b32_e32 v30, v50, v58, vcc
	v_cndmask_b32_e32 v29, v49, v57, vcc
	v_cndmask_b32_e64 v58, v60, v54, s[10:11]
	v_cndmask_b32_e64 v57, v59, v53, s[10:11]
	v_cmp_nlt_f64_e64 s[12:13], v[57:58], v[51:52]
	v_cndmask_b32_e64 v50, v54, v60, s[10:11]
	v_cndmask_b32_e64 v49, v53, v59, s[10:11]
	s_and_b64 s[10:11], vcc, s[10:11]
	v_cndmask_b32_e64 v60, v58, v52, s[12:13]
	v_cndmask_b32_e64 v59, v57, v51, s[12:13]
	v_cmp_nlt_f64_e32 vcc, v[59:60], v[47:48]
	v_cndmask_b32_e64 v54, v52, v58, s[12:13]
	v_cndmask_b32_e64 v53, v51, v57, s[12:13]
	s_and_b64 s[12:13], s[10:11], s[12:13]
	v_cndmask_b32_e32 v58, v60, v48, vcc
	v_cndmask_b32_e32 v57, v59, v47, vcc
	v_cmp_nlt_f64_e64 s[10:11], v[57:58], v[31:32]
	v_cndmask_b32_e32 v52, v48, v60, vcc
	v_cndmask_b32_e32 v51, v47, v59, vcc
	s_and_b64 s[12:13], s[12:13], vcc
	v_cndmask_b32_e64 v60, v58, v32, s[10:11]
	v_cndmask_b32_e64 v59, v57, v31, s[10:11]
	v_cmp_nlt_f64_e32 vcc, v[59:60], v[27:28]
	v_cndmask_b32_e64 v48, v32, v58, s[10:11]
	v_cndmask_b32_e64 v47, v31, v57, s[10:11]
	s_and_b64 s[12:13], s[12:13], s[10:11]
	v_cndmask_b32_e32 v62, v60, v28, vcc
	v_cndmask_b32_e32 v61, v59, v27, vcc
	v_cmp_nlt_f64_e64 s[10:11], v[61:62], v[55:56]
	s_and_b64 s[12:13], s[12:13], vcc
	v_cndmask_b32_e32 v32, v28, v60, vcc
	v_cndmask_b32_e32 v31, v27, v59, vcc
	v_cndmask_b32_e64 v58, v62, v56, s[10:11]
	v_cndmask_b32_e64 v57, v61, v55, s[10:11]
	;; [unrolled: 1-line block ×4, first 2 shown]
	s_and_b64 s[10:11], s[12:13], s[10:11]
	s_and_b64 s[10:11], s[10:11], s[14:15]
	;; [unrolled: 1-line block ×3, first 2 shown]
	s_and_b64 s[10:11], exec, s[10:11]
	v_mov_b32_e32 v55, v57
	s_or_b64 s[48:49], s[10:11], s[48:49]
	v_mov_b32_e32 v56, v58
	s_andn2_b64 exec, exec, s[48:49]
	s_cbranch_execnz .LBB167_198
; %bb.199:                              ;   in Loop: Header=BB167_145 Depth=1
	s_or_b64 exec, exec, s[48:49]
	v_add_f64 v[5:6], v[5:6], -1.0
	s_mov_b32 s93, s27
	s_mov_b32 s82, s94
	;; [unrolled: 1-line block ×4, first 2 shown]
	v_cmp_class_f64_e64 s[48:49], v[3:4], s58
	v_cmp_class_f64_e64 s[50:51], v[1:2], s58
	v_add_f64 v[5:6], v[5:6], v[21:22]
	v_add_f64 v[5:6], v[5:6], v[25:26]
	;; [unrolled: 1-line block ×11, first 2 shown]
	v_add_f64 v[21:22], v[5:6], 1.0
	v_cmp_nge_f64_e64 s[12:13], -1.0, v[5:6]
	v_cmp_neq_f64_e64 s[14:15], s[14:15], v[5:6]
	v_frexp_mant_f64_e32 v[25:26], v[21:22]
	v_frexp_exp_i32_f64_e32 v7, v[21:22]
	v_add_f64 v[23:24], v[21:22], -1.0
	v_cmp_gt_f64_e32 vcc, s[26:27], v[25:26]
	v_add_f64 v[27:28], v[23:24], -v[21:22]
	v_add_f64 v[23:24], v[5:6], -v[23:24]
	v_subbrev_co_u32_e32 v7, vcc, 0, v7, vcc
	v_sub_u32_e32 v29, 0, v7
	v_ldexp_f64 v[21:22], v[21:22], v29
	v_add_f64 v[25:26], v[27:28], 1.0
	v_add_f64 v[27:28], v[21:22], 1.0
	v_add_f64 v[23:24], v[23:24], v[25:26]
	v_add_f64 v[47:48], v[21:22], -1.0
	v_add_f64 v[25:26], v[27:28], -1.0
	v_ldexp_f64 v[23:24], v[23:24], v29
	v_add_f64 v[49:50], v[47:48], 1.0
	v_add_f64 v[25:26], v[21:22], -v[25:26]
	v_add_f64 v[21:22], v[21:22], -v[49:50]
	v_add_f64 v[25:26], v[23:24], v[25:26]
	v_add_f64 v[21:22], v[23:24], v[21:22]
	;; [unrolled: 1-line block ×4, first 2 shown]
	v_rcp_f64_e32 v[31:32], v[29:30]
	v_add_f64 v[27:28], v[29:30], -v[27:28]
	v_add_f64 v[47:48], v[49:50], -v[47:48]
	;; [unrolled: 1-line block ×4, first 2 shown]
	v_fma_f64 v[51:52], -v[29:30], v[31:32], 1.0
	v_fma_f64 v[31:32], v[51:52], v[31:32], v[31:32]
	v_fma_f64 v[23:24], -v[29:30], v[31:32], 1.0
	v_fma_f64 v[23:24], v[23:24], v[31:32], v[31:32]
	v_mul_f64 v[31:32], v[49:50], v[23:24]
	v_mul_f64 v[51:52], v[29:30], v[31:32]
	v_fma_f64 v[27:28], v[31:32], v[29:30], -v[51:52]
	v_fma_f64 v[27:28], v[31:32], v[25:26], v[27:28]
	v_add_f64 v[53:54], v[51:52], v[27:28]
	v_add_f64 v[55:56], v[49:50], -v[53:54]
	v_add_f64 v[47:48], v[53:54], -v[51:52]
	;; [unrolled: 1-line block ×4, first 2 shown]
	v_max_f64 v[47:48], |v[1:2]|, |v[1:2]|
	v_ashrrev_i32_e32 v1, 31, v2
	v_add_f64 v[49:50], v[49:50], -v[53:54]
	v_add_f64 v[21:22], v[21:22], v[49:50]
	v_add_f64 v[21:22], v[27:28], v[21:22]
	v_max_f64 v[27:28], |v[3:4]|, |v[3:4]|
	v_add_f64 v[49:50], v[55:56], v[21:22]
	v_max_f64 v[51:52], v[47:48], v[27:28]
	v_min_f64 v[27:28], v[47:48], v[27:28]
	v_mul_f64 v[47:48], v[23:24], v[49:50]
	v_add_f64 v[55:56], v[55:56], -v[49:50]
	v_div_scale_f64 v[53:54], s[10:11], v[51:52], v[51:52], v[27:28]
	s_mov_b32 s10, 0xb5e68a13
	s_mov_b32 s11, 0x3eeba404
	v_mul_f64 v[57:58], v[29:30], v[47:48]
	v_add_f64 v[21:22], v[21:22], v[55:56]
	v_fma_f64 v[29:30], v[47:48], v[29:30], -v[57:58]
	v_rcp_f64_e32 v[59:60], v[53:54]
	v_fma_f64 v[25:26], v[47:48], v[25:26], v[29:30]
	v_add_f64 v[29:30], v[57:58], v[25:26]
	v_fma_f64 v[61:62], -v[53:54], v[59:60], 1.0
	v_add_f64 v[70:71], v[49:50], -v[29:30]
	v_add_f64 v[55:56], v[29:30], -v[57:58]
	v_fma_f64 v[59:60], v[59:60], v[61:62], v[59:60]
	v_div_scale_f64 v[61:62], vcc, v[27:28], v[51:52], v[27:28]
	v_add_f64 v[49:50], v[49:50], -v[70:71]
	v_add_f64 v[25:26], v[55:56], -v[25:26]
	v_fma_f64 v[72:73], -v[53:54], v[59:60], 1.0
	v_add_f64 v[55:56], v[31:32], v[47:48]
	v_add_f64 v[29:30], v[49:50], -v[29:30]
	v_fma_f64 v[49:50], v[59:60], v[72:73], v[59:60]
	v_add_f64 v[31:32], v[55:56], -v[31:32]
	v_add_f64 v[21:22], v[21:22], v[29:30]
	v_mul_f64 v[29:30], v[61:62], v[49:50]
	v_add_f64 v[21:22], v[25:26], v[21:22]
	v_fma_f64 v[25:26], -v[53:54], v[29:30], v[61:62]
	v_add_f64 v[21:22], v[70:71], v[21:22]
	v_div_fmas_f64 v[25:26], v[25:26], v[49:50], v[29:30]
	v_add_f64 v[29:30], v[47:48], -v[31:32]
	v_cmp_gt_i32_e32 vcc, 0, v2
	v_mul_f64 v[21:22], v[23:24], v[21:22]
	v_add_f64 v[21:22], v[29:30], v[21:22]
	v_div_fixup_f64 v[23:24], v[25:26], v[51:52], v[27:28]
	v_cvt_f64_i32_e32 v[51:52], v7
	v_cndmask_b32_e32 v7, v66, v67, vcc
	v_mul_f64 v[53:54], v[51:52], s[40:41]
	v_add_f64 v[25:26], v[55:56], v[21:22]
	v_mul_f64 v[27:28], v[23:24], v[23:24]
	v_mul_f64 v[29:30], v[25:26], v[25:26]
	v_fma_f64 v[31:32], v[27:28], s[10:11], v[37:38]
	s_mov_b32 s10, 0x69efb384
	s_mov_b32 s11, 0x3f4b2bb0
	v_fma_f64 v[47:48], v[29:30], s[28:29], v[35:36]
	v_mul_f64 v[49:50], v[25:26], v[29:30]
	v_fma_f64 v[31:32], v[27:28], v[31:32], s[10:11]
	s_mov_b32 s10, 0xaf56de9b
	s_mov_b32 s11, 0xbf67952d
	v_fma_f64 v[47:48], v[29:30], v[47:48], s[30:31]
	v_fma_f64 v[31:32], v[27:28], v[31:32], s[10:11]
	s_mov_b32 s10, 0xa595c56f
	s_mov_b32 s11, 0x3f7d6d43
	v_fma_f64 v[47:48], v[29:30], v[47:48], s[34:35]
	;; [unrolled: 4-line block ×5, first 2 shown]
	v_ldexp_f64 v[47:48], v[25:26], 1
	v_fma_f64 v[31:32], v[27:28], v[31:32], s[10:11]
	s_mov_b32 s10, 0x5711927a
	s_mov_b32 s11, 0x3fa2c15b
	v_add_f64 v[25:26], v[25:26], -v[55:56]
	v_mul_f64 v[29:30], v[49:50], v[29:30]
	v_fma_f64 v[31:32], v[27:28], v[31:32], s[10:11]
	v_cmp_eq_f64_e64 s[10:11], 0, v[3:4]
	v_add_f64 v[21:22], v[21:22], -v[25:26]
	v_add_f64 v[49:50], v[47:48], v[29:30]
	v_fma_f64 v[31:32], v[27:28], v[31:32], s[60:61]
	v_ldexp_f64 v[21:22], v[21:22], 1
	v_add_f64 v[25:26], v[49:50], -v[47:48]
	v_fma_f64 v[47:48], v[51:52], s[40:41], -v[53:54]
	v_fma_f64 v[31:32], v[27:28], v[31:32], s[62:63]
	v_add_f64 v[25:26], v[29:30], -v[25:26]
	v_fma_f64 v[29:30], v[27:28], v[31:32], s[64:65]
	v_fma_f64 v[31:32], v[51:52], s[42:43], v[47:48]
	v_add_f64 v[21:22], v[21:22], v[25:26]
	v_fma_f64 v[25:26], v[27:28], v[29:30], s[66:67]
	v_add_f64 v[29:30], v[53:54], v[31:32]
	v_add_f64 v[47:48], v[49:50], v[21:22]
	v_fma_f64 v[25:26], v[27:28], v[25:26], s[68:69]
	v_add_f64 v[53:54], v[29:30], -v[53:54]
	v_add_f64 v[51:52], v[29:30], v[47:48]
	v_add_f64 v[49:50], v[47:48], -v[49:50]
	v_fma_f64 v[25:26], v[27:28], v[25:26], s[70:71]
	v_add_f64 v[31:32], v[31:32], -v[53:54]
	v_add_f64 v[55:56], v[51:52], -v[29:30]
	;; [unrolled: 1-line block ×3, first 2 shown]
	v_fma_f64 v[25:26], v[27:28], v[25:26], s[72:73]
	v_add_f64 v[57:58], v[51:52], -v[55:56]
	v_add_f64 v[47:48], v[47:48], -v[55:56]
	v_fma_f64 v[25:26], v[27:28], v[25:26], s[74:75]
	v_add_f64 v[49:50], v[31:32], v[21:22]
	v_add_f64 v[29:30], v[29:30], -v[57:58]
	v_fma_f64 v[25:26], v[27:28], v[25:26], s[76:77]
	v_add_f64 v[29:30], v[47:48], v[29:30]
	;; [unrolled: 3-line block ×3, first 2 shown]
	v_add_f64 v[49:50], v[49:50], -v[47:48]
	v_fma_f64 v[25:26], v[27:28], v[25:26], s[80:81]
	v_add_f64 v[21:22], v[21:22], -v[47:48]
	v_add_f64 v[53:54], v[51:52], v[29:30]
	v_mul_f64 v[25:26], v[27:28], v[25:26]
	v_add_f64 v[27:28], v[31:32], -v[49:50]
	v_add_f64 v[31:32], v[53:54], -v[51:52]
	v_fma_f64 v[23:24], v[23:24], v[25:26], v[23:24]
	v_add_f64 v[21:22], v[21:22], v[27:28]
	v_add_f64 v[25:26], v[29:30], -v[31:32]
	v_add_f64 v[27:28], -v[23:24], s[94:95]
	v_add_f64 v[21:22], v[21:22], v[25:26]
	v_cndmask_b32_e64 v24, v24, v28, s[8:9]
	v_cndmask_b32_e64 v23, v23, v27, s[8:9]
	v_add_f64 v[25:26], -v[23:24], s[82:83]
	v_and_b32_e32 v28, 0x54442d18, v1
	v_cndmask_b32_e32 v27, v68, v69, vcc
	v_add_f64 v[21:22], v[53:54], v[21:22]
	v_cndmask_b32_e32 v23, v23, v25, vcc
	v_and_b32_e32 v25, 0x400921fb, v1
	v_cndmask_b32_e64 v23, v23, v28, s[10:11]
	v_mul_f64 v[1:2], v[21:22], 0.5
	v_cndmask_b32_e32 v22, v24, v26, vcc
	v_bfi_b32 v21, s57, v27, v4
	v_cndmask_b32_e64 v22, v22, v25, s[10:11]
	s_and_b64 vcc, s[48:49], s[50:51]
	s_and_b64 s[10:11], s[12:13], s[14:15]
	v_cndmask_b32_e32 v24, v22, v21, vcc
	s_mov_b32 s48, 0x69efb384
	v_cndmask_b32_e64 v21, 0, v1, s[10:11]
	v_cmp_ngt_f64_e64 s[10:11], -1.0, v[5:6]
	v_cndmask_b32_e64 v2, v63, v2, s[14:15]
	s_mov_b32 s50, 0xb5e68a13
	s_mov_b32 s49, 0x3f4b2bb0
	;; [unrolled: 1-line block ×3, first 2 shown]
	v_cndmask_b32_e32 v23, v23, v7, vcc
	v_cndmask_b32_e64 v1, v64, v2, s[10:11]
	v_cmp_neq_f64_e64 s[10:11], -1.0, v[5:6]
	v_cndmask_b32_e64 v22, v65, v1, s[10:11]
.LBB167_200:                            ;   in Loop: Header=BB167_145 Depth=1
	s_or_b64 exec, exec, s[46:47]
.LBB167_201:                            ;   in Loop: Header=BB167_145 Depth=1
	s_or_b64 exec, exec, s[44:45]
.LBB167_202:                            ;   in Loop: Header=BB167_145 Depth=1
	s_andn2_saveexec_b64 s[14:15], s[20:21]
	s_cbranch_execz .LBB167_204
; %bb.203:                              ;   in Loop: Header=BB167_145 Depth=1
	v_max_f64 v[21:22], |v[3:4]|, |v[3:4]|
	v_max_f64 v[23:24], |v[1:2]|, |v[1:2]|
	v_cmp_class_f64_e64 s[20:21], v[1:2], s58
	v_cmp_class_f64_e64 s[44:45], v[3:4], s58
	s_mov_b32 s93, s27
	s_mov_b32 s82, s94
	v_max_f64 v[25:26], v[23:24], v[21:22]
	v_min_f64 v[21:22], v[23:24], v[21:22]
	v_frexp_exp_i32_f64_e32 v7, v[25:26]
	v_sub_u32_e32 v27, 0, v7
	v_ldexp_f64 v[5:6], |v[3:4]|, v27
	v_ldexp_f64 v[27:28], |v[1:2]|, v27
	v_mul_f64 v[5:6], v[5:6], v[5:6]
	v_fma_f64 v[5:6], v[27:28], v[27:28], v[5:6]
	v_rsq_f64_e32 v[27:28], v[5:6]
	v_cmp_eq_f64_e32 vcc, 0, v[5:6]
	v_mul_f64 v[29:30], v[5:6], v[27:28]
	v_mul_f64 v[27:28], v[27:28], 0.5
	v_fma_f64 v[31:32], -v[27:28], v[29:30], 0.5
	v_fma_f64 v[29:30], v[29:30], v[31:32], v[29:30]
	v_fma_f64 v[27:28], v[27:28], v[31:32], v[27:28]
	v_fma_f64 v[31:32], -v[29:30], v[29:30], v[5:6]
	v_fma_f64 v[27:28], v[31:32], v[27:28], v[29:30]
	v_cndmask_b32_e32 v6, v28, v6, vcc
	v_cndmask_b32_e32 v5, v27, v5, vcc
	v_ldexp_f64 v[5:6], v[5:6], v7
	s_or_b64 vcc, s[44:45], s[20:21]
	v_cndmask_b32_e32 v6, v6, v63, vcc
	v_cndmask_b32_e64 v5, v5, 0, vcc
	v_frexp_mant_f64_e32 v[27:28], v[5:6]
	v_cmp_gt_f64_e64 s[10:11], s[26:27], v[27:28]
	v_cndmask_b32_e64 v1, 0, 1, s[10:11]
	v_ldexp_f64 v[27:28], v[27:28], v1
	v_frexp_exp_i32_f64_e32 v1, v[5:6]
	v_add_f64 v[29:30], v[27:28], 1.0
	v_add_f64 v[49:50], v[27:28], -1.0
	v_rcp_f64_e32 v[31:32], v[29:30]
	v_add_f64 v[53:54], v[29:30], -1.0
	v_add_f64 v[27:28], v[27:28], -v[53:54]
	v_fma_f64 v[47:48], -v[29:30], v[31:32], 1.0
	v_fma_f64 v[23:24], v[47:48], v[31:32], v[31:32]
	v_div_scale_f64 v[31:32], s[12:13], v[25:26], v[25:26], v[21:22]
	s_mov_b32 s12, 0xaf56de9b
	s_mov_b32 s13, 0xbf67952d
	v_fma_f64 v[47:48], -v[29:30], v[23:24], 1.0
	v_fma_f64 v[23:24], v[47:48], v[23:24], v[23:24]
	v_rcp_f64_e32 v[47:48], v[31:32]
	v_mul_f64 v[51:52], v[49:50], v[23:24]
	v_mul_f64 v[55:56], v[29:30], v[51:52]
	v_fma_f64 v[57:58], -v[31:32], v[47:48], 1.0
	v_fma_f64 v[29:30], v[51:52], v[29:30], -v[55:56]
	v_fma_f64 v[47:48], v[47:48], v[57:58], v[47:48]
	v_fma_f64 v[27:28], v[51:52], v[27:28], v[29:30]
	v_div_scale_f64 v[29:30], vcc, v[21:22], v[25:26], v[21:22]
	v_fma_f64 v[53:54], -v[31:32], v[47:48], 1.0
	v_add_f64 v[57:58], v[55:56], v[27:28]
	v_fma_f64 v[47:48], v[47:48], v[53:54], v[47:48]
	v_add_f64 v[53:54], v[49:50], -v[57:58]
	v_add_f64 v[55:56], v[57:58], -v[55:56]
	v_mul_f64 v[59:60], v[29:30], v[47:48]
	v_add_f64 v[49:50], v[49:50], -v[53:54]
	v_add_f64 v[27:28], v[55:56], -v[27:28]
	v_fma_f64 v[29:30], -v[31:32], v[59:60], v[29:30]
	v_add_f64 v[31:32], v[49:50], -v[57:58]
	v_div_fmas_f64 v[29:30], v[29:30], v[47:48], v[59:60]
	v_subbrev_co_u32_e64 v1, vcc, 0, v1, s[10:11]
	v_cmp_eq_f64_e64 s[10:11], 0, v[3:4]
	v_cmp_gt_i32_e32 vcc, 0, v2
	v_add_f64 v[27:28], v[27:28], v[31:32]
	v_cndmask_b32_e32 v7, v66, v67, vcc
	v_add_f64 v[27:28], v[53:54], v[27:28]
	v_div_fixup_f64 v[21:22], v[29:30], v[25:26], v[21:22]
	v_mul_f64 v[23:24], v[23:24], v[27:28]
	v_mul_f64 v[25:26], v[21:22], v[21:22]
	v_add_f64 v[27:28], v[51:52], v[23:24]
	v_fma_f64 v[29:30], v[25:26], s[50:51], v[37:38]
	v_mul_f64 v[31:32], v[27:28], v[27:28]
	v_fma_f64 v[29:30], v[25:26], v[29:30], s[48:49]
	v_fma_f64 v[47:48], v[31:32], s[28:29], v[35:36]
	v_mul_f64 v[49:50], v[27:28], v[31:32]
	v_fma_f64 v[29:30], v[25:26], v[29:30], s[12:13]
	s_mov_b32 s12, 0xa595c56f
	s_mov_b32 s13, 0x3f7d6d43
	v_fma_f64 v[47:48], v[31:32], v[47:48], s[30:31]
	v_fma_f64 v[29:30], v[25:26], v[29:30], s[12:13]
	s_mov_b32 s12, 0xa57d9582
	s_mov_b32 s13, 0xbf8c6ea4
	v_fma_f64 v[47:48], v[31:32], v[47:48], s[34:35]
	;; [unrolled: 4-line block ×5, first 2 shown]
	v_ldexp_f64 v[47:48], v[27:28], 1
	v_add_f64 v[27:28], v[27:28], -v[51:52]
	v_fma_f64 v[29:30], v[25:26], v[29:30], s[12:13]
	v_cvt_f64_i32_e32 v[51:52], v1
	v_ashrrev_i32_e32 v1, 31, v2
	v_cmp_class_f64_e64 s[12:13], v[5:6], s58
	v_mul_f64 v[31:32], v[49:50], v[31:32]
	v_mul_f64 v[53:54], v[51:52], s[40:41]
	v_add_f64 v[23:24], v[23:24], -v[27:28]
	v_fma_f64 v[29:30], v[25:26], v[29:30], s[60:61]
	v_add_f64 v[49:50], v[47:48], v[31:32]
	v_ldexp_f64 v[23:24], v[23:24], 1
	v_fma_f64 v[29:30], v[25:26], v[29:30], s[62:63]
	v_add_f64 v[27:28], v[49:50], -v[47:48]
	v_fma_f64 v[47:48], v[51:52], s[40:41], -v[53:54]
	v_fma_f64 v[29:30], v[25:26], v[29:30], s[64:65]
	v_add_f64 v[27:28], v[31:32], -v[27:28]
	v_fma_f64 v[31:32], v[51:52], s[42:43], v[47:48]
	v_fma_f64 v[29:30], v[25:26], v[29:30], s[66:67]
	v_add_f64 v[23:24], v[23:24], v[27:28]
	v_fma_f64 v[27:28], v[25:26], v[29:30], s[68:69]
	v_add_f64 v[29:30], v[53:54], v[31:32]
	v_add_f64 v[47:48], v[49:50], v[23:24]
	v_fma_f64 v[27:28], v[25:26], v[27:28], s[70:71]
	v_add_f64 v[53:54], v[29:30], -v[53:54]
	v_add_f64 v[51:52], v[29:30], v[47:48]
	v_add_f64 v[49:50], v[47:48], -v[49:50]
	v_fma_f64 v[27:28], v[25:26], v[27:28], s[72:73]
	v_add_f64 v[31:32], v[31:32], -v[53:54]
	v_add_f64 v[55:56], v[51:52], -v[29:30]
	;; [unrolled: 1-line block ×3, first 2 shown]
	v_fma_f64 v[27:28], v[25:26], v[27:28], s[74:75]
	v_add_f64 v[57:58], v[51:52], -v[55:56]
	v_add_f64 v[47:48], v[47:48], -v[55:56]
	v_add_f64 v[49:50], v[31:32], v[23:24]
	v_fma_f64 v[27:28], v[25:26], v[27:28], s[76:77]
	v_add_f64 v[29:30], v[29:30], -v[57:58]
	v_fma_f64 v[27:28], v[25:26], v[27:28], s[78:79]
	v_add_f64 v[29:30], v[47:48], v[29:30]
	v_add_f64 v[47:48], v[49:50], -v[31:32]
	v_fma_f64 v[27:28], v[25:26], v[27:28], s[80:81]
	v_add_f64 v[29:30], v[49:50], v[29:30]
	v_add_f64 v[23:24], v[23:24], -v[47:48]
	v_mul_f64 v[25:26], v[25:26], v[27:28]
	v_add_f64 v[27:28], v[49:50], -v[47:48]
	v_add_f64 v[49:50], v[51:52], v[29:30]
	v_fma_f64 v[21:22], v[21:22], v[25:26], v[21:22]
	v_add_f64 v[25:26], v[31:32], -v[27:28]
	v_add_f64 v[27:28], v[49:50], -v[51:52]
	v_add_f64 v[31:32], -v[21:22], s[94:95]
	v_add_f64 v[23:24], v[23:24], v[25:26]
	v_add_f64 v[25:26], v[29:30], -v[27:28]
	v_cndmask_b32_e64 v22, v22, v32, s[8:9]
	v_cndmask_b32_e64 v21, v21, v31, s[8:9]
	v_add_f64 v[27:28], -v[21:22], s[82:83]
	v_add_f64 v[23:24], v[23:24], v[25:26]
	v_and_b32_e32 v25, 0x54442d18, v1
	v_cndmask_b32_e32 v26, v68, v69, vcc
	v_cndmask_b32_e32 v21, v21, v27, vcc
	v_and_b32_e32 v27, 0x400921fb, v1
	v_cndmask_b32_e32 v22, v22, v28, vcc
	v_add_f64 v[1:2], v[49:50], v[23:24]
	v_cndmask_b32_e64 v25, v21, v25, s[10:11]
	v_cndmask_b32_e64 v21, v22, v27, s[10:11]
	v_cmp_ngt_f64_e64 s[10:11], 0, v[5:6]
	v_bfi_b32 v23, s57, v26, v4
	s_and_b64 vcc, s[44:45], s[20:21]
	v_cndmask_b32_e32 v24, v21, v23, vcc
	v_cndmask_b32_e32 v23, v25, v7, vcc
	v_cndmask_b32_e64 v2, v2, v6, s[12:13]
	v_cndmask_b32_e64 v1, v1, v5, s[12:13]
	;; [unrolled: 1-line block ×3, first 2 shown]
	v_cmp_nge_f64_e64 s[10:11], 0, v[5:6]
	v_cndmask_b32_e64 v21, 0, v1, s[10:11]
	v_cmp_neq_f64_e64 s[10:11], 0, v[5:6]
	v_cndmask_b32_e64 v22, v65, v2, s[10:11]
.LBB167_204:                            ;   in Loop: Header=BB167_145 Depth=1
	s_or_b64 exec, exec, s[14:15]
                                        ; implicit-def: $vgpr25_vgpr26
.LBB167_205:                            ;   in Loop: Header=BB167_145 Depth=1
	s_andn2_saveexec_b64 s[14:15], s[86:87]
	s_cbranch_execz .LBB167_211
; %bb.206:                              ;   in Loop: Header=BB167_145 Depth=1
	s_mov_b32 s10, 0x6a3f9475
	s_mov_b32 s11, 0x20ca2fe7
	v_cmp_ngt_f64_e32 vcc, s[10:11], v[25:26]
                                        ; implicit-def: $vgpr21_vgpr22
	s_and_saveexec_b64 s[10:11], vcc
	s_xor_b64 s[20:21], exec, s[10:11]
	s_cbranch_execz .LBB167_208
; %bb.207:                              ;   in Loop: Header=BB167_145 Depth=1
	v_mul_f64 v[5:6], v[25:26], v[25:26]
	s_mov_b32 s93, s27
	s_mov_b32 s82, s94
	;; [unrolled: 1-line block ×3, first 2 shown]
	v_cmp_class_f64_e64 s[44:45], v[3:4], s58
	v_cmp_class_f64_e64 s[46:47], v[1:2], s58
	s_mov_b32 s13, 0x7ff00000
	v_add_f64 v[21:22], v[5:6], 1.0
	v_cmp_neq_f64_e64 s[12:13], s[12:13], v[5:6]
	v_frexp_mant_f64_e32 v[25:26], v[21:22]
	v_frexp_exp_i32_f64_e32 v7, v[21:22]
	v_add_f64 v[23:24], v[21:22], -1.0
	v_cmp_gt_f64_e32 vcc, s[26:27], v[25:26]
	v_add_f64 v[27:28], v[23:24], -v[21:22]
	v_add_f64 v[23:24], v[5:6], -v[23:24]
	v_subbrev_co_u32_e32 v7, vcc, 0, v7, vcc
	v_sub_u32_e32 v29, 0, v7
	v_ldexp_f64 v[21:22], v[21:22], v29
	v_add_f64 v[25:26], v[27:28], 1.0
	v_add_f64 v[27:28], v[21:22], 1.0
	v_add_f64 v[23:24], v[23:24], v[25:26]
	v_add_f64 v[47:48], v[21:22], -1.0
	v_add_f64 v[25:26], v[27:28], -1.0
	v_ldexp_f64 v[23:24], v[23:24], v29
	v_add_f64 v[49:50], v[47:48], 1.0
	v_add_f64 v[25:26], v[21:22], -v[25:26]
	v_add_f64 v[21:22], v[21:22], -v[49:50]
	v_add_f64 v[25:26], v[23:24], v[25:26]
	v_add_f64 v[21:22], v[23:24], v[21:22]
	;; [unrolled: 1-line block ×4, first 2 shown]
	v_rcp_f64_e32 v[31:32], v[29:30]
	v_add_f64 v[27:28], v[27:28], -v[29:30]
	v_add_f64 v[47:48], v[47:48], -v[49:50]
	v_add_f64 v[25:26], v[25:26], v[27:28]
	v_add_f64 v[21:22], v[21:22], v[47:48]
	v_fma_f64 v[51:52], -v[29:30], v[31:32], 1.0
	v_fma_f64 v[31:32], v[51:52], v[31:32], v[31:32]
	v_fma_f64 v[23:24], -v[29:30], v[31:32], 1.0
	v_fma_f64 v[23:24], v[23:24], v[31:32], v[31:32]
	v_mul_f64 v[31:32], v[49:50], v[23:24]
	v_mul_f64 v[51:52], v[29:30], v[31:32]
	v_fma_f64 v[27:28], v[31:32], v[29:30], -v[51:52]
	v_fma_f64 v[27:28], v[31:32], v[25:26], v[27:28]
	v_add_f64 v[53:54], v[51:52], v[27:28]
	v_add_f64 v[55:56], v[49:50], -v[53:54]
	v_add_f64 v[47:48], v[53:54], -v[51:52]
	;; [unrolled: 1-line block ×4, first 2 shown]
	v_max_f64 v[47:48], |v[1:2]|, |v[1:2]|
	v_ashrrev_i32_e32 v1, 31, v2
	v_add_f64 v[49:50], v[49:50], -v[53:54]
	v_add_f64 v[21:22], v[21:22], v[49:50]
	v_add_f64 v[21:22], v[27:28], v[21:22]
	v_max_f64 v[27:28], |v[3:4]|, |v[3:4]|
	v_add_f64 v[49:50], v[55:56], v[21:22]
	v_max_f64 v[51:52], v[47:48], v[27:28]
	v_min_f64 v[27:28], v[47:48], v[27:28]
	v_mul_f64 v[47:48], v[23:24], v[49:50]
	v_add_f64 v[55:56], v[55:56], -v[49:50]
	v_div_scale_f64 v[53:54], s[10:11], v[51:52], v[51:52], v[27:28]
	s_mov_b32 s10, 0xaf56de9b
	s_mov_b32 s11, 0xbf67952d
	v_mul_f64 v[57:58], v[29:30], v[47:48]
	v_add_f64 v[21:22], v[21:22], v[55:56]
	v_fma_f64 v[29:30], v[47:48], v[29:30], -v[57:58]
	v_rcp_f64_e32 v[59:60], v[53:54]
	v_fma_f64 v[25:26], v[47:48], v[25:26], v[29:30]
	v_add_f64 v[29:30], v[57:58], v[25:26]
	v_fma_f64 v[61:62], -v[53:54], v[59:60], 1.0
	v_add_f64 v[70:71], v[49:50], -v[29:30]
	v_add_f64 v[55:56], v[29:30], -v[57:58]
	v_fma_f64 v[59:60], v[59:60], v[61:62], v[59:60]
	v_div_scale_f64 v[61:62], vcc, v[27:28], v[51:52], v[27:28]
	v_add_f64 v[49:50], v[49:50], -v[70:71]
	v_add_f64 v[25:26], v[55:56], -v[25:26]
	v_fma_f64 v[72:73], -v[53:54], v[59:60], 1.0
	v_add_f64 v[55:56], v[31:32], v[47:48]
	v_add_f64 v[29:30], v[49:50], -v[29:30]
	v_fma_f64 v[49:50], v[59:60], v[72:73], v[59:60]
	v_add_f64 v[31:32], v[55:56], -v[31:32]
	v_add_f64 v[21:22], v[21:22], v[29:30]
	v_mul_f64 v[29:30], v[61:62], v[49:50]
	v_add_f64 v[21:22], v[25:26], v[21:22]
	v_fma_f64 v[25:26], -v[53:54], v[29:30], v[61:62]
	v_add_f64 v[21:22], v[70:71], v[21:22]
	v_div_fmas_f64 v[25:26], v[25:26], v[49:50], v[29:30]
	v_add_f64 v[29:30], v[47:48], -v[31:32]
	v_cmp_gt_i32_e32 vcc, 0, v2
	v_mul_f64 v[21:22], v[23:24], v[21:22]
	v_add_f64 v[21:22], v[29:30], v[21:22]
	v_div_fixup_f64 v[23:24], v[25:26], v[51:52], v[27:28]
	v_cvt_f64_i32_e32 v[51:52], v7
	v_cndmask_b32_e32 v7, v66, v67, vcc
	v_mul_f64 v[53:54], v[51:52], s[40:41]
	v_add_f64 v[25:26], v[55:56], v[21:22]
	v_mul_f64 v[27:28], v[23:24], v[23:24]
	v_mul_f64 v[29:30], v[25:26], v[25:26]
	v_fma_f64 v[31:32], v[27:28], s[50:51], v[37:38]
	v_fma_f64 v[47:48], v[29:30], s[28:29], v[35:36]
	v_mul_f64 v[49:50], v[25:26], v[29:30]
	v_fma_f64 v[31:32], v[27:28], v[31:32], s[48:49]
	v_fma_f64 v[47:48], v[29:30], v[47:48], s[30:31]
	;; [unrolled: 1-line block ×3, first 2 shown]
	s_mov_b32 s10, 0xa595c56f
	s_mov_b32 s11, 0x3f7d6d43
	v_fma_f64 v[47:48], v[29:30], v[47:48], s[34:35]
	v_fma_f64 v[31:32], v[27:28], v[31:32], s[10:11]
	s_mov_b32 s10, 0xa57d9582
	s_mov_b32 s11, 0xbf8c6ea4
	v_fma_f64 v[47:48], v[29:30], v[47:48], s[36:37]
	v_fma_f64 v[31:32], v[27:28], v[31:32], s[10:11]
	;; [unrolled: 4-line block ×3, first 2 shown]
	s_mov_b32 s10, 0xfc27006a
	s_mov_b32 s11, 0xbf9e9ae6
	v_fma_f64 v[29:30], v[29:30], v[47:48], s[92:93]
	v_ldexp_f64 v[47:48], v[25:26], 1
	v_fma_f64 v[31:32], v[27:28], v[31:32], s[10:11]
	s_mov_b32 s10, 0x5711927a
	s_mov_b32 s11, 0x3fa2c15b
	v_add_f64 v[25:26], v[25:26], -v[55:56]
	v_mul_f64 v[29:30], v[49:50], v[29:30]
	v_fma_f64 v[31:32], v[27:28], v[31:32], s[10:11]
	v_cmp_eq_f64_e64 s[10:11], 0, v[3:4]
	v_add_f64 v[21:22], v[21:22], -v[25:26]
	v_add_f64 v[49:50], v[47:48], v[29:30]
	v_fma_f64 v[31:32], v[27:28], v[31:32], s[60:61]
	v_ldexp_f64 v[21:22], v[21:22], 1
	v_add_f64 v[25:26], v[49:50], -v[47:48]
	v_fma_f64 v[47:48], v[51:52], s[40:41], -v[53:54]
	v_fma_f64 v[31:32], v[27:28], v[31:32], s[62:63]
	v_add_f64 v[25:26], v[29:30], -v[25:26]
	v_fma_f64 v[29:30], v[27:28], v[31:32], s[64:65]
	v_fma_f64 v[31:32], v[51:52], s[42:43], v[47:48]
	v_add_f64 v[21:22], v[21:22], v[25:26]
	v_fma_f64 v[25:26], v[27:28], v[29:30], s[66:67]
	v_add_f64 v[29:30], v[53:54], v[31:32]
	v_add_f64 v[47:48], v[49:50], v[21:22]
	v_fma_f64 v[25:26], v[27:28], v[25:26], s[68:69]
	v_add_f64 v[53:54], v[29:30], -v[53:54]
	v_add_f64 v[51:52], v[29:30], v[47:48]
	v_add_f64 v[49:50], v[47:48], -v[49:50]
	v_fma_f64 v[25:26], v[27:28], v[25:26], s[70:71]
	v_add_f64 v[31:32], v[31:32], -v[53:54]
	v_add_f64 v[55:56], v[51:52], -v[29:30]
	;; [unrolled: 1-line block ×3, first 2 shown]
	v_fma_f64 v[25:26], v[27:28], v[25:26], s[72:73]
	v_add_f64 v[57:58], v[51:52], -v[55:56]
	v_add_f64 v[47:48], v[47:48], -v[55:56]
	v_fma_f64 v[25:26], v[27:28], v[25:26], s[74:75]
	v_add_f64 v[49:50], v[31:32], v[21:22]
	v_add_f64 v[29:30], v[29:30], -v[57:58]
	v_fma_f64 v[25:26], v[27:28], v[25:26], s[76:77]
	v_add_f64 v[29:30], v[47:48], v[29:30]
	;; [unrolled: 3-line block ×3, first 2 shown]
	v_add_f64 v[49:50], v[49:50], -v[47:48]
	v_fma_f64 v[25:26], v[27:28], v[25:26], s[80:81]
	v_add_f64 v[21:22], v[21:22], -v[47:48]
	v_add_f64 v[53:54], v[51:52], v[29:30]
	v_mul_f64 v[25:26], v[27:28], v[25:26]
	v_add_f64 v[27:28], v[31:32], -v[49:50]
	v_add_f64 v[31:32], v[53:54], -v[51:52]
	v_fma_f64 v[23:24], v[23:24], v[25:26], v[23:24]
	v_add_f64 v[21:22], v[21:22], v[27:28]
	v_add_f64 v[25:26], v[29:30], -v[31:32]
	v_add_f64 v[27:28], -v[23:24], s[94:95]
	v_add_f64 v[21:22], v[21:22], v[25:26]
	v_cndmask_b32_e64 v24, v24, v28, s[8:9]
	v_cndmask_b32_e64 v23, v23, v27, s[8:9]
	v_add_f64 v[25:26], -v[23:24], s[82:83]
	v_and_b32_e32 v27, 0x54442d18, v1
	v_and_b32_e32 v28, 0x400921fb, v1
	v_add_f64 v[21:22], v[53:54], v[21:22]
	v_cndmask_b32_e32 v23, v23, v25, vcc
	v_cndmask_b32_e32 v25, v68, v69, vcc
	;; [unrolled: 1-line block ×3, first 2 shown]
	v_bfi_b32 v5, s57, v25, v4
	v_mul_f64 v[1:2], v[21:22], 0.5
	v_cndmask_b32_e64 v23, v23, v27, s[10:11]
	v_cndmask_b32_e64 v6, v6, v28, s[10:11]
	s_and_b64 vcc, s[44:45], s[46:47]
	v_cndmask_b32_e32 v24, v6, v5, vcc
	v_cndmask_b32_e32 v23, v23, v7, vcc
                                        ; implicit-def: $vgpr25_vgpr26
	v_cndmask_b32_e64 v22, v63, v2, s[12:13]
	v_cndmask_b32_e64 v21, 0, v1, s[12:13]
.LBB167_208:                            ;   in Loop: Header=BB167_145 Depth=1
	s_andn2_saveexec_b64 s[12:13], s[20:21]
	s_cbranch_execz .LBB167_210
; %bb.209:                              ;   in Loop: Header=BB167_145 Depth=1
	v_max_f64 v[5:6], |v[3:4]|, |v[3:4]|
	v_max_f64 v[21:22], |v[1:2]|, |v[1:2]|
	s_mov_b32 s82, s94
	v_cmp_class_f64_e64 s[20:21], v[3:4], s58
	v_cmp_class_f64_e64 s[44:45], v[1:2], s58
	v_ashrrev_i32_e32 v7, 31, v2
	v_max_f64 v[23:24], v[21:22], v[5:6]
	v_min_f64 v[5:6], v[21:22], v[5:6]
	v_div_scale_f64 v[21:22], s[10:11], v[23:24], v[23:24], v[5:6]
	s_mov_b32 s10, 0xaf56de9b
	s_mov_b32 s11, 0xbf67952d
	v_rcp_f64_e32 v[27:28], v[21:22]
	v_fma_f64 v[29:30], -v[21:22], v[27:28], 1.0
	v_fma_f64 v[27:28], v[27:28], v[29:30], v[27:28]
	v_div_scale_f64 v[29:30], vcc, v[5:6], v[23:24], v[5:6]
	v_fma_f64 v[31:32], -v[21:22], v[27:28], 1.0
	v_fma_f64 v[27:28], v[27:28], v[31:32], v[27:28]
	v_mul_f64 v[31:32], v[29:30], v[27:28]
	v_fma_f64 v[21:22], -v[21:22], v[31:32], v[29:30]
	v_div_fmas_f64 v[21:22], v[21:22], v[27:28], v[31:32]
	v_mul_f64 v[27:28], v[25:26], 0.5
	v_cmp_gt_i32_e32 vcc, 0, v2
	v_cndmask_b32_e32 v1, v68, v69, vcc
	v_and_b32_e32 v2, 0x400921fb, v7
	v_cndmask_b32_e32 v29, v66, v67, vcc
	v_bfi_b32 v1, s57, v1, v4
	v_div_fixup_f64 v[5:6], v[21:22], v[23:24], v[5:6]
	v_mul_f64 v[21:22], v[5:6], v[5:6]
	v_fma_f64 v[23:24], v[21:22], s[50:51], v[37:38]
	v_fma_f64 v[23:24], v[21:22], v[23:24], s[48:49]
	;; [unrolled: 1-line block ×3, first 2 shown]
	s_mov_b32 s10, 0xa595c56f
	s_mov_b32 s11, 0x3f7d6d43
	v_fma_f64 v[23:24], v[21:22], v[23:24], s[10:11]
	s_mov_b32 s10, 0xa57d9582
	s_mov_b32 s11, 0xbf8c6ea4
	v_fma_f64 v[23:24], v[21:22], v[23:24], s[10:11]
	;; [unrolled: 3-line block ×5, first 2 shown]
	v_cmp_eq_f64_e64 s[10:11], 0, v[3:4]
	v_fma_f64 v[23:24], v[21:22], v[23:24], s[60:61]
	v_fma_f64 v[23:24], v[21:22], v[23:24], s[62:63]
	;; [unrolled: 1-line block ×11, first 2 shown]
	v_mul_f64 v[21:22], v[21:22], v[23:24]
	v_and_b32_e32 v24, 0x54442d18, v7
	v_fma_f64 v[5:6], v[5:6], v[21:22], v[5:6]
	v_add_f64 v[21:22], -v[5:6], s[94:95]
	v_cndmask_b32_e64 v6, v6, v22, s[8:9]
	v_cndmask_b32_e64 v5, v5, v21, s[8:9]
	v_add_f64 v[22:23], -v[5:6], s[82:83]
	v_cndmask_b32_e32 v5, v5, v22, vcc
	v_mul_f64 v[21:22], v[25:26], v[27:28]
	v_cndmask_b32_e32 v6, v6, v23, vcc
	v_cndmask_b32_e64 v5, v5, v24, s[10:11]
	v_cndmask_b32_e64 v2, v6, v2, s[10:11]
	s_and_b64 vcc, s[20:21], s[44:45]
	v_cndmask_b32_e32 v24, v2, v1, vcc
	v_cndmask_b32_e32 v23, v5, v29, vcc
.LBB167_210:                            ;   in Loop: Header=BB167_145 Depth=1
	s_or_b64 exec, exec, s[12:13]
.LBB167_211:                            ;   in Loop: Header=BB167_145 Depth=1
	s_or_b64 exec, exec, s[14:15]
.LBB167_212:                            ;   in Loop: Header=BB167_145 Depth=1
	s_andn2_saveexec_b64 s[12:13], s[24:25]
	s_cbranch_execz .LBB167_214
; %bb.213:                              ;   in Loop: Header=BB167_145 Depth=1
	v_div_scale_f64 v[5:6], s[10:11], s[88:89], s[88:89], v[1:2]
	v_div_scale_f64 v[21:22], s[10:11], s[88:89], s[88:89], v[3:4]
	;; [unrolled: 1-line block ×3, first 2 shown]
	s_mov_b32 s93, s27
	s_mov_b32 s82, s94
	v_cmp_class_f64_e64 s[20:21], v[1:2], s58
	v_rcp_f64_e32 v[23:24], v[5:6]
	v_rcp_f64_e32 v[25:26], v[21:22]
	v_fma_f64 v[27:28], -v[5:6], v[23:24], 1.0
	v_fma_f64 v[29:30], -v[21:22], v[25:26], 1.0
	v_fma_f64 v[23:24], v[23:24], v[27:28], v[23:24]
	v_div_scale_f64 v[27:28], vcc, v[1:2], s[88:89], v[1:2]
	v_fma_f64 v[25:26], v[25:26], v[29:30], v[25:26]
	v_fma_f64 v[29:30], -v[5:6], v[23:24], 1.0
	v_fma_f64 v[47:48], -v[21:22], v[25:26], 1.0
	v_fma_f64 v[23:24], v[23:24], v[29:30], v[23:24]
	v_fma_f64 v[25:26], v[25:26], v[47:48], v[25:26]
	v_mul_f64 v[29:30], v[27:28], v[23:24]
	v_mul_f64 v[47:48], v[31:32], v[25:26]
	v_fma_f64 v[5:6], -v[5:6], v[29:30], v[27:28]
	v_fma_f64 v[21:22], -v[21:22], v[47:48], v[31:32]
	v_max_f64 v[31:32], |v[1:2]|, |v[1:2]|
	v_div_fmas_f64 v[5:6], v[5:6], v[23:24], v[29:30]
	s_mov_b64 vcc, s[10:11]
	v_div_fmas_f64 v[21:22], v[21:22], v[25:26], v[47:48]
	v_div_fixup_f64 v[5:6], v[5:6], s[88:89], v[1:2]
	v_ashrrev_i32_e32 v1, 31, v2
	v_div_fixup_f64 v[21:22], v[21:22], s[88:89], v[3:4]
	v_cmp_class_f64_e64 s[10:11], v[5:6], s58
	v_max_f64 v[23:24], |v[5:6]|, |v[21:22]|
	v_cmp_class_f64_e64 s[14:15], v[21:22], s58
	v_frexp_exp_i32_f64_e32 v7, v[23:24]
	v_sub_u32_e32 v25, 0, v7
	v_ldexp_f64 v[23:24], |v[21:22]|, v25
	v_ldexp_f64 v[25:26], |v[5:6]|, v25
	v_mul_f64 v[23:24], v[23:24], v[23:24]
	v_fma_f64 v[23:24], v[25:26], v[25:26], v[23:24]
	v_rsq_f64_e32 v[25:26], v[23:24]
	v_cmp_eq_f64_e32 vcc, 0, v[23:24]
	v_mul_f64 v[27:28], v[23:24], v[25:26]
	v_mul_f64 v[25:26], v[25:26], 0.5
	v_fma_f64 v[29:30], -v[25:26], v[27:28], 0.5
	v_fma_f64 v[27:28], v[27:28], v[29:30], v[27:28]
	v_fma_f64 v[25:26], v[25:26], v[29:30], v[25:26]
	v_fma_f64 v[29:30], -v[27:28], v[27:28], v[23:24]
	v_fma_f64 v[25:26], v[29:30], v[25:26], v[27:28]
	v_max_f64 v[29:30], |v[3:4]|, |v[3:4]|
	v_cndmask_b32_e32 v24, v26, v24, vcc
	v_cndmask_b32_e32 v23, v25, v23, vcc
	v_ldexp_f64 v[23:24], v[23:24], v7
	v_cmp_o_f64_e32 vcc, v[5:6], v[21:22]
	v_cndmask_b32_e32 v5, 0, v23, vcc
	v_cndmask_b32_e32 v6, v64, v24, vcc
	s_or_b64 vcc, s[14:15], s[10:11]
	v_cndmask_b32_e32 v6, v6, v63, vcc
	v_cndmask_b32_e64 v5, v5, 0, vcc
	v_frexp_mant_f64_e32 v[21:22], v[5:6]
	v_cmp_gt_f64_e64 s[10:11], s[26:27], v[21:22]
	v_cndmask_b32_e64 v7, 0, 1, s[10:11]
	v_ldexp_f64 v[21:22], v[21:22], v7
	v_frexp_exp_i32_f64_e32 v7, v[5:6]
	v_add_f64 v[23:24], v[21:22], 1.0
	v_add_f64 v[49:50], v[21:22], -1.0
	v_rcp_f64_e32 v[25:26], v[23:24]
	v_add_f64 v[53:54], v[23:24], -1.0
	v_add_f64 v[21:22], v[21:22], -v[53:54]
	v_fma_f64 v[27:28], -v[23:24], v[25:26], 1.0
	v_fma_f64 v[25:26], v[27:28], v[25:26], v[25:26]
	v_max_f64 v[27:28], v[31:32], v[29:30]
	v_min_f64 v[29:30], v[31:32], v[29:30]
	v_fma_f64 v[31:32], -v[23:24], v[25:26], 1.0
	v_div_scale_f64 v[47:48], s[14:15], v[27:28], v[27:28], v[29:30]
	s_mov_b32 s14, 0xaf56de9b
	s_mov_b32 s15, 0xbf67952d
	v_fma_f64 v[25:26], v[31:32], v[25:26], v[25:26]
	v_mul_f64 v[31:32], v[49:50], v[25:26]
	v_rcp_f64_e32 v[51:52], v[47:48]
	v_mul_f64 v[55:56], v[23:24], v[31:32]
	v_fma_f64 v[23:24], v[31:32], v[23:24], -v[55:56]
	v_fma_f64 v[53:54], -v[47:48], v[51:52], 1.0
	v_fma_f64 v[21:22], v[31:32], v[21:22], v[23:24]
	v_fma_f64 v[23:24], v[51:52], v[53:54], v[51:52]
	v_div_scale_f64 v[53:54], vcc, v[29:30], v[27:28], v[29:30]
	v_add_f64 v[51:52], v[55:56], v[21:22]
	v_fma_f64 v[57:58], -v[47:48], v[23:24], 1.0
	v_add_f64 v[59:60], v[49:50], -v[51:52]
	v_add_f64 v[55:56], v[51:52], -v[55:56]
	v_fma_f64 v[23:24], v[23:24], v[57:58], v[23:24]
	v_add_f64 v[49:50], v[49:50], -v[59:60]
	v_add_f64 v[21:22], v[55:56], -v[21:22]
	v_mul_f64 v[57:58], v[53:54], v[23:24]
	v_add_f64 v[49:50], v[49:50], -v[51:52]
	v_fma_f64 v[47:48], -v[47:48], v[57:58], v[53:54]
	v_add_f64 v[21:22], v[21:22], v[49:50]
	v_div_fmas_f64 v[23:24], v[47:48], v[23:24], v[57:58]
	v_subbrev_co_u32_e64 v7, vcc, 0, v7, s[10:11]
	v_cmp_class_f64_e64 vcc, v[5:6], s58
	v_cmp_eq_f64_e64 s[10:11], 0, v[3:4]
	v_add_f64 v[21:22], v[59:60], v[21:22]
	v_mul_f64 v[21:22], v[25:26], v[21:22]
	v_div_fixup_f64 v[23:24], v[23:24], v[27:28], v[29:30]
	v_add_f64 v[25:26], v[31:32], v[21:22]
	v_mul_f64 v[27:28], v[23:24], v[23:24]
	v_mul_f64 v[29:30], v[25:26], v[25:26]
	v_fma_f64 v[47:48], v[27:28], s[50:51], v[37:38]
	v_fma_f64 v[49:50], v[29:30], s[28:29], v[35:36]
	v_mul_f64 v[51:52], v[25:26], v[29:30]
	v_fma_f64 v[47:48], v[27:28], v[47:48], s[48:49]
	v_fma_f64 v[49:50], v[29:30], v[49:50], s[30:31]
	;; [unrolled: 1-line block ×3, first 2 shown]
	s_mov_b32 s14, 0xa595c56f
	s_mov_b32 s15, 0x3f7d6d43
	v_fma_f64 v[49:50], v[29:30], v[49:50], s[34:35]
	v_fma_f64 v[47:48], v[27:28], v[47:48], s[14:15]
	s_mov_b32 s14, 0xa57d9582
	s_mov_b32 s15, 0xbf8c6ea4
	v_fma_f64 v[49:50], v[29:30], v[49:50], s[36:37]
	v_fma_f64 v[47:48], v[27:28], v[47:48], s[14:15]
	s_mov_b32 s14, 0x5f08b19f
	s_mov_b32 s15, 0x3f967e29
	v_fma_f64 v[49:50], v[29:30], v[49:50], s[38:39]
	v_fma_f64 v[47:48], v[27:28], v[47:48], s[14:15]
	s_mov_b32 s14, 0xfc27006a
	s_mov_b32 s15, 0xbf9e9ae6
	v_fma_f64 v[29:30], v[29:30], v[49:50], s[92:93]
	v_ldexp_f64 v[49:50], v[25:26], 1
	v_fma_f64 v[47:48], v[27:28], v[47:48], s[14:15]
	s_mov_b32 s14, 0x5711927a
	s_mov_b32 s15, 0x3fa2c15b
	v_add_f64 v[25:26], v[25:26], -v[31:32]
	v_mul_f64 v[29:30], v[51:52], v[29:30]
	v_cvt_f64_i32_e32 v[51:52], v7
	v_fma_f64 v[47:48], v[27:28], v[47:48], s[14:15]
	v_cmp_class_f64_e64 s[14:15], v[3:4], s58
	v_mul_f64 v[53:54], v[51:52], s[40:41]
	v_add_f64 v[21:22], v[21:22], -v[25:26]
	v_add_f64 v[31:32], v[49:50], v[29:30]
	v_fma_f64 v[47:48], v[27:28], v[47:48], s[60:61]
	v_ldexp_f64 v[21:22], v[21:22], 1
	v_add_f64 v[25:26], v[31:32], -v[49:50]
	v_fma_f64 v[49:50], v[51:52], s[40:41], -v[53:54]
	v_fma_f64 v[47:48], v[27:28], v[47:48], s[62:63]
	v_add_f64 v[25:26], v[29:30], -v[25:26]
	v_fma_f64 v[29:30], v[27:28], v[47:48], s[64:65]
	v_fma_f64 v[47:48], v[51:52], s[42:43], v[49:50]
	v_add_f64 v[21:22], v[21:22], v[25:26]
	v_fma_f64 v[25:26], v[27:28], v[29:30], s[66:67]
	v_add_f64 v[29:30], v[53:54], v[47:48]
	v_add_f64 v[49:50], v[31:32], v[21:22]
	v_fma_f64 v[25:26], v[27:28], v[25:26], s[68:69]
	v_add_f64 v[53:54], v[29:30], -v[53:54]
	v_add_f64 v[51:52], v[29:30], v[49:50]
	v_add_f64 v[31:32], v[49:50], -v[31:32]
	v_fma_f64 v[25:26], v[27:28], v[25:26], s[70:71]
	v_add_f64 v[47:48], v[47:48], -v[53:54]
	v_add_f64 v[55:56], v[51:52], -v[29:30]
	;; [unrolled: 1-line block ×3, first 2 shown]
	v_fma_f64 v[25:26], v[27:28], v[25:26], s[72:73]
	v_add_f64 v[57:58], v[51:52], -v[55:56]
	v_add_f64 v[31:32], v[49:50], -v[55:56]
	v_fma_f64 v[25:26], v[27:28], v[25:26], s[74:75]
	v_add_f64 v[49:50], v[47:48], v[21:22]
	v_add_f64 v[29:30], v[29:30], -v[57:58]
	v_fma_f64 v[25:26], v[27:28], v[25:26], s[76:77]
	v_add_f64 v[29:30], v[31:32], v[29:30]
	v_add_f64 v[31:32], v[49:50], -v[47:48]
	v_fma_f64 v[25:26], v[27:28], v[25:26], s[78:79]
	v_add_f64 v[29:30], v[49:50], v[29:30]
	v_add_f64 v[49:50], v[49:50], -v[31:32]
	v_fma_f64 v[25:26], v[27:28], v[25:26], s[80:81]
	v_add_f64 v[21:22], v[21:22], -v[31:32]
	v_add_f64 v[53:54], v[51:52], v[29:30]
	v_mul_f64 v[25:26], v[27:28], v[25:26]
	v_add_f64 v[27:28], v[47:48], -v[49:50]
	v_add_f64 v[31:32], v[53:54], -v[51:52]
	v_fma_f64 v[23:24], v[23:24], v[25:26], v[23:24]
	v_add_f64 v[21:22], v[21:22], v[27:28]
	v_add_f64 v[25:26], v[29:30], -v[31:32]
	v_add_f64 v[27:28], -v[23:24], s[94:95]
	v_add_f64 v[21:22], v[21:22], v[25:26]
	v_cndmask_b32_e64 v24, v24, v28, s[8:9]
	v_cndmask_b32_e64 v23, v23, v27, s[8:9]
	v_add_f64 v[25:26], -v[23:24], s[82:83]
	v_cmp_gt_i32_e64 s[8:9], 0, v2
	v_and_b32_e32 v28, 0x54442d18, v1
	v_cndmask_b32_e64 v7, v66, v67, s[8:9]
	v_add_f64 v[21:22], v[53:54], v[21:22]
	v_cndmask_b32_e64 v27, v68, v69, s[8:9]
	v_cndmask_b32_e64 v23, v23, v25, s[8:9]
	v_and_b32_e32 v25, 0x400921fb, v1
	v_cndmask_b32_e64 v23, v23, v28, s[10:11]
	v_cndmask_b32_e32 v2, v22, v6, vcc
	v_cndmask_b32_e32 v1, v21, v5, vcc
	v_add_f64 v[1:2], v[1:2], 1.0
	v_cndmask_b32_e64 v22, v24, v26, s[8:9]
	v_cmp_ngt_f64_e64 s[8:9], 0, v[5:6]
	v_bfi_b32 v21, s57, v27, v4
	v_cndmask_b32_e64 v22, v22, v25, s[10:11]
	s_and_b64 vcc, s[14:15], s[20:21]
	v_cndmask_b32_e32 v24, v22, v21, vcc
	v_cndmask_b32_e32 v23, v23, v7, vcc
	v_cndmask_b32_e64 v2, v64, v2, s[8:9]
	v_cmp_nge_f64_e64 s[8:9], 0, v[5:6]
	v_cndmask_b32_e64 v21, 0, v1, s[8:9]
	v_cmp_neq_f64_e64 s[8:9], 0, v[5:6]
	v_cndmask_b32_e64 v22, v65, v2, s[8:9]
.LBB167_214:                            ;   in Loop: Header=BB167_145 Depth=1
	s_or_b64 exec, exec, s[12:13]
.LBB167_215:                            ;   in Loop: Header=BB167_145 Depth=1
	s_andn2_saveexec_b64 s[8:9], s[22:23]
	s_cbranch_execz .LBB167_221
; %bb.216:                              ;   in Loop: Header=BB167_145 Depth=1
	v_cmp_nlt_f64_e64 s[10:11], |v[1:2]|, s[84:85]
	v_cmp_nlt_f64_e64 s[12:13], |v[3:4]|, s[84:85]
                                        ; implicit-def: $vgpr5_vgpr6
	s_or_b64 s[10:11], s[12:13], s[10:11]
	s_and_saveexec_b64 s[12:13], s[10:11]
	s_xor_b64 s[10:11], exec, s[12:13]
	s_cbranch_execz .LBB167_218
; %bb.217:                              ;   in Loop: Header=BB167_145 Depth=1
	v_mul_f64 v[1:2], v[1:2], v[1:2]
	v_fma_f64 v[5:6], v[3:4], v[3:4], v[1:2]
.LBB167_218:                            ;   in Loop: Header=BB167_145 Depth=1
	s_andn2_saveexec_b64 s[10:11], s[10:11]
	s_cbranch_execz .LBB167_220
; %bb.219:                              ;   in Loop: Header=BB167_145 Depth=1
	v_mul_f64 v[1:2], v[1:2], 4.0
	v_mul_f64 v[5:6], v[3:4], 4.0
	v_mul_f64 v[1:2], v[1:2], v[1:2]
	v_fma_f64 v[1:2], v[5:6], v[5:6], v[1:2]
	v_ldexp_f64 v[5:6], v[1:2], -4
.LBB167_220:                            ;   in Loop: Header=BB167_145 Depth=1
	s_or_b64 exec, exec, s[10:11]
	v_frexp_mant_f64_e32 v[1:2], v[5:6]
	s_mov_b32 s93, s27
	v_cmp_gt_f64_e32 vcc, s[26:27], v[1:2]
	v_cndmask_b32_e64 v3, 0, 1, vcc
	v_ldexp_f64 v[1:2], v[1:2], v3
	v_frexp_exp_i32_f64_e32 v3, v[5:6]
	v_add_f64 v[21:22], v[1:2], 1.0
	v_add_f64 v[27:28], v[1:2], -1.0
	v_subbrev_co_u32_e32 v3, vcc, 0, v3, vcc
	v_cmp_class_f64_e64 vcc, v[5:6], s58
	v_rcp_f64_e32 v[23:24], v[21:22]
	v_add_f64 v[29:30], v[21:22], -1.0
	v_add_f64 v[1:2], v[1:2], -v[29:30]
	v_fma_f64 v[25:26], -v[21:22], v[23:24], 1.0
	v_fma_f64 v[23:24], v[25:26], v[23:24], v[23:24]
	v_fma_f64 v[25:26], -v[21:22], v[23:24], 1.0
	v_fma_f64 v[23:24], v[25:26], v[23:24], v[23:24]
	v_mul_f64 v[25:26], v[27:28], v[23:24]
	v_mul_f64 v[31:32], v[21:22], v[25:26]
	v_fma_f64 v[21:22], v[25:26], v[21:22], -v[31:32]
	v_fma_f64 v[1:2], v[25:26], v[1:2], v[21:22]
	v_add_f64 v[21:22], v[31:32], v[1:2]
	v_add_f64 v[29:30], v[27:28], -v[21:22]
	v_add_f64 v[31:32], v[21:22], -v[31:32]
	;; [unrolled: 1-line block ×5, first 2 shown]
	v_add_f64 v[1:2], v[1:2], v[21:22]
	v_add_f64 v[1:2], v[29:30], v[1:2]
	v_mul_f64 v[1:2], v[23:24], v[1:2]
	v_add_f64 v[21:22], v[25:26], v[1:2]
	v_mul_f64 v[23:24], v[21:22], v[21:22]
	v_fma_f64 v[27:28], v[23:24], s[28:29], v[35:36]
	v_mul_f64 v[29:30], v[21:22], v[23:24]
	v_fma_f64 v[27:28], v[23:24], v[27:28], s[30:31]
	v_fma_f64 v[27:28], v[23:24], v[27:28], s[34:35]
	;; [unrolled: 1-line block ×5, first 2 shown]
	v_ldexp_f64 v[27:28], v[21:22], 1
	v_add_f64 v[21:22], v[21:22], -v[25:26]
	v_mul_f64 v[23:24], v[29:30], v[23:24]
	v_cvt_f64_i32_e32 v[29:30], v3
	v_add_f64 v[1:2], v[1:2], -v[21:22]
	v_mul_f64 v[31:32], v[29:30], s[40:41]
	v_add_f64 v[25:26], v[27:28], v[23:24]
	v_ldexp_f64 v[1:2], v[1:2], 1
	v_add_f64 v[21:22], v[25:26], -v[27:28]
	v_fma_f64 v[27:28], v[29:30], s[40:41], -v[31:32]
	v_add_f64 v[21:22], v[23:24], -v[21:22]
	v_fma_f64 v[23:24], v[29:30], s[42:43], v[27:28]
	v_add_f64 v[1:2], v[1:2], v[21:22]
	v_add_f64 v[21:22], v[31:32], v[23:24]
	;; [unrolled: 1-line block ×3, first 2 shown]
	v_add_f64 v[31:32], v[21:22], -v[31:32]
	v_add_f64 v[29:30], v[21:22], v[27:28]
	v_add_f64 v[25:26], v[27:28], -v[25:26]
	v_add_f64 v[23:24], v[23:24], -v[31:32]
	;; [unrolled: 1-line block ×6, first 2 shown]
	v_add_f64 v[27:28], v[23:24], v[1:2]
	v_add_f64 v[21:22], v[21:22], -v[49:50]
	v_add_f64 v[21:22], v[25:26], v[21:22]
	v_add_f64 v[25:26], v[27:28], -v[23:24]
	;; [unrolled: 2-line block ×3, first 2 shown]
	v_add_f64 v[1:2], v[1:2], -v[25:26]
	v_add_f64 v[31:32], v[29:30], v[21:22]
	v_add_f64 v[23:24], v[23:24], -v[27:28]
	v_add_f64 v[25:26], v[31:32], -v[29:30]
	v_add_f64 v[1:2], v[1:2], v[23:24]
	v_mov_b32_e32 v23, 0
	v_mov_b32_e32 v24, 0x7ff80000
	v_add_f64 v[21:22], v[21:22], -v[25:26]
	v_add_f64 v[1:2], v[1:2], v[21:22]
	v_add_f64 v[1:2], v[31:32], v[1:2]
	v_cndmask_b32_e32 v1, v1, v5, vcc
	v_cndmask_b32_e32 v2, v2, v6, vcc
	v_cmp_ngt_f64_e32 vcc, 0, v[5:6]
	v_cndmask_b32_e32 v2, v64, v2, vcc
	v_cmp_nge_f64_e32 vcc, 0, v[5:6]
	v_cndmask_b32_e32 v21, 0, v1, vcc
	v_cmp_neq_f64_e32 vcc, 0, v[5:6]
	v_cndmask_b32_e32 v22, v65, v2, vcc
.LBB167_221:                            ;   in Loop: Header=BB167_145 Depth=1
	s_or_b64 exec, exec, s[8:9]
	v_cmp_o_f64_e32 vcc, v[13:14], v[15:16]
                                        ; implicit-def: $vgpr25_vgpr26
	s_and_saveexec_b64 s[8:9], vcc
	s_xor_b64 s[22:23], exec, s[8:9]
	s_cbranch_execz .LBB167_249
; %bb.222:                              ;   in Loop: Header=BB167_145 Depth=1
	v_cmp_lt_f64_e64 s[8:9], |v[13:14]|, |v[15:16]|
	v_and_b32_e32 v1, 0x7fffffff, v14
	v_and_b32_e32 v2, 0x7fffffff, v16
	s_mov_b32 s10, 0x85ebc8a0
	s_mov_b32 s11, 0x7fd1ccf3
	v_mov_b32_e32 v3, v15
                                        ; implicit-def: $vgpr25_vgpr26
	v_cndmask_b32_e64 v6, v2, v1, s[8:9]
	v_cndmask_b32_e64 v5, v15, v13, s[8:9]
	v_cmp_nlt_f64_e32 vcc, s[10:11], v[5:6]
	s_and_saveexec_b64 s[10:11], vcc
	s_xor_b64 s[24:25], exec, s[10:11]
	s_cbranch_execz .LBB167_246
; %bb.223:                              ;   in Loop: Header=BB167_145 Depth=1
	v_cndmask_b32_e64 v30, v1, v2, s[8:9]
	v_cndmask_b32_e64 v29, v13, v3, s[8:9]
	v_cmp_neq_f64_e32 vcc, 1.0, v[29:30]
                                        ; implicit-def: $vgpr25_vgpr26
	s_and_saveexec_b64 s[10:11], vcc
	s_xor_b64 s[20:21], exec, s[10:11]
	s_cbranch_execz .LBB167_239
; %bb.224:                              ;   in Loop: Header=BB167_145 Depth=1
	v_max_f64 v[1:2], v[5:6], v[5:6]
	v_max_f64 v[25:26], v[29:30], v[29:30]
	s_mov_b32 s10, 0x4ad4b81f
	s_mov_b32 s11, 0x358dee7a
	v_min_f64 v[27:28], v[25:26], v[1:2]
	v_max_f64 v[1:2], v[25:26], v[1:2]
	v_cmp_ngt_f64_e32 vcc, s[10:11], v[27:28]
	s_mov_b32 s10, 0xc57e649a
	s_mov_b32 s11, 0x4a511b0e
	v_cmp_nlt_f64_e64 s[10:11], s[10:11], v[1:2]
                                        ; implicit-def: $vgpr25_vgpr26
	s_and_b64 s[10:11], s[10:11], vcc
	s_and_saveexec_b64 s[12:13], s[10:11]
	s_xor_b64 s[86:87], exec, s[12:13]
	s_cbranch_execz .LBB167_236
; %bb.225:                              ;   in Loop: Header=BB167_145 Depth=1
	v_cmp_le_f64_e32 vcc, 1.0, v[29:30]
                                        ; implicit-def: $vgpr25_vgpr26
	s_and_saveexec_b64 s[10:11], vcc
	s_xor_b64 s[44:45], exec, s[10:11]
	s_cbranch_execz .LBB167_227
; %bb.226:                              ;   in Loop: Header=BB167_145 Depth=1
	v_add_f64 v[1:2], v[29:30], -1.0
	v_add_f64 v[25:26], v[29:30], 1.0
	s_mov_b32 s93, s27
	s_mov_b32 s82, s94
	;; [unrolled: 1-line block ×4, first 2 shown]
	v_cmp_class_f64_e64 s[46:47], v[15:16], s58
	v_mul_f64 v[1:2], v[1:2], v[25:26]
	v_fma_f64 v[1:2], v[5:6], v[5:6], v[1:2]
	v_add_f64 v[5:6], v[1:2], 1.0
	v_cmp_nge_f64_e64 s[12:13], -1.0, v[1:2]
	v_cmp_neq_f64_e64 s[14:15], s[14:15], v[1:2]
	v_frexp_mant_f64_e32 v[27:28], v[5:6]
	v_frexp_exp_i32_f64_e32 v3, v[5:6]
	v_add_f64 v[25:26], v[5:6], -1.0
	v_cmp_gt_f64_e32 vcc, s[26:27], v[27:28]
	v_add_f64 v[29:30], v[25:26], -v[5:6]
	v_add_f64 v[25:26], v[1:2], -v[25:26]
	v_subbrev_co_u32_e32 v3, vcc, 0, v3, vcc
	v_sub_u32_e32 v7, 0, v3
	v_ldexp_f64 v[5:6], v[5:6], v7
	v_add_f64 v[27:28], v[29:30], 1.0
	v_add_f64 v[29:30], v[5:6], 1.0
	v_add_f64 v[25:26], v[25:26], v[27:28]
	v_add_f64 v[49:50], v[5:6], -1.0
	v_add_f64 v[27:28], v[29:30], -1.0
	v_ldexp_f64 v[25:26], v[25:26], v7
	v_add_f64 v[51:52], v[49:50], 1.0
	v_add_f64 v[27:28], v[5:6], -v[27:28]
	v_add_f64 v[5:6], v[5:6], -v[51:52]
	v_add_f64 v[27:28], v[25:26], v[27:28]
	v_add_f64 v[5:6], v[25:26], v[5:6]
	;; [unrolled: 1-line block ×4, first 2 shown]
	v_rcp_f64_e32 v[47:48], v[31:32]
	v_add_f64 v[29:30], v[31:32], -v[29:30]
	v_add_f64 v[49:50], v[51:52], -v[49:50]
	v_add_f64 v[27:28], v[27:28], -v[29:30]
	v_add_f64 v[5:6], v[5:6], -v[49:50]
	v_fma_f64 v[53:54], -v[31:32], v[47:48], 1.0
	v_fma_f64 v[47:48], v[53:54], v[47:48], v[47:48]
	v_fma_f64 v[25:26], -v[31:32], v[47:48], 1.0
	v_fma_f64 v[25:26], v[25:26], v[47:48], v[47:48]
	v_mul_f64 v[47:48], v[51:52], v[25:26]
	v_mul_f64 v[53:54], v[31:32], v[47:48]
	v_fma_f64 v[29:30], v[47:48], v[31:32], -v[53:54]
	v_fma_f64 v[29:30], v[47:48], v[27:28], v[29:30]
	v_add_f64 v[55:56], v[53:54], v[29:30]
	v_add_f64 v[57:58], v[51:52], -v[55:56]
	v_add_f64 v[49:50], v[55:56], -v[53:54]
	v_add_f64 v[51:52], v[51:52], -v[57:58]
	v_add_f64 v[29:30], v[49:50], -v[29:30]
	v_max_f64 v[49:50], |v[13:14]|, |v[13:14]|
	v_add_f64 v[51:52], v[51:52], -v[55:56]
	v_add_f64 v[5:6], v[5:6], v[51:52]
	v_add_f64 v[5:6], v[29:30], v[5:6]
	v_max_f64 v[29:30], |v[15:16]|, |v[15:16]|
	v_add_f64 v[51:52], v[57:58], v[5:6]
	v_max_f64 v[53:54], v[49:50], v[29:30]
	v_min_f64 v[29:30], v[49:50], v[29:30]
	v_mul_f64 v[49:50], v[25:26], v[51:52]
	v_add_f64 v[57:58], v[57:58], -v[51:52]
	v_div_scale_f64 v[55:56], s[10:11], v[53:54], v[53:54], v[29:30]
	s_mov_b32 s10, 0xaf56de9b
	s_mov_b32 s11, 0xbf67952d
	v_mul_f64 v[59:60], v[31:32], v[49:50]
	v_add_f64 v[5:6], v[5:6], v[57:58]
	v_fma_f64 v[31:32], v[49:50], v[31:32], -v[59:60]
	v_rcp_f64_e32 v[61:62], v[55:56]
	v_fma_f64 v[27:28], v[49:50], v[27:28], v[31:32]
	v_add_f64 v[31:32], v[59:60], v[27:28]
	v_fma_f64 v[70:71], -v[55:56], v[61:62], 1.0
	v_add_f64 v[72:73], v[51:52], -v[31:32]
	v_add_f64 v[57:58], v[31:32], -v[59:60]
	v_fma_f64 v[61:62], v[61:62], v[70:71], v[61:62]
	v_div_scale_f64 v[70:71], vcc, v[29:30], v[53:54], v[29:30]
	v_add_f64 v[51:52], v[51:52], -v[72:73]
	v_add_f64 v[27:28], v[57:58], -v[27:28]
	v_fma_f64 v[74:75], -v[55:56], v[61:62], 1.0
	v_add_f64 v[57:58], v[47:48], v[49:50]
	v_add_f64 v[31:32], v[51:52], -v[31:32]
	v_fma_f64 v[51:52], v[61:62], v[74:75], v[61:62]
	v_add_f64 v[47:48], v[57:58], -v[47:48]
	v_add_f64 v[5:6], v[5:6], v[31:32]
	v_mul_f64 v[31:32], v[70:71], v[51:52]
	v_add_f64 v[5:6], v[27:28], v[5:6]
	v_fma_f64 v[27:28], -v[55:56], v[31:32], v[70:71]
	v_add_f64 v[5:6], v[72:73], v[5:6]
	v_div_fmas_f64 v[27:28], v[27:28], v[51:52], v[31:32]
	v_add_f64 v[31:32], v[49:50], -v[47:48]
	v_cmp_gt_i32_e32 vcc, 0, v14
	v_cndmask_b32_e32 v7, v66, v67, vcc
	v_mul_f64 v[5:6], v[25:26], v[5:6]
	v_add_f64 v[5:6], v[31:32], v[5:6]
	v_div_fixup_f64 v[25:26], v[27:28], v[53:54], v[29:30]
	v_cvt_f64_i32_e32 v[53:54], v3
	v_ashrrev_i32_e32 v3, 31, v14
	v_mul_f64 v[55:56], v[53:54], s[40:41]
	v_add_f64 v[27:28], v[57:58], v[5:6]
	v_mul_f64 v[29:30], v[25:26], v[25:26]
	v_mul_f64 v[31:32], v[27:28], v[27:28]
	v_fma_f64 v[47:48], v[29:30], s[50:51], v[37:38]
	v_fma_f64 v[49:50], v[31:32], s[28:29], v[35:36]
	v_mul_f64 v[51:52], v[27:28], v[31:32]
	v_fma_f64 v[47:48], v[29:30], v[47:48], s[48:49]
	v_cmp_class_f64_e64 s[48:49], v[13:14], s58
	v_and_b32_e32 v14, 0x54442d18, v3
	v_and_b32_e32 v3, 0x400921fb, v3
	v_cndmask_b32_e32 v13, v68, v69, vcc
	v_bfi_b32 v13, s57, v13, v16
	v_fma_f64 v[49:50], v[31:32], v[49:50], s[30:31]
	v_fma_f64 v[47:48], v[29:30], v[47:48], s[10:11]
	s_mov_b32 s10, 0xa595c56f
	s_mov_b32 s11, 0x3f7d6d43
	v_fma_f64 v[49:50], v[31:32], v[49:50], s[34:35]
	v_fma_f64 v[47:48], v[29:30], v[47:48], s[10:11]
	s_mov_b32 s10, 0xa57d9582
	s_mov_b32 s11, 0xbf8c6ea4
	;; [unrolled: 4-line block ×4, first 2 shown]
	v_fma_f64 v[31:32], v[31:32], v[49:50], s[92:93]
	v_ldexp_f64 v[49:50], v[27:28], 1
	v_fma_f64 v[47:48], v[29:30], v[47:48], s[10:11]
	s_mov_b32 s10, 0x5711927a
	s_mov_b32 s11, 0x3fa2c15b
	v_add_f64 v[27:28], v[27:28], -v[57:58]
	v_mul_f64 v[31:32], v[51:52], v[31:32]
	v_fma_f64 v[47:48], v[29:30], v[47:48], s[10:11]
	v_cmp_eq_f64_e64 s[10:11], 0, v[15:16]
	v_add_f64 v[5:6], v[5:6], -v[27:28]
	v_add_f64 v[51:52], v[49:50], v[31:32]
	v_fma_f64 v[47:48], v[29:30], v[47:48], s[60:61]
	v_ldexp_f64 v[5:6], v[5:6], 1
	v_add_f64 v[27:28], v[51:52], -v[49:50]
	v_fma_f64 v[49:50], v[53:54], s[40:41], -v[55:56]
	v_fma_f64 v[47:48], v[29:30], v[47:48], s[62:63]
	v_add_f64 v[27:28], v[31:32], -v[27:28]
	v_fma_f64 v[31:32], v[29:30], v[47:48], s[64:65]
	v_fma_f64 v[47:48], v[53:54], s[42:43], v[49:50]
	v_add_f64 v[5:6], v[5:6], v[27:28]
	v_fma_f64 v[27:28], v[29:30], v[31:32], s[66:67]
	v_add_f64 v[31:32], v[55:56], v[47:48]
	v_add_f64 v[49:50], v[51:52], v[5:6]
	v_fma_f64 v[27:28], v[29:30], v[27:28], s[68:69]
	v_add_f64 v[55:56], v[31:32], -v[55:56]
	v_add_f64 v[53:54], v[31:32], v[49:50]
	v_add_f64 v[51:52], v[49:50], -v[51:52]
	v_fma_f64 v[27:28], v[29:30], v[27:28], s[70:71]
	v_add_f64 v[47:48], v[47:48], -v[55:56]
	v_add_f64 v[57:58], v[53:54], -v[31:32]
	;; [unrolled: 1-line block ×3, first 2 shown]
	v_fma_f64 v[27:28], v[29:30], v[27:28], s[72:73]
	v_add_f64 v[59:60], v[53:54], -v[57:58]
	v_add_f64 v[49:50], v[49:50], -v[57:58]
	v_fma_f64 v[27:28], v[29:30], v[27:28], s[74:75]
	v_add_f64 v[51:52], v[47:48], v[5:6]
	v_add_f64 v[31:32], v[31:32], -v[59:60]
	v_fma_f64 v[27:28], v[29:30], v[27:28], s[76:77]
	v_add_f64 v[31:32], v[49:50], v[31:32]
	;; [unrolled: 3-line block ×3, first 2 shown]
	v_add_f64 v[51:52], v[51:52], -v[49:50]
	v_fma_f64 v[27:28], v[29:30], v[27:28], s[80:81]
	v_add_f64 v[5:6], v[5:6], -v[49:50]
	v_add_f64 v[55:56], v[53:54], v[31:32]
	v_mul_f64 v[27:28], v[29:30], v[27:28]
	v_add_f64 v[29:30], v[47:48], -v[51:52]
	v_add_f64 v[47:48], v[55:56], -v[53:54]
	v_fma_f64 v[25:26], v[25:26], v[27:28], v[25:26]
	v_add_f64 v[5:6], v[5:6], v[29:30]
	v_add_f64 v[27:28], v[31:32], -v[47:48]
	v_add_f64 v[29:30], -v[25:26], s[94:95]
	v_add_f64 v[5:6], v[5:6], v[27:28]
	v_cndmask_b32_e64 v26, v26, v30, s[8:9]
	v_cndmask_b32_e64 v25, v25, v29, s[8:9]
	v_add_f64 v[27:28], -v[25:26], s[82:83]
                                        ; implicit-def: $vgpr29_vgpr30
	v_add_f64 v[5:6], v[55:56], v[5:6]
	v_cndmask_b32_e32 v25, v25, v27, vcc
	v_cndmask_b32_e32 v26, v26, v28, vcc
	v_cndmask_b32_e64 v14, v25, v14, s[10:11]
	v_cndmask_b32_e64 v3, v26, v3, s[10:11]
	v_mul_f64 v[5:6], v[5:6], 0.5
	s_and_b64 s[10:11], s[12:13], s[14:15]
	s_and_b64 vcc, s[46:47], s[48:49]
	v_cndmask_b32_e32 v28, v3, v13, vcc
	s_mov_b32 s48, 0x69efb384
	s_mov_b32 s49, 0x3f4b2bb0
	v_cndmask_b32_e32 v27, v14, v7, vcc
	v_cndmask_b32_e64 v25, 0, v5, s[10:11]
	v_cmp_ngt_f64_e64 s[10:11], -1.0, v[1:2]
	v_cndmask_b32_e64 v3, v63, v6, s[14:15]
                                        ; implicit-def: $vgpr5_vgpr6
	v_cndmask_b32_e64 v3, v64, v3, s[10:11]
	v_cmp_neq_f64_e64 s[10:11], -1.0, v[1:2]
	v_cndmask_b32_e64 v26, v65, v3, s[10:11]
.LBB167_227:                            ;   in Loop: Header=BB167_145 Depth=1
	s_andn2_saveexec_b64 s[44:45], s[44:45]
	s_cbranch_execz .LBB167_235
; %bb.228:                              ;   in Loop: Header=BB167_145 Depth=1
	v_mul_f64 v[1:2], v[5:6], v[5:6]
	s_mov_b32 s10, 0x66666666
	s_mov_b32 s11, 0x3fe66666
                                        ; implicit-def: $vgpr25_vgpr26
	v_fma_f64 v[1:2], v[29:30], v[29:30], v[1:2]
	v_cmp_ge_f64_e32 vcc, s[10:11], v[1:2]
	s_and_saveexec_b64 s[10:11], vcc
	s_xor_b64 s[14:15], exec, s[10:11]
	s_cbranch_execz .LBB167_230
; %bb.229:                              ;   in Loop: Header=BB167_145 Depth=1
	v_frexp_mant_f64_e32 v[5:6], v[1:2]
	v_max_f64 v[31:32], |v[15:16]|, |v[15:16]|
	v_max_f64 v[47:48], |v[13:14]|, |v[13:14]|
	s_mov_b32 s93, s27
	s_mov_b32 s82, s94
	v_cmp_class_f64_e64 s[46:47], v[15:16], s58
	v_cmp_gt_f64_e64 s[10:11], s[26:27], v[5:6]
	v_cndmask_b32_e64 v3, 0, 1, s[10:11]
	v_ldexp_f64 v[5:6], v[5:6], v3
	v_frexp_exp_i32_f64_e32 v3, v[1:2]
	v_add_f64 v[25:26], v[5:6], 1.0
	v_add_f64 v[51:52], v[5:6], -1.0
	v_rcp_f64_e32 v[27:28], v[25:26]
	v_add_f64 v[55:56], v[25:26], -1.0
	v_add_f64 v[5:6], v[5:6], -v[55:56]
	v_fma_f64 v[29:30], -v[25:26], v[27:28], 1.0
	v_fma_f64 v[27:28], v[29:30], v[27:28], v[27:28]
	v_max_f64 v[29:30], v[47:48], v[31:32]
	v_min_f64 v[31:32], v[47:48], v[31:32]
	v_fma_f64 v[47:48], -v[25:26], v[27:28], 1.0
	v_div_scale_f64 v[49:50], s[12:13], v[29:30], v[29:30], v[31:32]
	s_mov_b32 s12, 0xaf56de9b
	s_mov_b32 s13, 0xbf67952d
	v_fma_f64 v[27:28], v[47:48], v[27:28], v[27:28]
	v_mul_f64 v[47:48], v[51:52], v[27:28]
	v_rcp_f64_e32 v[53:54], v[49:50]
	v_mul_f64 v[57:58], v[25:26], v[47:48]
	v_fma_f64 v[25:26], v[47:48], v[25:26], -v[57:58]
	v_fma_f64 v[55:56], -v[49:50], v[53:54], 1.0
	v_fma_f64 v[5:6], v[47:48], v[5:6], v[25:26]
	v_fma_f64 v[25:26], v[53:54], v[55:56], v[53:54]
	v_div_scale_f64 v[55:56], vcc, v[31:32], v[29:30], v[31:32]
	v_add_f64 v[53:54], v[57:58], v[5:6]
	v_fma_f64 v[59:60], -v[49:50], v[25:26], 1.0
	v_add_f64 v[61:62], v[51:52], -v[53:54]
	v_add_f64 v[57:58], v[53:54], -v[57:58]
	v_fma_f64 v[25:26], v[25:26], v[59:60], v[25:26]
	v_add_f64 v[51:52], v[51:52], -v[61:62]
	v_add_f64 v[5:6], v[57:58], -v[5:6]
	v_mul_f64 v[59:60], v[55:56], v[25:26]
	v_add_f64 v[51:52], v[51:52], -v[53:54]
	v_fma_f64 v[49:50], -v[49:50], v[59:60], v[55:56]
	v_add_f64 v[5:6], v[5:6], v[51:52]
	v_div_fmas_f64 v[25:26], v[49:50], v[25:26], v[59:60]
	v_subbrev_co_u32_e64 v3, vcc, 0, v3, s[10:11]
	v_cmp_eq_f64_e64 s[10:11], 0, v[15:16]
	v_cmp_gt_i32_e32 vcc, 0, v14
	v_cndmask_b32_e32 v7, v66, v67, vcc
	v_add_f64 v[5:6], v[61:62], v[5:6]
	v_mul_f64 v[5:6], v[27:28], v[5:6]
	v_div_fixup_f64 v[25:26], v[25:26], v[29:30], v[31:32]
	v_add_f64 v[27:28], v[47:48], v[5:6]
	v_mul_f64 v[29:30], v[25:26], v[25:26]
	v_mul_f64 v[31:32], v[27:28], v[27:28]
	v_fma_f64 v[49:50], v[29:30], s[50:51], v[37:38]
	v_fma_f64 v[51:52], v[31:32], s[28:29], v[35:36]
	v_mul_f64 v[53:54], v[27:28], v[31:32]
	v_fma_f64 v[49:50], v[29:30], v[49:50], s[48:49]
	v_cmp_class_f64_e64 s[48:49], v[13:14], s58
	v_fma_f64 v[51:52], v[31:32], v[51:52], s[30:31]
	v_fma_f64 v[49:50], v[29:30], v[49:50], s[12:13]
	s_mov_b32 s12, 0xa595c56f
	s_mov_b32 s13, 0x3f7d6d43
	v_fma_f64 v[51:52], v[31:32], v[51:52], s[34:35]
	v_fma_f64 v[49:50], v[29:30], v[49:50], s[12:13]
	s_mov_b32 s12, 0xa57d9582
	s_mov_b32 s13, 0xbf8c6ea4
	;; [unrolled: 4-line block ×4, first 2 shown]
	v_fma_f64 v[31:32], v[31:32], v[51:52], s[92:93]
	v_ldexp_f64 v[51:52], v[27:28], 1
	v_fma_f64 v[49:50], v[29:30], v[49:50], s[12:13]
	s_mov_b32 s12, 0x5711927a
	s_mov_b32 s13, 0x3fa2c15b
	v_add_f64 v[27:28], v[27:28], -v[47:48]
	v_mul_f64 v[31:32], v[53:54], v[31:32]
	v_cvt_f64_i32_e32 v[53:54], v3
	v_fma_f64 v[49:50], v[29:30], v[49:50], s[12:13]
	v_cmp_neq_f64_e64 s[12:13], 0, v[1:2]
	v_ashrrev_i32_e32 v3, 31, v14
	v_mul_f64 v[55:56], v[53:54], s[40:41]
	v_add_f64 v[5:6], v[5:6], -v[27:28]
	v_and_b32_e32 v13, 0x54442d18, v3
	v_add_f64 v[47:48], v[51:52], v[31:32]
	v_and_b32_e32 v3, 0x400921fb, v3
	v_fma_f64 v[49:50], v[29:30], v[49:50], s[60:61]
	v_ldexp_f64 v[5:6], v[5:6], 1
	v_add_f64 v[27:28], v[47:48], -v[51:52]
	v_fma_f64 v[51:52], v[53:54], s[40:41], -v[55:56]
	v_fma_f64 v[49:50], v[29:30], v[49:50], s[62:63]
	v_add_f64 v[27:28], v[31:32], -v[27:28]
	v_fma_f64 v[31:32], v[29:30], v[49:50], s[64:65]
	v_fma_f64 v[49:50], v[53:54], s[42:43], v[51:52]
	v_add_f64 v[5:6], v[5:6], v[27:28]
	v_fma_f64 v[27:28], v[29:30], v[31:32], s[66:67]
	v_add_f64 v[31:32], v[55:56], v[49:50]
	v_add_f64 v[51:52], v[47:48], v[5:6]
	v_fma_f64 v[27:28], v[29:30], v[27:28], s[68:69]
	v_add_f64 v[55:56], v[31:32], -v[55:56]
	v_add_f64 v[53:54], v[31:32], v[51:52]
	v_add_f64 v[47:48], v[51:52], -v[47:48]
	v_fma_f64 v[27:28], v[29:30], v[27:28], s[70:71]
	v_add_f64 v[49:50], v[49:50], -v[55:56]
	v_add_f64 v[57:58], v[53:54], -v[31:32]
	;; [unrolled: 1-line block ×3, first 2 shown]
	v_fma_f64 v[27:28], v[29:30], v[27:28], s[72:73]
	v_add_f64 v[59:60], v[53:54], -v[57:58]
	v_add_f64 v[47:48], v[51:52], -v[57:58]
	v_fma_f64 v[27:28], v[29:30], v[27:28], s[74:75]
	v_add_f64 v[51:52], v[49:50], v[5:6]
	v_add_f64 v[31:32], v[31:32], -v[59:60]
	v_fma_f64 v[27:28], v[29:30], v[27:28], s[76:77]
	v_add_f64 v[31:32], v[47:48], v[31:32]
	;; [unrolled: 3-line block ×3, first 2 shown]
	v_add_f64 v[51:52], v[51:52], -v[47:48]
	v_fma_f64 v[27:28], v[29:30], v[27:28], s[80:81]
	v_add_f64 v[5:6], v[5:6], -v[47:48]
	v_add_f64 v[55:56], v[53:54], v[31:32]
	v_mul_f64 v[27:28], v[29:30], v[27:28]
	v_add_f64 v[29:30], v[49:50], -v[51:52]
	v_add_f64 v[47:48], v[55:56], -v[53:54]
	v_fma_f64 v[25:26], v[25:26], v[27:28], v[25:26]
	v_add_f64 v[5:6], v[5:6], v[29:30]
	v_add_f64 v[27:28], v[31:32], -v[47:48]
	v_add_f64 v[29:30], -v[25:26], s[94:95]
	v_add_f64 v[5:6], v[5:6], v[27:28]
	v_cndmask_b32_e64 v26, v26, v30, s[8:9]
	v_cndmask_b32_e64 v25, v25, v29, s[8:9]
	v_add_f64 v[27:28], -v[25:26], s[82:83]
                                        ; implicit-def: $vgpr29_vgpr30
	v_add_f64 v[5:6], v[55:56], v[5:6]
	v_cndmask_b32_e32 v14, v25, v27, vcc
	v_cndmask_b32_e32 v25, v68, v69, vcc
	;; [unrolled: 1-line block ×3, first 2 shown]
	v_bfi_b32 v1, s57, v25, v16
	v_mul_f64 v[5:6], v[5:6], 0.5
	v_cndmask_b32_e64 v13, v14, v13, s[10:11]
	v_cndmask_b32_e64 v2, v2, v3, s[10:11]
	s_and_b64 vcc, s[46:47], s[48:49]
	s_mov_b32 s48, 0x69efb384
	s_mov_b32 s49, 0x3f4b2bb0
	v_cndmask_b32_e32 v28, v2, v1, vcc
	v_cndmask_b32_e32 v27, v13, v7, vcc
	v_cndmask_b32_e64 v26, v65, v6, s[12:13]
	v_cndmask_b32_e64 v25, 0, v5, s[12:13]
                                        ; implicit-def: $vgpr5_vgpr6
.LBB167_230:                            ;   in Loop: Header=BB167_145 Depth=1
	s_andn2_saveexec_b64 s[46:47], s[14:15]
	s_cbranch_execz .LBB167_234
; %bb.231:                              ;   in Loop: Header=BB167_145 Depth=1
	v_and_b32_e32 v34, 0x7ffffff8, v30
	v_and_b32_e32 v26, 0x7ffffff8, v6
	v_mov_b32_e32 v25, v33
	v_add_f64 v[1:2], v[29:30], -v[33:34]
	v_add_f64 v[5:6], v[5:6], -v[25:26]
	v_mov_b32_e32 v29, v33
	v_mov_b32_e32 v51, v33
	v_add_f64 v[47:48], v[33:34], v[33:34]
	v_add_f64 v[49:50], v[25:26], v[25:26]
	s_mov_b64 s[48:49], 0
	v_and_b32_e32 v30, -8, v2
	v_and_b32_e32 v52, -8, v6
	v_add_f64 v[57:58], v[1:2], -v[29:30]
	v_add_f64 v[59:60], v[5:6], -v[51:52]
	v_add_f64 v[61:62], v[29:30], v[29:30]
	v_add_f64 v[70:71], v[51:52], v[51:52]
	v_mul_f64 v[1:2], v[33:34], v[33:34]
	v_mul_f64 v[5:6], v[25:26], v[25:26]
	;; [unrolled: 1-line block ×12, first 2 shown]
.LBB167_232:                            ;   Parent Loop BB167_145 Depth=1
                                        ; =>  This Inner Loop Header: Depth=2
	v_cmp_nlt_f64_e32 vcc, v[1:2], v[5:6]
	v_cndmask_b32_e32 v60, v2, v6, vcc
	v_cndmask_b32_e32 v59, v1, v5, vcc
	v_cmp_nlt_f64_e64 s[10:11], v[59:60], v[27:28]
	v_cndmask_b32_e32 v2, v6, v2, vcc
	v_cndmask_b32_e32 v1, v5, v1, vcc
	v_cndmask_b32_e64 v62, v60, v28, s[10:11]
	v_cndmask_b32_e64 v61, v59, v27, s[10:11]
	v_cmp_nlt_f64_e64 s[12:13], v[61:62], v[25:26]
	v_cndmask_b32_e64 v6, v28, v60, s[10:11]
	v_cndmask_b32_e64 v5, v27, v59, s[10:11]
	s_and_b64 s[50:51], vcc, s[10:11]
	v_cndmask_b32_e64 v71, v62, v26, s[12:13]
	v_cndmask_b32_e64 v70, v61, v25, s[12:13]
	v_cmp_nlt_f64_e64 s[14:15], v[70:71], v[31:32]
	v_cndmask_b32_e64 v28, v26, v62, s[12:13]
	v_cndmask_b32_e64 v27, v25, v61, s[12:13]
	;; [unrolled: 1-line block ×4, first 2 shown]
	v_cmp_nlt_f64_e32 vcc, v[59:60], v[51:52]
	v_cndmask_b32_e64 v26, v32, v71, s[14:15]
	v_cndmask_b32_e64 v25, v31, v70, s[14:15]
	s_and_b64 s[14:15], s[12:13], s[14:15]
	v_cndmask_b32_e32 v62, v60, v52, vcc
	v_cndmask_b32_e32 v61, v59, v51, vcc
	v_cmp_nlt_f64_e64 s[10:11], v[61:62], v[55:56]
	v_cndmask_b32_e32 v32, v52, v60, vcc
	v_cndmask_b32_e32 v31, v51, v59, vcc
	v_cndmask_b32_e64 v60, v62, v56, s[10:11]
	v_cndmask_b32_e64 v59, v61, v55, s[10:11]
	v_cmp_nlt_f64_e64 s[12:13], v[59:60], v[53:54]
	v_cndmask_b32_e64 v52, v56, v62, s[10:11]
	v_cndmask_b32_e64 v51, v55, v61, s[10:11]
	s_and_b64 s[10:11], vcc, s[10:11]
	v_cndmask_b32_e64 v62, v60, v54, s[12:13]
	v_cndmask_b32_e64 v61, v59, v53, s[12:13]
	v_cmp_nlt_f64_e32 vcc, v[61:62], v[49:50]
	v_cndmask_b32_e64 v56, v54, v60, s[12:13]
	v_cndmask_b32_e64 v55, v53, v59, s[12:13]
	s_and_b64 s[12:13], s[10:11], s[12:13]
	v_cndmask_b32_e32 v60, v62, v50, vcc
	v_cndmask_b32_e32 v59, v61, v49, vcc
	v_cmp_nlt_f64_e64 s[10:11], v[59:60], v[47:48]
	v_cndmask_b32_e32 v54, v50, v62, vcc
	v_cndmask_b32_e32 v53, v49, v61, vcc
	s_and_b64 s[12:13], s[12:13], vcc
	v_cndmask_b32_e64 v62, v60, v48, s[10:11]
	v_cndmask_b32_e64 v61, v59, v47, s[10:11]
	v_cmp_nlt_f64_e32 vcc, v[61:62], v[29:30]
	v_cndmask_b32_e64 v50, v48, v60, s[10:11]
	v_cndmask_b32_e64 v49, v47, v59, s[10:11]
	s_and_b64 s[12:13], s[12:13], s[10:11]
	v_cndmask_b32_e32 v71, v62, v30, vcc
	v_cndmask_b32_e32 v70, v61, v29, vcc
	v_cmp_nlt_f64_e64 s[10:11], v[70:71], v[57:58]
	s_and_b64 s[12:13], s[12:13], vcc
	v_cndmask_b32_e32 v48, v30, v62, vcc
	v_cndmask_b32_e32 v47, v29, v61, vcc
	v_cndmask_b32_e64 v60, v71, v58, s[10:11]
	v_cndmask_b32_e64 v59, v70, v57, s[10:11]
	;; [unrolled: 1-line block ×4, first 2 shown]
	s_and_b64 s[10:11], s[12:13], s[10:11]
	s_and_b64 s[10:11], s[10:11], s[14:15]
	;; [unrolled: 1-line block ×3, first 2 shown]
	s_and_b64 s[10:11], exec, s[10:11]
	v_mov_b32_e32 v57, v59
	s_or_b64 s[48:49], s[10:11], s[48:49]
	v_mov_b32_e32 v58, v60
	s_andn2_b64 exec, exec, s[48:49]
	s_cbranch_execnz .LBB167_232
; %bb.233:                              ;   in Loop: Header=BB167_145 Depth=1
	s_or_b64 exec, exec, s[48:49]
	v_add_f64 v[1:2], v[1:2], -1.0
	s_mov_b32 s93, s27
	s_mov_b32 s82, s94
	;; [unrolled: 1-line block ×4, first 2 shown]
	v_cmp_class_f64_e64 s[48:49], v[15:16], s58
	v_cmp_class_f64_e64 s[50:51], v[13:14], s58
	v_add_f64 v[1:2], v[1:2], v[5:6]
	v_add_f64 v[1:2], v[1:2], v[27:28]
	v_add_f64 v[1:2], v[1:2], v[25:26]
	v_add_f64 v[1:2], v[1:2], v[31:32]
	v_add_f64 v[1:2], v[1:2], v[51:52]
	v_add_f64 v[1:2], v[1:2], v[55:56]
	v_add_f64 v[1:2], v[1:2], v[53:54]
	v_add_f64 v[1:2], v[1:2], v[49:50]
	v_add_f64 v[1:2], v[1:2], v[47:48]
	v_add_f64 v[1:2], v[1:2], v[29:30]
	v_add_f64 v[1:2], v[59:60], v[1:2]
	v_add_f64 v[5:6], v[1:2], 1.0
	v_cmp_nge_f64_e64 s[12:13], -1.0, v[1:2]
	v_cmp_neq_f64_e64 s[14:15], s[14:15], v[1:2]
	v_frexp_mant_f64_e32 v[27:28], v[5:6]
	v_frexp_exp_i32_f64_e32 v3, v[5:6]
	v_add_f64 v[25:26], v[5:6], -1.0
	v_cmp_gt_f64_e32 vcc, s[26:27], v[27:28]
	v_add_f64 v[29:30], v[25:26], -v[5:6]
	v_add_f64 v[25:26], v[1:2], -v[25:26]
	v_subbrev_co_u32_e32 v3, vcc, 0, v3, vcc
	v_sub_u32_e32 v7, 0, v3
	v_ldexp_f64 v[5:6], v[5:6], v7
	v_add_f64 v[27:28], v[29:30], 1.0
	v_add_f64 v[29:30], v[5:6], 1.0
	v_add_f64 v[25:26], v[25:26], v[27:28]
	v_add_f64 v[49:50], v[5:6], -1.0
	v_add_f64 v[27:28], v[29:30], -1.0
	v_ldexp_f64 v[25:26], v[25:26], v7
	v_add_f64 v[51:52], v[49:50], 1.0
	v_add_f64 v[27:28], v[5:6], -v[27:28]
	v_add_f64 v[5:6], v[5:6], -v[51:52]
	v_add_f64 v[27:28], v[25:26], v[27:28]
	v_add_f64 v[5:6], v[25:26], v[5:6]
	;; [unrolled: 1-line block ×4, first 2 shown]
	v_rcp_f64_e32 v[47:48], v[31:32]
	v_add_f64 v[29:30], v[31:32], -v[29:30]
	v_add_f64 v[49:50], v[51:52], -v[49:50]
	;; [unrolled: 1-line block ×4, first 2 shown]
	v_fma_f64 v[53:54], -v[31:32], v[47:48], 1.0
	v_fma_f64 v[47:48], v[53:54], v[47:48], v[47:48]
	v_fma_f64 v[25:26], -v[31:32], v[47:48], 1.0
	v_fma_f64 v[25:26], v[25:26], v[47:48], v[47:48]
	v_mul_f64 v[47:48], v[51:52], v[25:26]
	v_mul_f64 v[53:54], v[31:32], v[47:48]
	v_fma_f64 v[29:30], v[47:48], v[31:32], -v[53:54]
	v_fma_f64 v[29:30], v[47:48], v[27:28], v[29:30]
	v_add_f64 v[55:56], v[53:54], v[29:30]
	v_add_f64 v[57:58], v[51:52], -v[55:56]
	v_add_f64 v[49:50], v[55:56], -v[53:54]
	;; [unrolled: 1-line block ×4, first 2 shown]
	v_max_f64 v[49:50], |v[13:14]|, |v[13:14]|
	v_add_f64 v[51:52], v[51:52], -v[55:56]
	v_add_f64 v[5:6], v[5:6], v[51:52]
	v_add_f64 v[5:6], v[29:30], v[5:6]
	v_max_f64 v[29:30], |v[15:16]|, |v[15:16]|
	v_add_f64 v[51:52], v[57:58], v[5:6]
	v_max_f64 v[53:54], v[49:50], v[29:30]
	v_min_f64 v[29:30], v[49:50], v[29:30]
	v_mul_f64 v[49:50], v[25:26], v[51:52]
	v_add_f64 v[57:58], v[57:58], -v[51:52]
	v_div_scale_f64 v[55:56], s[10:11], v[53:54], v[53:54], v[29:30]
	s_mov_b32 s10, 0xb5e68a13
	s_mov_b32 s11, 0x3eeba404
	v_mul_f64 v[59:60], v[31:32], v[49:50]
	v_add_f64 v[5:6], v[5:6], v[57:58]
	v_fma_f64 v[31:32], v[49:50], v[31:32], -v[59:60]
	v_rcp_f64_e32 v[61:62], v[55:56]
	v_fma_f64 v[27:28], v[49:50], v[27:28], v[31:32]
	v_add_f64 v[31:32], v[59:60], v[27:28]
	v_fma_f64 v[70:71], -v[55:56], v[61:62], 1.0
	v_add_f64 v[72:73], v[51:52], -v[31:32]
	v_add_f64 v[57:58], v[31:32], -v[59:60]
	v_fma_f64 v[61:62], v[61:62], v[70:71], v[61:62]
	v_div_scale_f64 v[70:71], vcc, v[29:30], v[53:54], v[29:30]
	v_add_f64 v[51:52], v[51:52], -v[72:73]
	v_add_f64 v[27:28], v[57:58], -v[27:28]
	v_fma_f64 v[74:75], -v[55:56], v[61:62], 1.0
	v_add_f64 v[57:58], v[47:48], v[49:50]
	v_add_f64 v[31:32], v[51:52], -v[31:32]
	v_fma_f64 v[51:52], v[61:62], v[74:75], v[61:62]
	v_add_f64 v[47:48], v[57:58], -v[47:48]
	v_add_f64 v[5:6], v[5:6], v[31:32]
	v_mul_f64 v[31:32], v[70:71], v[51:52]
	v_add_f64 v[5:6], v[27:28], v[5:6]
	v_fma_f64 v[27:28], -v[55:56], v[31:32], v[70:71]
	v_add_f64 v[5:6], v[72:73], v[5:6]
	v_div_fmas_f64 v[27:28], v[27:28], v[51:52], v[31:32]
	v_add_f64 v[31:32], v[49:50], -v[47:48]
	v_cmp_gt_i32_e32 vcc, 0, v14
	v_cndmask_b32_e32 v13, v68, v69, vcc
	v_cndmask_b32_e32 v7, v66, v67, vcc
	v_bfi_b32 v13, s57, v13, v16
	v_mul_f64 v[5:6], v[25:26], v[5:6]
	v_add_f64 v[5:6], v[31:32], v[5:6]
	v_div_fixup_f64 v[25:26], v[27:28], v[53:54], v[29:30]
	v_cvt_f64_i32_e32 v[53:54], v3
	v_ashrrev_i32_e32 v3, 31, v14
	v_and_b32_e32 v14, 0x54442d18, v3
	v_and_b32_e32 v3, 0x400921fb, v3
	v_mul_f64 v[55:56], v[53:54], s[40:41]
	v_add_f64 v[27:28], v[57:58], v[5:6]
	v_mul_f64 v[29:30], v[25:26], v[25:26]
	v_mul_f64 v[31:32], v[27:28], v[27:28]
	v_fma_f64 v[47:48], v[29:30], s[10:11], v[37:38]
	s_mov_b32 s10, 0x69efb384
	s_mov_b32 s11, 0x3f4b2bb0
	v_fma_f64 v[49:50], v[31:32], s[28:29], v[35:36]
	v_mul_f64 v[51:52], v[27:28], v[31:32]
	v_fma_f64 v[47:48], v[29:30], v[47:48], s[10:11]
	s_mov_b32 s10, 0xaf56de9b
	s_mov_b32 s11, 0xbf67952d
	v_fma_f64 v[49:50], v[31:32], v[49:50], s[30:31]
	v_fma_f64 v[47:48], v[29:30], v[47:48], s[10:11]
	s_mov_b32 s10, 0xa595c56f
	s_mov_b32 s11, 0x3f7d6d43
	v_fma_f64 v[49:50], v[31:32], v[49:50], s[34:35]
	;; [unrolled: 4-line block ×5, first 2 shown]
	v_ldexp_f64 v[49:50], v[27:28], 1
	v_fma_f64 v[47:48], v[29:30], v[47:48], s[10:11]
	s_mov_b32 s10, 0x5711927a
	s_mov_b32 s11, 0x3fa2c15b
	v_add_f64 v[27:28], v[27:28], -v[57:58]
	v_mul_f64 v[31:32], v[51:52], v[31:32]
	v_fma_f64 v[47:48], v[29:30], v[47:48], s[10:11]
	v_cmp_eq_f64_e64 s[10:11], 0, v[15:16]
	v_add_f64 v[5:6], v[5:6], -v[27:28]
	v_add_f64 v[51:52], v[49:50], v[31:32]
	v_fma_f64 v[47:48], v[29:30], v[47:48], s[60:61]
	v_ldexp_f64 v[5:6], v[5:6], 1
	v_add_f64 v[27:28], v[51:52], -v[49:50]
	v_fma_f64 v[49:50], v[53:54], s[40:41], -v[55:56]
	v_fma_f64 v[47:48], v[29:30], v[47:48], s[62:63]
	v_add_f64 v[27:28], v[31:32], -v[27:28]
	v_fma_f64 v[31:32], v[29:30], v[47:48], s[64:65]
	v_fma_f64 v[47:48], v[53:54], s[42:43], v[49:50]
	v_add_f64 v[5:6], v[5:6], v[27:28]
	v_fma_f64 v[27:28], v[29:30], v[31:32], s[66:67]
	v_add_f64 v[31:32], v[55:56], v[47:48]
	v_add_f64 v[49:50], v[51:52], v[5:6]
	v_fma_f64 v[27:28], v[29:30], v[27:28], s[68:69]
	v_add_f64 v[55:56], v[31:32], -v[55:56]
	v_add_f64 v[53:54], v[31:32], v[49:50]
	v_add_f64 v[51:52], v[49:50], -v[51:52]
	v_fma_f64 v[27:28], v[29:30], v[27:28], s[70:71]
	v_add_f64 v[47:48], v[47:48], -v[55:56]
	v_add_f64 v[57:58], v[53:54], -v[31:32]
	;; [unrolled: 1-line block ×3, first 2 shown]
	v_fma_f64 v[27:28], v[29:30], v[27:28], s[72:73]
	v_add_f64 v[59:60], v[53:54], -v[57:58]
	v_add_f64 v[49:50], v[49:50], -v[57:58]
	v_fma_f64 v[27:28], v[29:30], v[27:28], s[74:75]
	v_add_f64 v[51:52], v[47:48], v[5:6]
	v_add_f64 v[31:32], v[31:32], -v[59:60]
	v_fma_f64 v[27:28], v[29:30], v[27:28], s[76:77]
	v_add_f64 v[31:32], v[49:50], v[31:32]
	;; [unrolled: 3-line block ×3, first 2 shown]
	v_add_f64 v[51:52], v[51:52], -v[49:50]
	v_fma_f64 v[27:28], v[29:30], v[27:28], s[80:81]
	v_add_f64 v[5:6], v[5:6], -v[49:50]
	v_add_f64 v[55:56], v[53:54], v[31:32]
	v_mul_f64 v[27:28], v[29:30], v[27:28]
	v_add_f64 v[29:30], v[47:48], -v[51:52]
	v_add_f64 v[47:48], v[55:56], -v[53:54]
	v_fma_f64 v[25:26], v[25:26], v[27:28], v[25:26]
	v_add_f64 v[5:6], v[5:6], v[29:30]
	v_add_f64 v[27:28], v[31:32], -v[47:48]
	v_add_f64 v[29:30], -v[25:26], s[94:95]
	v_add_f64 v[5:6], v[5:6], v[27:28]
	v_cndmask_b32_e64 v26, v26, v30, s[8:9]
	v_cndmask_b32_e64 v25, v25, v29, s[8:9]
	v_add_f64 v[27:28], -v[25:26], s[82:83]
	v_add_f64 v[5:6], v[55:56], v[5:6]
	v_cndmask_b32_e32 v25, v25, v27, vcc
	v_cndmask_b32_e32 v26, v26, v28, vcc
	v_cndmask_b32_e64 v14, v25, v14, s[10:11]
	v_cndmask_b32_e64 v3, v26, v3, s[10:11]
	v_mul_f64 v[5:6], v[5:6], 0.5
	s_and_b64 s[10:11], s[12:13], s[14:15]
	s_and_b64 vcc, s[48:49], s[50:51]
	v_cndmask_b32_e32 v28, v3, v13, vcc
	s_mov_b32 s48, 0x69efb384
	s_mov_b32 s50, 0xb5e68a13
	;; [unrolled: 1-line block ×4, first 2 shown]
	v_cndmask_b32_e64 v25, 0, v5, s[10:11]
	v_cmp_ngt_f64_e64 s[10:11], -1.0, v[1:2]
	v_cndmask_b32_e64 v3, v63, v6, s[14:15]
	v_cndmask_b32_e32 v27, v14, v7, vcc
	v_cndmask_b32_e64 v3, v64, v3, s[10:11]
	v_cmp_neq_f64_e64 s[10:11], -1.0, v[1:2]
	v_cndmask_b32_e64 v26, v65, v3, s[10:11]
.LBB167_234:                            ;   in Loop: Header=BB167_145 Depth=1
	s_or_b64 exec, exec, s[46:47]
.LBB167_235:                            ;   in Loop: Header=BB167_145 Depth=1
	s_or_b64 exec, exec, s[44:45]
.LBB167_236:                            ;   in Loop: Header=BB167_145 Depth=1
	s_andn2_saveexec_b64 s[14:15], s[86:87]
	s_cbranch_execz .LBB167_238
; %bb.237:                              ;   in Loop: Header=BB167_145 Depth=1
	v_max_f64 v[5:6], |v[15:16]|, |v[15:16]|
	v_max_f64 v[25:26], |v[13:14]|, |v[13:14]|
	v_cmp_class_f64_e64 s[44:45], v[13:14], s58
	v_cmp_class_f64_e64 s[46:47], v[15:16], s58
	s_mov_b32 s93, s27
	s_mov_b32 s82, s94
	v_max_f64 v[27:28], v[25:26], v[5:6]
	v_min_f64 v[5:6], v[25:26], v[5:6]
	v_frexp_exp_i32_f64_e32 v3, v[27:28]
	v_sub_u32_e32 v7, 0, v3
	v_ldexp_f64 v[1:2], |v[15:16]|, v7
	v_ldexp_f64 v[29:30], |v[13:14]|, v7
	v_mul_f64 v[1:2], v[1:2], v[1:2]
	v_fma_f64 v[1:2], v[29:30], v[29:30], v[1:2]
	v_rsq_f64_e32 v[29:30], v[1:2]
	v_cmp_eq_f64_e32 vcc, 0, v[1:2]
	v_mul_f64 v[31:32], v[1:2], v[29:30]
	v_mul_f64 v[29:30], v[29:30], 0.5
	v_fma_f64 v[47:48], -v[29:30], v[31:32], 0.5
	v_fma_f64 v[31:32], v[31:32], v[47:48], v[31:32]
	v_fma_f64 v[29:30], v[29:30], v[47:48], v[29:30]
	v_fma_f64 v[47:48], -v[31:32], v[31:32], v[1:2]
	v_fma_f64 v[29:30], v[47:48], v[29:30], v[31:32]
	v_cndmask_b32_e32 v2, v30, v2, vcc
	v_cndmask_b32_e32 v1, v29, v1, vcc
	v_ldexp_f64 v[1:2], v[1:2], v3
	s_or_b64 vcc, s[46:47], s[44:45]
	v_cndmask_b32_e32 v2, v2, v63, vcc
	v_cndmask_b32_e64 v1, v1, 0, vcc
	v_frexp_mant_f64_e32 v[29:30], v[1:2]
	v_cmp_gt_f64_e64 s[10:11], s[26:27], v[29:30]
	v_cndmask_b32_e64 v3, 0, 1, s[10:11]
	v_ldexp_f64 v[29:30], v[29:30], v3
	v_frexp_exp_i32_f64_e32 v3, v[1:2]
	v_add_f64 v[31:32], v[29:30], 1.0
	v_add_f64 v[51:52], v[29:30], -1.0
	v_rcp_f64_e32 v[47:48], v[31:32]
	v_add_f64 v[55:56], v[31:32], -1.0
	v_add_f64 v[29:30], v[29:30], -v[55:56]
	v_fma_f64 v[49:50], -v[31:32], v[47:48], 1.0
	v_fma_f64 v[25:26], v[49:50], v[47:48], v[47:48]
	v_div_scale_f64 v[47:48], s[12:13], v[27:28], v[27:28], v[5:6]
	s_mov_b32 s12, 0xaf56de9b
	s_mov_b32 s13, 0xbf67952d
	v_fma_f64 v[49:50], -v[31:32], v[25:26], 1.0
	v_fma_f64 v[25:26], v[49:50], v[25:26], v[25:26]
	v_rcp_f64_e32 v[49:50], v[47:48]
	v_mul_f64 v[53:54], v[51:52], v[25:26]
	v_mul_f64 v[57:58], v[31:32], v[53:54]
	v_fma_f64 v[59:60], -v[47:48], v[49:50], 1.0
	v_fma_f64 v[31:32], v[53:54], v[31:32], -v[57:58]
	v_fma_f64 v[49:50], v[49:50], v[59:60], v[49:50]
	v_fma_f64 v[29:30], v[53:54], v[29:30], v[31:32]
	v_div_scale_f64 v[31:32], vcc, v[5:6], v[27:28], v[5:6]
	v_fma_f64 v[55:56], -v[47:48], v[49:50], 1.0
	v_add_f64 v[59:60], v[57:58], v[29:30]
	v_fma_f64 v[49:50], v[49:50], v[55:56], v[49:50]
	v_add_f64 v[55:56], v[51:52], -v[59:60]
	v_add_f64 v[57:58], v[59:60], -v[57:58]
	v_mul_f64 v[61:62], v[31:32], v[49:50]
	v_add_f64 v[51:52], v[51:52], -v[55:56]
	v_add_f64 v[29:30], v[57:58], -v[29:30]
	v_fma_f64 v[31:32], -v[47:48], v[61:62], v[31:32]
	v_add_f64 v[47:48], v[51:52], -v[59:60]
	v_div_fmas_f64 v[31:32], v[31:32], v[49:50], v[61:62]
	v_subbrev_co_u32_e64 v3, vcc, 0, v3, s[10:11]
	v_cmp_eq_f64_e64 s[10:11], 0, v[15:16]
	v_cmp_gt_i32_e32 vcc, 0, v14
	v_add_f64 v[29:30], v[29:30], v[47:48]
	v_cndmask_b32_e32 v7, v66, v67, vcc
	v_add_f64 v[29:30], v[55:56], v[29:30]
	v_div_fixup_f64 v[5:6], v[31:32], v[27:28], v[5:6]
	v_mul_f64 v[25:26], v[25:26], v[29:30]
	v_mul_f64 v[27:28], v[5:6], v[5:6]
	v_add_f64 v[29:30], v[53:54], v[25:26]
	v_fma_f64 v[31:32], v[27:28], s[50:51], v[37:38]
	v_mul_f64 v[47:48], v[29:30], v[29:30]
	v_fma_f64 v[31:32], v[27:28], v[31:32], s[48:49]
	v_fma_f64 v[49:50], v[47:48], s[28:29], v[35:36]
	v_mul_f64 v[51:52], v[29:30], v[47:48]
	v_fma_f64 v[31:32], v[27:28], v[31:32], s[12:13]
	s_mov_b32 s12, 0xa595c56f
	s_mov_b32 s13, 0x3f7d6d43
	v_fma_f64 v[49:50], v[47:48], v[49:50], s[30:31]
	v_fma_f64 v[31:32], v[27:28], v[31:32], s[12:13]
	s_mov_b32 s12, 0xa57d9582
	s_mov_b32 s13, 0xbf8c6ea4
	v_fma_f64 v[49:50], v[47:48], v[49:50], s[34:35]
	;; [unrolled: 4-line block ×5, first 2 shown]
	v_ldexp_f64 v[49:50], v[29:30], 1
	v_add_f64 v[29:30], v[29:30], -v[53:54]
	v_fma_f64 v[31:32], v[27:28], v[31:32], s[12:13]
	v_cvt_f64_i32_e32 v[53:54], v3
	v_ashrrev_i32_e32 v3, 31, v14
	v_cmp_class_f64_e64 s[12:13], v[1:2], s58
	v_mul_f64 v[47:48], v[51:52], v[47:48]
	v_mul_f64 v[55:56], v[53:54], s[40:41]
	v_add_f64 v[25:26], v[25:26], -v[29:30]
	v_fma_f64 v[31:32], v[27:28], v[31:32], s[60:61]
	v_add_f64 v[51:52], v[49:50], v[47:48]
	v_ldexp_f64 v[25:26], v[25:26], 1
	v_fma_f64 v[31:32], v[27:28], v[31:32], s[62:63]
	v_add_f64 v[29:30], v[51:52], -v[49:50]
	v_fma_f64 v[49:50], v[53:54], s[40:41], -v[55:56]
	v_fma_f64 v[31:32], v[27:28], v[31:32], s[64:65]
	v_add_f64 v[29:30], v[47:48], -v[29:30]
	v_fma_f64 v[47:48], v[53:54], s[42:43], v[49:50]
	v_fma_f64 v[31:32], v[27:28], v[31:32], s[66:67]
	v_add_f64 v[25:26], v[25:26], v[29:30]
	v_fma_f64 v[29:30], v[27:28], v[31:32], s[68:69]
	v_add_f64 v[31:32], v[55:56], v[47:48]
	v_add_f64 v[49:50], v[51:52], v[25:26]
	v_fma_f64 v[29:30], v[27:28], v[29:30], s[70:71]
	v_add_f64 v[55:56], v[31:32], -v[55:56]
	v_add_f64 v[53:54], v[31:32], v[49:50]
	v_add_f64 v[51:52], v[49:50], -v[51:52]
	v_fma_f64 v[29:30], v[27:28], v[29:30], s[72:73]
	v_add_f64 v[47:48], v[47:48], -v[55:56]
	v_add_f64 v[57:58], v[53:54], -v[31:32]
	;; [unrolled: 1-line block ×3, first 2 shown]
	v_fma_f64 v[29:30], v[27:28], v[29:30], s[74:75]
	v_add_f64 v[59:60], v[53:54], -v[57:58]
	v_add_f64 v[49:50], v[49:50], -v[57:58]
	v_add_f64 v[51:52], v[47:48], v[25:26]
	v_fma_f64 v[29:30], v[27:28], v[29:30], s[76:77]
	v_add_f64 v[31:32], v[31:32], -v[59:60]
	v_fma_f64 v[29:30], v[27:28], v[29:30], s[78:79]
	v_add_f64 v[31:32], v[49:50], v[31:32]
	v_add_f64 v[49:50], v[51:52], -v[47:48]
	v_fma_f64 v[29:30], v[27:28], v[29:30], s[80:81]
	v_add_f64 v[31:32], v[51:52], v[31:32]
	v_add_f64 v[25:26], v[25:26], -v[49:50]
	v_mul_f64 v[27:28], v[27:28], v[29:30]
	v_add_f64 v[29:30], v[51:52], -v[49:50]
	v_add_f64 v[51:52], v[53:54], v[31:32]
	v_fma_f64 v[5:6], v[5:6], v[27:28], v[5:6]
	v_add_f64 v[27:28], v[47:48], -v[29:30]
	v_add_f64 v[29:30], v[51:52], -v[53:54]
	v_add_f64 v[47:48], -v[5:6], s[94:95]
	v_add_f64 v[25:26], v[25:26], v[27:28]
	v_add_f64 v[27:28], v[31:32], -v[29:30]
	v_cndmask_b32_e64 v6, v6, v48, s[8:9]
	v_cndmask_b32_e64 v5, v5, v47, s[8:9]
	v_add_f64 v[29:30], -v[5:6], s[82:83]
	v_add_f64 v[25:26], v[25:26], v[27:28]
	v_and_b32_e32 v27, 0x54442d18, v3
	v_and_b32_e32 v3, 0x400921fb, v3
	v_cndmask_b32_e32 v28, v68, v69, vcc
	v_cndmask_b32_e32 v5, v5, v29, vcc
	;; [unrolled: 1-line block ×3, first 2 shown]
	v_cndmask_b32_e64 v5, v5, v27, s[10:11]
	v_add_f64 v[13:14], v[51:52], v[25:26]
	v_cndmask_b32_e64 v3, v6, v3, s[10:11]
	v_cmp_ngt_f64_e64 s[10:11], 0, v[1:2]
	v_bfi_b32 v25, s57, v28, v16
	s_and_b64 vcc, s[46:47], s[44:45]
	v_cndmask_b32_e32 v28, v3, v25, vcc
	v_cndmask_b32_e32 v27, v5, v7, vcc
	v_cndmask_b32_e64 v6, v14, v2, s[12:13]
	v_cndmask_b32_e64 v3, v13, v1, s[12:13]
	;; [unrolled: 1-line block ×3, first 2 shown]
	v_cmp_nge_f64_e64 s[10:11], 0, v[1:2]
	v_cndmask_b32_e64 v25, 0, v3, s[10:11]
	v_cmp_neq_f64_e64 s[10:11], 0, v[1:2]
	v_cndmask_b32_e64 v26, v65, v6, s[10:11]
.LBB167_238:                            ;   in Loop: Header=BB167_145 Depth=1
	s_or_b64 exec, exec, s[14:15]
                                        ; implicit-def: $vgpr5_vgpr6
.LBB167_239:                            ;   in Loop: Header=BB167_145 Depth=1
	s_andn2_saveexec_b64 s[14:15], s[20:21]
	s_cbranch_execz .LBB167_245
; %bb.240:                              ;   in Loop: Header=BB167_145 Depth=1
	s_mov_b32 s10, 0x6a3f9475
	s_mov_b32 s11, 0x20ca2fe7
	v_cmp_ngt_f64_e32 vcc, s[10:11], v[5:6]
                                        ; implicit-def: $vgpr25_vgpr26
	s_and_saveexec_b64 s[10:11], vcc
	s_xor_b64 s[20:21], exec, s[10:11]
	s_cbranch_execz .LBB167_242
; %bb.241:                              ;   in Loop: Header=BB167_145 Depth=1
	v_mul_f64 v[1:2], v[5:6], v[5:6]
	s_mov_b32 s93, s27
	s_mov_b32 s82, s94
	;; [unrolled: 1-line block ×3, first 2 shown]
	v_cmp_class_f64_e64 s[44:45], v[15:16], s58
	v_cmp_class_f64_e64 s[46:47], v[13:14], s58
	s_mov_b32 s13, 0x7ff00000
	v_add_f64 v[5:6], v[1:2], 1.0
	v_cmp_neq_f64_e64 s[12:13], s[12:13], v[1:2]
	v_frexp_mant_f64_e32 v[27:28], v[5:6]
	v_frexp_exp_i32_f64_e32 v3, v[5:6]
	v_add_f64 v[25:26], v[5:6], -1.0
	v_cmp_gt_f64_e32 vcc, s[26:27], v[27:28]
	v_add_f64 v[29:30], v[25:26], -v[5:6]
	v_add_f64 v[25:26], v[1:2], -v[25:26]
	v_subbrev_co_u32_e32 v3, vcc, 0, v3, vcc
	v_sub_u32_e32 v7, 0, v3
	v_ldexp_f64 v[5:6], v[5:6], v7
	v_add_f64 v[27:28], v[29:30], 1.0
	v_add_f64 v[29:30], v[5:6], 1.0
	v_add_f64 v[25:26], v[25:26], v[27:28]
	v_add_f64 v[49:50], v[5:6], -1.0
	v_add_f64 v[27:28], v[29:30], -1.0
	v_ldexp_f64 v[25:26], v[25:26], v7
	v_add_f64 v[51:52], v[49:50], 1.0
	v_add_f64 v[27:28], v[5:6], -v[27:28]
	v_add_f64 v[5:6], v[5:6], -v[51:52]
	v_add_f64 v[27:28], v[25:26], v[27:28]
	v_add_f64 v[5:6], v[25:26], v[5:6]
	v_add_f64 v[31:32], v[29:30], v[27:28]
	v_add_f64 v[51:52], v[49:50], v[5:6]
	v_rcp_f64_e32 v[47:48], v[31:32]
	v_add_f64 v[29:30], v[29:30], -v[31:32]
	v_add_f64 v[49:50], v[49:50], -v[51:52]
	v_add_f64 v[27:28], v[27:28], v[29:30]
	v_add_f64 v[5:6], v[5:6], v[49:50]
	v_fma_f64 v[53:54], -v[31:32], v[47:48], 1.0
	v_fma_f64 v[47:48], v[53:54], v[47:48], v[47:48]
	v_fma_f64 v[25:26], -v[31:32], v[47:48], 1.0
	v_fma_f64 v[25:26], v[25:26], v[47:48], v[47:48]
	v_mul_f64 v[47:48], v[51:52], v[25:26]
	v_mul_f64 v[53:54], v[31:32], v[47:48]
	v_fma_f64 v[29:30], v[47:48], v[31:32], -v[53:54]
	v_fma_f64 v[29:30], v[47:48], v[27:28], v[29:30]
	v_add_f64 v[55:56], v[53:54], v[29:30]
	v_add_f64 v[57:58], v[51:52], -v[55:56]
	v_add_f64 v[49:50], v[55:56], -v[53:54]
	;; [unrolled: 1-line block ×4, first 2 shown]
	v_max_f64 v[49:50], |v[13:14]|, |v[13:14]|
	v_add_f64 v[51:52], v[51:52], -v[55:56]
	v_add_f64 v[5:6], v[5:6], v[51:52]
	v_add_f64 v[5:6], v[29:30], v[5:6]
	v_max_f64 v[29:30], |v[15:16]|, |v[15:16]|
	v_add_f64 v[51:52], v[57:58], v[5:6]
	v_max_f64 v[53:54], v[49:50], v[29:30]
	v_min_f64 v[29:30], v[49:50], v[29:30]
	v_mul_f64 v[49:50], v[25:26], v[51:52]
	v_add_f64 v[57:58], v[57:58], -v[51:52]
	v_div_scale_f64 v[55:56], s[10:11], v[53:54], v[53:54], v[29:30]
	s_mov_b32 s10, 0xaf56de9b
	s_mov_b32 s11, 0xbf67952d
	v_mul_f64 v[59:60], v[31:32], v[49:50]
	v_add_f64 v[5:6], v[5:6], v[57:58]
	v_fma_f64 v[31:32], v[49:50], v[31:32], -v[59:60]
	v_rcp_f64_e32 v[61:62], v[55:56]
	v_fma_f64 v[27:28], v[49:50], v[27:28], v[31:32]
	v_add_f64 v[31:32], v[59:60], v[27:28]
	v_fma_f64 v[70:71], -v[55:56], v[61:62], 1.0
	v_add_f64 v[72:73], v[51:52], -v[31:32]
	v_add_f64 v[57:58], v[31:32], -v[59:60]
	v_fma_f64 v[61:62], v[61:62], v[70:71], v[61:62]
	v_div_scale_f64 v[70:71], vcc, v[29:30], v[53:54], v[29:30]
	v_add_f64 v[51:52], v[51:52], -v[72:73]
	v_add_f64 v[27:28], v[57:58], -v[27:28]
	v_fma_f64 v[74:75], -v[55:56], v[61:62], 1.0
	v_add_f64 v[57:58], v[47:48], v[49:50]
	v_add_f64 v[31:32], v[51:52], -v[31:32]
	v_fma_f64 v[51:52], v[61:62], v[74:75], v[61:62]
	v_add_f64 v[47:48], v[57:58], -v[47:48]
	v_add_f64 v[5:6], v[5:6], v[31:32]
	v_mul_f64 v[31:32], v[70:71], v[51:52]
	v_add_f64 v[5:6], v[27:28], v[5:6]
	v_fma_f64 v[27:28], -v[55:56], v[31:32], v[70:71]
	v_add_f64 v[5:6], v[72:73], v[5:6]
	v_div_fmas_f64 v[27:28], v[27:28], v[51:52], v[31:32]
	v_add_f64 v[31:32], v[49:50], -v[47:48]
	v_cmp_gt_i32_e32 vcc, 0, v14
	v_cndmask_b32_e32 v7, v66, v67, vcc
	v_mul_f64 v[5:6], v[25:26], v[5:6]
	v_add_f64 v[5:6], v[31:32], v[5:6]
	v_div_fixup_f64 v[25:26], v[27:28], v[53:54], v[29:30]
	v_cvt_f64_i32_e32 v[53:54], v3
	v_ashrrev_i32_e32 v3, 31, v14
	v_and_b32_e32 v13, 0x54442d18, v3
	v_and_b32_e32 v3, 0x400921fb, v3
	v_mul_f64 v[55:56], v[53:54], s[40:41]
	v_add_f64 v[27:28], v[57:58], v[5:6]
	v_mul_f64 v[29:30], v[25:26], v[25:26]
	v_mul_f64 v[31:32], v[27:28], v[27:28]
	v_fma_f64 v[47:48], v[29:30], s[50:51], v[37:38]
	v_fma_f64 v[49:50], v[31:32], s[28:29], v[35:36]
	v_mul_f64 v[51:52], v[27:28], v[31:32]
	v_fma_f64 v[47:48], v[29:30], v[47:48], s[48:49]
	v_fma_f64 v[49:50], v[31:32], v[49:50], s[30:31]
	;; [unrolled: 1-line block ×3, first 2 shown]
	s_mov_b32 s10, 0xa595c56f
	s_mov_b32 s11, 0x3f7d6d43
	v_fma_f64 v[49:50], v[31:32], v[49:50], s[34:35]
	v_fma_f64 v[47:48], v[29:30], v[47:48], s[10:11]
	s_mov_b32 s10, 0xa57d9582
	s_mov_b32 s11, 0xbf8c6ea4
	v_fma_f64 v[49:50], v[31:32], v[49:50], s[36:37]
	v_fma_f64 v[47:48], v[29:30], v[47:48], s[10:11]
	;; [unrolled: 4-line block ×3, first 2 shown]
	s_mov_b32 s10, 0xfc27006a
	s_mov_b32 s11, 0xbf9e9ae6
	v_fma_f64 v[31:32], v[31:32], v[49:50], s[92:93]
	v_ldexp_f64 v[49:50], v[27:28], 1
	v_fma_f64 v[47:48], v[29:30], v[47:48], s[10:11]
	s_mov_b32 s10, 0x5711927a
	s_mov_b32 s11, 0x3fa2c15b
	v_add_f64 v[27:28], v[27:28], -v[57:58]
	v_mul_f64 v[31:32], v[51:52], v[31:32]
	v_fma_f64 v[47:48], v[29:30], v[47:48], s[10:11]
	v_cmp_eq_f64_e64 s[10:11], 0, v[15:16]
	v_add_f64 v[5:6], v[5:6], -v[27:28]
	v_add_f64 v[51:52], v[49:50], v[31:32]
	v_fma_f64 v[47:48], v[29:30], v[47:48], s[60:61]
	v_ldexp_f64 v[5:6], v[5:6], 1
	v_add_f64 v[27:28], v[51:52], -v[49:50]
	v_fma_f64 v[49:50], v[53:54], s[40:41], -v[55:56]
	v_fma_f64 v[47:48], v[29:30], v[47:48], s[62:63]
	v_add_f64 v[27:28], v[31:32], -v[27:28]
	v_fma_f64 v[31:32], v[29:30], v[47:48], s[64:65]
	v_fma_f64 v[47:48], v[53:54], s[42:43], v[49:50]
	v_add_f64 v[5:6], v[5:6], v[27:28]
	v_fma_f64 v[27:28], v[29:30], v[31:32], s[66:67]
	v_add_f64 v[31:32], v[55:56], v[47:48]
	v_add_f64 v[49:50], v[51:52], v[5:6]
	v_fma_f64 v[27:28], v[29:30], v[27:28], s[68:69]
	v_add_f64 v[55:56], v[31:32], -v[55:56]
	v_add_f64 v[53:54], v[31:32], v[49:50]
	v_add_f64 v[51:52], v[49:50], -v[51:52]
	v_fma_f64 v[27:28], v[29:30], v[27:28], s[70:71]
	v_add_f64 v[47:48], v[47:48], -v[55:56]
	v_add_f64 v[57:58], v[53:54], -v[31:32]
	;; [unrolled: 1-line block ×3, first 2 shown]
	v_fma_f64 v[27:28], v[29:30], v[27:28], s[72:73]
	v_add_f64 v[59:60], v[53:54], -v[57:58]
	v_add_f64 v[49:50], v[49:50], -v[57:58]
	v_fma_f64 v[27:28], v[29:30], v[27:28], s[74:75]
	v_add_f64 v[51:52], v[47:48], v[5:6]
	v_add_f64 v[31:32], v[31:32], -v[59:60]
	v_fma_f64 v[27:28], v[29:30], v[27:28], s[76:77]
	v_add_f64 v[31:32], v[49:50], v[31:32]
	;; [unrolled: 3-line block ×3, first 2 shown]
	v_add_f64 v[51:52], v[51:52], -v[49:50]
	v_fma_f64 v[27:28], v[29:30], v[27:28], s[80:81]
	v_add_f64 v[5:6], v[5:6], -v[49:50]
	v_add_f64 v[55:56], v[53:54], v[31:32]
	v_mul_f64 v[27:28], v[29:30], v[27:28]
	v_add_f64 v[29:30], v[47:48], -v[51:52]
	v_add_f64 v[47:48], v[55:56], -v[53:54]
	v_fma_f64 v[25:26], v[25:26], v[27:28], v[25:26]
	v_add_f64 v[5:6], v[5:6], v[29:30]
	v_add_f64 v[27:28], v[31:32], -v[47:48]
	v_add_f64 v[29:30], -v[25:26], s[94:95]
	v_add_f64 v[5:6], v[5:6], v[27:28]
	v_cndmask_b32_e64 v26, v26, v30, s[8:9]
	v_cndmask_b32_e64 v25, v25, v29, s[8:9]
	v_add_f64 v[27:28], -v[25:26], s[82:83]
	v_add_f64 v[5:6], v[55:56], v[5:6]
	v_cndmask_b32_e32 v14, v25, v27, vcc
	v_cndmask_b32_e32 v25, v68, v69, vcc
	;; [unrolled: 1-line block ×3, first 2 shown]
	v_bfi_b32 v1, s57, v25, v16
	v_mul_f64 v[5:6], v[5:6], 0.5
	v_cndmask_b32_e64 v13, v14, v13, s[10:11]
	v_cndmask_b32_e64 v2, v2, v3, s[10:11]
	s_and_b64 vcc, s[44:45], s[46:47]
	v_cndmask_b32_e32 v28, v2, v1, vcc
	v_cndmask_b32_e32 v27, v13, v7, vcc
	v_cndmask_b32_e64 v26, v63, v6, s[12:13]
	v_cndmask_b32_e64 v25, 0, v5, s[12:13]
                                        ; implicit-def: $vgpr5_vgpr6
.LBB167_242:                            ;   in Loop: Header=BB167_145 Depth=1
	s_andn2_saveexec_b64 s[12:13], s[20:21]
	s_cbranch_execz .LBB167_244
; %bb.243:                              ;   in Loop: Header=BB167_145 Depth=1
	v_max_f64 v[1:2], |v[15:16]|, |v[15:16]|
	v_max_f64 v[25:26], |v[13:14]|, |v[13:14]|
	s_mov_b32 s82, s94
	v_cmp_class_f64_e64 s[20:21], v[15:16], s58
	v_cmp_class_f64_e64 s[44:45], v[13:14], s58
	v_ashrrev_i32_e32 v3, 31, v14
	v_max_f64 v[27:28], v[25:26], v[1:2]
	v_min_f64 v[1:2], v[25:26], v[1:2]
	v_div_scale_f64 v[25:26], s[10:11], v[27:28], v[27:28], v[1:2]
	s_mov_b32 s10, 0xaf56de9b
	s_mov_b32 s11, 0xbf67952d
	v_rcp_f64_e32 v[29:30], v[25:26]
	v_fma_f64 v[31:32], -v[25:26], v[29:30], 1.0
	v_fma_f64 v[29:30], v[29:30], v[31:32], v[29:30]
	v_div_scale_f64 v[31:32], vcc, v[1:2], v[27:28], v[1:2]
	v_fma_f64 v[47:48], -v[25:26], v[29:30], 1.0
	v_fma_f64 v[29:30], v[29:30], v[47:48], v[29:30]
	v_mul_f64 v[47:48], v[31:32], v[29:30]
	v_fma_f64 v[25:26], -v[25:26], v[47:48], v[31:32]
	v_div_fmas_f64 v[25:26], v[25:26], v[29:30], v[47:48]
	v_cmp_gt_i32_e32 vcc, 0, v14
	v_and_b32_e32 v30, 0x54442d18, v3
	v_cndmask_b32_e32 v13, v68, v69, vcc
	v_and_b32_e32 v3, 0x400921fb, v3
	v_cndmask_b32_e32 v7, v66, v67, vcc
	v_div_fixup_f64 v[1:2], v[25:26], v[27:28], v[1:2]
	v_mul_f64 v[25:26], v[1:2], v[1:2]
	v_fma_f64 v[27:28], v[25:26], s[50:51], v[37:38]
	v_fma_f64 v[27:28], v[25:26], v[27:28], s[48:49]
	;; [unrolled: 1-line block ×3, first 2 shown]
	s_mov_b32 s10, 0xa595c56f
	s_mov_b32 s11, 0x3f7d6d43
	v_fma_f64 v[27:28], v[25:26], v[27:28], s[10:11]
	s_mov_b32 s10, 0xa57d9582
	s_mov_b32 s11, 0xbf8c6ea4
	v_fma_f64 v[27:28], v[25:26], v[27:28], s[10:11]
	;; [unrolled: 3-line block ×5, first 2 shown]
	v_cmp_eq_f64_e64 s[10:11], 0, v[15:16]
	v_fma_f64 v[27:28], v[25:26], v[27:28], s[60:61]
	v_fma_f64 v[27:28], v[25:26], v[27:28], s[62:63]
	;; [unrolled: 1-line block ×11, first 2 shown]
	v_mul_f64 v[25:26], v[25:26], v[27:28]
	v_mul_f64 v[28:29], v[5:6], 0.5
	v_fma_f64 v[1:2], v[1:2], v[25:26], v[1:2]
	v_add_f64 v[25:26], -v[1:2], s[94:95]
	v_cndmask_b32_e64 v2, v2, v26, s[8:9]
	v_cndmask_b32_e64 v1, v1, v25, s[8:9]
	v_add_f64 v[26:27], -v[1:2], s[82:83]
	v_cndmask_b32_e32 v1, v1, v26, vcc
	v_mul_f64 v[25:26], v[5:6], v[28:29]
	v_cndmask_b32_e32 v2, v2, v27, vcc
	v_bfi_b32 v5, s57, v13, v16
	v_cndmask_b32_e64 v1, v1, v30, s[10:11]
	v_cndmask_b32_e64 v2, v2, v3, s[10:11]
	s_and_b64 vcc, s[20:21], s[44:45]
	v_cndmask_b32_e32 v28, v2, v5, vcc
	v_cndmask_b32_e32 v27, v1, v7, vcc
.LBB167_244:                            ;   in Loop: Header=BB167_145 Depth=1
	s_or_b64 exec, exec, s[12:13]
.LBB167_245:                            ;   in Loop: Header=BB167_145 Depth=1
	s_or_b64 exec, exec, s[14:15]
.LBB167_246:                            ;   in Loop: Header=BB167_145 Depth=1
	s_andn2_saveexec_b64 s[12:13], s[24:25]
	s_cbranch_execz .LBB167_248
; %bb.247:                              ;   in Loop: Header=BB167_145 Depth=1
	v_div_scale_f64 v[1:2], s[10:11], s[88:89], s[88:89], v[13:14]
	v_div_scale_f64 v[5:6], s[10:11], s[88:89], s[88:89], v[15:16]
	;; [unrolled: 1-line block ×3, first 2 shown]
	s_mov_b32 s93, s27
	s_mov_b32 s82, s94
	v_cmp_class_f64_e64 s[20:21], v[13:14], s58
	v_rcp_f64_e32 v[25:26], v[1:2]
	v_rcp_f64_e32 v[27:28], v[5:6]
	v_fma_f64 v[29:30], -v[1:2], v[25:26], 1.0
	v_fma_f64 v[31:32], -v[5:6], v[27:28], 1.0
	v_fma_f64 v[25:26], v[25:26], v[29:30], v[25:26]
	v_div_scale_f64 v[29:30], vcc, v[13:14], s[88:89], v[13:14]
	v_fma_f64 v[27:28], v[27:28], v[31:32], v[27:28]
	v_fma_f64 v[31:32], -v[1:2], v[25:26], 1.0
	v_fma_f64 v[49:50], -v[5:6], v[27:28], 1.0
	v_fma_f64 v[25:26], v[25:26], v[31:32], v[25:26]
	v_fma_f64 v[27:28], v[27:28], v[49:50], v[27:28]
	v_mul_f64 v[31:32], v[29:30], v[25:26]
	v_mul_f64 v[49:50], v[47:48], v[27:28]
	v_fma_f64 v[1:2], -v[1:2], v[31:32], v[29:30]
	v_fma_f64 v[5:6], -v[5:6], v[49:50], v[47:48]
	v_max_f64 v[47:48], |v[13:14]|, |v[13:14]|
	v_div_fmas_f64 v[1:2], v[1:2], v[25:26], v[31:32]
	s_mov_b64 vcc, s[10:11]
	v_div_fmas_f64 v[5:6], v[5:6], v[27:28], v[49:50]
	v_div_fixup_f64 v[1:2], v[1:2], s[88:89], v[13:14]
	v_div_fixup_f64 v[5:6], v[5:6], s[88:89], v[15:16]
	v_cmp_class_f64_e64 s[10:11], v[1:2], s58
	v_max_f64 v[25:26], |v[1:2]|, |v[5:6]|
	v_cmp_class_f64_e64 s[14:15], v[5:6], s58
	v_frexp_exp_i32_f64_e32 v3, v[25:26]
	v_sub_u32_e32 v7, 0, v3
	v_ldexp_f64 v[25:26], |v[5:6]|, v7
	v_ldexp_f64 v[27:28], |v[1:2]|, v7
	v_mul_f64 v[25:26], v[25:26], v[25:26]
	v_fma_f64 v[25:26], v[27:28], v[27:28], v[25:26]
	v_rsq_f64_e32 v[27:28], v[25:26]
	v_cmp_eq_f64_e32 vcc, 0, v[25:26]
	v_mul_f64 v[29:30], v[25:26], v[27:28]
	v_mul_f64 v[27:28], v[27:28], 0.5
	v_fma_f64 v[31:32], -v[27:28], v[29:30], 0.5
	v_fma_f64 v[29:30], v[29:30], v[31:32], v[29:30]
	v_fma_f64 v[27:28], v[27:28], v[31:32], v[27:28]
	v_fma_f64 v[31:32], -v[29:30], v[29:30], v[25:26]
	v_fma_f64 v[27:28], v[31:32], v[27:28], v[29:30]
	v_max_f64 v[31:32], |v[15:16]|, |v[15:16]|
	v_cndmask_b32_e32 v26, v28, v26, vcc
	v_cndmask_b32_e32 v25, v27, v25, vcc
	v_ldexp_f64 v[25:26], v[25:26], v3
	v_cmp_o_f64_e32 vcc, v[1:2], v[5:6]
	v_cndmask_b32_e32 v1, 0, v25, vcc
	v_cndmask_b32_e32 v2, v64, v26, vcc
	s_or_b64 vcc, s[14:15], s[10:11]
	v_cndmask_b32_e32 v2, v2, v63, vcc
	v_cndmask_b32_e64 v1, v1, 0, vcc
	v_frexp_mant_f64_e32 v[5:6], v[1:2]
	v_cmp_gt_f64_e64 s[10:11], s[26:27], v[5:6]
	v_cndmask_b32_e64 v3, 0, 1, s[10:11]
	v_ldexp_f64 v[5:6], v[5:6], v3
	v_frexp_exp_i32_f64_e32 v3, v[1:2]
	v_add_f64 v[25:26], v[5:6], 1.0
	v_add_f64 v[51:52], v[5:6], -1.0
	v_rcp_f64_e32 v[27:28], v[25:26]
	v_add_f64 v[55:56], v[25:26], -1.0
	v_add_f64 v[5:6], v[5:6], -v[55:56]
	v_fma_f64 v[29:30], -v[25:26], v[27:28], 1.0
	v_fma_f64 v[27:28], v[29:30], v[27:28], v[27:28]
	v_max_f64 v[29:30], v[47:48], v[31:32]
	v_min_f64 v[31:32], v[47:48], v[31:32]
	v_fma_f64 v[47:48], -v[25:26], v[27:28], 1.0
	v_div_scale_f64 v[49:50], s[14:15], v[29:30], v[29:30], v[31:32]
	s_mov_b32 s14, 0xaf56de9b
	s_mov_b32 s15, 0xbf67952d
	v_fma_f64 v[27:28], v[47:48], v[27:28], v[27:28]
	v_mul_f64 v[47:48], v[51:52], v[27:28]
	v_rcp_f64_e32 v[53:54], v[49:50]
	v_mul_f64 v[57:58], v[25:26], v[47:48]
	v_fma_f64 v[25:26], v[47:48], v[25:26], -v[57:58]
	v_fma_f64 v[55:56], -v[49:50], v[53:54], 1.0
	v_fma_f64 v[5:6], v[47:48], v[5:6], v[25:26]
	v_fma_f64 v[25:26], v[53:54], v[55:56], v[53:54]
	v_div_scale_f64 v[55:56], vcc, v[31:32], v[29:30], v[31:32]
	v_add_f64 v[53:54], v[57:58], v[5:6]
	v_fma_f64 v[59:60], -v[49:50], v[25:26], 1.0
	v_add_f64 v[61:62], v[51:52], -v[53:54]
	v_add_f64 v[57:58], v[53:54], -v[57:58]
	v_fma_f64 v[25:26], v[25:26], v[59:60], v[25:26]
	v_add_f64 v[51:52], v[51:52], -v[61:62]
	v_add_f64 v[5:6], v[57:58], -v[5:6]
	v_mul_f64 v[59:60], v[55:56], v[25:26]
	v_add_f64 v[51:52], v[51:52], -v[53:54]
	v_fma_f64 v[49:50], -v[49:50], v[59:60], v[55:56]
	v_add_f64 v[5:6], v[5:6], v[51:52]
	v_div_fmas_f64 v[25:26], v[49:50], v[25:26], v[59:60]
	v_subbrev_co_u32_e64 v3, vcc, 0, v3, s[10:11]
	v_cmp_class_f64_e64 vcc, v[1:2], s58
	v_cmp_eq_f64_e64 s[10:11], 0, v[15:16]
	v_add_f64 v[5:6], v[61:62], v[5:6]
	v_mul_f64 v[5:6], v[27:28], v[5:6]
	v_div_fixup_f64 v[25:26], v[25:26], v[29:30], v[31:32]
	v_add_f64 v[27:28], v[47:48], v[5:6]
	v_mul_f64 v[29:30], v[25:26], v[25:26]
	v_mul_f64 v[31:32], v[27:28], v[27:28]
	v_fma_f64 v[49:50], v[29:30], s[50:51], v[37:38]
	v_fma_f64 v[51:52], v[31:32], s[28:29], v[35:36]
	v_mul_f64 v[53:54], v[27:28], v[31:32]
	v_fma_f64 v[49:50], v[29:30], v[49:50], s[48:49]
	v_fma_f64 v[51:52], v[31:32], v[51:52], s[30:31]
	;; [unrolled: 1-line block ×3, first 2 shown]
	s_mov_b32 s14, 0xa595c56f
	s_mov_b32 s15, 0x3f7d6d43
	v_fma_f64 v[51:52], v[31:32], v[51:52], s[34:35]
	v_fma_f64 v[49:50], v[29:30], v[49:50], s[14:15]
	s_mov_b32 s14, 0xa57d9582
	s_mov_b32 s15, 0xbf8c6ea4
	v_fma_f64 v[51:52], v[31:32], v[51:52], s[36:37]
	v_fma_f64 v[49:50], v[29:30], v[49:50], s[14:15]
	;; [unrolled: 4-line block ×3, first 2 shown]
	s_mov_b32 s14, 0xfc27006a
	s_mov_b32 s15, 0xbf9e9ae6
	v_fma_f64 v[31:32], v[31:32], v[51:52], s[92:93]
	v_ldexp_f64 v[51:52], v[27:28], 1
	v_fma_f64 v[49:50], v[29:30], v[49:50], s[14:15]
	s_mov_b32 s14, 0x5711927a
	s_mov_b32 s15, 0x3fa2c15b
	v_add_f64 v[27:28], v[27:28], -v[47:48]
	v_mul_f64 v[31:32], v[53:54], v[31:32]
	v_cvt_f64_i32_e32 v[53:54], v3
	v_fma_f64 v[49:50], v[29:30], v[49:50], s[14:15]
	v_cmp_class_f64_e64 s[14:15], v[15:16], s58
	v_ashrrev_i32_e32 v3, 31, v14
	v_mul_f64 v[55:56], v[53:54], s[40:41]
	v_add_f64 v[5:6], v[5:6], -v[27:28]
	v_add_f64 v[47:48], v[51:52], v[31:32]
	v_fma_f64 v[49:50], v[29:30], v[49:50], s[60:61]
	v_ldexp_f64 v[5:6], v[5:6], 1
	v_add_f64 v[27:28], v[47:48], -v[51:52]
	v_fma_f64 v[51:52], v[53:54], s[40:41], -v[55:56]
	v_fma_f64 v[49:50], v[29:30], v[49:50], s[62:63]
	v_add_f64 v[27:28], v[31:32], -v[27:28]
	v_fma_f64 v[31:32], v[29:30], v[49:50], s[64:65]
	v_fma_f64 v[49:50], v[53:54], s[42:43], v[51:52]
	v_add_f64 v[5:6], v[5:6], v[27:28]
	v_fma_f64 v[27:28], v[29:30], v[31:32], s[66:67]
	v_add_f64 v[31:32], v[55:56], v[49:50]
	v_add_f64 v[51:52], v[47:48], v[5:6]
	v_fma_f64 v[27:28], v[29:30], v[27:28], s[68:69]
	v_add_f64 v[55:56], v[31:32], -v[55:56]
	v_add_f64 v[53:54], v[31:32], v[51:52]
	v_add_f64 v[47:48], v[51:52], -v[47:48]
	v_fma_f64 v[27:28], v[29:30], v[27:28], s[70:71]
	v_add_f64 v[49:50], v[49:50], -v[55:56]
	v_add_f64 v[57:58], v[53:54], -v[31:32]
	v_add_f64 v[5:6], v[5:6], -v[47:48]
	v_fma_f64 v[27:28], v[29:30], v[27:28], s[72:73]
	v_add_f64 v[59:60], v[53:54], -v[57:58]
	v_add_f64 v[47:48], v[51:52], -v[57:58]
	v_fma_f64 v[27:28], v[29:30], v[27:28], s[74:75]
	v_add_f64 v[51:52], v[49:50], v[5:6]
	v_add_f64 v[31:32], v[31:32], -v[59:60]
	v_fma_f64 v[27:28], v[29:30], v[27:28], s[76:77]
	v_add_f64 v[31:32], v[47:48], v[31:32]
	;; [unrolled: 3-line block ×3, first 2 shown]
	v_add_f64 v[51:52], v[51:52], -v[47:48]
	v_fma_f64 v[27:28], v[29:30], v[27:28], s[80:81]
	v_add_f64 v[5:6], v[5:6], -v[47:48]
	v_add_f64 v[55:56], v[53:54], v[31:32]
	v_mul_f64 v[27:28], v[29:30], v[27:28]
	v_add_f64 v[29:30], v[49:50], -v[51:52]
	v_add_f64 v[47:48], v[55:56], -v[53:54]
	v_fma_f64 v[25:26], v[25:26], v[27:28], v[25:26]
	v_add_f64 v[5:6], v[5:6], v[29:30]
	v_add_f64 v[27:28], v[31:32], -v[47:48]
	v_add_f64 v[29:30], -v[25:26], s[94:95]
	v_add_f64 v[5:6], v[5:6], v[27:28]
	v_cndmask_b32_e64 v26, v26, v30, s[8:9]
	v_cndmask_b32_e64 v25, v25, v29, s[8:9]
	v_add_f64 v[27:28], -v[25:26], s[82:83]
	v_cmp_gt_i32_e64 s[8:9], 0, v14
	v_cndmask_b32_e64 v7, v66, v67, s[8:9]
	v_cndmask_b32_e64 v13, v68, v69, s[8:9]
	v_add_f64 v[5:6], v[55:56], v[5:6]
	v_and_b32_e32 v14, 0x54442d18, v3
	v_and_b32_e32 v3, 0x400921fb, v3
	v_bfi_b32 v13, s57, v13, v16
	v_cndmask_b32_e64 v25, v25, v27, s[8:9]
	v_cndmask_b32_e64 v26, v26, v28, s[8:9]
	v_cmp_ngt_f64_e64 s[8:9], 0, v[1:2]
	v_cndmask_b32_e64 v3, v26, v3, s[10:11]
	v_cndmask_b32_e32 v6, v6, v2, vcc
	v_cndmask_b32_e32 v5, v5, v1, vcc
	v_add_f64 v[5:6], v[5:6], 1.0
	s_and_b64 vcc, s[14:15], s[20:21]
	v_cndmask_b32_e32 v28, v3, v13, vcc
	v_cndmask_b32_e64 v14, v25, v14, s[10:11]
	v_cndmask_b32_e32 v27, v14, v7, vcc
	v_cndmask_b32_e64 v3, v64, v6, s[8:9]
	v_cmp_nge_f64_e64 s[8:9], 0, v[1:2]
	v_cndmask_b32_e64 v25, 0, v5, s[8:9]
	v_cmp_neq_f64_e64 s[8:9], 0, v[1:2]
	v_cndmask_b32_e64 v26, v65, v3, s[8:9]
.LBB167_248:                            ;   in Loop: Header=BB167_145 Depth=1
	s_or_b64 exec, exec, s[12:13]
.LBB167_249:                            ;   in Loop: Header=BB167_145 Depth=1
	s_andn2_saveexec_b64 s[8:9], s[22:23]
	s_cbranch_execz .LBB167_255
; %bb.250:                              ;   in Loop: Header=BB167_145 Depth=1
	v_cmp_nlt_f64_e64 s[10:11], |v[13:14]|, s[84:85]
	v_cmp_nlt_f64_e64 s[12:13], |v[15:16]|, s[84:85]
                                        ; implicit-def: $vgpr1_vgpr2
	s_or_b64 s[10:11], s[12:13], s[10:11]
	s_and_saveexec_b64 s[12:13], s[10:11]
	s_xor_b64 s[10:11], exec, s[12:13]
	s_cbranch_execz .LBB167_252
; %bb.251:                              ;   in Loop: Header=BB167_145 Depth=1
	v_mul_f64 v[1:2], v[13:14], v[13:14]
	v_fma_f64 v[1:2], v[15:16], v[15:16], v[1:2]
.LBB167_252:                            ;   in Loop: Header=BB167_145 Depth=1
	s_andn2_saveexec_b64 s[10:11], s[10:11]
	s_cbranch_execz .LBB167_254
; %bb.253:                              ;   in Loop: Header=BB167_145 Depth=1
	v_mul_f64 v[1:2], v[13:14], 4.0
	v_mul_f64 v[5:6], v[15:16], 4.0
	v_mul_f64 v[1:2], v[1:2], v[1:2]
	v_fma_f64 v[1:2], v[5:6], v[5:6], v[1:2]
	v_ldexp_f64 v[1:2], v[1:2], -4
.LBB167_254:                            ;   in Loop: Header=BB167_145 Depth=1
	s_or_b64 exec, exec, s[10:11]
	v_frexp_mant_f64_e32 v[5:6], v[1:2]
	s_mov_b32 s93, s27
	v_cmp_gt_f64_e32 vcc, s[26:27], v[5:6]
	v_cndmask_b32_e64 v3, 0, 1, vcc
	v_ldexp_f64 v[5:6], v[5:6], v3
	v_frexp_exp_i32_f64_e32 v3, v[1:2]
	v_add_f64 v[13:14], v[5:6], 1.0
	v_add_f64 v[29:30], v[5:6], -1.0
	v_subbrev_co_u32_e32 v3, vcc, 0, v3, vcc
	v_cmp_class_f64_e64 vcc, v[1:2], s58
	v_rcp_f64_e32 v[25:26], v[13:14]
	v_add_f64 v[31:32], v[13:14], -1.0
	v_add_f64 v[5:6], v[5:6], -v[31:32]
	v_fma_f64 v[27:28], -v[13:14], v[25:26], 1.0
	v_fma_f64 v[25:26], v[27:28], v[25:26], v[25:26]
	v_fma_f64 v[27:28], -v[13:14], v[25:26], 1.0
	v_fma_f64 v[25:26], v[27:28], v[25:26], v[25:26]
	v_mul_f64 v[27:28], v[29:30], v[25:26]
	v_mul_f64 v[47:48], v[13:14], v[27:28]
	v_fma_f64 v[13:14], v[27:28], v[13:14], -v[47:48]
	v_fma_f64 v[5:6], v[27:28], v[5:6], v[13:14]
	v_add_f64 v[13:14], v[47:48], v[5:6]
	v_add_f64 v[31:32], v[29:30], -v[13:14]
	v_add_f64 v[47:48], v[13:14], -v[47:48]
	;; [unrolled: 1-line block ×5, first 2 shown]
	v_add_f64 v[5:6], v[5:6], v[13:14]
	v_add_f64 v[5:6], v[31:32], v[5:6]
	v_mul_f64 v[5:6], v[25:26], v[5:6]
	v_add_f64 v[13:14], v[27:28], v[5:6]
	v_mul_f64 v[25:26], v[13:14], v[13:14]
	v_fma_f64 v[29:30], v[25:26], s[28:29], v[35:36]
	v_mul_f64 v[31:32], v[13:14], v[25:26]
	v_fma_f64 v[29:30], v[25:26], v[29:30], s[30:31]
	v_fma_f64 v[29:30], v[25:26], v[29:30], s[34:35]
	;; [unrolled: 1-line block ×5, first 2 shown]
	v_ldexp_f64 v[29:30], v[13:14], 1
	v_add_f64 v[13:14], v[13:14], -v[27:28]
	v_mul_f64 v[25:26], v[31:32], v[25:26]
	v_cvt_f64_i32_e32 v[31:32], v3
	v_add_f64 v[5:6], v[5:6], -v[13:14]
	v_mul_f64 v[47:48], v[31:32], s[40:41]
	v_add_f64 v[27:28], v[29:30], v[25:26]
	v_ldexp_f64 v[5:6], v[5:6], 1
	v_add_f64 v[13:14], v[27:28], -v[29:30]
	v_fma_f64 v[29:30], v[31:32], s[40:41], -v[47:48]
	v_add_f64 v[13:14], v[25:26], -v[13:14]
	v_fma_f64 v[25:26], v[31:32], s[42:43], v[29:30]
	v_add_f64 v[5:6], v[5:6], v[13:14]
	v_add_f64 v[13:14], v[47:48], v[25:26]
	;; [unrolled: 1-line block ×3, first 2 shown]
	v_add_f64 v[47:48], v[13:14], -v[47:48]
	v_add_f64 v[31:32], v[13:14], v[29:30]
	v_add_f64 v[27:28], v[29:30], -v[27:28]
	v_add_f64 v[25:26], v[25:26], -v[47:48]
	;; [unrolled: 1-line block ×6, first 2 shown]
	v_add_f64 v[29:30], v[25:26], v[5:6]
	v_add_f64 v[13:14], v[13:14], -v[51:52]
	v_add_f64 v[13:14], v[27:28], v[13:14]
	v_add_f64 v[27:28], v[29:30], -v[25:26]
	;; [unrolled: 2-line block ×3, first 2 shown]
	v_add_f64 v[5:6], v[5:6], -v[27:28]
	v_add_f64 v[47:48], v[31:32], v[13:14]
	v_add_f64 v[25:26], v[25:26], -v[29:30]
	v_add_f64 v[27:28], v[47:48], -v[31:32]
	v_add_f64 v[5:6], v[5:6], v[25:26]
	v_add_f64 v[13:14], v[13:14], -v[27:28]
	v_mov_b32_e32 v27, 0
	v_mov_b32_e32 v28, 0x7ff80000
	v_add_f64 v[5:6], v[5:6], v[13:14]
	v_add_f64 v[5:6], v[47:48], v[5:6]
	v_cndmask_b32_e32 v3, v5, v1, vcc
	v_cndmask_b32_e32 v5, v6, v2, vcc
	v_cmp_ngt_f64_e32 vcc, 0, v[1:2]
	v_cndmask_b32_e32 v5, v64, v5, vcc
	v_cmp_nge_f64_e32 vcc, 0, v[1:2]
	v_cndmask_b32_e32 v25, 0, v3, vcc
	v_cmp_neq_f64_e32 vcc, 0, v[1:2]
	v_cndmask_b32_e32 v26, v65, v5, vcc
.LBB167_255:                            ;   in Loop: Header=BB167_145 Depth=1
	s_or_b64 exec, exec, s[8:9]
	v_cmp_o_f64_e32 vcc, v[9:10], v[11:12]
                                        ; implicit-def: $vgpr29_vgpr30
	s_and_saveexec_b64 s[8:9], vcc
	s_xor_b64 s[22:23], exec, s[8:9]
	s_cbranch_execnz .LBB167_261
; %bb.256:                              ;   in Loop: Header=BB167_145 Depth=1
	s_andn2_saveexec_b64 s[8:9], s[22:23]
	s_cbranch_execnz .LBB167_288
.LBB167_257:                            ;   in Loop: Header=BB167_145 Depth=1
	s_or_b64 exec, exec, s[8:9]
	s_and_saveexec_b64 s[8:9], s[0:1]
	s_xor_b64 s[0:1], exec, s[8:9]
	s_cbranch_execnz .LBB167_293
.LBB167_258:                            ;   in Loop: Header=BB167_145 Depth=1
	s_or_b64 exec, exec, s[0:1]
	s_and_saveexec_b64 s[0:1], s[2:3]
	s_cbranch_execnz .LBB167_294
.LBB167_259:                            ;   in Loop: Header=BB167_145 Depth=1
	s_or_b64 exec, exec, s[0:1]
	s_and_saveexec_b64 s[0:1], s[4:5]
	s_cbranch_execnz .LBB167_295
.LBB167_260:                            ;   in Loop: Header=BB167_145 Depth=1
	s_or_b64 exec, exec, s[0:1]
	s_and_saveexec_b64 s[0:1], s[6:7]
	s_cbranch_execz .LBB167_144
	s_branch .LBB167_296
.LBB167_261:                            ;   in Loop: Header=BB167_145 Depth=1
	v_cmp_lt_f64_e64 s[8:9], |v[9:10]|, |v[11:12]|
	v_and_b32_e32 v1, 0x7fffffff, v10
	v_and_b32_e32 v2, 0x7fffffff, v12
	s_mov_b32 s10, 0x85ebc8a0
	s_mov_b32 s11, 0x7fd1ccf3
	v_mov_b32_e32 v3, v11
                                        ; implicit-def: $vgpr29_vgpr30
	v_cndmask_b32_e64 v6, v2, v1, s[8:9]
	v_cndmask_b32_e64 v5, v11, v9, s[8:9]
	v_cmp_nlt_f64_e32 vcc, s[10:11], v[5:6]
	s_and_saveexec_b64 s[10:11], vcc
	s_xor_b64 s[24:25], exec, s[10:11]
	s_cbranch_execz .LBB167_285
; %bb.262:                              ;   in Loop: Header=BB167_145 Depth=1
	v_cndmask_b32_e64 v14, v1, v2, s[8:9]
	v_cndmask_b32_e64 v13, v9, v3, s[8:9]
	v_cmp_neq_f64_e32 vcc, 1.0, v[13:14]
                                        ; implicit-def: $vgpr29_vgpr30
	s_and_saveexec_b64 s[10:11], vcc
	s_xor_b64 s[20:21], exec, s[10:11]
	s_cbranch_execz .LBB167_278
; %bb.263:                              ;   in Loop: Header=BB167_145 Depth=1
	v_max_f64 v[1:2], v[5:6], v[5:6]
	v_max_f64 v[29:30], v[13:14], v[13:14]
	s_mov_b32 s10, 0x4ad4b81f
	s_mov_b32 s11, 0x358dee7a
	v_min_f64 v[31:32], v[29:30], v[1:2]
	v_max_f64 v[1:2], v[29:30], v[1:2]
	v_cmp_ngt_f64_e32 vcc, s[10:11], v[31:32]
	s_mov_b32 s10, 0xc57e649a
	s_mov_b32 s11, 0x4a511b0e
	v_cmp_nlt_f64_e64 s[10:11], s[10:11], v[1:2]
                                        ; implicit-def: $vgpr29_vgpr30
	s_and_b64 s[10:11], s[10:11], vcc
	s_and_saveexec_b64 s[12:13], s[10:11]
	s_xor_b64 s[86:87], exec, s[12:13]
	s_cbranch_execz .LBB167_275
; %bb.264:                              ;   in Loop: Header=BB167_145 Depth=1
	v_cmp_le_f64_e32 vcc, 1.0, v[13:14]
                                        ; implicit-def: $vgpr29_vgpr30
	s_and_saveexec_b64 s[10:11], vcc
	s_xor_b64 s[44:45], exec, s[10:11]
	s_cbranch_execz .LBB167_266
; %bb.265:                              ;   in Loop: Header=BB167_145 Depth=1
	v_add_f64 v[1:2], v[13:14], -1.0
	v_add_f64 v[13:14], v[13:14], 1.0
	s_mov_b32 s93, s27
	s_mov_b32 s82, s94
	;; [unrolled: 1-line block ×4, first 2 shown]
	v_cmp_class_f64_e64 s[46:47], v[11:12], s58
	v_mul_f64 v[1:2], v[1:2], v[13:14]
	v_fma_f64 v[1:2], v[5:6], v[5:6], v[1:2]
	v_add_f64 v[5:6], v[1:2], 1.0
	v_cmp_nge_f64_e64 s[12:13], -1.0, v[1:2]
	v_cmp_neq_f64_e64 s[14:15], s[14:15], v[1:2]
	v_frexp_mant_f64_e32 v[29:30], v[5:6]
	v_frexp_exp_i32_f64_e32 v3, v[5:6]
	v_add_f64 v[13:14], v[5:6], -1.0
	v_cmp_gt_f64_e32 vcc, s[26:27], v[29:30]
	v_add_f64 v[31:32], v[13:14], -v[5:6]
	v_add_f64 v[13:14], v[1:2], -v[13:14]
	v_subbrev_co_u32_e32 v3, vcc, 0, v3, vcc
	v_sub_u32_e32 v7, 0, v3
	v_ldexp_f64 v[5:6], v[5:6], v7
	v_add_f64 v[29:30], v[31:32], 1.0
	v_add_f64 v[31:32], v[5:6], 1.0
	v_add_f64 v[13:14], v[13:14], v[29:30]
	v_add_f64 v[51:52], v[5:6], -1.0
	v_add_f64 v[29:30], v[31:32], -1.0
	v_ldexp_f64 v[13:14], v[13:14], v7
	v_add_f64 v[53:54], v[51:52], 1.0
	v_add_f64 v[29:30], v[5:6], -v[29:30]
	v_add_f64 v[5:6], v[5:6], -v[53:54]
	v_add_f64 v[29:30], v[13:14], v[29:30]
	v_add_f64 v[5:6], v[13:14], v[5:6]
	;; [unrolled: 1-line block ×4, first 2 shown]
	v_rcp_f64_e32 v[49:50], v[47:48]
	v_add_f64 v[31:32], v[47:48], -v[31:32]
	v_add_f64 v[51:52], v[53:54], -v[51:52]
	;; [unrolled: 1-line block ×4, first 2 shown]
	v_fma_f64 v[55:56], -v[47:48], v[49:50], 1.0
	v_fma_f64 v[49:50], v[55:56], v[49:50], v[49:50]
	v_fma_f64 v[13:14], -v[47:48], v[49:50], 1.0
	v_fma_f64 v[13:14], v[13:14], v[49:50], v[49:50]
	v_mul_f64 v[49:50], v[53:54], v[13:14]
	v_mul_f64 v[55:56], v[47:48], v[49:50]
	v_fma_f64 v[31:32], v[49:50], v[47:48], -v[55:56]
	v_fma_f64 v[31:32], v[49:50], v[29:30], v[31:32]
	v_add_f64 v[57:58], v[55:56], v[31:32]
	v_add_f64 v[59:60], v[53:54], -v[57:58]
	v_add_f64 v[51:52], v[57:58], -v[55:56]
	v_add_f64 v[53:54], v[53:54], -v[59:60]
	v_add_f64 v[31:32], v[51:52], -v[31:32]
	v_max_f64 v[51:52], |v[9:10]|, |v[9:10]|
	v_add_f64 v[53:54], v[53:54], -v[57:58]
	v_add_f64 v[5:6], v[5:6], v[53:54]
	v_add_f64 v[5:6], v[31:32], v[5:6]
	v_max_f64 v[31:32], |v[11:12]|, |v[11:12]|
	v_add_f64 v[53:54], v[59:60], v[5:6]
	v_max_f64 v[55:56], v[51:52], v[31:32]
	v_min_f64 v[31:32], v[51:52], v[31:32]
	v_mul_f64 v[51:52], v[13:14], v[53:54]
	v_add_f64 v[59:60], v[59:60], -v[53:54]
	v_div_scale_f64 v[57:58], s[10:11], v[55:56], v[55:56], v[31:32]
	s_mov_b32 s10, 0xaf56de9b
	s_mov_b32 s11, 0xbf67952d
	v_mul_f64 v[61:62], v[47:48], v[51:52]
	v_add_f64 v[5:6], v[5:6], v[59:60]
	v_fma_f64 v[47:48], v[51:52], v[47:48], -v[61:62]
	v_rcp_f64_e32 v[70:71], v[57:58]
	v_fma_f64 v[29:30], v[51:52], v[29:30], v[47:48]
	v_add_f64 v[47:48], v[61:62], v[29:30]
	v_fma_f64 v[72:73], -v[57:58], v[70:71], 1.0
	v_add_f64 v[74:75], v[53:54], -v[47:48]
	v_add_f64 v[59:60], v[47:48], -v[61:62]
	v_fma_f64 v[70:71], v[70:71], v[72:73], v[70:71]
	v_div_scale_f64 v[72:73], vcc, v[31:32], v[55:56], v[31:32]
	v_add_f64 v[53:54], v[53:54], -v[74:75]
	v_add_f64 v[29:30], v[59:60], -v[29:30]
	v_fma_f64 v[76:77], -v[57:58], v[70:71], 1.0
	v_add_f64 v[59:60], v[49:50], v[51:52]
	v_add_f64 v[47:48], v[53:54], -v[47:48]
	v_fma_f64 v[53:54], v[70:71], v[76:77], v[70:71]
	v_add_f64 v[49:50], v[59:60], -v[49:50]
	v_add_f64 v[5:6], v[5:6], v[47:48]
	v_mul_f64 v[47:48], v[72:73], v[53:54]
	v_add_f64 v[5:6], v[29:30], v[5:6]
	v_fma_f64 v[29:30], -v[57:58], v[47:48], v[72:73]
	v_add_f64 v[5:6], v[74:75], v[5:6]
	v_div_fmas_f64 v[29:30], v[29:30], v[53:54], v[47:48]
	v_add_f64 v[47:48], v[51:52], -v[49:50]
	v_cmp_gt_i32_e32 vcc, 0, v10
	v_cndmask_b32_e32 v7, v66, v67, vcc
	v_mul_f64 v[5:6], v[13:14], v[5:6]
	v_add_f64 v[5:6], v[47:48], v[5:6]
	v_div_fixup_f64 v[13:14], v[29:30], v[55:56], v[31:32]
	v_cvt_f64_i32_e32 v[55:56], v3
	v_ashrrev_i32_e32 v3, 31, v10
	v_mul_f64 v[57:58], v[55:56], s[40:41]
	v_add_f64 v[29:30], v[59:60], v[5:6]
	v_mul_f64 v[31:32], v[13:14], v[13:14]
	v_mul_f64 v[47:48], v[29:30], v[29:30]
	v_fma_f64 v[49:50], v[31:32], s[50:51], v[37:38]
	v_fma_f64 v[51:52], v[47:48], s[28:29], v[35:36]
	v_mul_f64 v[53:54], v[29:30], v[47:48]
	v_fma_f64 v[49:50], v[31:32], v[49:50], s[48:49]
	v_cmp_class_f64_e64 s[48:49], v[9:10], s58
	v_and_b32_e32 v10, 0x54442d18, v3
	v_and_b32_e32 v3, 0x400921fb, v3
	v_cndmask_b32_e32 v9, v68, v69, vcc
	v_bfi_b32 v9, s57, v9, v12
	v_fma_f64 v[51:52], v[47:48], v[51:52], s[30:31]
	v_fma_f64 v[49:50], v[31:32], v[49:50], s[10:11]
	s_mov_b32 s10, 0xa595c56f
	s_mov_b32 s11, 0x3f7d6d43
	v_fma_f64 v[51:52], v[47:48], v[51:52], s[34:35]
	v_fma_f64 v[49:50], v[31:32], v[49:50], s[10:11]
	s_mov_b32 s10, 0xa57d9582
	s_mov_b32 s11, 0xbf8c6ea4
	;; [unrolled: 4-line block ×4, first 2 shown]
	v_fma_f64 v[47:48], v[47:48], v[51:52], s[92:93]
	v_ldexp_f64 v[51:52], v[29:30], 1
	v_fma_f64 v[49:50], v[31:32], v[49:50], s[10:11]
	s_mov_b32 s10, 0x5711927a
	s_mov_b32 s11, 0x3fa2c15b
	v_add_f64 v[29:30], v[29:30], -v[59:60]
	v_mul_f64 v[47:48], v[53:54], v[47:48]
	v_fma_f64 v[49:50], v[31:32], v[49:50], s[10:11]
	v_cmp_eq_f64_e64 s[10:11], 0, v[11:12]
	v_add_f64 v[5:6], v[5:6], -v[29:30]
	v_add_f64 v[53:54], v[51:52], v[47:48]
	v_fma_f64 v[49:50], v[31:32], v[49:50], s[60:61]
	v_ldexp_f64 v[5:6], v[5:6], 1
	v_add_f64 v[29:30], v[53:54], -v[51:52]
	v_fma_f64 v[51:52], v[55:56], s[40:41], -v[57:58]
	v_fma_f64 v[49:50], v[31:32], v[49:50], s[62:63]
	v_add_f64 v[29:30], v[47:48], -v[29:30]
	v_fma_f64 v[47:48], v[31:32], v[49:50], s[64:65]
	v_fma_f64 v[49:50], v[55:56], s[42:43], v[51:52]
	v_add_f64 v[5:6], v[5:6], v[29:30]
	v_fma_f64 v[29:30], v[31:32], v[47:48], s[66:67]
	v_add_f64 v[47:48], v[57:58], v[49:50]
	v_add_f64 v[51:52], v[53:54], v[5:6]
	v_fma_f64 v[29:30], v[31:32], v[29:30], s[68:69]
	v_add_f64 v[57:58], v[47:48], -v[57:58]
	v_add_f64 v[55:56], v[47:48], v[51:52]
	v_add_f64 v[53:54], v[51:52], -v[53:54]
	v_fma_f64 v[29:30], v[31:32], v[29:30], s[70:71]
	v_add_f64 v[49:50], v[49:50], -v[57:58]
	v_add_f64 v[59:60], v[55:56], -v[47:48]
	;; [unrolled: 1-line block ×3, first 2 shown]
	v_fma_f64 v[29:30], v[31:32], v[29:30], s[72:73]
	v_add_f64 v[61:62], v[55:56], -v[59:60]
	v_add_f64 v[51:52], v[51:52], -v[59:60]
	v_fma_f64 v[29:30], v[31:32], v[29:30], s[74:75]
	v_add_f64 v[53:54], v[49:50], v[5:6]
	v_add_f64 v[47:48], v[47:48], -v[61:62]
	v_fma_f64 v[29:30], v[31:32], v[29:30], s[76:77]
	v_add_f64 v[47:48], v[51:52], v[47:48]
	;; [unrolled: 3-line block ×3, first 2 shown]
	v_add_f64 v[53:54], v[53:54], -v[51:52]
	v_fma_f64 v[29:30], v[31:32], v[29:30], s[80:81]
	v_add_f64 v[5:6], v[5:6], -v[51:52]
	v_add_f64 v[57:58], v[55:56], v[47:48]
	v_mul_f64 v[29:30], v[31:32], v[29:30]
	v_add_f64 v[31:32], v[49:50], -v[53:54]
	v_add_f64 v[49:50], v[57:58], -v[55:56]
	v_fma_f64 v[13:14], v[13:14], v[29:30], v[13:14]
	v_add_f64 v[5:6], v[5:6], v[31:32]
	v_add_f64 v[29:30], v[47:48], -v[49:50]
	v_add_f64 v[31:32], -v[13:14], s[94:95]
	v_add_f64 v[5:6], v[5:6], v[29:30]
	v_cndmask_b32_e64 v14, v14, v32, s[8:9]
	v_cndmask_b32_e64 v13, v13, v31, s[8:9]
	v_add_f64 v[29:30], -v[13:14], s[82:83]
	v_add_f64 v[5:6], v[57:58], v[5:6]
	v_cndmask_b32_e32 v13, v13, v29, vcc
	v_cndmask_b32_e32 v14, v14, v30, vcc
	v_cndmask_b32_e64 v10, v13, v10, s[10:11]
	v_cndmask_b32_e64 v3, v14, v3, s[10:11]
	v_mul_f64 v[5:6], v[5:6], 0.5
	s_and_b64 s[10:11], s[12:13], s[14:15]
	s_and_b64 vcc, s[46:47], s[48:49]
	v_cndmask_b32_e32 v32, v3, v9, vcc
	s_mov_b32 s48, 0x69efb384
	s_mov_b32 s49, 0x3f4b2bb0
	v_cndmask_b32_e32 v31, v10, v7, vcc
                                        ; implicit-def: $vgpr13_vgpr14
	v_cndmask_b32_e64 v29, 0, v5, s[10:11]
	v_cmp_ngt_f64_e64 s[10:11], -1.0, v[1:2]
	v_cndmask_b32_e64 v3, v63, v6, s[14:15]
                                        ; implicit-def: $vgpr5_vgpr6
	v_cndmask_b32_e64 v3, v64, v3, s[10:11]
	v_cmp_neq_f64_e64 s[10:11], -1.0, v[1:2]
	v_cndmask_b32_e64 v30, v65, v3, s[10:11]
.LBB167_266:                            ;   in Loop: Header=BB167_145 Depth=1
	s_andn2_saveexec_b64 s[44:45], s[44:45]
	s_cbranch_execz .LBB167_274
; %bb.267:                              ;   in Loop: Header=BB167_145 Depth=1
	v_mul_f64 v[1:2], v[5:6], v[5:6]
	s_mov_b32 s10, 0x66666666
	s_mov_b32 s11, 0x3fe66666
                                        ; implicit-def: $vgpr29_vgpr30
	v_fma_f64 v[1:2], v[13:14], v[13:14], v[1:2]
	v_cmp_ge_f64_e32 vcc, s[10:11], v[1:2]
	s_and_saveexec_b64 s[10:11], vcc
	s_xor_b64 s[14:15], exec, s[10:11]
	s_cbranch_execz .LBB167_269
; %bb.268:                              ;   in Loop: Header=BB167_145 Depth=1
	v_frexp_mant_f64_e32 v[5:6], v[1:2]
	v_max_f64 v[47:48], |v[11:12]|, |v[11:12]|
	v_max_f64 v[49:50], |v[9:10]|, |v[9:10]|
	s_mov_b32 s93, s27
	s_mov_b32 s82, s94
	v_cmp_class_f64_e64 s[46:47], v[11:12], s58
	v_cmp_gt_f64_e64 s[10:11], s[26:27], v[5:6]
	v_cndmask_b32_e64 v3, 0, 1, s[10:11]
	v_ldexp_f64 v[5:6], v[5:6], v3
	v_frexp_exp_i32_f64_e32 v3, v[1:2]
	v_add_f64 v[13:14], v[5:6], 1.0
	v_add_f64 v[53:54], v[5:6], -1.0
	v_rcp_f64_e32 v[29:30], v[13:14]
	v_add_f64 v[57:58], v[13:14], -1.0
	v_add_f64 v[5:6], v[5:6], -v[57:58]
	v_fma_f64 v[31:32], -v[13:14], v[29:30], 1.0
	v_fma_f64 v[29:30], v[31:32], v[29:30], v[29:30]
	v_max_f64 v[31:32], v[49:50], v[47:48]
	v_min_f64 v[47:48], v[49:50], v[47:48]
	v_fma_f64 v[49:50], -v[13:14], v[29:30], 1.0
	v_div_scale_f64 v[51:52], s[12:13], v[31:32], v[31:32], v[47:48]
	s_mov_b32 s12, 0xaf56de9b
	s_mov_b32 s13, 0xbf67952d
	v_fma_f64 v[29:30], v[49:50], v[29:30], v[29:30]
	v_mul_f64 v[49:50], v[53:54], v[29:30]
	v_rcp_f64_e32 v[55:56], v[51:52]
	v_mul_f64 v[59:60], v[13:14], v[49:50]
	v_fma_f64 v[13:14], v[49:50], v[13:14], -v[59:60]
	v_fma_f64 v[57:58], -v[51:52], v[55:56], 1.0
	v_fma_f64 v[5:6], v[49:50], v[5:6], v[13:14]
	v_fma_f64 v[13:14], v[55:56], v[57:58], v[55:56]
	v_div_scale_f64 v[57:58], vcc, v[47:48], v[31:32], v[47:48]
	v_add_f64 v[55:56], v[59:60], v[5:6]
	v_fma_f64 v[61:62], -v[51:52], v[13:14], 1.0
	v_add_f64 v[70:71], v[53:54], -v[55:56]
	v_add_f64 v[59:60], v[55:56], -v[59:60]
	v_fma_f64 v[13:14], v[13:14], v[61:62], v[13:14]
	v_add_f64 v[53:54], v[53:54], -v[70:71]
	v_add_f64 v[5:6], v[59:60], -v[5:6]
	v_mul_f64 v[61:62], v[57:58], v[13:14]
	v_add_f64 v[53:54], v[53:54], -v[55:56]
	v_fma_f64 v[51:52], -v[51:52], v[61:62], v[57:58]
	v_add_f64 v[5:6], v[5:6], v[53:54]
	v_div_fmas_f64 v[13:14], v[51:52], v[13:14], v[61:62]
	v_subbrev_co_u32_e64 v3, vcc, 0, v3, s[10:11]
	v_cmp_eq_f64_e64 s[10:11], 0, v[11:12]
	v_cmp_gt_i32_e32 vcc, 0, v10
	v_cndmask_b32_e32 v7, v66, v67, vcc
	v_add_f64 v[5:6], v[70:71], v[5:6]
	v_mul_f64 v[5:6], v[29:30], v[5:6]
	v_div_fixup_f64 v[13:14], v[13:14], v[31:32], v[47:48]
	v_add_f64 v[29:30], v[49:50], v[5:6]
	v_mul_f64 v[31:32], v[13:14], v[13:14]
	v_mul_f64 v[47:48], v[29:30], v[29:30]
	v_fma_f64 v[51:52], v[31:32], s[50:51], v[37:38]
	v_fma_f64 v[53:54], v[47:48], s[28:29], v[35:36]
	v_mul_f64 v[55:56], v[29:30], v[47:48]
	v_fma_f64 v[51:52], v[31:32], v[51:52], s[48:49]
	v_cmp_class_f64_e64 s[48:49], v[9:10], s58
	v_fma_f64 v[53:54], v[47:48], v[53:54], s[30:31]
	v_fma_f64 v[51:52], v[31:32], v[51:52], s[12:13]
	s_mov_b32 s12, 0xa595c56f
	s_mov_b32 s13, 0x3f7d6d43
	v_fma_f64 v[53:54], v[47:48], v[53:54], s[34:35]
	v_fma_f64 v[51:52], v[31:32], v[51:52], s[12:13]
	s_mov_b32 s12, 0xa57d9582
	s_mov_b32 s13, 0xbf8c6ea4
	;; [unrolled: 4-line block ×4, first 2 shown]
	v_fma_f64 v[47:48], v[47:48], v[53:54], s[92:93]
	v_ldexp_f64 v[53:54], v[29:30], 1
	v_fma_f64 v[51:52], v[31:32], v[51:52], s[12:13]
	s_mov_b32 s12, 0x5711927a
	s_mov_b32 s13, 0x3fa2c15b
	v_add_f64 v[29:30], v[29:30], -v[49:50]
	v_mul_f64 v[47:48], v[55:56], v[47:48]
	v_cvt_f64_i32_e32 v[55:56], v3
	v_fma_f64 v[51:52], v[31:32], v[51:52], s[12:13]
	v_cmp_neq_f64_e64 s[12:13], 0, v[1:2]
	v_ashrrev_i32_e32 v3, 31, v10
	v_mul_f64 v[57:58], v[55:56], s[40:41]
	v_add_f64 v[5:6], v[5:6], -v[29:30]
	v_and_b32_e32 v9, 0x54442d18, v3
	v_add_f64 v[49:50], v[53:54], v[47:48]
	v_and_b32_e32 v3, 0x400921fb, v3
	v_fma_f64 v[51:52], v[31:32], v[51:52], s[60:61]
	v_ldexp_f64 v[5:6], v[5:6], 1
	v_add_f64 v[29:30], v[49:50], -v[53:54]
	v_fma_f64 v[53:54], v[55:56], s[40:41], -v[57:58]
	v_fma_f64 v[51:52], v[31:32], v[51:52], s[62:63]
	v_add_f64 v[29:30], v[47:48], -v[29:30]
	v_fma_f64 v[47:48], v[31:32], v[51:52], s[64:65]
	v_fma_f64 v[51:52], v[55:56], s[42:43], v[53:54]
	v_add_f64 v[5:6], v[5:6], v[29:30]
	v_fma_f64 v[29:30], v[31:32], v[47:48], s[66:67]
	v_add_f64 v[47:48], v[57:58], v[51:52]
	v_add_f64 v[53:54], v[49:50], v[5:6]
	v_fma_f64 v[29:30], v[31:32], v[29:30], s[68:69]
	v_add_f64 v[57:58], v[47:48], -v[57:58]
	v_add_f64 v[55:56], v[47:48], v[53:54]
	v_add_f64 v[49:50], v[53:54], -v[49:50]
	v_fma_f64 v[29:30], v[31:32], v[29:30], s[70:71]
	v_add_f64 v[51:52], v[51:52], -v[57:58]
	v_add_f64 v[59:60], v[55:56], -v[47:48]
	;; [unrolled: 1-line block ×3, first 2 shown]
	v_fma_f64 v[29:30], v[31:32], v[29:30], s[72:73]
	v_add_f64 v[61:62], v[55:56], -v[59:60]
	v_add_f64 v[49:50], v[53:54], -v[59:60]
	v_fma_f64 v[29:30], v[31:32], v[29:30], s[74:75]
	v_add_f64 v[53:54], v[51:52], v[5:6]
	v_add_f64 v[47:48], v[47:48], -v[61:62]
	v_fma_f64 v[29:30], v[31:32], v[29:30], s[76:77]
	v_add_f64 v[47:48], v[49:50], v[47:48]
	;; [unrolled: 3-line block ×3, first 2 shown]
	v_add_f64 v[53:54], v[53:54], -v[49:50]
	v_fma_f64 v[29:30], v[31:32], v[29:30], s[80:81]
	v_add_f64 v[5:6], v[5:6], -v[49:50]
	v_add_f64 v[57:58], v[55:56], v[47:48]
	v_mul_f64 v[29:30], v[31:32], v[29:30]
	v_add_f64 v[31:32], v[51:52], -v[53:54]
	v_add_f64 v[49:50], v[57:58], -v[55:56]
	v_fma_f64 v[13:14], v[13:14], v[29:30], v[13:14]
	v_add_f64 v[5:6], v[5:6], v[31:32]
	v_add_f64 v[29:30], v[47:48], -v[49:50]
	v_add_f64 v[31:32], -v[13:14], s[94:95]
	v_add_f64 v[5:6], v[5:6], v[29:30]
	v_cndmask_b32_e64 v14, v14, v32, s[8:9]
	v_cndmask_b32_e64 v13, v13, v31, s[8:9]
	v_add_f64 v[29:30], -v[13:14], s[82:83]
	v_add_f64 v[5:6], v[57:58], v[5:6]
	v_cndmask_b32_e32 v10, v13, v29, vcc
	v_cndmask_b32_e32 v13, v68, v69, vcc
	;; [unrolled: 1-line block ×3, first 2 shown]
	v_bfi_b32 v1, s57, v13, v12
	v_mul_f64 v[5:6], v[5:6], 0.5
	v_cndmask_b32_e64 v9, v10, v9, s[10:11]
	v_cndmask_b32_e64 v2, v2, v3, s[10:11]
	s_and_b64 vcc, s[46:47], s[48:49]
	s_mov_b32 s48, 0x69efb384
	s_mov_b32 s49, 0x3f4b2bb0
	v_cndmask_b32_e32 v32, v2, v1, vcc
	v_cndmask_b32_e32 v31, v9, v7, vcc
	v_cndmask_b32_e64 v30, v65, v6, s[12:13]
	v_cndmask_b32_e64 v29, 0, v5, s[12:13]
                                        ; implicit-def: $vgpr13_vgpr14
                                        ; implicit-def: $vgpr5_vgpr6
.LBB167_269:                            ;   in Loop: Header=BB167_145 Depth=1
	s_andn2_saveexec_b64 s[46:47], s[14:15]
	s_cbranch_execz .LBB167_273
; %bb.270:                              ;   in Loop: Header=BB167_145 Depth=1
	v_and_b32_e32 v34, 0x7ffffff8, v14
	v_add_f64 v[1:2], v[13:14], -v[33:34]
	v_and_b32_e32 v14, 0x7ffffff8, v6
	v_mov_b32_e32 v13, v33
	v_add_f64 v[5:6], v[5:6], -v[13:14]
	v_mov_b32_e32 v31, v33
	v_mov_b32_e32 v53, v33
	v_add_f64 v[49:50], v[33:34], v[33:34]
	v_add_f64 v[51:52], v[13:14], v[13:14]
	v_and_b32_e32 v32, -8, v2
	v_add_f64 v[59:60], v[1:2], -v[31:32]
	v_add_f64 v[70:71], v[31:32], v[31:32]
	v_and_b32_e32 v54, -8, v6
	v_add_f64 v[61:62], v[5:6], -v[53:54]
	v_add_f64 v[72:73], v[53:54], v[53:54]
	v_mul_f64 v[1:2], v[33:34], v[33:34]
	v_mul_f64 v[5:6], v[13:14], v[13:14]
	v_mul_f64 v[29:30], v[49:50], v[31:32]
	v_mul_f64 v[13:14], v[51:52], v[53:54]
	v_mul_f64 v[47:48], v[31:32], v[31:32]
	v_mul_f64 v[53:54], v[53:54], v[53:54]
	v_mul_f64 v[57:58], v[49:50], v[59:60]
	v_mul_f64 v[55:56], v[51:52], v[61:62]
	v_mul_f64 v[51:52], v[70:71], v[59:60]
	v_mul_f64 v[49:50], v[72:73], v[61:62]
	v_mul_f64 v[31:32], v[59:60], v[59:60]
	v_mul_f64 v[59:60], v[61:62], v[61:62]
	s_mov_b64 s[48:49], 0
.LBB167_271:                            ;   Parent Loop BB167_145 Depth=1
                                        ; =>  This Inner Loop Header: Depth=2
	v_cmp_nlt_f64_e32 vcc, v[1:2], v[5:6]
	v_cndmask_b32_e32 v62, v2, v6, vcc
	v_cndmask_b32_e32 v61, v1, v5, vcc
	v_cmp_nlt_f64_e64 s[10:11], v[61:62], v[29:30]
	v_cndmask_b32_e32 v2, v6, v2, vcc
	v_cndmask_b32_e32 v1, v5, v1, vcc
	v_cndmask_b32_e64 v71, v62, v30, s[10:11]
	v_cndmask_b32_e64 v70, v61, v29, s[10:11]
	v_cmp_nlt_f64_e64 s[12:13], v[70:71], v[13:14]
	v_cndmask_b32_e64 v6, v30, v62, s[10:11]
	v_cndmask_b32_e64 v5, v29, v61, s[10:11]
	s_and_b64 s[50:51], vcc, s[10:11]
	v_cndmask_b32_e64 v73, v71, v14, s[12:13]
	v_cndmask_b32_e64 v72, v70, v13, s[12:13]
	v_cmp_nlt_f64_e64 s[14:15], v[72:73], v[47:48]
	v_cndmask_b32_e64 v30, v14, v71, s[12:13]
	v_cndmask_b32_e64 v29, v13, v70, s[12:13]
	;; [unrolled: 1-line block ×4, first 2 shown]
	v_cmp_nlt_f64_e32 vcc, v[61:62], v[53:54]
	v_cndmask_b32_e64 v14, v48, v73, s[14:15]
	v_cndmask_b32_e64 v13, v47, v72, s[14:15]
	s_and_b64 s[14:15], s[12:13], s[14:15]
	v_cndmask_b32_e32 v71, v62, v54, vcc
	v_cndmask_b32_e32 v70, v61, v53, vcc
	v_cmp_nlt_f64_e64 s[10:11], v[70:71], v[57:58]
	v_cndmask_b32_e32 v48, v54, v62, vcc
	v_cndmask_b32_e32 v47, v53, v61, vcc
	v_cndmask_b32_e64 v62, v71, v58, s[10:11]
	v_cndmask_b32_e64 v61, v70, v57, s[10:11]
	v_cmp_nlt_f64_e64 s[12:13], v[61:62], v[55:56]
	v_cndmask_b32_e64 v54, v58, v71, s[10:11]
	v_cndmask_b32_e64 v53, v57, v70, s[10:11]
	s_and_b64 s[10:11], vcc, s[10:11]
	v_cndmask_b32_e64 v71, v62, v56, s[12:13]
	v_cndmask_b32_e64 v70, v61, v55, s[12:13]
	v_cmp_nlt_f64_e32 vcc, v[70:71], v[51:52]
	v_cndmask_b32_e64 v58, v56, v62, s[12:13]
	v_cndmask_b32_e64 v57, v55, v61, s[12:13]
	s_and_b64 s[12:13], s[10:11], s[12:13]
	v_cndmask_b32_e32 v62, v71, v52, vcc
	v_cndmask_b32_e32 v61, v70, v51, vcc
	v_cmp_nlt_f64_e64 s[10:11], v[61:62], v[49:50]
	v_cndmask_b32_e32 v56, v52, v71, vcc
	v_cndmask_b32_e32 v55, v51, v70, vcc
	s_and_b64 s[12:13], s[12:13], vcc
	v_cndmask_b32_e64 v71, v62, v50, s[10:11]
	v_cndmask_b32_e64 v70, v61, v49, s[10:11]
	v_cmp_nlt_f64_e32 vcc, v[70:71], v[31:32]
	v_cndmask_b32_e64 v52, v50, v62, s[10:11]
	v_cndmask_b32_e64 v51, v49, v61, s[10:11]
	s_and_b64 s[12:13], s[12:13], s[10:11]
	v_cndmask_b32_e32 v73, v71, v32, vcc
	v_cndmask_b32_e32 v72, v70, v31, vcc
	v_cmp_nlt_f64_e64 s[10:11], v[72:73], v[59:60]
	s_and_b64 s[12:13], s[12:13], vcc
	v_cndmask_b32_e32 v50, v32, v71, vcc
	v_cndmask_b32_e32 v49, v31, v70, vcc
	v_cndmask_b32_e64 v62, v73, v60, s[10:11]
	v_cndmask_b32_e64 v61, v72, v59, s[10:11]
	;; [unrolled: 1-line block ×4, first 2 shown]
	s_and_b64 s[10:11], s[12:13], s[10:11]
	s_and_b64 s[10:11], s[10:11], s[14:15]
	;; [unrolled: 1-line block ×3, first 2 shown]
	s_and_b64 s[10:11], exec, s[10:11]
	v_mov_b32_e32 v59, v61
	s_or_b64 s[48:49], s[10:11], s[48:49]
	v_mov_b32_e32 v60, v62
	s_andn2_b64 exec, exec, s[48:49]
	s_cbranch_execnz .LBB167_271
; %bb.272:                              ;   in Loop: Header=BB167_145 Depth=1
	s_or_b64 exec, exec, s[48:49]
	v_add_f64 v[1:2], v[1:2], -1.0
	s_mov_b32 s93, s27
	s_mov_b32 s82, s94
	;; [unrolled: 1-line block ×4, first 2 shown]
	v_cmp_class_f64_e64 s[48:49], v[11:12], s58
	v_cmp_class_f64_e64 s[50:51], v[9:10], s58
	v_add_f64 v[1:2], v[1:2], v[5:6]
	v_add_f64 v[1:2], v[1:2], v[29:30]
	;; [unrolled: 1-line block ×11, first 2 shown]
	v_add_f64 v[5:6], v[1:2], 1.0
	v_cmp_nge_f64_e64 s[12:13], -1.0, v[1:2]
	v_cmp_neq_f64_e64 s[14:15], s[14:15], v[1:2]
	v_frexp_mant_f64_e32 v[29:30], v[5:6]
	v_frexp_exp_i32_f64_e32 v3, v[5:6]
	v_add_f64 v[13:14], v[5:6], -1.0
	v_cmp_gt_f64_e32 vcc, s[26:27], v[29:30]
	v_add_f64 v[31:32], v[13:14], -v[5:6]
	v_add_f64 v[13:14], v[1:2], -v[13:14]
	v_subbrev_co_u32_e32 v3, vcc, 0, v3, vcc
	v_sub_u32_e32 v7, 0, v3
	v_ldexp_f64 v[5:6], v[5:6], v7
	v_add_f64 v[29:30], v[31:32], 1.0
	v_add_f64 v[31:32], v[5:6], 1.0
	v_add_f64 v[13:14], v[13:14], v[29:30]
	v_add_f64 v[51:52], v[5:6], -1.0
	v_add_f64 v[29:30], v[31:32], -1.0
	v_ldexp_f64 v[13:14], v[13:14], v7
	v_add_f64 v[53:54], v[51:52], 1.0
	v_add_f64 v[29:30], v[5:6], -v[29:30]
	v_add_f64 v[5:6], v[5:6], -v[53:54]
	v_add_f64 v[29:30], v[13:14], v[29:30]
	v_add_f64 v[5:6], v[13:14], v[5:6]
	;; [unrolled: 1-line block ×4, first 2 shown]
	v_rcp_f64_e32 v[49:50], v[47:48]
	v_add_f64 v[31:32], v[47:48], -v[31:32]
	v_add_f64 v[51:52], v[53:54], -v[51:52]
	;; [unrolled: 1-line block ×4, first 2 shown]
	v_fma_f64 v[55:56], -v[47:48], v[49:50], 1.0
	v_fma_f64 v[49:50], v[55:56], v[49:50], v[49:50]
	v_fma_f64 v[13:14], -v[47:48], v[49:50], 1.0
	v_fma_f64 v[13:14], v[13:14], v[49:50], v[49:50]
	v_mul_f64 v[49:50], v[53:54], v[13:14]
	v_mul_f64 v[55:56], v[47:48], v[49:50]
	v_fma_f64 v[31:32], v[49:50], v[47:48], -v[55:56]
	v_fma_f64 v[31:32], v[49:50], v[29:30], v[31:32]
	v_add_f64 v[57:58], v[55:56], v[31:32]
	v_add_f64 v[59:60], v[53:54], -v[57:58]
	v_add_f64 v[51:52], v[57:58], -v[55:56]
	;; [unrolled: 1-line block ×4, first 2 shown]
	v_max_f64 v[51:52], |v[9:10]|, |v[9:10]|
	v_add_f64 v[53:54], v[53:54], -v[57:58]
	v_add_f64 v[5:6], v[5:6], v[53:54]
	v_add_f64 v[5:6], v[31:32], v[5:6]
	v_max_f64 v[31:32], |v[11:12]|, |v[11:12]|
	v_add_f64 v[53:54], v[59:60], v[5:6]
	v_max_f64 v[55:56], v[51:52], v[31:32]
	v_min_f64 v[31:32], v[51:52], v[31:32]
	v_mul_f64 v[51:52], v[13:14], v[53:54]
	v_add_f64 v[59:60], v[59:60], -v[53:54]
	v_div_scale_f64 v[57:58], s[10:11], v[55:56], v[55:56], v[31:32]
	s_mov_b32 s10, 0xb5e68a13
	s_mov_b32 s11, 0x3eeba404
	v_mul_f64 v[61:62], v[47:48], v[51:52]
	v_add_f64 v[5:6], v[5:6], v[59:60]
	v_fma_f64 v[47:48], v[51:52], v[47:48], -v[61:62]
	v_rcp_f64_e32 v[70:71], v[57:58]
	v_fma_f64 v[29:30], v[51:52], v[29:30], v[47:48]
	v_add_f64 v[47:48], v[61:62], v[29:30]
	v_fma_f64 v[72:73], -v[57:58], v[70:71], 1.0
	v_add_f64 v[74:75], v[53:54], -v[47:48]
	v_add_f64 v[59:60], v[47:48], -v[61:62]
	v_fma_f64 v[70:71], v[70:71], v[72:73], v[70:71]
	v_div_scale_f64 v[72:73], vcc, v[31:32], v[55:56], v[31:32]
	v_add_f64 v[53:54], v[53:54], -v[74:75]
	v_add_f64 v[29:30], v[59:60], -v[29:30]
	v_fma_f64 v[76:77], -v[57:58], v[70:71], 1.0
	v_add_f64 v[59:60], v[49:50], v[51:52]
	v_add_f64 v[47:48], v[53:54], -v[47:48]
	v_fma_f64 v[53:54], v[70:71], v[76:77], v[70:71]
	v_add_f64 v[49:50], v[59:60], -v[49:50]
	v_add_f64 v[5:6], v[5:6], v[47:48]
	v_mul_f64 v[47:48], v[72:73], v[53:54]
	v_add_f64 v[5:6], v[29:30], v[5:6]
	v_fma_f64 v[29:30], -v[57:58], v[47:48], v[72:73]
	v_add_f64 v[5:6], v[74:75], v[5:6]
	v_div_fmas_f64 v[29:30], v[29:30], v[53:54], v[47:48]
	v_add_f64 v[47:48], v[51:52], -v[49:50]
	v_cmp_gt_i32_e32 vcc, 0, v10
	v_cndmask_b32_e32 v9, v68, v69, vcc
	v_cndmask_b32_e32 v7, v66, v67, vcc
	v_bfi_b32 v9, s57, v9, v12
	v_mul_f64 v[5:6], v[13:14], v[5:6]
	v_add_f64 v[5:6], v[47:48], v[5:6]
	v_div_fixup_f64 v[13:14], v[29:30], v[55:56], v[31:32]
	v_cvt_f64_i32_e32 v[55:56], v3
	v_ashrrev_i32_e32 v3, 31, v10
	v_and_b32_e32 v10, 0x54442d18, v3
	v_and_b32_e32 v3, 0x400921fb, v3
	v_mul_f64 v[57:58], v[55:56], s[40:41]
	v_add_f64 v[29:30], v[59:60], v[5:6]
	v_mul_f64 v[31:32], v[13:14], v[13:14]
	v_mul_f64 v[47:48], v[29:30], v[29:30]
	v_fma_f64 v[49:50], v[31:32], s[10:11], v[37:38]
	s_mov_b32 s10, 0x69efb384
	s_mov_b32 s11, 0x3f4b2bb0
	v_fma_f64 v[51:52], v[47:48], s[28:29], v[35:36]
	v_mul_f64 v[53:54], v[29:30], v[47:48]
	v_fma_f64 v[49:50], v[31:32], v[49:50], s[10:11]
	s_mov_b32 s10, 0xaf56de9b
	s_mov_b32 s11, 0xbf67952d
	v_fma_f64 v[51:52], v[47:48], v[51:52], s[30:31]
	v_fma_f64 v[49:50], v[31:32], v[49:50], s[10:11]
	s_mov_b32 s10, 0xa595c56f
	s_mov_b32 s11, 0x3f7d6d43
	v_fma_f64 v[51:52], v[47:48], v[51:52], s[34:35]
	;; [unrolled: 4-line block ×5, first 2 shown]
	v_ldexp_f64 v[51:52], v[29:30], 1
	v_fma_f64 v[49:50], v[31:32], v[49:50], s[10:11]
	s_mov_b32 s10, 0x5711927a
	s_mov_b32 s11, 0x3fa2c15b
	v_add_f64 v[29:30], v[29:30], -v[59:60]
	v_mul_f64 v[47:48], v[53:54], v[47:48]
	v_fma_f64 v[49:50], v[31:32], v[49:50], s[10:11]
	v_cmp_eq_f64_e64 s[10:11], 0, v[11:12]
	v_add_f64 v[5:6], v[5:6], -v[29:30]
	v_add_f64 v[53:54], v[51:52], v[47:48]
	v_fma_f64 v[49:50], v[31:32], v[49:50], s[60:61]
	v_ldexp_f64 v[5:6], v[5:6], 1
	v_add_f64 v[29:30], v[53:54], -v[51:52]
	v_fma_f64 v[51:52], v[55:56], s[40:41], -v[57:58]
	v_fma_f64 v[49:50], v[31:32], v[49:50], s[62:63]
	v_add_f64 v[29:30], v[47:48], -v[29:30]
	v_fma_f64 v[47:48], v[31:32], v[49:50], s[64:65]
	v_fma_f64 v[49:50], v[55:56], s[42:43], v[51:52]
	v_add_f64 v[5:6], v[5:6], v[29:30]
	v_fma_f64 v[29:30], v[31:32], v[47:48], s[66:67]
	v_add_f64 v[47:48], v[57:58], v[49:50]
	v_add_f64 v[51:52], v[53:54], v[5:6]
	v_fma_f64 v[29:30], v[31:32], v[29:30], s[68:69]
	v_add_f64 v[57:58], v[47:48], -v[57:58]
	v_add_f64 v[55:56], v[47:48], v[51:52]
	v_add_f64 v[53:54], v[51:52], -v[53:54]
	v_fma_f64 v[29:30], v[31:32], v[29:30], s[70:71]
	v_add_f64 v[49:50], v[49:50], -v[57:58]
	v_add_f64 v[59:60], v[55:56], -v[47:48]
	;; [unrolled: 1-line block ×3, first 2 shown]
	v_fma_f64 v[29:30], v[31:32], v[29:30], s[72:73]
	v_add_f64 v[61:62], v[55:56], -v[59:60]
	v_add_f64 v[51:52], v[51:52], -v[59:60]
	v_fma_f64 v[29:30], v[31:32], v[29:30], s[74:75]
	v_add_f64 v[53:54], v[49:50], v[5:6]
	v_add_f64 v[47:48], v[47:48], -v[61:62]
	v_fma_f64 v[29:30], v[31:32], v[29:30], s[76:77]
	v_add_f64 v[47:48], v[51:52], v[47:48]
	;; [unrolled: 3-line block ×3, first 2 shown]
	v_add_f64 v[53:54], v[53:54], -v[51:52]
	v_fma_f64 v[29:30], v[31:32], v[29:30], s[80:81]
	v_add_f64 v[5:6], v[5:6], -v[51:52]
	v_add_f64 v[57:58], v[55:56], v[47:48]
	v_mul_f64 v[29:30], v[31:32], v[29:30]
	v_add_f64 v[31:32], v[49:50], -v[53:54]
	v_add_f64 v[49:50], v[57:58], -v[55:56]
	v_fma_f64 v[13:14], v[13:14], v[29:30], v[13:14]
	v_add_f64 v[5:6], v[5:6], v[31:32]
	v_add_f64 v[29:30], v[47:48], -v[49:50]
	v_add_f64 v[31:32], -v[13:14], s[94:95]
	v_add_f64 v[5:6], v[5:6], v[29:30]
	v_cndmask_b32_e64 v14, v14, v32, s[8:9]
	v_cndmask_b32_e64 v13, v13, v31, s[8:9]
	v_add_f64 v[29:30], -v[13:14], s[82:83]
	v_add_f64 v[5:6], v[57:58], v[5:6]
	v_cndmask_b32_e32 v13, v13, v29, vcc
	v_cndmask_b32_e32 v14, v14, v30, vcc
	v_cndmask_b32_e64 v10, v13, v10, s[10:11]
	v_cndmask_b32_e64 v3, v14, v3, s[10:11]
	v_mul_f64 v[5:6], v[5:6], 0.5
	s_and_b64 s[10:11], s[12:13], s[14:15]
	s_and_b64 vcc, s[48:49], s[50:51]
	v_cndmask_b32_e32 v32, v3, v9, vcc
	s_mov_b32 s48, 0x69efb384
	s_mov_b32 s50, 0xb5e68a13
	;; [unrolled: 1-line block ×4, first 2 shown]
	v_cndmask_b32_e64 v29, 0, v5, s[10:11]
	v_cmp_ngt_f64_e64 s[10:11], -1.0, v[1:2]
	v_cndmask_b32_e64 v3, v63, v6, s[14:15]
	v_cndmask_b32_e32 v31, v10, v7, vcc
	v_cndmask_b32_e64 v3, v64, v3, s[10:11]
	v_cmp_neq_f64_e64 s[10:11], -1.0, v[1:2]
	v_cndmask_b32_e64 v30, v65, v3, s[10:11]
.LBB167_273:                            ;   in Loop: Header=BB167_145 Depth=1
	s_or_b64 exec, exec, s[46:47]
.LBB167_274:                            ;   in Loop: Header=BB167_145 Depth=1
	s_or_b64 exec, exec, s[44:45]
.LBB167_275:                            ;   in Loop: Header=BB167_145 Depth=1
	s_andn2_saveexec_b64 s[14:15], s[86:87]
	s_cbranch_execz .LBB167_277
; %bb.276:                              ;   in Loop: Header=BB167_145 Depth=1
	v_max_f64 v[5:6], |v[11:12]|, |v[11:12]|
	v_max_f64 v[13:14], |v[9:10]|, |v[9:10]|
	v_cmp_class_f64_e64 s[44:45], v[9:10], s58
	v_cmp_class_f64_e64 s[46:47], v[11:12], s58
	s_mov_b32 s93, s27
	s_mov_b32 s82, s94
	v_max_f64 v[29:30], v[13:14], v[5:6]
	v_min_f64 v[5:6], v[13:14], v[5:6]
	v_frexp_exp_i32_f64_e32 v3, v[29:30]
	v_sub_u32_e32 v7, 0, v3
	v_ldexp_f64 v[1:2], |v[11:12]|, v7
	v_ldexp_f64 v[31:32], |v[9:10]|, v7
	v_mul_f64 v[1:2], v[1:2], v[1:2]
	v_fma_f64 v[1:2], v[31:32], v[31:32], v[1:2]
	v_rsq_f64_e32 v[31:32], v[1:2]
	v_cmp_eq_f64_e32 vcc, 0, v[1:2]
	v_mul_f64 v[47:48], v[1:2], v[31:32]
	v_mul_f64 v[31:32], v[31:32], 0.5
	v_fma_f64 v[49:50], -v[31:32], v[47:48], 0.5
	v_fma_f64 v[47:48], v[47:48], v[49:50], v[47:48]
	v_fma_f64 v[31:32], v[31:32], v[49:50], v[31:32]
	v_fma_f64 v[49:50], -v[47:48], v[47:48], v[1:2]
	v_fma_f64 v[31:32], v[49:50], v[31:32], v[47:48]
	v_cndmask_b32_e32 v2, v32, v2, vcc
	v_cndmask_b32_e32 v1, v31, v1, vcc
	v_ldexp_f64 v[1:2], v[1:2], v3
	s_or_b64 vcc, s[46:47], s[44:45]
	v_cndmask_b32_e32 v2, v2, v63, vcc
	v_cndmask_b32_e64 v1, v1, 0, vcc
	v_frexp_mant_f64_e32 v[31:32], v[1:2]
	v_cmp_gt_f64_e64 s[10:11], s[26:27], v[31:32]
	v_cndmask_b32_e64 v3, 0, 1, s[10:11]
	v_ldexp_f64 v[31:32], v[31:32], v3
	v_frexp_exp_i32_f64_e32 v3, v[1:2]
	v_add_f64 v[47:48], v[31:32], 1.0
	v_add_f64 v[53:54], v[31:32], -1.0
	v_rcp_f64_e32 v[49:50], v[47:48]
	v_add_f64 v[57:58], v[47:48], -1.0
	v_add_f64 v[31:32], v[31:32], -v[57:58]
	v_fma_f64 v[51:52], -v[47:48], v[49:50], 1.0
	v_fma_f64 v[13:14], v[51:52], v[49:50], v[49:50]
	v_div_scale_f64 v[49:50], s[12:13], v[29:30], v[29:30], v[5:6]
	s_mov_b32 s12, 0xaf56de9b
	s_mov_b32 s13, 0xbf67952d
	v_fma_f64 v[51:52], -v[47:48], v[13:14], 1.0
	v_fma_f64 v[13:14], v[51:52], v[13:14], v[13:14]
	v_rcp_f64_e32 v[51:52], v[49:50]
	v_mul_f64 v[55:56], v[53:54], v[13:14]
	v_mul_f64 v[59:60], v[47:48], v[55:56]
	v_fma_f64 v[61:62], -v[49:50], v[51:52], 1.0
	v_fma_f64 v[47:48], v[55:56], v[47:48], -v[59:60]
	v_fma_f64 v[51:52], v[51:52], v[61:62], v[51:52]
	v_fma_f64 v[31:32], v[55:56], v[31:32], v[47:48]
	v_div_scale_f64 v[47:48], vcc, v[5:6], v[29:30], v[5:6]
	v_fma_f64 v[57:58], -v[49:50], v[51:52], 1.0
	v_add_f64 v[61:62], v[59:60], v[31:32]
	v_fma_f64 v[51:52], v[51:52], v[57:58], v[51:52]
	v_add_f64 v[57:58], v[53:54], -v[61:62]
	v_add_f64 v[59:60], v[61:62], -v[59:60]
	v_mul_f64 v[70:71], v[47:48], v[51:52]
	v_add_f64 v[53:54], v[53:54], -v[57:58]
	v_add_f64 v[31:32], v[59:60], -v[31:32]
	v_fma_f64 v[47:48], -v[49:50], v[70:71], v[47:48]
	v_add_f64 v[49:50], v[53:54], -v[61:62]
	v_div_fmas_f64 v[47:48], v[47:48], v[51:52], v[70:71]
	v_subbrev_co_u32_e64 v3, vcc, 0, v3, s[10:11]
	v_cmp_eq_f64_e64 s[10:11], 0, v[11:12]
	v_cmp_gt_i32_e32 vcc, 0, v10
	v_add_f64 v[31:32], v[31:32], v[49:50]
	v_cndmask_b32_e32 v7, v66, v67, vcc
	v_add_f64 v[31:32], v[57:58], v[31:32]
	v_div_fixup_f64 v[5:6], v[47:48], v[29:30], v[5:6]
	v_mul_f64 v[13:14], v[13:14], v[31:32]
	v_mul_f64 v[29:30], v[5:6], v[5:6]
	v_add_f64 v[31:32], v[55:56], v[13:14]
	v_fma_f64 v[47:48], v[29:30], s[50:51], v[37:38]
	v_mul_f64 v[49:50], v[31:32], v[31:32]
	v_fma_f64 v[47:48], v[29:30], v[47:48], s[48:49]
	v_fma_f64 v[51:52], v[49:50], s[28:29], v[35:36]
	v_mul_f64 v[53:54], v[31:32], v[49:50]
	v_fma_f64 v[47:48], v[29:30], v[47:48], s[12:13]
	s_mov_b32 s12, 0xa595c56f
	s_mov_b32 s13, 0x3f7d6d43
	v_fma_f64 v[51:52], v[49:50], v[51:52], s[30:31]
	v_fma_f64 v[47:48], v[29:30], v[47:48], s[12:13]
	s_mov_b32 s12, 0xa57d9582
	s_mov_b32 s13, 0xbf8c6ea4
	v_fma_f64 v[51:52], v[49:50], v[51:52], s[34:35]
	;; [unrolled: 4-line block ×5, first 2 shown]
	v_ldexp_f64 v[51:52], v[31:32], 1
	v_add_f64 v[31:32], v[31:32], -v[55:56]
	v_fma_f64 v[47:48], v[29:30], v[47:48], s[12:13]
	v_cvt_f64_i32_e32 v[55:56], v3
	v_ashrrev_i32_e32 v3, 31, v10
	v_and_b32_e32 v15, 0x54442d18, v3
	v_and_b32_e32 v3, 0x400921fb, v3
	v_mul_f64 v[49:50], v[53:54], v[49:50]
	v_mul_f64 v[57:58], v[55:56], s[40:41]
	v_add_f64 v[13:14], v[13:14], -v[31:32]
	v_fma_f64 v[47:48], v[29:30], v[47:48], s[60:61]
	v_cmp_class_f64_e64 s[12:13], v[1:2], s58
	v_add_f64 v[53:54], v[51:52], v[49:50]
	v_ldexp_f64 v[13:14], v[13:14], 1
	v_fma_f64 v[47:48], v[29:30], v[47:48], s[62:63]
	v_add_f64 v[31:32], v[53:54], -v[51:52]
	v_fma_f64 v[51:52], v[55:56], s[40:41], -v[57:58]
	v_fma_f64 v[47:48], v[29:30], v[47:48], s[64:65]
	v_add_f64 v[31:32], v[49:50], -v[31:32]
	v_fma_f64 v[49:50], v[55:56], s[42:43], v[51:52]
	v_fma_f64 v[47:48], v[29:30], v[47:48], s[66:67]
	v_add_f64 v[13:14], v[13:14], v[31:32]
	v_fma_f64 v[31:32], v[29:30], v[47:48], s[68:69]
	v_add_f64 v[47:48], v[57:58], v[49:50]
	v_add_f64 v[51:52], v[53:54], v[13:14]
	v_fma_f64 v[31:32], v[29:30], v[31:32], s[70:71]
	v_add_f64 v[57:58], v[47:48], -v[57:58]
	v_add_f64 v[55:56], v[47:48], v[51:52]
	v_add_f64 v[53:54], v[51:52], -v[53:54]
	v_fma_f64 v[31:32], v[29:30], v[31:32], s[72:73]
	v_add_f64 v[49:50], v[49:50], -v[57:58]
	v_add_f64 v[59:60], v[55:56], -v[47:48]
	;; [unrolled: 1-line block ×3, first 2 shown]
	v_fma_f64 v[31:32], v[29:30], v[31:32], s[74:75]
	v_add_f64 v[61:62], v[55:56], -v[59:60]
	v_add_f64 v[51:52], v[51:52], -v[59:60]
	v_add_f64 v[53:54], v[49:50], v[13:14]
	v_fma_f64 v[31:32], v[29:30], v[31:32], s[76:77]
	v_add_f64 v[47:48], v[47:48], -v[61:62]
	v_fma_f64 v[31:32], v[29:30], v[31:32], s[78:79]
	v_add_f64 v[47:48], v[51:52], v[47:48]
	v_add_f64 v[51:52], v[53:54], -v[49:50]
	v_fma_f64 v[31:32], v[29:30], v[31:32], s[80:81]
	v_add_f64 v[47:48], v[53:54], v[47:48]
	v_add_f64 v[13:14], v[13:14], -v[51:52]
	v_mul_f64 v[29:30], v[29:30], v[31:32]
	v_add_f64 v[31:32], v[53:54], -v[51:52]
	v_add_f64 v[53:54], v[55:56], v[47:48]
	v_fma_f64 v[5:6], v[5:6], v[29:30], v[5:6]
	v_add_f64 v[29:30], v[49:50], -v[31:32]
	v_add_f64 v[31:32], v[53:54], -v[55:56]
	v_add_f64 v[49:50], -v[5:6], s[94:95]
	v_add_f64 v[13:14], v[13:14], v[29:30]
	v_add_f64 v[29:30], v[47:48], -v[31:32]
	v_cndmask_b32_e64 v6, v6, v50, s[8:9]
	v_cndmask_b32_e64 v5, v5, v49, s[8:9]
	v_add_f64 v[31:32], -v[5:6], s[82:83]
	v_add_f64 v[13:14], v[13:14], v[29:30]
	v_cndmask_b32_e32 v29, v68, v69, vcc
	v_cndmask_b32_e32 v5, v5, v31, vcc
	;; [unrolled: 1-line block ×3, first 2 shown]
	v_cndmask_b32_e64 v5, v5, v15, s[10:11]
	v_add_f64 v[9:10], v[53:54], v[13:14]
	v_cndmask_b32_e64 v3, v6, v3, s[10:11]
	v_cmp_ngt_f64_e64 s[10:11], 0, v[1:2]
	v_bfi_b32 v13, s57, v29, v12
	s_and_b64 vcc, s[46:47], s[44:45]
	v_cndmask_b32_e32 v32, v3, v13, vcc
	v_cndmask_b32_e32 v31, v5, v7, vcc
	v_cndmask_b32_e64 v6, v10, v2, s[12:13]
	v_cndmask_b32_e64 v3, v9, v1, s[12:13]
	;; [unrolled: 1-line block ×3, first 2 shown]
	v_cmp_nge_f64_e64 s[10:11], 0, v[1:2]
	v_cndmask_b32_e64 v29, 0, v3, s[10:11]
	v_cmp_neq_f64_e64 s[10:11], 0, v[1:2]
	v_cndmask_b32_e64 v30, v65, v6, s[10:11]
.LBB167_277:                            ;   in Loop: Header=BB167_145 Depth=1
	s_or_b64 exec, exec, s[14:15]
                                        ; implicit-def: $vgpr5_vgpr6
.LBB167_278:                            ;   in Loop: Header=BB167_145 Depth=1
	s_andn2_saveexec_b64 s[14:15], s[20:21]
	s_cbranch_execz .LBB167_284
; %bb.279:                              ;   in Loop: Header=BB167_145 Depth=1
	s_mov_b32 s10, 0x6a3f9475
	s_mov_b32 s11, 0x20ca2fe7
	v_cmp_ngt_f64_e32 vcc, s[10:11], v[5:6]
                                        ; implicit-def: $vgpr29_vgpr30
	s_and_saveexec_b64 s[10:11], vcc
	s_xor_b64 s[20:21], exec, s[10:11]
	s_cbranch_execz .LBB167_281
; %bb.280:                              ;   in Loop: Header=BB167_145 Depth=1
	v_mul_f64 v[1:2], v[5:6], v[5:6]
	s_mov_b32 s93, s27
	s_mov_b32 s82, s94
	;; [unrolled: 1-line block ×3, first 2 shown]
	v_cmp_class_f64_e64 s[44:45], v[11:12], s58
	v_cmp_class_f64_e64 s[46:47], v[9:10], s58
	s_mov_b32 s13, 0x7ff00000
	v_add_f64 v[5:6], v[1:2], 1.0
	v_cmp_neq_f64_e64 s[12:13], s[12:13], v[1:2]
	v_frexp_mant_f64_e32 v[29:30], v[5:6]
	v_frexp_exp_i32_f64_e32 v3, v[5:6]
	v_add_f64 v[13:14], v[5:6], -1.0
	v_cmp_gt_f64_e32 vcc, s[26:27], v[29:30]
	v_add_f64 v[31:32], v[13:14], -v[5:6]
	v_add_f64 v[13:14], v[1:2], -v[13:14]
	v_subbrev_co_u32_e32 v3, vcc, 0, v3, vcc
	v_sub_u32_e32 v7, 0, v3
	v_ldexp_f64 v[5:6], v[5:6], v7
	v_add_f64 v[29:30], v[31:32], 1.0
	v_add_f64 v[31:32], v[5:6], 1.0
	v_add_f64 v[13:14], v[13:14], v[29:30]
	v_add_f64 v[51:52], v[5:6], -1.0
	v_add_f64 v[29:30], v[31:32], -1.0
	v_ldexp_f64 v[13:14], v[13:14], v7
	v_add_f64 v[53:54], v[51:52], 1.0
	v_add_f64 v[29:30], v[5:6], -v[29:30]
	v_add_f64 v[5:6], v[5:6], -v[53:54]
	v_add_f64 v[29:30], v[13:14], v[29:30]
	v_add_f64 v[5:6], v[13:14], v[5:6]
	;; [unrolled: 1-line block ×4, first 2 shown]
	v_rcp_f64_e32 v[49:50], v[47:48]
	v_add_f64 v[31:32], v[31:32], -v[47:48]
	v_add_f64 v[51:52], v[51:52], -v[53:54]
	v_add_f64 v[29:30], v[29:30], v[31:32]
	v_add_f64 v[5:6], v[5:6], v[51:52]
	v_fma_f64 v[55:56], -v[47:48], v[49:50], 1.0
	v_fma_f64 v[49:50], v[55:56], v[49:50], v[49:50]
	v_fma_f64 v[13:14], -v[47:48], v[49:50], 1.0
	v_fma_f64 v[13:14], v[13:14], v[49:50], v[49:50]
	v_mul_f64 v[49:50], v[53:54], v[13:14]
	v_mul_f64 v[55:56], v[47:48], v[49:50]
	v_fma_f64 v[31:32], v[49:50], v[47:48], -v[55:56]
	v_fma_f64 v[31:32], v[49:50], v[29:30], v[31:32]
	v_add_f64 v[57:58], v[55:56], v[31:32]
	v_add_f64 v[59:60], v[53:54], -v[57:58]
	v_add_f64 v[51:52], v[57:58], -v[55:56]
	;; [unrolled: 1-line block ×4, first 2 shown]
	v_max_f64 v[51:52], |v[9:10]|, |v[9:10]|
	v_add_f64 v[53:54], v[53:54], -v[57:58]
	v_add_f64 v[5:6], v[5:6], v[53:54]
	v_add_f64 v[5:6], v[31:32], v[5:6]
	v_max_f64 v[31:32], |v[11:12]|, |v[11:12]|
	v_add_f64 v[53:54], v[59:60], v[5:6]
	v_max_f64 v[55:56], v[51:52], v[31:32]
	v_min_f64 v[31:32], v[51:52], v[31:32]
	v_mul_f64 v[51:52], v[13:14], v[53:54]
	v_add_f64 v[59:60], v[59:60], -v[53:54]
	v_div_scale_f64 v[57:58], s[10:11], v[55:56], v[55:56], v[31:32]
	s_mov_b32 s10, 0xaf56de9b
	s_mov_b32 s11, 0xbf67952d
	v_mul_f64 v[61:62], v[47:48], v[51:52]
	v_add_f64 v[5:6], v[5:6], v[59:60]
	v_fma_f64 v[47:48], v[51:52], v[47:48], -v[61:62]
	v_rcp_f64_e32 v[70:71], v[57:58]
	v_fma_f64 v[29:30], v[51:52], v[29:30], v[47:48]
	v_add_f64 v[47:48], v[61:62], v[29:30]
	v_fma_f64 v[72:73], -v[57:58], v[70:71], 1.0
	v_add_f64 v[74:75], v[53:54], -v[47:48]
	v_add_f64 v[59:60], v[47:48], -v[61:62]
	v_fma_f64 v[70:71], v[70:71], v[72:73], v[70:71]
	v_div_scale_f64 v[72:73], vcc, v[31:32], v[55:56], v[31:32]
	v_add_f64 v[53:54], v[53:54], -v[74:75]
	v_add_f64 v[29:30], v[59:60], -v[29:30]
	v_fma_f64 v[76:77], -v[57:58], v[70:71], 1.0
	v_add_f64 v[59:60], v[49:50], v[51:52]
	v_add_f64 v[47:48], v[53:54], -v[47:48]
	v_fma_f64 v[53:54], v[70:71], v[76:77], v[70:71]
	v_add_f64 v[49:50], v[59:60], -v[49:50]
	v_add_f64 v[5:6], v[5:6], v[47:48]
	v_mul_f64 v[47:48], v[72:73], v[53:54]
	v_add_f64 v[5:6], v[29:30], v[5:6]
	v_fma_f64 v[29:30], -v[57:58], v[47:48], v[72:73]
	v_add_f64 v[5:6], v[74:75], v[5:6]
	v_div_fmas_f64 v[29:30], v[29:30], v[53:54], v[47:48]
	v_add_f64 v[47:48], v[51:52], -v[49:50]
	v_cmp_gt_i32_e32 vcc, 0, v10
	v_cndmask_b32_e32 v7, v66, v67, vcc
	v_mul_f64 v[5:6], v[13:14], v[5:6]
	v_add_f64 v[5:6], v[47:48], v[5:6]
	v_div_fixup_f64 v[13:14], v[29:30], v[55:56], v[31:32]
	v_cvt_f64_i32_e32 v[55:56], v3
	v_ashrrev_i32_e32 v3, 31, v10
	v_and_b32_e32 v9, 0x54442d18, v3
	v_and_b32_e32 v3, 0x400921fb, v3
	v_mul_f64 v[57:58], v[55:56], s[40:41]
	v_add_f64 v[29:30], v[59:60], v[5:6]
	v_mul_f64 v[31:32], v[13:14], v[13:14]
	v_mul_f64 v[47:48], v[29:30], v[29:30]
	v_fma_f64 v[49:50], v[31:32], s[50:51], v[37:38]
	v_fma_f64 v[51:52], v[47:48], s[28:29], v[35:36]
	v_mul_f64 v[53:54], v[29:30], v[47:48]
	v_fma_f64 v[49:50], v[31:32], v[49:50], s[48:49]
	v_fma_f64 v[51:52], v[47:48], v[51:52], s[30:31]
	;; [unrolled: 1-line block ×3, first 2 shown]
	s_mov_b32 s10, 0xa595c56f
	s_mov_b32 s11, 0x3f7d6d43
	v_fma_f64 v[51:52], v[47:48], v[51:52], s[34:35]
	v_fma_f64 v[49:50], v[31:32], v[49:50], s[10:11]
	s_mov_b32 s10, 0xa57d9582
	s_mov_b32 s11, 0xbf8c6ea4
	v_fma_f64 v[51:52], v[47:48], v[51:52], s[36:37]
	v_fma_f64 v[49:50], v[31:32], v[49:50], s[10:11]
	;; [unrolled: 4-line block ×3, first 2 shown]
	s_mov_b32 s10, 0xfc27006a
	s_mov_b32 s11, 0xbf9e9ae6
	v_fma_f64 v[47:48], v[47:48], v[51:52], s[92:93]
	v_ldexp_f64 v[51:52], v[29:30], 1
	v_fma_f64 v[49:50], v[31:32], v[49:50], s[10:11]
	s_mov_b32 s10, 0x5711927a
	s_mov_b32 s11, 0x3fa2c15b
	v_add_f64 v[29:30], v[29:30], -v[59:60]
	v_mul_f64 v[47:48], v[53:54], v[47:48]
	v_fma_f64 v[49:50], v[31:32], v[49:50], s[10:11]
	v_cmp_eq_f64_e64 s[10:11], 0, v[11:12]
	v_add_f64 v[5:6], v[5:6], -v[29:30]
	v_add_f64 v[53:54], v[51:52], v[47:48]
	v_fma_f64 v[49:50], v[31:32], v[49:50], s[60:61]
	v_ldexp_f64 v[5:6], v[5:6], 1
	v_add_f64 v[29:30], v[53:54], -v[51:52]
	v_fma_f64 v[51:52], v[55:56], s[40:41], -v[57:58]
	v_fma_f64 v[49:50], v[31:32], v[49:50], s[62:63]
	v_add_f64 v[29:30], v[47:48], -v[29:30]
	v_fma_f64 v[47:48], v[31:32], v[49:50], s[64:65]
	v_fma_f64 v[49:50], v[55:56], s[42:43], v[51:52]
	v_add_f64 v[5:6], v[5:6], v[29:30]
	v_fma_f64 v[29:30], v[31:32], v[47:48], s[66:67]
	v_add_f64 v[47:48], v[57:58], v[49:50]
	v_add_f64 v[51:52], v[53:54], v[5:6]
	v_fma_f64 v[29:30], v[31:32], v[29:30], s[68:69]
	v_add_f64 v[57:58], v[47:48], -v[57:58]
	v_add_f64 v[55:56], v[47:48], v[51:52]
	v_add_f64 v[53:54], v[51:52], -v[53:54]
	v_fma_f64 v[29:30], v[31:32], v[29:30], s[70:71]
	v_add_f64 v[49:50], v[49:50], -v[57:58]
	v_add_f64 v[59:60], v[55:56], -v[47:48]
	;; [unrolled: 1-line block ×3, first 2 shown]
	v_fma_f64 v[29:30], v[31:32], v[29:30], s[72:73]
	v_add_f64 v[61:62], v[55:56], -v[59:60]
	v_add_f64 v[51:52], v[51:52], -v[59:60]
	v_fma_f64 v[29:30], v[31:32], v[29:30], s[74:75]
	v_add_f64 v[53:54], v[49:50], v[5:6]
	v_add_f64 v[47:48], v[47:48], -v[61:62]
	v_fma_f64 v[29:30], v[31:32], v[29:30], s[76:77]
	v_add_f64 v[47:48], v[51:52], v[47:48]
	;; [unrolled: 3-line block ×3, first 2 shown]
	v_add_f64 v[53:54], v[53:54], -v[51:52]
	v_fma_f64 v[29:30], v[31:32], v[29:30], s[80:81]
	v_add_f64 v[5:6], v[5:6], -v[51:52]
	v_add_f64 v[57:58], v[55:56], v[47:48]
	v_mul_f64 v[29:30], v[31:32], v[29:30]
	v_add_f64 v[31:32], v[49:50], -v[53:54]
	v_add_f64 v[49:50], v[57:58], -v[55:56]
	v_fma_f64 v[13:14], v[13:14], v[29:30], v[13:14]
	v_add_f64 v[5:6], v[5:6], v[31:32]
	v_add_f64 v[29:30], v[47:48], -v[49:50]
	v_add_f64 v[31:32], -v[13:14], s[94:95]
	v_add_f64 v[5:6], v[5:6], v[29:30]
	v_cndmask_b32_e64 v14, v14, v32, s[8:9]
	v_cndmask_b32_e64 v13, v13, v31, s[8:9]
	v_add_f64 v[29:30], -v[13:14], s[82:83]
	v_add_f64 v[5:6], v[57:58], v[5:6]
	v_cndmask_b32_e32 v10, v13, v29, vcc
	v_cndmask_b32_e32 v13, v68, v69, vcc
	;; [unrolled: 1-line block ×3, first 2 shown]
	v_bfi_b32 v1, s57, v13, v12
	v_mul_f64 v[5:6], v[5:6], 0.5
	v_cndmask_b32_e64 v9, v10, v9, s[10:11]
	v_cndmask_b32_e64 v2, v2, v3, s[10:11]
	s_and_b64 vcc, s[44:45], s[46:47]
	v_cndmask_b32_e32 v32, v2, v1, vcc
	v_cndmask_b32_e32 v31, v9, v7, vcc
	v_cndmask_b32_e64 v30, v63, v6, s[12:13]
	v_cndmask_b32_e64 v29, 0, v5, s[12:13]
                                        ; implicit-def: $vgpr5_vgpr6
.LBB167_281:                            ;   in Loop: Header=BB167_145 Depth=1
	s_andn2_saveexec_b64 s[12:13], s[20:21]
	s_cbranch_execz .LBB167_283
; %bb.282:                              ;   in Loop: Header=BB167_145 Depth=1
	v_max_f64 v[1:2], |v[11:12]|, |v[11:12]|
	v_max_f64 v[13:14], |v[9:10]|, |v[9:10]|
	s_mov_b32 s82, s94
	v_cmp_class_f64_e64 s[20:21], v[11:12], s58
	v_cmp_class_f64_e64 s[44:45], v[9:10], s58
	v_ashrrev_i32_e32 v3, 31, v10
	v_and_b32_e32 v15, 0x54442d18, v3
	v_and_b32_e32 v3, 0x400921fb, v3
	v_max_f64 v[29:30], v[13:14], v[1:2]
	v_min_f64 v[1:2], v[13:14], v[1:2]
	v_div_scale_f64 v[13:14], s[10:11], v[29:30], v[29:30], v[1:2]
	s_mov_b32 s10, 0xaf56de9b
	s_mov_b32 s11, 0xbf67952d
	v_rcp_f64_e32 v[31:32], v[13:14]
	v_fma_f64 v[47:48], -v[13:14], v[31:32], 1.0
	v_fma_f64 v[31:32], v[31:32], v[47:48], v[31:32]
	v_div_scale_f64 v[47:48], vcc, v[1:2], v[29:30], v[1:2]
	v_fma_f64 v[49:50], -v[13:14], v[31:32], 1.0
	v_fma_f64 v[31:32], v[31:32], v[49:50], v[31:32]
	v_mul_f64 v[49:50], v[47:48], v[31:32]
	v_fma_f64 v[13:14], -v[13:14], v[49:50], v[47:48]
	v_div_fmas_f64 v[13:14], v[13:14], v[31:32], v[49:50]
	v_cmp_gt_i32_e32 vcc, 0, v10
	v_cndmask_b32_e32 v9, v68, v69, vcc
	v_cndmask_b32_e32 v7, v66, v67, vcc
	v_div_fixup_f64 v[1:2], v[13:14], v[29:30], v[1:2]
	v_mul_f64 v[13:14], v[1:2], v[1:2]
	v_fma_f64 v[29:30], v[13:14], s[50:51], v[37:38]
	v_fma_f64 v[29:30], v[13:14], v[29:30], s[48:49]
	;; [unrolled: 1-line block ×3, first 2 shown]
	s_mov_b32 s10, 0xa595c56f
	s_mov_b32 s11, 0x3f7d6d43
	v_fma_f64 v[29:30], v[13:14], v[29:30], s[10:11]
	s_mov_b32 s10, 0xa57d9582
	s_mov_b32 s11, 0xbf8c6ea4
	v_fma_f64 v[29:30], v[13:14], v[29:30], s[10:11]
	;; [unrolled: 3-line block ×5, first 2 shown]
	v_cmp_eq_f64_e64 s[10:11], 0, v[11:12]
	v_fma_f64 v[29:30], v[13:14], v[29:30], s[60:61]
	v_fma_f64 v[29:30], v[13:14], v[29:30], s[62:63]
	;; [unrolled: 1-line block ×11, first 2 shown]
	v_mul_f64 v[13:14], v[13:14], v[29:30]
	v_mul_f64 v[29:30], v[5:6], 0.5
	v_fma_f64 v[1:2], v[1:2], v[13:14], v[1:2]
	v_mul_f64 v[29:30], v[5:6], v[29:30]
	v_bfi_b32 v5, s57, v9, v12
	v_add_f64 v[13:14], -v[1:2], s[94:95]
	v_cndmask_b32_e64 v2, v2, v14, s[8:9]
	v_cndmask_b32_e64 v1, v1, v13, s[8:9]
	v_add_f64 v[13:14], -v[1:2], s[82:83]
	v_cndmask_b32_e32 v1, v1, v13, vcc
	v_cndmask_b32_e32 v2, v2, v14, vcc
	v_cndmask_b32_e64 v1, v1, v15, s[10:11]
	v_cndmask_b32_e64 v2, v2, v3, s[10:11]
	s_and_b64 vcc, s[20:21], s[44:45]
	v_cndmask_b32_e32 v32, v2, v5, vcc
	v_cndmask_b32_e32 v31, v1, v7, vcc
.LBB167_283:                            ;   in Loop: Header=BB167_145 Depth=1
	s_or_b64 exec, exec, s[12:13]
.LBB167_284:                            ;   in Loop: Header=BB167_145 Depth=1
	s_or_b64 exec, exec, s[14:15]
.LBB167_285:                            ;   in Loop: Header=BB167_145 Depth=1
	s_andn2_saveexec_b64 s[12:13], s[24:25]
	s_cbranch_execz .LBB167_287
; %bb.286:                              ;   in Loop: Header=BB167_145 Depth=1
	v_div_scale_f64 v[1:2], s[10:11], s[88:89], s[88:89], v[9:10]
	v_div_scale_f64 v[5:6], s[10:11], s[88:89], s[88:89], v[11:12]
	v_div_scale_f64 v[49:50], s[10:11], v[11:12], s[88:89], v[11:12]
	s_mov_b32 s93, s27
	s_mov_b32 s82, s94
	v_cmp_class_f64_e64 s[20:21], v[9:10], s58
	v_rcp_f64_e32 v[13:14], v[1:2]
	v_rcp_f64_e32 v[29:30], v[5:6]
	v_fma_f64 v[31:32], -v[1:2], v[13:14], 1.0
	v_fma_f64 v[47:48], -v[5:6], v[29:30], 1.0
	v_fma_f64 v[13:14], v[13:14], v[31:32], v[13:14]
	v_div_scale_f64 v[31:32], vcc, v[9:10], s[88:89], v[9:10]
	v_fma_f64 v[29:30], v[29:30], v[47:48], v[29:30]
	v_fma_f64 v[47:48], -v[1:2], v[13:14], 1.0
	v_fma_f64 v[51:52], -v[5:6], v[29:30], 1.0
	v_fma_f64 v[13:14], v[13:14], v[47:48], v[13:14]
	v_fma_f64 v[29:30], v[29:30], v[51:52], v[29:30]
	v_mul_f64 v[47:48], v[31:32], v[13:14]
	v_mul_f64 v[51:52], v[49:50], v[29:30]
	v_fma_f64 v[1:2], -v[1:2], v[47:48], v[31:32]
	v_fma_f64 v[5:6], -v[5:6], v[51:52], v[49:50]
	v_max_f64 v[49:50], |v[9:10]|, |v[9:10]|
	v_div_fmas_f64 v[1:2], v[1:2], v[13:14], v[47:48]
	s_mov_b64 vcc, s[10:11]
	v_div_fmas_f64 v[5:6], v[5:6], v[29:30], v[51:52]
	v_div_fixup_f64 v[1:2], v[1:2], s[88:89], v[9:10]
	v_div_fixup_f64 v[5:6], v[5:6], s[88:89], v[11:12]
	v_cmp_class_f64_e64 s[10:11], v[1:2], s58
	v_max_f64 v[13:14], |v[1:2]|, |v[5:6]|
	v_cmp_class_f64_e64 s[14:15], v[5:6], s58
	v_frexp_exp_i32_f64_e32 v3, v[13:14]
	v_sub_u32_e32 v7, 0, v3
	v_ldexp_f64 v[13:14], |v[5:6]|, v7
	v_ldexp_f64 v[29:30], |v[1:2]|, v7
	v_mul_f64 v[13:14], v[13:14], v[13:14]
	v_fma_f64 v[13:14], v[29:30], v[29:30], v[13:14]
	v_rsq_f64_e32 v[29:30], v[13:14]
	v_cmp_eq_f64_e32 vcc, 0, v[13:14]
	v_mul_f64 v[31:32], v[13:14], v[29:30]
	v_mul_f64 v[29:30], v[29:30], 0.5
	v_fma_f64 v[47:48], -v[29:30], v[31:32], 0.5
	v_fma_f64 v[31:32], v[31:32], v[47:48], v[31:32]
	v_fma_f64 v[29:30], v[29:30], v[47:48], v[29:30]
	v_fma_f64 v[47:48], -v[31:32], v[31:32], v[13:14]
	v_fma_f64 v[29:30], v[47:48], v[29:30], v[31:32]
	v_max_f64 v[47:48], |v[11:12]|, |v[11:12]|
	v_cndmask_b32_e32 v14, v30, v14, vcc
	v_cndmask_b32_e32 v13, v29, v13, vcc
	v_ldexp_f64 v[13:14], v[13:14], v3
	v_cmp_o_f64_e32 vcc, v[1:2], v[5:6]
	v_cndmask_b32_e32 v1, 0, v13, vcc
	v_cndmask_b32_e32 v2, v64, v14, vcc
	s_or_b64 vcc, s[14:15], s[10:11]
	v_cndmask_b32_e32 v2, v2, v63, vcc
	v_cndmask_b32_e64 v1, v1, 0, vcc
	v_frexp_mant_f64_e32 v[5:6], v[1:2]
	v_cmp_gt_f64_e64 s[10:11], s[26:27], v[5:6]
	v_cndmask_b32_e64 v3, 0, 1, s[10:11]
	v_ldexp_f64 v[5:6], v[5:6], v3
	v_frexp_exp_i32_f64_e32 v3, v[1:2]
	v_add_f64 v[13:14], v[5:6], 1.0
	v_add_f64 v[53:54], v[5:6], -1.0
	v_rcp_f64_e32 v[29:30], v[13:14]
	v_add_f64 v[57:58], v[13:14], -1.0
	v_add_f64 v[5:6], v[5:6], -v[57:58]
	v_fma_f64 v[31:32], -v[13:14], v[29:30], 1.0
	v_fma_f64 v[29:30], v[31:32], v[29:30], v[29:30]
	v_max_f64 v[31:32], v[49:50], v[47:48]
	v_min_f64 v[47:48], v[49:50], v[47:48]
	v_fma_f64 v[49:50], -v[13:14], v[29:30], 1.0
	v_div_scale_f64 v[51:52], s[14:15], v[31:32], v[31:32], v[47:48]
	s_mov_b32 s14, 0xaf56de9b
	s_mov_b32 s15, 0xbf67952d
	v_fma_f64 v[29:30], v[49:50], v[29:30], v[29:30]
	v_mul_f64 v[49:50], v[53:54], v[29:30]
	v_rcp_f64_e32 v[55:56], v[51:52]
	v_mul_f64 v[59:60], v[13:14], v[49:50]
	v_fma_f64 v[13:14], v[49:50], v[13:14], -v[59:60]
	v_fma_f64 v[57:58], -v[51:52], v[55:56], 1.0
	v_fma_f64 v[5:6], v[49:50], v[5:6], v[13:14]
	v_fma_f64 v[13:14], v[55:56], v[57:58], v[55:56]
	v_div_scale_f64 v[57:58], vcc, v[47:48], v[31:32], v[47:48]
	v_add_f64 v[55:56], v[59:60], v[5:6]
	v_fma_f64 v[61:62], -v[51:52], v[13:14], 1.0
	v_add_f64 v[70:71], v[53:54], -v[55:56]
	v_add_f64 v[59:60], v[55:56], -v[59:60]
	v_fma_f64 v[13:14], v[13:14], v[61:62], v[13:14]
	v_add_f64 v[53:54], v[53:54], -v[70:71]
	v_add_f64 v[5:6], v[59:60], -v[5:6]
	v_mul_f64 v[61:62], v[57:58], v[13:14]
	v_add_f64 v[53:54], v[53:54], -v[55:56]
	v_fma_f64 v[51:52], -v[51:52], v[61:62], v[57:58]
	v_add_f64 v[5:6], v[5:6], v[53:54]
	v_div_fmas_f64 v[13:14], v[51:52], v[13:14], v[61:62]
	v_subbrev_co_u32_e64 v3, vcc, 0, v3, s[10:11]
	v_cmp_class_f64_e64 vcc, v[1:2], s58
	v_cmp_eq_f64_e64 s[10:11], 0, v[11:12]
	v_add_f64 v[5:6], v[70:71], v[5:6]
	v_mul_f64 v[5:6], v[29:30], v[5:6]
	v_div_fixup_f64 v[13:14], v[13:14], v[31:32], v[47:48]
	v_add_f64 v[29:30], v[49:50], v[5:6]
	v_mul_f64 v[31:32], v[13:14], v[13:14]
	v_mul_f64 v[47:48], v[29:30], v[29:30]
	v_fma_f64 v[51:52], v[31:32], s[50:51], v[37:38]
	v_fma_f64 v[53:54], v[47:48], s[28:29], v[35:36]
	v_mul_f64 v[55:56], v[29:30], v[47:48]
	v_fma_f64 v[51:52], v[31:32], v[51:52], s[48:49]
	v_fma_f64 v[53:54], v[47:48], v[53:54], s[30:31]
	;; [unrolled: 1-line block ×3, first 2 shown]
	s_mov_b32 s14, 0xa595c56f
	s_mov_b32 s15, 0x3f7d6d43
	v_fma_f64 v[53:54], v[47:48], v[53:54], s[34:35]
	v_fma_f64 v[51:52], v[31:32], v[51:52], s[14:15]
	s_mov_b32 s14, 0xa57d9582
	s_mov_b32 s15, 0xbf8c6ea4
	v_fma_f64 v[53:54], v[47:48], v[53:54], s[36:37]
	v_fma_f64 v[51:52], v[31:32], v[51:52], s[14:15]
	;; [unrolled: 4-line block ×3, first 2 shown]
	s_mov_b32 s14, 0xfc27006a
	s_mov_b32 s15, 0xbf9e9ae6
	v_fma_f64 v[47:48], v[47:48], v[53:54], s[92:93]
	v_ldexp_f64 v[53:54], v[29:30], 1
	v_fma_f64 v[51:52], v[31:32], v[51:52], s[14:15]
	s_mov_b32 s14, 0x5711927a
	s_mov_b32 s15, 0x3fa2c15b
	v_add_f64 v[29:30], v[29:30], -v[49:50]
	v_mul_f64 v[47:48], v[55:56], v[47:48]
	v_cvt_f64_i32_e32 v[55:56], v3
	v_fma_f64 v[51:52], v[31:32], v[51:52], s[14:15]
	v_cmp_class_f64_e64 s[14:15], v[11:12], s58
	v_ashrrev_i32_e32 v3, 31, v10
	v_mul_f64 v[57:58], v[55:56], s[40:41]
	v_add_f64 v[5:6], v[5:6], -v[29:30]
	v_add_f64 v[49:50], v[53:54], v[47:48]
	v_fma_f64 v[51:52], v[31:32], v[51:52], s[60:61]
	v_ldexp_f64 v[5:6], v[5:6], 1
	v_add_f64 v[29:30], v[49:50], -v[53:54]
	v_fma_f64 v[53:54], v[55:56], s[40:41], -v[57:58]
	v_fma_f64 v[51:52], v[31:32], v[51:52], s[62:63]
	v_add_f64 v[29:30], v[47:48], -v[29:30]
	v_fma_f64 v[47:48], v[31:32], v[51:52], s[64:65]
	v_fma_f64 v[51:52], v[55:56], s[42:43], v[53:54]
	v_add_f64 v[5:6], v[5:6], v[29:30]
	v_fma_f64 v[29:30], v[31:32], v[47:48], s[66:67]
	v_add_f64 v[47:48], v[57:58], v[51:52]
	v_add_f64 v[53:54], v[49:50], v[5:6]
	v_fma_f64 v[29:30], v[31:32], v[29:30], s[68:69]
	v_add_f64 v[57:58], v[47:48], -v[57:58]
	v_add_f64 v[55:56], v[47:48], v[53:54]
	v_add_f64 v[49:50], v[53:54], -v[49:50]
	v_fma_f64 v[29:30], v[31:32], v[29:30], s[70:71]
	v_add_f64 v[51:52], v[51:52], -v[57:58]
	v_add_f64 v[59:60], v[55:56], -v[47:48]
	;; [unrolled: 1-line block ×3, first 2 shown]
	v_fma_f64 v[29:30], v[31:32], v[29:30], s[72:73]
	v_add_f64 v[61:62], v[55:56], -v[59:60]
	v_add_f64 v[49:50], v[53:54], -v[59:60]
	v_fma_f64 v[29:30], v[31:32], v[29:30], s[74:75]
	v_add_f64 v[53:54], v[51:52], v[5:6]
	v_add_f64 v[47:48], v[47:48], -v[61:62]
	v_fma_f64 v[29:30], v[31:32], v[29:30], s[76:77]
	v_add_f64 v[47:48], v[49:50], v[47:48]
	;; [unrolled: 3-line block ×3, first 2 shown]
	v_add_f64 v[53:54], v[53:54], -v[49:50]
	v_fma_f64 v[29:30], v[31:32], v[29:30], s[80:81]
	v_add_f64 v[5:6], v[5:6], -v[49:50]
	v_add_f64 v[57:58], v[55:56], v[47:48]
	v_mul_f64 v[29:30], v[31:32], v[29:30]
	v_add_f64 v[31:32], v[51:52], -v[53:54]
	v_add_f64 v[49:50], v[57:58], -v[55:56]
	v_fma_f64 v[13:14], v[13:14], v[29:30], v[13:14]
	v_add_f64 v[5:6], v[5:6], v[31:32]
	v_add_f64 v[29:30], v[47:48], -v[49:50]
	v_add_f64 v[31:32], -v[13:14], s[94:95]
	v_add_f64 v[5:6], v[5:6], v[29:30]
	v_cndmask_b32_e64 v14, v14, v32, s[8:9]
	v_cndmask_b32_e64 v13, v13, v31, s[8:9]
	v_add_f64 v[29:30], -v[13:14], s[82:83]
	v_cmp_gt_i32_e64 s[8:9], 0, v10
	v_cndmask_b32_e64 v7, v66, v67, s[8:9]
	v_cndmask_b32_e64 v9, v68, v69, s[8:9]
	v_add_f64 v[5:6], v[57:58], v[5:6]
	v_and_b32_e32 v10, 0x54442d18, v3
	v_and_b32_e32 v3, 0x400921fb, v3
	v_bfi_b32 v9, s57, v9, v12
	v_cndmask_b32_e64 v13, v13, v29, s[8:9]
	v_cndmask_b32_e64 v14, v14, v30, s[8:9]
	v_cmp_ngt_f64_e64 s[8:9], 0, v[1:2]
	v_cndmask_b32_e64 v3, v14, v3, s[10:11]
	v_cndmask_b32_e32 v6, v6, v2, vcc
	v_cndmask_b32_e32 v5, v5, v1, vcc
	v_add_f64 v[5:6], v[5:6], 1.0
	s_and_b64 vcc, s[14:15], s[20:21]
	v_cndmask_b32_e32 v32, v3, v9, vcc
	v_cndmask_b32_e64 v10, v13, v10, s[10:11]
	v_cndmask_b32_e32 v31, v10, v7, vcc
	v_cndmask_b32_e64 v3, v64, v6, s[8:9]
	v_cmp_nge_f64_e64 s[8:9], 0, v[1:2]
	v_cndmask_b32_e64 v29, 0, v5, s[8:9]
	v_cmp_neq_f64_e64 s[8:9], 0, v[1:2]
	v_cndmask_b32_e64 v30, v65, v3, s[8:9]
.LBB167_287:                            ;   in Loop: Header=BB167_145 Depth=1
	s_or_b64 exec, exec, s[12:13]
	s_andn2_saveexec_b64 s[8:9], s[22:23]
	s_cbranch_execz .LBB167_257
.LBB167_288:                            ;   in Loop: Header=BB167_145 Depth=1
	v_cmp_nlt_f64_e64 s[10:11], |v[9:10]|, s[84:85]
	v_cmp_nlt_f64_e64 s[12:13], |v[11:12]|, s[84:85]
                                        ; implicit-def: $vgpr1_vgpr2
	s_or_b64 s[10:11], s[12:13], s[10:11]
	s_and_saveexec_b64 s[12:13], s[10:11]
	s_xor_b64 s[10:11], exec, s[12:13]
	s_cbranch_execz .LBB167_290
; %bb.289:                              ;   in Loop: Header=BB167_145 Depth=1
	v_mul_f64 v[1:2], v[9:10], v[9:10]
	v_fma_f64 v[1:2], v[11:12], v[11:12], v[1:2]
.LBB167_290:                            ;   in Loop: Header=BB167_145 Depth=1
	s_andn2_saveexec_b64 s[10:11], s[10:11]
	s_cbranch_execz .LBB167_292
; %bb.291:                              ;   in Loop: Header=BB167_145 Depth=1
	v_mul_f64 v[1:2], v[9:10], 4.0
	v_mul_f64 v[5:6], v[11:12], 4.0
	v_mul_f64 v[1:2], v[1:2], v[1:2]
	v_fma_f64 v[1:2], v[5:6], v[5:6], v[1:2]
	v_ldexp_f64 v[1:2], v[1:2], -4
.LBB167_292:                            ;   in Loop: Header=BB167_145 Depth=1
	s_or_b64 exec, exec, s[10:11]
	v_frexp_mant_f64_e32 v[5:6], v[1:2]
	s_mov_b32 s93, s27
	v_cmp_gt_f64_e32 vcc, s[26:27], v[5:6]
	v_cndmask_b32_e64 v3, 0, 1, vcc
	v_ldexp_f64 v[5:6], v[5:6], v3
	v_frexp_exp_i32_f64_e32 v3, v[1:2]
	v_add_f64 v[9:10], v[5:6], 1.0
	v_add_f64 v[31:32], v[5:6], -1.0
	v_subbrev_co_u32_e32 v3, vcc, 0, v3, vcc
	v_cmp_class_f64_e64 vcc, v[1:2], s58
	v_rcp_f64_e32 v[13:14], v[9:10]
	v_add_f64 v[47:48], v[9:10], -1.0
	v_add_f64 v[5:6], v[5:6], -v[47:48]
	v_fma_f64 v[29:30], -v[9:10], v[13:14], 1.0
	v_fma_f64 v[13:14], v[29:30], v[13:14], v[13:14]
	v_fma_f64 v[29:30], -v[9:10], v[13:14], 1.0
	v_fma_f64 v[13:14], v[29:30], v[13:14], v[13:14]
	v_mul_f64 v[29:30], v[31:32], v[13:14]
	v_mul_f64 v[49:50], v[9:10], v[29:30]
	v_fma_f64 v[9:10], v[29:30], v[9:10], -v[49:50]
	v_fma_f64 v[5:6], v[29:30], v[5:6], v[9:10]
	v_add_f64 v[9:10], v[49:50], v[5:6]
	v_add_f64 v[47:48], v[31:32], -v[9:10]
	v_add_f64 v[49:50], v[9:10], -v[49:50]
	;; [unrolled: 1-line block ×5, first 2 shown]
	v_add_f64 v[5:6], v[5:6], v[9:10]
	v_add_f64 v[5:6], v[47:48], v[5:6]
	v_mul_f64 v[5:6], v[13:14], v[5:6]
	v_add_f64 v[9:10], v[29:30], v[5:6]
	v_mul_f64 v[13:14], v[9:10], v[9:10]
	v_fma_f64 v[31:32], v[13:14], s[28:29], v[35:36]
	v_mul_f64 v[47:48], v[9:10], v[13:14]
	v_fma_f64 v[31:32], v[13:14], v[31:32], s[30:31]
	v_fma_f64 v[31:32], v[13:14], v[31:32], s[34:35]
	;; [unrolled: 1-line block ×5, first 2 shown]
	v_ldexp_f64 v[31:32], v[9:10], 1
	v_add_f64 v[9:10], v[9:10], -v[29:30]
	v_mul_f64 v[13:14], v[47:48], v[13:14]
	v_cvt_f64_i32_e32 v[47:48], v3
	v_add_f64 v[5:6], v[5:6], -v[9:10]
	v_mul_f64 v[49:50], v[47:48], s[40:41]
	v_add_f64 v[29:30], v[31:32], v[13:14]
	v_ldexp_f64 v[5:6], v[5:6], 1
	v_add_f64 v[9:10], v[29:30], -v[31:32]
	v_fma_f64 v[31:32], v[47:48], s[40:41], -v[49:50]
	v_add_f64 v[9:10], v[13:14], -v[9:10]
	v_fma_f64 v[13:14], v[47:48], s[42:43], v[31:32]
	v_add_f64 v[5:6], v[5:6], v[9:10]
	v_add_f64 v[9:10], v[49:50], v[13:14]
	;; [unrolled: 1-line block ×3, first 2 shown]
	v_add_f64 v[49:50], v[9:10], -v[49:50]
	v_add_f64 v[47:48], v[9:10], v[31:32]
	v_add_f64 v[29:30], v[31:32], -v[29:30]
	v_add_f64 v[13:14], v[13:14], -v[49:50]
	;; [unrolled: 1-line block ×6, first 2 shown]
	v_add_f64 v[31:32], v[13:14], v[5:6]
	v_add_f64 v[9:10], v[9:10], -v[53:54]
	v_add_f64 v[9:10], v[29:30], v[9:10]
	v_add_f64 v[29:30], v[31:32], -v[13:14]
	;; [unrolled: 2-line block ×3, first 2 shown]
	v_add_f64 v[5:6], v[5:6], -v[29:30]
	v_add_f64 v[49:50], v[47:48], v[9:10]
	v_add_f64 v[13:14], v[13:14], -v[31:32]
	v_mov_b32_e32 v31, 0
	v_mov_b32_e32 v32, 0x7ff80000
	v_add_f64 v[29:30], v[49:50], -v[47:48]
	v_add_f64 v[5:6], v[5:6], v[13:14]
	v_add_f64 v[9:10], v[9:10], -v[29:30]
	v_add_f64 v[5:6], v[5:6], v[9:10]
	v_add_f64 v[5:6], v[49:50], v[5:6]
	v_cndmask_b32_e32 v3, v5, v1, vcc
	v_cndmask_b32_e32 v5, v6, v2, vcc
	v_cmp_ngt_f64_e32 vcc, 0, v[1:2]
	v_cndmask_b32_e32 v5, v64, v5, vcc
	v_cmp_nge_f64_e32 vcc, 0, v[1:2]
	v_cndmask_b32_e32 v29, 0, v3, vcc
	v_cmp_neq_f64_e32 vcc, 0, v[1:2]
	v_cndmask_b32_e32 v30, v65, v5, vcc
	s_or_b64 exec, exec, s[8:9]
	s_and_saveexec_b64 s[8:9], s[0:1]
	s_xor_b64 s[0:1], exec, s[8:9]
	s_cbranch_execz .LBB167_258
.LBB167_293:                            ;   in Loop: Header=BB167_145 Depth=1
	v_lshlrev_b64 v[1:2], 4, v[39:40]
	v_mov_b32_e32 v3, s53
	v_add_co_u32_e32 v1, vcc, s52, v1
	v_bfi_b32 v20, s57, v20, v8
	v_addc_co_u32_e32 v2, vcc, v3, v2, vcc
	global_store_dwordx4 v[1:2], v[17:20], off
	s_or_b64 exec, exec, s[0:1]
	s_and_saveexec_b64 s[0:1], s[2:3]
	s_cbranch_execz .LBB167_259
.LBB167_294:                            ;   in Loop: Header=BB167_145 Depth=1
	v_lshlrev_b64 v[1:2], 4, v[41:42]
	v_mov_b32_e32 v3, s53
	v_add_co_u32_e32 v1, vcc, s52, v1
	v_bfi_b32 v24, s57, v24, v4
	v_addc_co_u32_e32 v2, vcc, v3, v2, vcc
	global_store_dwordx4 v[1:2], v[21:24], off
	s_or_b64 exec, exec, s[0:1]
	s_and_saveexec_b64 s[0:1], s[4:5]
	s_cbranch_execz .LBB167_260
.LBB167_295:                            ;   in Loop: Header=BB167_145 Depth=1
	v_lshlrev_b64 v[1:2], 4, v[43:44]
	v_mov_b32_e32 v3, s53
	v_add_co_u32_e32 v1, vcc, s52, v1
	v_bfi_b32 v28, s57, v28, v16
	v_addc_co_u32_e32 v2, vcc, v3, v2, vcc
	global_store_dwordx4 v[1:2], v[25:28], off
	s_or_b64 exec, exec, s[0:1]
	s_and_saveexec_b64 s[0:1], s[6:7]
	s_cbranch_execz .LBB167_144
.LBB167_296:                            ;   in Loop: Header=BB167_145 Depth=1
	v_lshlrev_b64 v[1:2], 4, v[45:46]
	v_mov_b32_e32 v3, s53
	v_add_co_u32_e32 v1, vcc, s52, v1
	v_bfi_b32 v32, s57, v32, v12
	v_addc_co_u32_e32 v2, vcc, v3, v2, vcc
	global_store_dwordx4 v[1:2], v[29:32], off
	s_branch .LBB167_144
.LBB167_297:
	s_endpgm
	.section	.rodata,"a",@progbits
	.p2align	6, 0x0
	.amdhsa_kernel _ZN2at6native12_GLOBAL__N_125multi_tensor_apply_kernelINS1_18TensorListMetadataILi2EEENS1_14UnaryOpFunctorIN3c107complexIdEELi2ELi1ELi1EEEJNS0_3LogIS8_EEEEEvT_T0_DpT1_
		.amdhsa_group_segment_fixed_size 0
		.amdhsa_private_segment_fixed_size 0
		.amdhsa_kernarg_size 3408
		.amdhsa_user_sgpr_count 6
		.amdhsa_user_sgpr_private_segment_buffer 1
		.amdhsa_user_sgpr_dispatch_ptr 0
		.amdhsa_user_sgpr_queue_ptr 0
		.amdhsa_user_sgpr_kernarg_segment_ptr 1
		.amdhsa_user_sgpr_dispatch_id 0
		.amdhsa_user_sgpr_flat_scratch_init 0
		.amdhsa_user_sgpr_private_segment_size 0
		.amdhsa_uses_dynamic_stack 0
		.amdhsa_system_sgpr_private_segment_wavefront_offset 0
		.amdhsa_system_sgpr_workgroup_id_x 1
		.amdhsa_system_sgpr_workgroup_id_y 0
		.amdhsa_system_sgpr_workgroup_id_z 0
		.amdhsa_system_sgpr_workgroup_info 0
		.amdhsa_system_vgpr_workitem_id 0
		.amdhsa_next_free_vgpr 79
		.amdhsa_next_free_sgpr 96
		.amdhsa_reserve_vcc 1
		.amdhsa_reserve_flat_scratch 0
		.amdhsa_float_round_mode_32 0
		.amdhsa_float_round_mode_16_64 0
		.amdhsa_float_denorm_mode_32 3
		.amdhsa_float_denorm_mode_16_64 3
		.amdhsa_dx10_clamp 1
		.amdhsa_ieee_mode 1
		.amdhsa_fp16_overflow 0
		.amdhsa_exception_fp_ieee_invalid_op 0
		.amdhsa_exception_fp_denorm_src 0
		.amdhsa_exception_fp_ieee_div_zero 0
		.amdhsa_exception_fp_ieee_overflow 0
		.amdhsa_exception_fp_ieee_underflow 0
		.amdhsa_exception_fp_ieee_inexact 0
		.amdhsa_exception_int_div_zero 0
	.end_amdhsa_kernel
	.section	.text._ZN2at6native12_GLOBAL__N_125multi_tensor_apply_kernelINS1_18TensorListMetadataILi2EEENS1_14UnaryOpFunctorIN3c107complexIdEELi2ELi1ELi1EEEJNS0_3LogIS8_EEEEEvT_T0_DpT1_,"axG",@progbits,_ZN2at6native12_GLOBAL__N_125multi_tensor_apply_kernelINS1_18TensorListMetadataILi2EEENS1_14UnaryOpFunctorIN3c107complexIdEELi2ELi1ELi1EEEJNS0_3LogIS8_EEEEEvT_T0_DpT1_,comdat
.Lfunc_end167:
	.size	_ZN2at6native12_GLOBAL__N_125multi_tensor_apply_kernelINS1_18TensorListMetadataILi2EEENS1_14UnaryOpFunctorIN3c107complexIdEELi2ELi1ELi1EEEJNS0_3LogIS8_EEEEEvT_T0_DpT1_, .Lfunc_end167-_ZN2at6native12_GLOBAL__N_125multi_tensor_apply_kernelINS1_18TensorListMetadataILi2EEENS1_14UnaryOpFunctorIN3c107complexIdEELi2ELi1ELi1EEEJNS0_3LogIS8_EEEEEvT_T0_DpT1_
                                        ; -- End function
	.set _ZN2at6native12_GLOBAL__N_125multi_tensor_apply_kernelINS1_18TensorListMetadataILi2EEENS1_14UnaryOpFunctorIN3c107complexIdEELi2ELi1ELi1EEEJNS0_3LogIS8_EEEEEvT_T0_DpT1_.num_vgpr, 79
	.set _ZN2at6native12_GLOBAL__N_125multi_tensor_apply_kernelINS1_18TensorListMetadataILi2EEENS1_14UnaryOpFunctorIN3c107complexIdEELi2ELi1ELi1EEEJNS0_3LogIS8_EEEEEvT_T0_DpT1_.num_agpr, 0
	.set _ZN2at6native12_GLOBAL__N_125multi_tensor_apply_kernelINS1_18TensorListMetadataILi2EEENS1_14UnaryOpFunctorIN3c107complexIdEELi2ELi1ELi1EEEJNS0_3LogIS8_EEEEEvT_T0_DpT1_.numbered_sgpr, 96
	.set _ZN2at6native12_GLOBAL__N_125multi_tensor_apply_kernelINS1_18TensorListMetadataILi2EEENS1_14UnaryOpFunctorIN3c107complexIdEELi2ELi1ELi1EEEJNS0_3LogIS8_EEEEEvT_T0_DpT1_.num_named_barrier, 0
	.set _ZN2at6native12_GLOBAL__N_125multi_tensor_apply_kernelINS1_18TensorListMetadataILi2EEENS1_14UnaryOpFunctorIN3c107complexIdEELi2ELi1ELi1EEEJNS0_3LogIS8_EEEEEvT_T0_DpT1_.private_seg_size, 0
	.set _ZN2at6native12_GLOBAL__N_125multi_tensor_apply_kernelINS1_18TensorListMetadataILi2EEENS1_14UnaryOpFunctorIN3c107complexIdEELi2ELi1ELi1EEEJNS0_3LogIS8_EEEEEvT_T0_DpT1_.uses_vcc, 1
	.set _ZN2at6native12_GLOBAL__N_125multi_tensor_apply_kernelINS1_18TensorListMetadataILi2EEENS1_14UnaryOpFunctorIN3c107complexIdEELi2ELi1ELi1EEEJNS0_3LogIS8_EEEEEvT_T0_DpT1_.uses_flat_scratch, 0
	.set _ZN2at6native12_GLOBAL__N_125multi_tensor_apply_kernelINS1_18TensorListMetadataILi2EEENS1_14UnaryOpFunctorIN3c107complexIdEELi2ELi1ELi1EEEJNS0_3LogIS8_EEEEEvT_T0_DpT1_.has_dyn_sized_stack, 0
	.set _ZN2at6native12_GLOBAL__N_125multi_tensor_apply_kernelINS1_18TensorListMetadataILi2EEENS1_14UnaryOpFunctorIN3c107complexIdEELi2ELi1ELi1EEEJNS0_3LogIS8_EEEEEvT_T0_DpT1_.has_recursion, 0
	.set _ZN2at6native12_GLOBAL__N_125multi_tensor_apply_kernelINS1_18TensorListMetadataILi2EEENS1_14UnaryOpFunctorIN3c107complexIdEELi2ELi1ELi1EEEJNS0_3LogIS8_EEEEEvT_T0_DpT1_.has_indirect_call, 0
	.section	.AMDGPU.csdata,"",@progbits
; Kernel info:
; codeLenInByte = 87192
; TotalNumSgprs: 100
; NumVgprs: 79
; ScratchSize: 0
; MemoryBound: 1
; FloatMode: 240
; IeeeMode: 1
; LDSByteSize: 0 bytes/workgroup (compile time only)
; SGPRBlocks: 12
; VGPRBlocks: 19
; NumSGPRsForWavesPerEU: 100
; NumVGPRsForWavesPerEU: 79
; Occupancy: 3
; WaveLimiterHint : 0
; COMPUTE_PGM_RSRC2:SCRATCH_EN: 0
; COMPUTE_PGM_RSRC2:USER_SGPR: 6
; COMPUTE_PGM_RSRC2:TRAP_HANDLER: 0
; COMPUTE_PGM_RSRC2:TGID_X_EN: 1
; COMPUTE_PGM_RSRC2:TGID_Y_EN: 0
; COMPUTE_PGM_RSRC2:TGID_Z_EN: 0
; COMPUTE_PGM_RSRC2:TIDIG_COMP_CNT: 0
	.section	.text._ZN2at6native12_GLOBAL__N_125multi_tensor_apply_kernelINS1_18TensorListMetadataILi2EEENS1_14UnaryOpFunctorIN3c107complexIfEELi2ELi1ELi1EEEJNS0_3LogIS8_EEEEEvT_T0_DpT1_,"axG",@progbits,_ZN2at6native12_GLOBAL__N_125multi_tensor_apply_kernelINS1_18TensorListMetadataILi2EEENS1_14UnaryOpFunctorIN3c107complexIfEELi2ELi1ELi1EEEJNS0_3LogIS8_EEEEEvT_T0_DpT1_,comdat
	.globl	_ZN2at6native12_GLOBAL__N_125multi_tensor_apply_kernelINS1_18TensorListMetadataILi2EEENS1_14UnaryOpFunctorIN3c107complexIfEELi2ELi1ELi1EEEJNS0_3LogIS8_EEEEEvT_T0_DpT1_ ; -- Begin function _ZN2at6native12_GLOBAL__N_125multi_tensor_apply_kernelINS1_18TensorListMetadataILi2EEENS1_14UnaryOpFunctorIN3c107complexIfEELi2ELi1ELi1EEEJNS0_3LogIS8_EEEEEvT_T0_DpT1_
	.p2align	8
	.type	_ZN2at6native12_GLOBAL__N_125multi_tensor_apply_kernelINS1_18TensorListMetadataILi2EEENS1_14UnaryOpFunctorIN3c107complexIfEELi2ELi1ELi1EEEJNS0_3LogIS8_EEEEEvT_T0_DpT1_,@function
_ZN2at6native12_GLOBAL__N_125multi_tensor_apply_kernelINS1_18TensorListMetadataILi2EEENS1_14UnaryOpFunctorIN3c107complexIfEELi2ELi1ELi1EEEJNS0_3LogIS8_EEEEEvT_T0_DpT1_: ; @_ZN2at6native12_GLOBAL__N_125multi_tensor_apply_kernelINS1_18TensorListMetadataILi2EEENS1_14UnaryOpFunctorIN3c107complexIfEELi2ELi1ELi1EEEJNS0_3LogIS8_EEEEEvT_T0_DpT1_
; %bb.0:
	v_mov_b32_e32 v1, s6
	global_load_ubyte v1, v1, s[4:5] offset:1536
	s_add_u32 s0, s4, s6
	s_mul_hi_u32 s2, s6, 3
	s_mul_i32 s6, s6, 3
	s_addc_u32 s7, s5, 0
	s_add_u32 s6, s0, s6
	s_addc_u32 s7, s7, s2
	s_load_dword s6, s[6:7], 0x740
	s_mov_b32 s1, 0
	s_mov_b32 s3, s1
	s_waitcnt lgkmcnt(0)
	s_ashr_i32 s7, s6, 31
	s_lshl_b64 s[14:15], s[6:7], 19
	s_waitcnt vmcnt(0)
	v_readfirstlane_b32 s0, v1
	s_lshl_b32 s0, s0, 3
	s_load_dwordx2 s[8:9], s[4:5], s0 offset:0x0
	s_load_dwordx2 s[10:11], s[4:5], s0 offset:0x400
	;; [unrolled: 1-line block ×3, first 2 shown]
	s_waitcnt lgkmcnt(0)
	s_add_u32 s33, s8, s14
	s_addc_u32 s34, s9, s15
	s_and_b32 s0, s33, 31
	s_add_u32 s35, s12, s14
	s_addc_u32 s36, s13, s15
	s_lshl_b64 s[6:7], s[6:7], 16
	s_and_b32 s2, s35, 31
	s_sub_u32 s6, s10, s6
	s_subb_u32 s7, s11, s7
	s_and_b32 s8, s10, 3
	s_mov_b32 s9, s1
	s_or_b64 s[2:3], s[2:3], s[8:9]
	s_or_b64 s[0:1], s[2:3], s[0:1]
	s_cmp_eq_u64 s[0:1], 0
	s_mov_b64 s[0:1], -1
	s_cbranch_scc0 .LBB168_141
; %bb.1:
	v_mov_b32_e32 v1, 0x10000
	v_mov_b32_e32 v2, 0
	v_cmp_lt_i64_e32 vcc, s[6:7], v[1:2]
	v_mov_b32_e32 v2, 0
	s_and_b64 s[0:1], vcc, exec
	s_cselect_b32 s9, s7, 0
	s_cselect_b32 s8, s6, 0x10000
	v_lshlrev_b32_e32 v1, 2, v0
	v_cmp_gt_i64_e32 vcc, s[8:9], v[1:2]
	s_and_saveexec_b64 s[10:11], vcc
	s_cbranch_execz .LBB168_140
; %bb.2:
	s_load_dword s0, s[4:5], 0xc5c
	v_mov_b32_e32 v1, v2
	v_mov_b32_e32 v18, v1
	s_mov_b64 s[12:13], 0
	v_mov_b32_e32 v21, s34
	s_brev_b32 s28, -2
	s_waitcnt lgkmcnt(0)
	s_and_b32 s29, s0, 0xffff
	s_mov_b32 s30, 0x77f684df
	s_mov_b32 s31, 0x358637bd
	;; [unrolled: 1-line block ×4, first 2 shown]
	v_mov_b32_e32 v22, 0x3f2aaada
	s_mov_b32 s39, 0x3f317218
	s_mov_b32 s40, 0x7f800000
	;; [unrolled: 1-line block ×3, first 2 shown]
	v_mov_b32_e32 v23, 0x3d29fb3f
	v_mov_b32_e32 v24, 0xbd97d4d7
	v_mov_b32_e32 v25, 0x3dd931b2
	v_mov_b32_e32 v26, 0xbe1160e6
	v_mov_b32_e32 v27, 0x3e4cb8bf
	v_mov_b32_e32 v28, 0xbeaaaa62
	s_movk_i32 s42, 0x204
	s_mov_b32 s43, 0x3f333333
	s_mov_b32 s44, 0x800000
	;; [unrolled: 1-line block ×5, first 2 shown]
	s_brev_b32 s48, 4
	v_mov_b32_e32 v29, 0x7f800000
	v_mov_b32_e32 v30, 0x7fc00000
	;; [unrolled: 1-line block ×8, first 2 shown]
	s_branch .LBB168_5
.LBB168_3:                              ;   in Loop: Header=BB168_5 Depth=1
	s_or_b64 exec, exec, s[2:3]
	v_cmp_gt_f32_e32 vcc, s44, v1
	v_cndmask_b32_e64 v3, 0, 32, vcc
	v_ldexp_f32 v1, v1, v3
	v_log_f32_e32 v1, v1
	v_cndmask_b32_e32 v3, 0, v35, vcc
	v_mul_f32_e32 v12, 0x3f317217, v1
	v_fma_f32 v12, v1, s45, -v12
	v_fmac_f32_e32 v12, 0x3377d1cf, v1
	v_fmac_f32_e32 v12, 0x3f317217, v1
	v_cmp_lt_f32_e64 vcc, |v1|, s40
	v_cndmask_b32_e32 v1, v1, v12, vcc
	v_sub_f32_e32 v15, v1, v3
	v_mov_b32_e32 v1, 0x7fc00000
.LBB168_4:                              ;   in Loop: Header=BB168_5 Depth=1
	s_or_b64 exec, exec, s[0:1]
	v_add_co_u32_e32 v17, vcc, s29, v17
	v_addc_co_u32_e32 v18, vcc, 0, v18, vcc
	v_bfi_b32 v14, s28, v7, v2
	v_bfi_b32 v16, s28, v1, v4
	v_mov_b32_e32 v4, s36
	v_lshlrev_b64 v[1:2], 2, v[17:18]
	v_add_co_u32_e32 v3, vcc, s35, v19
	v_addc_co_u32_e32 v4, vcc, v4, v20, vcc
	v_cmp_le_i64_e32 vcc, s[8:9], v[1:2]
	v_bfi_b32 v12, s28, v5, v8
	v_bfi_b32 v10, s28, v10, v6
	s_or_b64 s[12:13], vcc, s[12:13]
	global_store_dwordx4 v[3:4], v[9:12], off
	global_store_dwordx4 v[3:4], v[13:16], off offset:16
	s_andn2_b64 exec, exec, s[12:13]
	s_cbranch_execz .LBB168_140
.LBB168_5:                              ; =>This Loop Header: Depth=1
                                        ;     Child Loop BB168_16 Depth 2
                                        ;     Child Loop BB168_50 Depth 2
	;; [unrolled: 1-line block ×4, first 2 shown]
	v_lshlrev_b64 v[19:20], 5, v[17:18]
	v_add_co_u32_e32 v9, vcc, s33, v19
	v_addc_co_u32_e32 v10, vcc, v21, v20, vcc
	global_load_dwordx4 v[5:8], v[9:10], off
	global_load_dwordx4 v[1:4], v[9:10], off offset:16
                                        ; implicit-def: $vgpr9
                                        ; implicit-def: $vgpr10
	s_waitcnt vmcnt(1)
	v_cmp_o_f32_e32 vcc, v6, v5
	s_and_saveexec_b64 s[0:1], vcc
	s_xor_b64 s[14:15], exec, s[0:1]
	s_cbranch_execz .LBB168_33
; %bb.6:                                ;   in Loop: Header=BB168_5 Depth=1
	v_cmp_lt_f32_e64 s[0:1], |v5|, |v6|
	v_cndmask_b32_e64 v11, |v6|, |v5|, s[0:1]
	v_cmp_nlt_f32_e32 vcc, s30, v11
                                        ; implicit-def: $vgpr9
                                        ; implicit-def: $vgpr10
	s_and_saveexec_b64 s[2:3], vcc
	s_xor_b64 s[16:17], exec, s[2:3]
	s_cbranch_execz .LBB168_30
; %bb.7:                                ;   in Loop: Header=BB168_5 Depth=1
	v_and_b32_e32 v9, 0x7fffffff, v6
	v_cndmask_b32_e64 v12, |v5|, v9, s[0:1]
	v_cmp_neq_f32_e32 vcc, 1.0, v12
                                        ; implicit-def: $vgpr9
                                        ; implicit-def: $vgpr10
	s_and_saveexec_b64 s[2:3], vcc
	s_xor_b64 s[18:19], exec, s[2:3]
	s_cbranch_execz .LBB168_23
; %bb.8:                                ;   in Loop: Header=BB168_5 Depth=1
	v_max_f32_e32 v9, v11, v11
	v_max_f32_e32 v10, v12, v12
	v_min_f32_e32 v13, v10, v9
	v_max_f32_e32 v9, v10, v9
	v_cmp_ngt_f32_e32 vcc, s31, v13
	v_cmp_nlt_f32_e64 s[2:3], s37, v9
	s_and_b64 s[2:3], s[2:3], vcc
                                        ; implicit-def: $vgpr9
                                        ; implicit-def: $vgpr10
	s_and_saveexec_b64 s[20:21], s[2:3]
	s_xor_b64 s[20:21], exec, s[20:21]
	s_cbranch_execz .LBB168_20
; %bb.9:                                ;   in Loop: Header=BB168_5 Depth=1
	v_cmp_le_f32_e32 vcc, 1.0, v12
                                        ; implicit-def: $vgpr9
                                        ; implicit-def: $vgpr10
	s_and_saveexec_b64 s[2:3], vcc
	s_xor_b64 s[22:23], exec, s[2:3]
	s_cbranch_execz .LBB168_11
; %bb.10:                               ;   in Loop: Header=BB168_5 Depth=1
	v_add_f32_e32 v9, -1.0, v12
	v_add_f32_e32 v10, 1.0, v12
	v_mul_f32_e32 v12, v9, v10
	v_fmac_f32_e32 v12, v11, v11
	v_add_f32_e32 v11, 1.0, v12
	v_cvt_f64_f32_e32 v[9:10], v11
	v_add_f32_e32 v13, -1.0, v11
	v_sub_f32_e32 v14, v13, v11
	v_sub_f32_e32 v13, v12, v13
	v_frexp_exp_i32_f64_e32 v9, v[9:10]
	v_frexp_mant_f32_e32 v10, v11
	v_cmp_gt_f32_e32 vcc, s38, v10
	v_add_f32_e32 v14, 1.0, v14
	v_add_f32_e32 v13, v13, v14
	v_cmp_gt_i32_e64 s[2:3], 0, v5
	v_cmp_class_f32_e64 s[24:25], v6, s42
	v_subbrev_co_u32_e32 v9, vcc, 0, v9, vcc
	v_sub_u32_e32 v10, 0, v9
	v_ldexp_f32 v11, v11, v10
	v_ldexp_f32 v10, v13, v10
	v_add_f32_e32 v13, -1.0, v11
	v_add_f32_e32 v16, 1.0, v11
	v_add_f32_e32 v14, 1.0, v13
	v_add_f32_e32 v36, -1.0, v16
	v_sub_f32_e32 v14, v11, v14
	v_sub_f32_e32 v11, v11, v36
	v_add_f32_e32 v14, v10, v14
	v_add_f32_e32 v10, v10, v11
	;; [unrolled: 1-line block ×3, first 2 shown]
	v_rcp_f32_e32 v36, v11
	v_add_f32_e32 v15, v13, v14
	v_sub_f32_e32 v13, v15, v13
	v_sub_f32_e32 v13, v14, v13
	;; [unrolled: 1-line block ×4, first 2 shown]
	v_mul_f32_e32 v14, v15, v36
	v_mul_f32_e32 v16, v11, v14
	v_fma_f32 v37, v14, v11, -v16
	v_fmac_f32_e32 v37, v14, v10
	v_add_f32_e32 v38, v16, v37
	v_sub_f32_e32 v39, v15, v38
	v_sub_f32_e32 v15, v15, v39
	v_sub_f32_e32 v16, v38, v16
	v_sub_f32_e32 v15, v15, v38
	v_add_f32_e32 v13, v13, v15
	v_sub_f32_e32 v15, v16, v37
	v_add_f32_e32 v13, v15, v13
	v_add_f32_e32 v15, v39, v13
	v_mul_f32_e32 v16, v36, v15
	v_mul_f32_e32 v37, v11, v16
	v_fma_f32 v11, v16, v11, -v37
	v_fmac_f32_e32 v11, v16, v10
	v_sub_f32_e32 v10, v39, v15
	v_add_f32_e32 v10, v13, v10
	v_add_f32_e32 v13, v37, v11
	v_sub_f32_e32 v38, v15, v13
	v_sub_f32_e32 v15, v15, v38
	;; [unrolled: 1-line block ×4, first 2 shown]
	v_add_f32_e32 v10, v10, v13
	v_sub_f32_e32 v11, v37, v11
	v_cvt_f32_i32_e32 v9, v9
	v_add_f32_e32 v10, v11, v10
	v_add_f32_e32 v11, v14, v16
	;; [unrolled: 1-line block ×3, first 2 shown]
	v_sub_f32_e32 v13, v11, v14
	v_mul_f32_e32 v10, v36, v10
	v_sub_f32_e32 v13, v16, v13
	v_add_f32_e32 v10, v13, v10
	v_mul_f32_e32 v16, 0x3f317218, v9
	v_add_f32_e32 v13, v11, v10
	v_fma_f32 v36, v9, s39, -v16
	v_mul_f32_e32 v14, v13, v13
	v_mov_b32_e32 v15, 0x3ecc95a3
	v_fmac_f32_e32 v36, 0xb102e308, v9
	v_sub_f32_e32 v9, v13, v11
	v_fmac_f32_e32 v15, 0x3e9b6dac, v14
	v_sub_f32_e32 v9, v10, v9
	v_add_f32_e32 v10, v16, v36
	v_fma_f32 v15, v14, v15, v22
	v_sub_f32_e32 v11, v10, v16
	v_ldexp_f32 v16, v13, 1
	v_mul_f32_e32 v13, v13, v14
	v_mul_f32_e32 v13, v13, v15
	v_add_f32_e32 v14, v16, v13
	v_sub_f32_e32 v15, v14, v16
	v_ldexp_f32 v9, v9, 1
	v_sub_f32_e32 v13, v13, v15
	v_add_f32_e32 v9, v9, v13
	v_add_f32_e32 v13, v14, v9
	v_sub_f32_e32 v14, v13, v14
	v_sub_f32_e32 v9, v9, v14
	v_add_f32_e32 v14, v10, v13
	v_sub_f32_e32 v15, v14, v10
	v_sub_f32_e32 v16, v14, v15
	;; [unrolled: 1-line block ×5, first 2 shown]
	v_add_f32_e32 v10, v13, v10
	v_add_f32_e32 v13, v11, v9
	v_sub_f32_e32 v15, v13, v11
	v_sub_f32_e32 v16, v13, v15
	;; [unrolled: 1-line block ×4, first 2 shown]
	v_add_f32_e32 v10, v13, v10
	v_add_f32_e32 v9, v9, v11
	;; [unrolled: 1-line block ×3, first 2 shown]
	v_sub_f32_e32 v13, v11, v14
	v_sub_f32_e32 v10, v10, v13
	v_add_f32_e32 v9, v9, v10
	v_add_f32_e32 v9, v11, v9
	v_cmp_neq_f32_e32 vcc, s40, v12
	v_cndmask_b32_e32 v9, v29, v9, vcc
	v_cmp_ngt_f32_e32 vcc, -1.0, v12
	v_cndmask_b32_e32 v9, v30, v9, vcc
	v_cmp_neq_f32_e32 vcc, -1.0, v12
	v_cndmask_b32_e32 v9, v31, v9, vcc
	v_cmp_lt_f32_e64 vcc, |v12|, s41
	v_max_f32_e64 v10, |v6|, |v6|
	v_max_f32_e64 v11, |v5|, |v5|
	v_cndmask_b32_e32 v9, v9, v12, vcc
	v_min_f32_e32 v12, v11, v10
	v_max_f32_e32 v10, v11, v10
	v_frexp_mant_f32_e32 v11, v10
	v_rcp_f32_e32 v11, v11
	v_frexp_exp_i32_f32_e32 v10, v10
	v_frexp_exp_i32_f32_e32 v13, v12
	v_frexp_mant_f32_e32 v12, v12
	v_mul_f32_e32 v11, v12, v11
	v_sub_u32_e32 v10, v13, v10
	v_ldexp_f32 v10, v11, v10
	v_mul_f32_e32 v11, v10, v10
	v_mov_b32_e32 v12, 0xbc7a590c
	v_fmac_f32_e32 v12, 0x3b2d2a58, v11
	v_fma_f32 v12, v11, v12, v23
	v_fma_f32 v12, v11, v12, v24
	;; [unrolled: 1-line block ×6, first 2 shown]
	v_mul_f32_e32 v11, v11, v12
	v_fmac_f32_e32 v10, v10, v11
	v_sub_f32_e32 v11, 0x3fc90fdb, v10
	v_cndmask_b32_e64 v10, v10, v11, s[0:1]
	v_sub_f32_e32 v11, 0x40490fdb, v10
	v_cmp_gt_f32_e32 vcc, 0, v5
	v_cndmask_b32_e32 v10, v10, v11, vcc
	v_cndmask_b32_e64 v11, 0, v32, s[2:3]
	v_cmp_eq_f32_e64 s[2:3], 0, v6
	v_cndmask_b32_e64 v10, v10, v11, s[2:3]
	v_cmp_class_f32_e64 s[2:3], v5, s42
	v_cndmask_b32_e32 v11, v33, v34, vcc
	s_and_b64 vcc, s[2:3], s[24:25]
	v_mul_f32_e32 v9, 0.5, v9
	v_cndmask_b32_e32 v10, v10, v11, vcc
                                        ; implicit-def: $vgpr11
                                        ; implicit-def: $vgpr12
.LBB168_11:                             ;   in Loop: Header=BB168_5 Depth=1
	s_andn2_saveexec_b64 s[22:23], s[22:23]
	s_cbranch_execz .LBB168_19
; %bb.12:                               ;   in Loop: Header=BB168_5 Depth=1
	v_mul_f32_e32 v13, v11, v11
	v_fmac_f32_e32 v13, v12, v12
	v_cmp_ge_f32_e32 vcc, s43, v13
                                        ; implicit-def: $vgpr9
                                        ; implicit-def: $vgpr10
	s_and_saveexec_b64 s[2:3], vcc
	s_xor_b64 s[24:25], exec, s[2:3]
	s_cbranch_execz .LBB168_14
; %bb.13:                               ;   in Loop: Header=BB168_5 Depth=1
	v_cmp_gt_f32_e32 vcc, s44, v13
	v_cndmask_b32_e64 v9, 0, 32, vcc
	v_ldexp_f32 v9, v13, v9
	v_log_f32_e32 v9, v9
	v_cndmask_b32_e32 v10, 0, v35, vcc
	v_cmp_gt_i32_e64 s[2:3], 0, v5
	v_cmp_class_f32_e64 s[26:27], v6, s42
	v_mul_f32_e32 v11, 0x3f317217, v9
	v_fma_f32 v11, v9, s45, -v11
	v_fmac_f32_e32 v11, 0x3377d1cf, v9
	v_fmac_f32_e32 v11, 0x3f317217, v9
	v_cmp_lt_f32_e64 vcc, |v9|, s40
	v_cndmask_b32_e32 v9, v9, v11, vcc
	v_sub_f32_e32 v9, v9, v10
	v_max_f32_e64 v10, |v6|, |v6|
	v_max_f32_e64 v11, |v5|, |v5|
	v_min_f32_e32 v12, v11, v10
	v_max_f32_e32 v10, v11, v10
	v_frexp_mant_f32_e32 v11, v10
	v_rcp_f32_e32 v11, v11
	v_frexp_exp_i32_f32_e32 v10, v10
	v_frexp_exp_i32_f32_e32 v13, v12
	v_frexp_mant_f32_e32 v12, v12
	v_mul_f32_e32 v11, v12, v11
	v_sub_u32_e32 v10, v13, v10
	v_ldexp_f32 v10, v11, v10
	v_mul_f32_e32 v11, v10, v10
	v_mov_b32_e32 v12, 0xbc7a590c
	v_fmac_f32_e32 v12, 0x3b2d2a58, v11
	v_fma_f32 v12, v11, v12, v23
	v_fma_f32 v12, v11, v12, v24
	;; [unrolled: 1-line block ×6, first 2 shown]
	v_mul_f32_e32 v11, v11, v12
	v_fmac_f32_e32 v10, v10, v11
	v_sub_f32_e32 v11, 0x3fc90fdb, v10
	v_cndmask_b32_e64 v10, v10, v11, s[0:1]
	v_sub_f32_e32 v11, 0x40490fdb, v10
	v_cmp_gt_f32_e32 vcc, 0, v5
	v_cndmask_b32_e32 v10, v10, v11, vcc
	v_cndmask_b32_e64 v11, 0, v32, s[2:3]
	v_cmp_eq_f32_e64 s[2:3], 0, v6
	v_cndmask_b32_e64 v10, v10, v11, s[2:3]
	v_cmp_class_f32_e64 s[2:3], v5, s42
	v_cndmask_b32_e32 v11, v33, v34, vcc
	s_and_b64 vcc, s[2:3], s[26:27]
	v_mul_f32_e32 v9, 0.5, v9
	v_cndmask_b32_e32 v10, v10, v11, vcc
                                        ; implicit-def: $vgpr12
                                        ; implicit-def: $vgpr11
.LBB168_14:                             ;   in Loop: Header=BB168_5 Depth=1
	s_andn2_saveexec_b64 s[24:25], s[24:25]
	s_cbranch_execz .LBB168_18
; %bb.15:                               ;   in Loop: Header=BB168_5 Depth=1
	v_and_b32_e32 v13, 0x7fff0000, v12
	v_sub_f32_e32 v9, v12, v13
	v_and_b32_e32 v36, 0xffff0000, v9
	v_and_b32_e32 v12, 0x7fff0000, v11
	v_sub_f32_e32 v38, v9, v36
	v_sub_f32_e32 v9, v11, v12
	v_and_b32_e32 v37, 0xffff0000, v9
	v_add_f32_e32 v14, v13, v13
	v_add_f32_e32 v40, v12, v12
	v_sub_f32_e32 v39, v9, v37
	v_mul_f32_e32 v9, v13, v13
	v_mul_f32_e32 v10, v12, v12
	;; [unrolled: 1-line block ×6, first 2 shown]
	v_add_f32_e32 v36, v36, v36
	v_add_f32_e32 v37, v37, v37
	v_mul_f32_e32 v15, v14, v38
	v_mul_f32_e32 v14, v40, v39
	;; [unrolled: 1-line block ×6, first 2 shown]
	s_mov_b64 s[26:27], 0
.LBB168_16:                             ;   Parent Loop BB168_5 Depth=1
                                        ; =>  This Inner Loop Header: Depth=2
	v_cmp_nlt_f32_e32 vcc, v9, v10
	v_mov_b32_e32 v40, v39
	v_cndmask_b32_e32 v39, v9, v10, vcc
	v_cmp_nlt_f32_e64 s[2:3], v39, v13
	v_cndmask_b32_e64 v41, v39, v13, s[2:3]
	v_cndmask_b32_e32 v9, v10, v9, vcc
	s_and_b64 s[50:51], vcc, s[2:3]
	v_cmp_nlt_f32_e32 vcc, v41, v12
	v_cndmask_b32_e64 v10, v13, v39, s[2:3]
	v_cndmask_b32_e32 v39, v41, v12, vcc
	v_cmp_nlt_f32_e64 s[2:3], v39, v16
	v_cndmask_b32_e32 v13, v12, v41, vcc
	v_cndmask_b32_e64 v41, v39, v16, s[2:3]
	s_and_b64 s[52:53], vcc, s[2:3]
	v_cmp_nlt_f32_e32 vcc, v41, v11
	v_cndmask_b32_e64 v12, v16, v39, s[2:3]
	v_cndmask_b32_e32 v39, v41, v11, vcc
	v_cmp_nlt_f32_e64 s[2:3], v39, v15
	v_cndmask_b32_e32 v16, v11, v41, vcc
	v_cndmask_b32_e64 v41, v39, v15, s[2:3]
	v_cndmask_b32_e64 v11, v15, v39, s[2:3]
	s_and_b64 s[2:3], vcc, s[2:3]
	v_cmp_nlt_f32_e32 vcc, v41, v14
	v_cndmask_b32_e32 v39, v41, v14, vcc
	v_cndmask_b32_e32 v15, v14, v41, vcc
	s_and_b64 s[2:3], s[2:3], vcc
	v_cmp_nlt_f32_e32 vcc, v39, v36
	v_cndmask_b32_e32 v41, v39, v36, vcc
	v_cndmask_b32_e32 v14, v36, v39, vcc
	s_and_b64 s[2:3], s[2:3], vcc
	;; [unrolled: 4-line block ×4, first 2 shown]
	v_cmp_nlt_f32_e32 vcc, v41, v40
	s_and_b64 s[2:3], s[2:3], vcc
	s_and_b64 s[2:3], s[2:3], s[52:53]
	s_and_b64 s[2:3], s[2:3], s[50:51]
	s_and_b64 s[2:3], exec, s[2:3]
	v_cndmask_b32_e32 v39, v41, v40, vcc
	s_or_b64 s[26:27], s[2:3], s[26:27]
	v_cndmask_b32_e32 v38, v40, v41, vcc
	s_andn2_b64 exec, exec, s[26:27]
	s_cbranch_execnz .LBB168_16
; %bb.17:                               ;   in Loop: Header=BB168_5 Depth=1
	s_or_b64 exec, exec, s[26:27]
	v_add_f32_e32 v9, -1.0, v9
	v_add_f32_e32 v9, v9, v10
	v_add_f32_e32 v9, v9, v13
	;; [unrolled: 1-line block ×11, first 2 shown]
	v_add_f32_e32 v12, 1.0, v11
	v_cvt_f64_f32_e32 v[9:10], v12
	v_add_f32_e32 v13, -1.0, v12
	v_sub_f32_e32 v14, v13, v12
	v_sub_f32_e32 v13, v11, v13
	v_frexp_exp_i32_f64_e32 v9, v[9:10]
	v_frexp_mant_f32_e32 v10, v12
	v_cmp_gt_f32_e32 vcc, s38, v10
	v_add_f32_e32 v14, 1.0, v14
	v_add_f32_e32 v13, v13, v14
	v_cmp_gt_i32_e64 s[2:3], 0, v5
	v_cmp_class_f32_e64 s[26:27], v6, s42
	v_subbrev_co_u32_e32 v9, vcc, 0, v9, vcc
	v_sub_u32_e32 v10, 0, v9
	v_ldexp_f32 v12, v12, v10
	v_ldexp_f32 v10, v13, v10
	v_add_f32_e32 v13, -1.0, v12
	v_add_f32_e32 v14, 1.0, v12
	v_add_f32_e32 v15, 1.0, v13
	v_add_f32_e32 v36, -1.0, v14
	v_sub_f32_e32 v15, v12, v15
	v_sub_f32_e32 v12, v12, v36
	v_add_f32_e32 v15, v10, v15
	v_add_f32_e32 v10, v10, v12
	;; [unrolled: 1-line block ×3, first 2 shown]
	v_rcp_f32_e32 v36, v12
	v_add_f32_e32 v16, v13, v15
	v_sub_f32_e32 v14, v12, v14
	v_sub_f32_e32 v13, v16, v13
	;; [unrolled: 1-line block ×3, first 2 shown]
	v_mul_f32_e32 v14, v16, v36
	v_sub_f32_e32 v13, v15, v13
	v_mul_f32_e32 v15, v12, v14
	v_fma_f32 v37, v14, v12, -v15
	v_fmac_f32_e32 v37, v14, v10
	v_add_f32_e32 v38, v15, v37
	v_sub_f32_e32 v39, v16, v38
	v_sub_f32_e32 v16, v16, v39
	;; [unrolled: 1-line block ×4, first 2 shown]
	v_add_f32_e32 v13, v13, v16
	v_sub_f32_e32 v15, v15, v37
	v_add_f32_e32 v13, v15, v13
	v_add_f32_e32 v15, v39, v13
	v_mul_f32_e32 v16, v36, v15
	v_mul_f32_e32 v37, v12, v16
	v_fma_f32 v12, v16, v12, -v37
	v_fmac_f32_e32 v12, v16, v10
	v_sub_f32_e32 v10, v39, v15
	v_add_f32_e32 v10, v13, v10
	v_add_f32_e32 v13, v37, v12
	v_sub_f32_e32 v38, v15, v13
	v_sub_f32_e32 v15, v15, v38
	;; [unrolled: 1-line block ×4, first 2 shown]
	v_add_f32_e32 v10, v10, v13
	v_sub_f32_e32 v12, v37, v12
	v_cvt_f32_i32_e32 v9, v9
	v_add_f32_e32 v10, v12, v10
	v_add_f32_e32 v12, v14, v16
	;; [unrolled: 1-line block ×3, first 2 shown]
	v_sub_f32_e32 v13, v12, v14
	v_mul_f32_e32 v10, v36, v10
	v_sub_f32_e32 v13, v16, v13
	v_add_f32_e32 v10, v13, v10
	v_mul_f32_e32 v16, 0x3f317218, v9
	v_add_f32_e32 v13, v12, v10
	v_fma_f32 v36, v9, s39, -v16
	v_mul_f32_e32 v14, v13, v13
	v_mov_b32_e32 v15, 0x3ecc95a3
	v_fmac_f32_e32 v36, 0xb102e308, v9
	v_sub_f32_e32 v9, v13, v12
	v_fmac_f32_e32 v15, 0x3e9b6dac, v14
	v_sub_f32_e32 v9, v10, v9
	v_add_f32_e32 v10, v16, v36
	v_fma_f32 v15, v14, v15, v22
	v_sub_f32_e32 v12, v10, v16
	v_ldexp_f32 v16, v13, 1
	v_mul_f32_e32 v13, v13, v14
	v_mul_f32_e32 v13, v13, v15
	v_add_f32_e32 v14, v16, v13
	v_sub_f32_e32 v15, v14, v16
	v_ldexp_f32 v9, v9, 1
	v_sub_f32_e32 v13, v13, v15
	v_add_f32_e32 v9, v9, v13
	v_add_f32_e32 v13, v14, v9
	v_sub_f32_e32 v14, v13, v14
	v_sub_f32_e32 v9, v9, v14
	v_add_f32_e32 v14, v10, v13
	v_sub_f32_e32 v15, v14, v10
	v_sub_f32_e32 v16, v14, v15
	;; [unrolled: 1-line block ×5, first 2 shown]
	v_add_f32_e32 v10, v13, v10
	v_add_f32_e32 v13, v12, v9
	v_sub_f32_e32 v15, v13, v12
	v_sub_f32_e32 v16, v13, v15
	;; [unrolled: 1-line block ×4, first 2 shown]
	v_add_f32_e32 v10, v13, v10
	v_add_f32_e32 v9, v9, v12
	;; [unrolled: 1-line block ×3, first 2 shown]
	v_sub_f32_e32 v13, v12, v14
	v_sub_f32_e32 v10, v10, v13
	v_add_f32_e32 v9, v9, v10
	v_add_f32_e32 v9, v12, v9
	v_cmp_neq_f32_e32 vcc, s40, v11
	v_cndmask_b32_e32 v9, v29, v9, vcc
	v_cmp_ngt_f32_e32 vcc, -1.0, v11
	v_cndmask_b32_e32 v9, v30, v9, vcc
	v_cmp_neq_f32_e32 vcc, -1.0, v11
	v_cndmask_b32_e32 v9, v31, v9, vcc
	v_cmp_lt_f32_e64 vcc, |v11|, s41
	v_cndmask_b32_e32 v9, v9, v11, vcc
	v_max_f32_e64 v10, |v6|, |v6|
	v_max_f32_e64 v11, |v5|, |v5|
	v_min_f32_e32 v12, v11, v10
	v_max_f32_e32 v10, v11, v10
	v_frexp_mant_f32_e32 v11, v10
	v_rcp_f32_e32 v11, v11
	v_frexp_exp_i32_f32_e32 v10, v10
	v_frexp_exp_i32_f32_e32 v13, v12
	v_frexp_mant_f32_e32 v12, v12
	v_mul_f32_e32 v11, v12, v11
	v_sub_u32_e32 v10, v13, v10
	v_ldexp_f32 v10, v11, v10
	v_mul_f32_e32 v11, v10, v10
	v_mov_b32_e32 v12, 0xbc7a590c
	v_fmac_f32_e32 v12, 0x3b2d2a58, v11
	v_fma_f32 v12, v11, v12, v23
	v_fma_f32 v12, v11, v12, v24
	;; [unrolled: 1-line block ×6, first 2 shown]
	v_mul_f32_e32 v11, v11, v12
	v_fmac_f32_e32 v10, v10, v11
	v_sub_f32_e32 v11, 0x3fc90fdb, v10
	v_cndmask_b32_e64 v10, v10, v11, s[0:1]
	v_sub_f32_e32 v11, 0x40490fdb, v10
	v_cmp_gt_f32_e32 vcc, 0, v5
	v_cndmask_b32_e32 v10, v10, v11, vcc
	v_cndmask_b32_e64 v11, 0, v32, s[2:3]
	v_cmp_eq_f32_e64 s[2:3], 0, v6
	v_cndmask_b32_e64 v10, v10, v11, s[2:3]
	v_cmp_class_f32_e64 s[2:3], v5, s42
	v_cndmask_b32_e32 v11, v33, v34, vcc
	s_and_b64 vcc, s[2:3], s[26:27]
	v_mul_f32_e32 v9, 0.5, v9
	v_cndmask_b32_e32 v10, v10, v11, vcc
.LBB168_18:                             ;   in Loop: Header=BB168_5 Depth=1
	s_or_b64 exec, exec, s[24:25]
.LBB168_19:                             ;   in Loop: Header=BB168_5 Depth=1
	s_or_b64 exec, exec, s[22:23]
.LBB168_20:                             ;   in Loop: Header=BB168_5 Depth=1
	s_andn2_saveexec_b64 s[20:21], s[20:21]
	s_cbranch_execz .LBB168_22
; %bb.21:                               ;   in Loop: Header=BB168_5 Depth=1
	v_max_f32_e64 v11, |v6|, |v6|
	v_max_f32_e64 v12, |v5|, |v5|
	v_max_f32_e32 v13, v12, v11
	v_cvt_f64_f32_e32 v[9:10], v13
	v_cmp_neq_f32_e32 vcc, s40, v13
	v_cmp_gt_i32_e64 s[2:3], 0, v5
	v_cmp_class_f32_e64 s[22:23], v6, s42
	v_frexp_exp_i32_f64_e32 v9, v[9:10]
	v_min_f32_e32 v10, v12, v11
	v_frexp_mant_f32_e32 v12, v13
	v_rcp_f32_e32 v12, v12
	v_frexp_exp_i32_f32_e32 v14, v10
	v_frexp_mant_f32_e32 v10, v10
	v_frexp_exp_i32_f32_e32 v11, v13
	v_mul_f32_e32 v10, v10, v12
	v_sub_u32_e32 v15, 0, v9
	v_ldexp_f32 v16, |v5|, v15
	v_ldexp_f32 v15, |v6|, v15
	v_mul_f32_e32 v15, v15, v15
	v_fmac_f32_e32 v15, v16, v16
	v_sqrt_f32_e32 v15, v15
	v_sub_u32_e32 v11, v14, v11
	v_ldexp_f32 v10, v10, v11
	v_mul_f32_e32 v11, v10, v10
	v_ldexp_f32 v9, v15, v9
	v_cndmask_b32_e32 v9, v29, v9, vcc
	v_cmp_gt_f32_e32 vcc, s44, v9
	v_cndmask_b32_e64 v12, 0, 32, vcc
	v_ldexp_f32 v9, v9, v12
	v_log_f32_e32 v9, v9
	v_cndmask_b32_e32 v12, 0, v35, vcc
	v_mul_f32_e32 v13, 0x3f317217, v9
	v_fma_f32 v13, v9, s45, -v13
	v_fmac_f32_e32 v13, 0x3377d1cf, v9
	v_fmac_f32_e32 v13, 0x3f317217, v9
	v_cmp_lt_f32_e64 vcc, |v9|, s40
	v_cndmask_b32_e32 v9, v9, v13, vcc
	v_sub_f32_e32 v9, v9, v12
	v_mov_b32_e32 v12, 0xbc7a590c
	v_fmac_f32_e32 v12, 0x3b2d2a58, v11
	v_fma_f32 v12, v11, v12, v23
	v_fma_f32 v12, v11, v12, v24
	;; [unrolled: 1-line block ×6, first 2 shown]
	v_mul_f32_e32 v11, v11, v12
	v_fmac_f32_e32 v10, v10, v11
	v_sub_f32_e32 v11, 0x3fc90fdb, v10
	v_cndmask_b32_e64 v10, v10, v11, s[0:1]
	v_sub_f32_e32 v11, 0x40490fdb, v10
	v_cmp_gt_f32_e32 vcc, 0, v5
	v_cndmask_b32_e32 v10, v10, v11, vcc
	v_cndmask_b32_e64 v11, 0, v32, s[2:3]
	v_cmp_eq_f32_e64 s[2:3], 0, v6
	v_cndmask_b32_e64 v10, v10, v11, s[2:3]
	v_cmp_class_f32_e64 s[2:3], v5, s42
	v_cndmask_b32_e32 v11, v33, v34, vcc
	s_and_b64 vcc, s[2:3], s[22:23]
	v_cndmask_b32_e32 v10, v10, v11, vcc
.LBB168_22:                             ;   in Loop: Header=BB168_5 Depth=1
	s_or_b64 exec, exec, s[20:21]
                                        ; implicit-def: $vgpr11
.LBB168_23:                             ;   in Loop: Header=BB168_5 Depth=1
	s_andn2_saveexec_b64 s[18:19], s[18:19]
	s_cbranch_execz .LBB168_29
; %bb.24:                               ;   in Loop: Header=BB168_5 Depth=1
	v_cmp_ngt_f32_e32 vcc, s46, v11
                                        ; implicit-def: $vgpr9
                                        ; implicit-def: $vgpr10
	s_and_saveexec_b64 s[2:3], vcc
	s_xor_b64 s[20:21], exec, s[2:3]
	s_cbranch_execz .LBB168_26
; %bb.25:                               ;   in Loop: Header=BB168_5 Depth=1
	v_mul_f32_e32 v11, v11, v11
	v_add_f32_e32 v12, 1.0, v11
	v_cvt_f64_f32_e32 v[9:10], v12
	v_add_f32_e32 v13, -1.0, v12
	v_sub_f32_e32 v14, v13, v12
	v_sub_f32_e32 v13, v11, v13
	v_frexp_exp_i32_f64_e32 v9, v[9:10]
	v_frexp_mant_f32_e32 v10, v12
	v_cmp_gt_f32_e32 vcc, s38, v10
	v_add_f32_e32 v14, 1.0, v14
	v_add_f32_e32 v13, v13, v14
	v_cmp_gt_i32_e64 s[2:3], 0, v5
	v_cmp_class_f32_e64 s[22:23], v6, s42
	v_subbrev_co_u32_e32 v9, vcc, 0, v9, vcc
	v_sub_u32_e32 v10, 0, v9
	v_ldexp_f32 v12, v12, v10
	v_ldexp_f32 v10, v13, v10
	v_add_f32_e32 v13, -1.0, v12
	v_add_f32_e32 v14, 1.0, v12
	v_add_f32_e32 v15, 1.0, v13
	v_add_f32_e32 v36, -1.0, v14
	v_sub_f32_e32 v15, v12, v15
	v_sub_f32_e32 v12, v12, v36
	v_add_f32_e32 v15, v10, v15
	v_add_f32_e32 v10, v10, v12
	;; [unrolled: 1-line block ×3, first 2 shown]
	v_rcp_f32_e32 v36, v12
	v_add_f32_e32 v16, v13, v15
	v_sub_f32_e32 v14, v14, v12
	v_sub_f32_e32 v13, v13, v16
	v_add_f32_e32 v10, v10, v14
	v_mul_f32_e32 v14, v16, v36
	v_add_f32_e32 v13, v15, v13
	v_mul_f32_e32 v15, v12, v14
	v_fma_f32 v37, v14, v12, -v15
	v_fmac_f32_e32 v37, v14, v10
	v_add_f32_e32 v38, v15, v37
	v_sub_f32_e32 v39, v16, v38
	v_sub_f32_e32 v16, v16, v39
	;; [unrolled: 1-line block ×4, first 2 shown]
	v_add_f32_e32 v13, v13, v16
	v_sub_f32_e32 v15, v15, v37
	v_add_f32_e32 v13, v15, v13
	v_add_f32_e32 v15, v39, v13
	v_mul_f32_e32 v16, v36, v15
	v_mul_f32_e32 v37, v12, v16
	v_fma_f32 v12, v16, v12, -v37
	v_fmac_f32_e32 v12, v16, v10
	v_sub_f32_e32 v10, v39, v15
	v_add_f32_e32 v10, v13, v10
	v_add_f32_e32 v13, v37, v12
	v_sub_f32_e32 v38, v15, v13
	v_sub_f32_e32 v15, v15, v38
	;; [unrolled: 1-line block ×4, first 2 shown]
	v_add_f32_e32 v10, v10, v13
	v_sub_f32_e32 v12, v37, v12
	v_cvt_f32_i32_e32 v9, v9
	v_add_f32_e32 v10, v12, v10
	v_add_f32_e32 v12, v14, v16
	;; [unrolled: 1-line block ×3, first 2 shown]
	v_sub_f32_e32 v13, v12, v14
	v_mul_f32_e32 v10, v36, v10
	v_sub_f32_e32 v13, v16, v13
	v_add_f32_e32 v10, v13, v10
	v_mul_f32_e32 v16, 0x3f317218, v9
	v_add_f32_e32 v13, v12, v10
	v_fma_f32 v36, v9, s39, -v16
	v_mul_f32_e32 v14, v13, v13
	v_mov_b32_e32 v15, 0x3ecc95a3
	v_fmac_f32_e32 v36, 0xb102e308, v9
	v_sub_f32_e32 v9, v13, v12
	v_fmac_f32_e32 v15, 0x3e9b6dac, v14
	v_sub_f32_e32 v9, v10, v9
	v_add_f32_e32 v10, v16, v36
	v_fma_f32 v15, v14, v15, v22
	v_sub_f32_e32 v12, v10, v16
	v_ldexp_f32 v16, v13, 1
	v_mul_f32_e32 v13, v13, v14
	v_mul_f32_e32 v13, v13, v15
	v_add_f32_e32 v14, v16, v13
	v_sub_f32_e32 v15, v14, v16
	v_ldexp_f32 v9, v9, 1
	v_sub_f32_e32 v13, v13, v15
	v_add_f32_e32 v9, v9, v13
	v_add_f32_e32 v13, v14, v9
	v_sub_f32_e32 v14, v13, v14
	v_sub_f32_e32 v9, v9, v14
	v_add_f32_e32 v14, v10, v13
	v_sub_f32_e32 v15, v14, v10
	v_sub_f32_e32 v16, v14, v15
	;; [unrolled: 1-line block ×5, first 2 shown]
	v_add_f32_e32 v10, v13, v10
	v_add_f32_e32 v13, v12, v9
	v_sub_f32_e32 v15, v13, v12
	v_sub_f32_e32 v16, v13, v15
	v_sub_f32_e32 v12, v12, v16
	v_sub_f32_e32 v9, v9, v15
	v_add_f32_e32 v10, v13, v10
	v_add_f32_e32 v9, v9, v12
	;; [unrolled: 1-line block ×3, first 2 shown]
	v_sub_f32_e32 v13, v12, v14
	v_sub_f32_e32 v10, v10, v13
	v_add_f32_e32 v9, v9, v10
	v_add_f32_e32 v9, v12, v9
	v_cmp_neq_f32_e32 vcc, s40, v11
	v_cndmask_b32_e32 v9, v29, v9, vcc
	v_cmp_lt_f32_e64 vcc, |v11|, s41
	v_cndmask_b32_e32 v9, v9, v11, vcc
	v_max_f32_e64 v10, |v6|, |v6|
	v_max_f32_e64 v11, |v5|, |v5|
	v_min_f32_e32 v12, v11, v10
	v_max_f32_e32 v10, v11, v10
	v_frexp_mant_f32_e32 v11, v10
	v_rcp_f32_e32 v11, v11
	v_frexp_exp_i32_f32_e32 v10, v10
	v_frexp_exp_i32_f32_e32 v13, v12
	v_frexp_mant_f32_e32 v12, v12
	v_mul_f32_e32 v11, v12, v11
	v_sub_u32_e32 v10, v13, v10
	v_ldexp_f32 v10, v11, v10
	v_mul_f32_e32 v11, v10, v10
	v_mov_b32_e32 v12, 0xbc7a590c
	v_fmac_f32_e32 v12, 0x3b2d2a58, v11
	v_fma_f32 v12, v11, v12, v23
	v_fma_f32 v12, v11, v12, v24
	;; [unrolled: 1-line block ×6, first 2 shown]
	v_mul_f32_e32 v11, v11, v12
	v_fmac_f32_e32 v10, v10, v11
	v_sub_f32_e32 v11, 0x3fc90fdb, v10
	v_cndmask_b32_e64 v10, v10, v11, s[0:1]
	v_sub_f32_e32 v11, 0x40490fdb, v10
	v_cmp_gt_f32_e32 vcc, 0, v5
	v_cndmask_b32_e32 v10, v10, v11, vcc
	v_cndmask_b32_e64 v11, 0, v32, s[2:3]
	v_cmp_eq_f32_e64 s[2:3], 0, v6
	v_cndmask_b32_e64 v10, v10, v11, s[2:3]
	v_cmp_class_f32_e64 s[2:3], v5, s42
	v_cndmask_b32_e32 v11, v33, v34, vcc
	s_and_b64 vcc, s[2:3], s[22:23]
	v_mul_f32_e32 v9, 0.5, v9
	v_cndmask_b32_e32 v10, v10, v11, vcc
                                        ; implicit-def: $vgpr11
.LBB168_26:                             ;   in Loop: Header=BB168_5 Depth=1
	s_andn2_saveexec_b64 s[20:21], s[20:21]
	s_cbranch_execz .LBB168_28
; %bb.27:                               ;   in Loop: Header=BB168_5 Depth=1
	v_mul_f32_e32 v9, 0.5, v11
	v_mul_f32_e32 v9, v11, v9
	v_max_f32_e64 v10, |v6|, |v6|
	v_max_f32_e64 v11, |v5|, |v5|
	v_min_f32_e32 v12, v11, v10
	v_max_f32_e32 v10, v11, v10
	v_frexp_mant_f32_e32 v11, v10
	v_rcp_f32_e32 v11, v11
	v_frexp_exp_i32_f32_e32 v10, v10
	v_frexp_exp_i32_f32_e32 v13, v12
	v_frexp_mant_f32_e32 v12, v12
	v_mul_f32_e32 v11, v12, v11
	v_sub_u32_e32 v10, v13, v10
	v_ldexp_f32 v10, v11, v10
	v_mul_f32_e32 v11, v10, v10
	v_mov_b32_e32 v12, 0xbc7a590c
	v_fmac_f32_e32 v12, 0x3b2d2a58, v11
	v_fma_f32 v12, v11, v12, v23
	v_fma_f32 v12, v11, v12, v24
	;; [unrolled: 1-line block ×6, first 2 shown]
	v_mul_f32_e32 v11, v11, v12
	v_fmac_f32_e32 v10, v10, v11
	v_sub_f32_e32 v11, 0x3fc90fdb, v10
	v_cndmask_b32_e64 v10, v10, v11, s[0:1]
	v_sub_f32_e32 v11, 0x40490fdb, v10
	v_cmp_gt_f32_e32 vcc, 0, v5
	v_cmp_gt_i32_e64 s[2:3], 0, v5
	v_cndmask_b32_e32 v10, v10, v11, vcc
	v_cndmask_b32_e64 v11, 0, v32, s[2:3]
	v_cmp_eq_f32_e64 s[2:3], 0, v6
	v_cndmask_b32_e64 v10, v10, v11, s[2:3]
	v_cmp_class_f32_e64 s[2:3], v5, s42
	v_cmp_class_f32_e64 s[22:23], v6, s42
	v_cndmask_b32_e32 v11, v33, v34, vcc
	s_and_b64 vcc, s[2:3], s[22:23]
	v_cndmask_b32_e32 v10, v10, v11, vcc
.LBB168_28:                             ;   in Loop: Header=BB168_5 Depth=1
	s_or_b64 exec, exec, s[20:21]
.LBB168_29:                             ;   in Loop: Header=BB168_5 Depth=1
	s_or_b64 exec, exec, s[18:19]
.LBB168_30:                             ;   in Loop: Header=BB168_5 Depth=1
	s_andn2_saveexec_b64 s[16:17], s[16:17]
	s_cbranch_execz .LBB168_32
; %bb.31:                               ;   in Loop: Header=BB168_5 Depth=1
	v_div_scale_f32 v9, s[2:3], s47, s47, v5
	v_div_scale_f32 v10, s[2:3], s47, s47, v6
	v_div_scale_f32 v11, vcc, v5, s47, v5
	v_div_scale_f32 v12, s[2:3], v6, s47, v6
	v_rcp_f32_e32 v13, v9
	v_rcp_f32_e32 v14, v10
	v_fma_f32 v15, -v9, v13, 1.0
	v_fmac_f32_e32 v13, v15, v13
	v_fma_f32 v16, -v10, v14, 1.0
	v_fmac_f32_e32 v14, v16, v14
	v_mul_f32_e32 v15, v11, v13
	v_mul_f32_e32 v16, v12, v14
	v_fma_f32 v36, -v9, v15, v11
	v_fma_f32 v37, -v10, v16, v12
	v_fmac_f32_e32 v15, v36, v13
	v_fmac_f32_e32 v16, v37, v14
	v_fma_f32 v9, -v9, v15, v11
	v_fma_f32 v10, -v10, v16, v12
	v_div_fmas_f32 v9, v9, v13, v15
	s_mov_b64 vcc, s[2:3]
	v_div_fmas_f32 v10, v10, v14, v16
	v_max_f32_e64 v11, |v6|, |v6|
	v_max_f32_e64 v12, |v5|, |v5|
	v_min_f32_e32 v14, v12, v11
	v_max_f32_e32 v11, v12, v11
	v_frexp_exp_i32_f32_e32 v12, v11
	v_frexp_exp_i32_f32_e32 v15, v14
	v_sub_u32_e32 v12, v15, v12
	v_frexp_mant_f32_e32 v11, v11
	v_rcp_f32_e32 v11, v11
	v_frexp_mant_f32_e32 v14, v14
	v_mov_b32_e32 v13, 0xbc7a590c
	v_cmp_class_f32_e64 s[2:3], v6, s42
	v_mul_f32_e32 v11, v14, v11
	v_div_fixup_f32 v15, v9, s47, v5
	v_ldexp_f32 v11, v11, v12
	v_div_fixup_f32 v16, v10, s47, v6
	v_max_f32_e64 v36, |v15|, |v16|
	v_cvt_f64_f32_e32 v[9:10], v36
	v_mul_f32_e32 v12, v11, v11
	v_fmac_f32_e32 v13, 0x3b2d2a58, v12
	v_cmp_neq_f32_e32 vcc, s40, v36
	v_frexp_exp_i32_f64_e32 v9, v[9:10]
	v_fma_f32 v10, v12, v13, v23
	v_fma_f32 v10, v12, v10, v24
	;; [unrolled: 1-line block ×6, first 2 shown]
	v_mul_f32_e32 v10, v12, v10
	v_sub_u32_e32 v13, 0, v9
	v_ldexp_f32 v14, |v15|, v13
	v_ldexp_f32 v13, |v16|, v13
	v_mul_f32_e32 v13, v13, v13
	v_fmac_f32_e32 v13, v14, v14
	v_sqrt_f32_e32 v13, v13
	v_fmac_f32_e32 v11, v11, v10
	v_sub_f32_e32 v10, 0x3fc90fdb, v11
	v_cndmask_b32_e64 v10, v11, v10, s[0:1]
	v_ldexp_f32 v9, v13, v9
	v_cndmask_b32_e32 v9, v29, v9, vcc
	v_cmp_gt_f32_e32 vcc, s44, v9
	v_cndmask_b32_e64 v12, 0, 32, vcc
	v_ldexp_f32 v9, v9, v12
	v_log_f32_e32 v9, v9
	v_cndmask_b32_e32 v12, 0, v35, vcc
	v_sub_f32_e32 v11, 0x40490fdb, v10
	v_cmp_gt_i32_e64 s[0:1], 0, v5
	v_mul_f32_e32 v13, 0x3f317217, v9
	v_fma_f32 v13, v9, s45, -v13
	v_fmac_f32_e32 v13, 0x3377d1cf, v9
	v_fmac_f32_e32 v13, 0x3f317217, v9
	v_cmp_lt_f32_e64 vcc, |v9|, s40
	v_cndmask_b32_e32 v9, v9, v13, vcc
	v_cmp_gt_f32_e32 vcc, 0, v5
	v_cndmask_b32_e32 v10, v10, v11, vcc
	v_cndmask_b32_e64 v11, 0, v32, s[0:1]
	v_cmp_eq_f32_e64 s[0:1], 0, v6
	v_cndmask_b32_e64 v10, v10, v11, s[0:1]
	v_cmp_class_f32_e64 s[0:1], v5, s42
	v_sub_f32_e32 v9, v9, v12
	v_cndmask_b32_e32 v11, v33, v34, vcc
	s_and_b64 vcc, s[0:1], s[2:3]
	v_add_f32_e32 v9, 1.0, v9
	v_cndmask_b32_e32 v10, v10, v11, vcc
.LBB168_32:                             ;   in Loop: Header=BB168_5 Depth=1
	s_or_b64 exec, exec, s[16:17]
.LBB168_33:                             ;   in Loop: Header=BB168_5 Depth=1
	s_andn2_saveexec_b64 s[0:1], s[14:15]
	s_cbranch_execz .LBB168_39
; %bb.34:                               ;   in Loop: Header=BB168_5 Depth=1
	v_cmp_nlt_f32_e64 s[2:3], |v5|, s48
	v_cmp_nlt_f32_e64 s[14:15], |v6|, s48
	s_or_b64 s[2:3], s[2:3], s[14:15]
                                        ; implicit-def: $vgpr9
	s_and_saveexec_b64 s[14:15], s[2:3]
	s_xor_b64 s[2:3], exec, s[14:15]
; %bb.35:                               ;   in Loop: Header=BB168_5 Depth=1
	v_mul_f32_e32 v9, v6, v6
	v_fmac_f32_e32 v9, v5, v5
; %bb.36:                               ;   in Loop: Header=BB168_5 Depth=1
	s_andn2_saveexec_b64 s[2:3], s[2:3]
; %bb.37:                               ;   in Loop: Header=BB168_5 Depth=1
	v_mul_f32_e32 v9, 4.0, v6
	v_mul_f32_e32 v5, 4.0, v5
	v_mul_f32_e32 v9, v9, v9
	v_fmac_f32_e32 v9, v5, v5
	v_mul_f32_e32 v9, 0x3d800000, v9
; %bb.38:                               ;   in Loop: Header=BB168_5 Depth=1
	s_or_b64 exec, exec, s[2:3]
	v_cmp_gt_f32_e32 vcc, s44, v9
	v_cndmask_b32_e64 v5, 0, 32, vcc
	v_ldexp_f32 v5, v9, v5
	v_log_f32_e32 v5, v5
	v_cndmask_b32_e32 v9, 0, v35, vcc
	v_mul_f32_e32 v10, 0x3f317217, v5
	v_fma_f32 v10, v5, s45, -v10
	v_fmac_f32_e32 v10, 0x3377d1cf, v5
	v_fmac_f32_e32 v10, 0x3f317217, v5
	v_cmp_lt_f32_e64 vcc, |v5|, s40
	v_cndmask_b32_e32 v5, v5, v10, vcc
	v_sub_f32_e32 v9, v5, v9
	v_mov_b32_e32 v10, 0x7fc00000
.LBB168_39:                             ;   in Loop: Header=BB168_5 Depth=1
	s_or_b64 exec, exec, s[0:1]
	v_cmp_o_f32_e32 vcc, v8, v7
                                        ; implicit-def: $vgpr5
	s_and_saveexec_b64 s[0:1], vcc
	s_xor_b64 s[14:15], exec, s[0:1]
	s_cbranch_execz .LBB168_67
; %bb.40:                               ;   in Loop: Header=BB168_5 Depth=1
	v_cmp_lt_f32_e64 s[0:1], |v7|, |v8|
	v_cndmask_b32_e64 v12, |v8|, |v7|, s[0:1]
	v_cmp_nlt_f32_e32 vcc, s30, v12
                                        ; implicit-def: $vgpr5
	s_and_saveexec_b64 s[2:3], vcc
	s_xor_b64 s[16:17], exec, s[2:3]
	s_cbranch_execz .LBB168_64
; %bb.41:                               ;   in Loop: Header=BB168_5 Depth=1
	v_and_b32_e32 v5, 0x7fffffff, v8
	v_cndmask_b32_e64 v13, |v7|, v5, s[0:1]
	v_cmp_neq_f32_e32 vcc, 1.0, v13
                                        ; implicit-def: $vgpr5
	s_and_saveexec_b64 s[2:3], vcc
	s_xor_b64 s[18:19], exec, s[2:3]
	s_cbranch_execz .LBB168_57
; %bb.42:                               ;   in Loop: Header=BB168_5 Depth=1
	v_max_f32_e32 v5, v12, v12
	v_max_f32_e32 v11, v13, v13
	v_min_f32_e32 v14, v11, v5
	v_max_f32_e32 v5, v11, v5
	v_cmp_ngt_f32_e32 vcc, s31, v14
	v_cmp_nlt_f32_e64 s[2:3], s37, v5
	s_and_b64 s[2:3], s[2:3], vcc
                                        ; implicit-def: $vgpr5
	s_and_saveexec_b64 s[20:21], s[2:3]
	s_xor_b64 s[20:21], exec, s[20:21]
	s_cbranch_execz .LBB168_54
; %bb.43:                               ;   in Loop: Header=BB168_5 Depth=1
	v_cmp_le_f32_e32 vcc, 1.0, v13
                                        ; implicit-def: $vgpr5
	s_and_saveexec_b64 s[2:3], vcc
	s_xor_b64 s[22:23], exec, s[2:3]
	s_cbranch_execz .LBB168_45
; %bb.44:                               ;   in Loop: Header=BB168_5 Depth=1
	v_add_f32_e32 v5, -1.0, v13
	v_add_f32_e32 v11, 1.0, v13
	v_mul_f32_e32 v5, v5, v11
	v_fmac_f32_e32 v5, v12, v12
	v_add_f32_e32 v13, 1.0, v5
	v_cvt_f64_f32_e32 v[11:12], v13
	v_add_f32_e32 v14, -1.0, v13
	v_sub_f32_e32 v15, v14, v13
	v_sub_f32_e32 v14, v5, v14
	v_frexp_exp_i32_f64_e32 v11, v[11:12]
	v_frexp_mant_f32_e32 v12, v13
	v_cmp_gt_f32_e32 vcc, s38, v12
	v_add_f32_e32 v15, 1.0, v15
	v_add_f32_e32 v14, v14, v15
	v_cmp_gt_i32_e64 s[2:3], 0, v7
	v_cmp_class_f32_e64 s[24:25], v8, s42
	v_subbrev_co_u32_e32 v11, vcc, 0, v11, vcc
	v_sub_u32_e32 v12, 0, v11
	v_ldexp_f32 v13, v13, v12
	v_ldexp_f32 v12, v14, v12
	v_add_f32_e32 v14, -1.0, v13
	v_add_f32_e32 v36, 1.0, v13
	v_add_f32_e32 v15, 1.0, v14
	v_add_f32_e32 v37, -1.0, v36
	v_sub_f32_e32 v15, v13, v15
	v_sub_f32_e32 v13, v13, v37
	v_add_f32_e32 v15, v12, v15
	v_add_f32_e32 v12, v12, v13
	;; [unrolled: 1-line block ×3, first 2 shown]
	v_rcp_f32_e32 v37, v13
	v_add_f32_e32 v16, v14, v15
	v_sub_f32_e32 v14, v16, v14
	v_sub_f32_e32 v14, v15, v14
	;; [unrolled: 1-line block ×4, first 2 shown]
	v_mul_f32_e32 v15, v16, v37
	v_mul_f32_e32 v36, v13, v15
	v_fma_f32 v38, v15, v13, -v36
	v_fmac_f32_e32 v38, v15, v12
	v_add_f32_e32 v39, v36, v38
	v_sub_f32_e32 v40, v16, v39
	v_sub_f32_e32 v16, v16, v40
	;; [unrolled: 1-line block ×4, first 2 shown]
	v_add_f32_e32 v14, v14, v16
	v_sub_f32_e32 v16, v36, v38
	v_add_f32_e32 v14, v16, v14
	v_add_f32_e32 v16, v40, v14
	v_mul_f32_e32 v36, v37, v16
	v_mul_f32_e32 v38, v13, v36
	v_fma_f32 v13, v36, v13, -v38
	v_fmac_f32_e32 v13, v36, v12
	v_sub_f32_e32 v12, v40, v16
	v_add_f32_e32 v12, v14, v12
	v_add_f32_e32 v14, v38, v13
	v_sub_f32_e32 v39, v16, v14
	v_sub_f32_e32 v16, v16, v39
	;; [unrolled: 1-line block ×4, first 2 shown]
	v_add_f32_e32 v12, v12, v14
	v_sub_f32_e32 v13, v38, v13
	v_cvt_f32_i32_e32 v11, v11
	v_add_f32_e32 v12, v13, v12
	v_add_f32_e32 v13, v15, v36
	;; [unrolled: 1-line block ×3, first 2 shown]
	v_sub_f32_e32 v14, v13, v15
	v_mul_f32_e32 v12, v37, v12
	v_sub_f32_e32 v14, v36, v14
	v_add_f32_e32 v12, v14, v12
	v_mul_f32_e32 v36, 0x3f317218, v11
	v_add_f32_e32 v14, v13, v12
	v_fma_f32 v37, v11, s39, -v36
	v_mul_f32_e32 v15, v14, v14
	v_mov_b32_e32 v16, 0x3ecc95a3
	v_fmac_f32_e32 v37, 0xb102e308, v11
	v_sub_f32_e32 v11, v14, v13
	v_fmac_f32_e32 v16, 0x3e9b6dac, v15
	v_sub_f32_e32 v11, v12, v11
	v_add_f32_e32 v12, v36, v37
	v_fma_f32 v16, v15, v16, v22
	v_sub_f32_e32 v13, v12, v36
	v_ldexp_f32 v36, v14, 1
	v_mul_f32_e32 v14, v14, v15
	v_mul_f32_e32 v14, v14, v16
	v_add_f32_e32 v15, v36, v14
	v_sub_f32_e32 v16, v15, v36
	v_ldexp_f32 v11, v11, 1
	v_sub_f32_e32 v14, v14, v16
	v_add_f32_e32 v11, v11, v14
	v_add_f32_e32 v14, v15, v11
	v_sub_f32_e32 v15, v14, v15
	v_sub_f32_e32 v11, v11, v15
	v_add_f32_e32 v15, v12, v14
	v_sub_f32_e32 v16, v15, v12
	v_sub_f32_e32 v36, v15, v16
	;; [unrolled: 1-line block ×5, first 2 shown]
	v_add_f32_e32 v12, v14, v12
	v_add_f32_e32 v14, v13, v11
	v_sub_f32_e32 v16, v14, v13
	v_sub_f32_e32 v36, v14, v16
	;; [unrolled: 1-line block ×4, first 2 shown]
	v_add_f32_e32 v12, v14, v12
	v_add_f32_e32 v11, v11, v13
	;; [unrolled: 1-line block ×3, first 2 shown]
	v_sub_f32_e32 v14, v13, v15
	v_sub_f32_e32 v12, v12, v14
	v_add_f32_e32 v11, v11, v12
	v_add_f32_e32 v11, v13, v11
	v_cmp_neq_f32_e32 vcc, s40, v5
	v_cndmask_b32_e32 v11, v29, v11, vcc
	v_cmp_ngt_f32_e32 vcc, -1.0, v5
	v_cndmask_b32_e32 v11, v30, v11, vcc
	v_cmp_neq_f32_e32 vcc, -1.0, v5
	v_cndmask_b32_e32 v11, v31, v11, vcc
	v_cmp_lt_f32_e64 vcc, |v5|, s41
	v_cndmask_b32_e32 v5, v11, v5, vcc
	v_mul_f32_e32 v11, 0.5, v5
	v_max_f32_e64 v5, |v8|, |v8|
	v_max_f32_e64 v12, |v7|, |v7|
	v_min_f32_e32 v13, v12, v5
	v_max_f32_e32 v5, v12, v5
	v_frexp_mant_f32_e32 v12, v5
	v_rcp_f32_e32 v12, v12
	v_frexp_exp_i32_f32_e32 v5, v5
	v_frexp_exp_i32_f32_e32 v14, v13
	v_frexp_mant_f32_e32 v13, v13
	v_mul_f32_e32 v12, v13, v12
	v_sub_u32_e32 v5, v14, v5
	v_ldexp_f32 v5, v12, v5
	v_mul_f32_e32 v12, v5, v5
	v_mov_b32_e32 v13, 0xbc7a590c
	v_fmac_f32_e32 v13, 0x3b2d2a58, v12
	v_fma_f32 v13, v12, v13, v23
	v_fma_f32 v13, v12, v13, v24
	;; [unrolled: 1-line block ×6, first 2 shown]
	v_mul_f32_e32 v12, v12, v13
	v_fmac_f32_e32 v5, v5, v12
	v_sub_f32_e32 v12, 0x3fc90fdb, v5
	v_cndmask_b32_e64 v5, v5, v12, s[0:1]
	v_sub_f32_e32 v12, 0x40490fdb, v5
	v_cmp_gt_f32_e32 vcc, 0, v7
	v_cndmask_b32_e32 v5, v5, v12, vcc
	v_cndmask_b32_e64 v12, 0, v32, s[2:3]
	v_cmp_eq_f32_e64 s[2:3], 0, v8
	v_cndmask_b32_e64 v5, v5, v12, s[2:3]
	v_cmp_class_f32_e64 s[2:3], v7, s42
	v_cndmask_b32_e32 v12, v33, v34, vcc
	s_and_b64 vcc, s[2:3], s[24:25]
	v_cndmask_b32_e32 v5, v5, v12, vcc
                                        ; implicit-def: $vgpr12
                                        ; implicit-def: $vgpr13
.LBB168_45:                             ;   in Loop: Header=BB168_5 Depth=1
	s_andn2_saveexec_b64 s[22:23], s[22:23]
	s_cbranch_execz .LBB168_53
; %bb.46:                               ;   in Loop: Header=BB168_5 Depth=1
	v_mul_f32_e32 v11, v12, v12
	v_fmac_f32_e32 v11, v13, v13
	v_cmp_ge_f32_e32 vcc, s43, v11
                                        ; implicit-def: $vgpr5
	s_and_saveexec_b64 s[2:3], vcc
	s_xor_b64 s[24:25], exec, s[2:3]
	s_cbranch_execz .LBB168_48
; %bb.47:                               ;   in Loop: Header=BB168_5 Depth=1
	v_cmp_gt_f32_e32 vcc, s44, v11
	v_cndmask_b32_e64 v5, 0, 32, vcc
	v_ldexp_f32 v5, v11, v5
	v_log_f32_e32 v5, v5
	v_cndmask_b32_e32 v11, 0, v35, vcc
	v_cmp_gt_i32_e64 s[2:3], 0, v7
	v_cmp_class_f32_e64 s[26:27], v8, s42
	v_mul_f32_e32 v12, 0x3f317217, v5
	v_fma_f32 v12, v5, s45, -v12
	v_fmac_f32_e32 v12, 0x3377d1cf, v5
	v_fmac_f32_e32 v12, 0x3f317217, v5
	v_cmp_lt_f32_e64 vcc, |v5|, s40
	v_cndmask_b32_e32 v5, v5, v12, vcc
	v_sub_f32_e32 v5, v5, v11
	v_mul_f32_e32 v11, 0.5, v5
	v_max_f32_e64 v5, |v8|, |v8|
	v_max_f32_e64 v12, |v7|, |v7|
	v_min_f32_e32 v13, v12, v5
	v_max_f32_e32 v5, v12, v5
	v_frexp_mant_f32_e32 v12, v5
	v_rcp_f32_e32 v12, v12
	v_frexp_exp_i32_f32_e32 v5, v5
	v_frexp_exp_i32_f32_e32 v14, v13
	v_frexp_mant_f32_e32 v13, v13
	v_mul_f32_e32 v12, v13, v12
	v_sub_u32_e32 v5, v14, v5
	v_ldexp_f32 v5, v12, v5
	v_mul_f32_e32 v12, v5, v5
	v_mov_b32_e32 v13, 0xbc7a590c
	v_fmac_f32_e32 v13, 0x3b2d2a58, v12
	v_fma_f32 v13, v12, v13, v23
	v_fma_f32 v13, v12, v13, v24
	;; [unrolled: 1-line block ×6, first 2 shown]
	v_mul_f32_e32 v12, v12, v13
	v_fmac_f32_e32 v5, v5, v12
	v_sub_f32_e32 v12, 0x3fc90fdb, v5
	v_cndmask_b32_e64 v5, v5, v12, s[0:1]
	v_sub_f32_e32 v12, 0x40490fdb, v5
	v_cmp_gt_f32_e32 vcc, 0, v7
	v_cndmask_b32_e32 v5, v5, v12, vcc
	v_cndmask_b32_e64 v12, 0, v32, s[2:3]
	v_cmp_eq_f32_e64 s[2:3], 0, v8
	v_cndmask_b32_e64 v5, v5, v12, s[2:3]
	v_cmp_class_f32_e64 s[2:3], v7, s42
	v_cndmask_b32_e32 v12, v33, v34, vcc
	s_and_b64 vcc, s[2:3], s[26:27]
	v_cndmask_b32_e32 v5, v5, v12, vcc
                                        ; implicit-def: $vgpr13
                                        ; implicit-def: $vgpr12
.LBB168_48:                             ;   in Loop: Header=BB168_5 Depth=1
	s_andn2_saveexec_b64 s[24:25], s[24:25]
	s_cbranch_execz .LBB168_52
; %bb.49:                               ;   in Loop: Header=BB168_5 Depth=1
	v_and_b32_e32 v14, 0x7fff0000, v13
	v_sub_f32_e32 v5, v13, v14
	v_and_b32_e32 v37, 0xffff0000, v5
	v_and_b32_e32 v13, 0x7fff0000, v12
	v_sub_f32_e32 v39, v5, v37
	v_sub_f32_e32 v5, v12, v13
	v_and_b32_e32 v38, 0xffff0000, v5
	v_add_f32_e32 v15, v14, v14
	v_add_f32_e32 v41, v13, v13
	v_sub_f32_e32 v40, v5, v38
	v_mul_f32_e32 v5, v14, v14
	v_mul_f32_e32 v11, v13, v13
	v_mul_f32_e32 v14, v15, v37
	v_mul_f32_e32 v13, v41, v38
	v_mul_f32_e32 v36, v37, v37
	v_mul_f32_e32 v12, v38, v38
	v_add_f32_e32 v37, v37, v37
	v_add_f32_e32 v38, v38, v38
	v_mul_f32_e32 v16, v15, v39
	v_mul_f32_e32 v15, v41, v40
	;; [unrolled: 1-line block ×6, first 2 shown]
	s_mov_b64 s[26:27], 0
.LBB168_50:                             ;   Parent Loop BB168_5 Depth=1
                                        ; =>  This Inner Loop Header: Depth=2
	v_cmp_nlt_f32_e32 vcc, v5, v11
	v_mov_b32_e32 v41, v40
	v_cndmask_b32_e32 v40, v5, v11, vcc
	v_cmp_nlt_f32_e64 s[2:3], v40, v14
	v_cndmask_b32_e64 v42, v40, v14, s[2:3]
	v_cndmask_b32_e32 v5, v11, v5, vcc
	s_and_b64 s[50:51], vcc, s[2:3]
	v_cmp_nlt_f32_e32 vcc, v42, v13
	v_cndmask_b32_e64 v11, v14, v40, s[2:3]
	v_cndmask_b32_e32 v40, v42, v13, vcc
	v_cmp_nlt_f32_e64 s[2:3], v40, v36
	v_cndmask_b32_e32 v14, v13, v42, vcc
	v_cndmask_b32_e64 v42, v40, v36, s[2:3]
	s_and_b64 s[52:53], vcc, s[2:3]
	v_cmp_nlt_f32_e32 vcc, v42, v12
	v_cndmask_b32_e64 v13, v36, v40, s[2:3]
	v_cndmask_b32_e32 v40, v42, v12, vcc
	v_cmp_nlt_f32_e64 s[2:3], v40, v16
	v_cndmask_b32_e32 v36, v12, v42, vcc
	v_cndmask_b32_e64 v42, v40, v16, s[2:3]
	v_cndmask_b32_e64 v12, v16, v40, s[2:3]
	s_and_b64 s[2:3], vcc, s[2:3]
	v_cmp_nlt_f32_e32 vcc, v42, v15
	v_cndmask_b32_e32 v40, v42, v15, vcc
	v_cndmask_b32_e32 v16, v15, v42, vcc
	s_and_b64 s[2:3], s[2:3], vcc
	v_cmp_nlt_f32_e32 vcc, v40, v37
	v_cndmask_b32_e32 v42, v40, v37, vcc
	v_cndmask_b32_e32 v15, v37, v40, vcc
	s_and_b64 s[2:3], s[2:3], vcc
	;; [unrolled: 4-line block ×4, first 2 shown]
	v_cmp_nlt_f32_e32 vcc, v42, v41
	s_and_b64 s[2:3], s[2:3], vcc
	s_and_b64 s[2:3], s[2:3], s[52:53]
	s_and_b64 s[2:3], s[2:3], s[50:51]
	s_and_b64 s[2:3], exec, s[2:3]
	v_cndmask_b32_e32 v40, v42, v41, vcc
	s_or_b64 s[26:27], s[2:3], s[26:27]
	v_cndmask_b32_e32 v39, v41, v42, vcc
	s_andn2_b64 exec, exec, s[26:27]
	s_cbranch_execnz .LBB168_50
; %bb.51:                               ;   in Loop: Header=BB168_5 Depth=1
	s_or_b64 exec, exec, s[26:27]
	v_add_f32_e32 v5, -1.0, v5
	v_add_f32_e32 v5, v5, v11
	v_add_f32_e32 v5, v5, v14
	;; [unrolled: 1-line block ×11, first 2 shown]
	v_add_f32_e32 v13, 1.0, v5
	v_cvt_f64_f32_e32 v[11:12], v13
	v_add_f32_e32 v14, -1.0, v13
	v_sub_f32_e32 v15, v14, v13
	v_sub_f32_e32 v14, v5, v14
	v_frexp_exp_i32_f64_e32 v11, v[11:12]
	v_frexp_mant_f32_e32 v12, v13
	v_cmp_gt_f32_e32 vcc, s38, v12
	v_add_f32_e32 v15, 1.0, v15
	v_add_f32_e32 v14, v14, v15
	v_cmp_gt_i32_e64 s[2:3], 0, v7
	v_cmp_class_f32_e64 s[26:27], v8, s42
	v_subbrev_co_u32_e32 v11, vcc, 0, v11, vcc
	v_sub_u32_e32 v12, 0, v11
	v_ldexp_f32 v13, v13, v12
	v_ldexp_f32 v12, v14, v12
	v_add_f32_e32 v14, -1.0, v13
	v_add_f32_e32 v15, 1.0, v13
	v_add_f32_e32 v16, 1.0, v14
	v_add_f32_e32 v37, -1.0, v15
	v_sub_f32_e32 v16, v13, v16
	v_sub_f32_e32 v13, v13, v37
	v_add_f32_e32 v16, v12, v16
	v_add_f32_e32 v12, v12, v13
	;; [unrolled: 1-line block ×3, first 2 shown]
	v_rcp_f32_e32 v37, v13
	v_add_f32_e32 v36, v14, v16
	v_sub_f32_e32 v15, v13, v15
	v_sub_f32_e32 v14, v36, v14
	;; [unrolled: 1-line block ×3, first 2 shown]
	v_mul_f32_e32 v15, v36, v37
	v_sub_f32_e32 v14, v16, v14
	v_mul_f32_e32 v16, v13, v15
	v_fma_f32 v38, v15, v13, -v16
	v_fmac_f32_e32 v38, v15, v12
	v_add_f32_e32 v39, v16, v38
	v_sub_f32_e32 v40, v36, v39
	v_sub_f32_e32 v36, v36, v40
	;; [unrolled: 1-line block ×4, first 2 shown]
	v_add_f32_e32 v14, v14, v36
	v_sub_f32_e32 v16, v16, v38
	v_add_f32_e32 v14, v16, v14
	v_add_f32_e32 v16, v40, v14
	v_mul_f32_e32 v36, v37, v16
	v_mul_f32_e32 v38, v13, v36
	v_fma_f32 v13, v36, v13, -v38
	v_fmac_f32_e32 v13, v36, v12
	v_sub_f32_e32 v12, v40, v16
	v_add_f32_e32 v12, v14, v12
	v_add_f32_e32 v14, v38, v13
	v_sub_f32_e32 v39, v16, v14
	v_sub_f32_e32 v16, v16, v39
	;; [unrolled: 1-line block ×4, first 2 shown]
	v_add_f32_e32 v12, v12, v14
	v_sub_f32_e32 v13, v38, v13
	v_cvt_f32_i32_e32 v11, v11
	v_add_f32_e32 v12, v13, v12
	v_add_f32_e32 v13, v15, v36
	;; [unrolled: 1-line block ×3, first 2 shown]
	v_sub_f32_e32 v14, v13, v15
	v_mul_f32_e32 v12, v37, v12
	v_sub_f32_e32 v14, v36, v14
	v_add_f32_e32 v12, v14, v12
	v_mul_f32_e32 v36, 0x3f317218, v11
	v_add_f32_e32 v14, v13, v12
	v_fma_f32 v37, v11, s39, -v36
	v_mul_f32_e32 v15, v14, v14
	v_mov_b32_e32 v16, 0x3ecc95a3
	v_fmac_f32_e32 v37, 0xb102e308, v11
	v_sub_f32_e32 v11, v14, v13
	v_fmac_f32_e32 v16, 0x3e9b6dac, v15
	v_sub_f32_e32 v11, v12, v11
	v_add_f32_e32 v12, v36, v37
	v_fma_f32 v16, v15, v16, v22
	v_sub_f32_e32 v13, v12, v36
	v_ldexp_f32 v36, v14, 1
	v_mul_f32_e32 v14, v14, v15
	v_mul_f32_e32 v14, v14, v16
	v_add_f32_e32 v15, v36, v14
	v_sub_f32_e32 v16, v15, v36
	v_ldexp_f32 v11, v11, 1
	v_sub_f32_e32 v14, v14, v16
	v_add_f32_e32 v11, v11, v14
	v_add_f32_e32 v14, v15, v11
	v_sub_f32_e32 v15, v14, v15
	v_sub_f32_e32 v11, v11, v15
	v_add_f32_e32 v15, v12, v14
	v_sub_f32_e32 v16, v15, v12
	v_sub_f32_e32 v36, v15, v16
	;; [unrolled: 1-line block ×5, first 2 shown]
	v_add_f32_e32 v12, v14, v12
	v_add_f32_e32 v14, v13, v11
	v_sub_f32_e32 v16, v14, v13
	v_sub_f32_e32 v36, v14, v16
	v_sub_f32_e32 v13, v13, v36
	v_sub_f32_e32 v11, v11, v16
	v_add_f32_e32 v12, v14, v12
	v_add_f32_e32 v11, v11, v13
	;; [unrolled: 1-line block ×3, first 2 shown]
	v_sub_f32_e32 v14, v13, v15
	v_sub_f32_e32 v12, v12, v14
	v_add_f32_e32 v11, v11, v12
	v_add_f32_e32 v11, v13, v11
	v_cmp_neq_f32_e32 vcc, s40, v5
	v_cndmask_b32_e32 v11, v29, v11, vcc
	v_cmp_ngt_f32_e32 vcc, -1.0, v5
	v_cndmask_b32_e32 v11, v30, v11, vcc
	v_cmp_neq_f32_e32 vcc, -1.0, v5
	v_cndmask_b32_e32 v11, v31, v11, vcc
	v_cmp_lt_f32_e64 vcc, |v5|, s41
	v_cndmask_b32_e32 v5, v11, v5, vcc
	v_mul_f32_e32 v11, 0.5, v5
	v_max_f32_e64 v5, |v8|, |v8|
	v_max_f32_e64 v12, |v7|, |v7|
	v_min_f32_e32 v13, v12, v5
	v_max_f32_e32 v5, v12, v5
	v_frexp_mant_f32_e32 v12, v5
	v_rcp_f32_e32 v12, v12
	v_frexp_exp_i32_f32_e32 v5, v5
	v_frexp_exp_i32_f32_e32 v14, v13
	v_frexp_mant_f32_e32 v13, v13
	v_mul_f32_e32 v12, v13, v12
	v_sub_u32_e32 v5, v14, v5
	v_ldexp_f32 v5, v12, v5
	v_mul_f32_e32 v12, v5, v5
	v_mov_b32_e32 v13, 0xbc7a590c
	v_fmac_f32_e32 v13, 0x3b2d2a58, v12
	v_fma_f32 v13, v12, v13, v23
	v_fma_f32 v13, v12, v13, v24
	;; [unrolled: 1-line block ×6, first 2 shown]
	v_mul_f32_e32 v12, v12, v13
	v_fmac_f32_e32 v5, v5, v12
	v_sub_f32_e32 v12, 0x3fc90fdb, v5
	v_cndmask_b32_e64 v5, v5, v12, s[0:1]
	v_sub_f32_e32 v12, 0x40490fdb, v5
	v_cmp_gt_f32_e32 vcc, 0, v7
	v_cndmask_b32_e32 v5, v5, v12, vcc
	v_cndmask_b32_e64 v12, 0, v32, s[2:3]
	v_cmp_eq_f32_e64 s[2:3], 0, v8
	v_cndmask_b32_e64 v5, v5, v12, s[2:3]
	v_cmp_class_f32_e64 s[2:3], v7, s42
	v_cndmask_b32_e32 v12, v33, v34, vcc
	s_and_b64 vcc, s[2:3], s[26:27]
	v_cndmask_b32_e32 v5, v5, v12, vcc
.LBB168_52:                             ;   in Loop: Header=BB168_5 Depth=1
	s_or_b64 exec, exec, s[24:25]
.LBB168_53:                             ;   in Loop: Header=BB168_5 Depth=1
	s_or_b64 exec, exec, s[22:23]
.LBB168_54:                             ;   in Loop: Header=BB168_5 Depth=1
	s_andn2_saveexec_b64 s[20:21], s[20:21]
	s_cbranch_execz .LBB168_56
; %bb.55:                               ;   in Loop: Header=BB168_5 Depth=1
	v_max_f32_e64 v5, |v8|, |v8|
	v_max_f32_e64 v13, |v7|, |v7|
	v_max_f32_e32 v14, v13, v5
	v_cvt_f64_f32_e32 v[11:12], v14
	v_min_f32_e32 v5, v13, v5
	v_frexp_mant_f32_e32 v13, v14
	v_rcp_f32_e32 v13, v13
	v_frexp_exp_i32_f64_e32 v11, v[11:12]
	v_cmp_neq_f32_e32 vcc, s40, v14
	v_frexp_exp_i32_f32_e32 v15, v5
	v_frexp_mant_f32_e32 v5, v5
	v_mul_f32_e32 v5, v5, v13
	v_frexp_exp_i32_f32_e32 v12, v14
	v_sub_u32_e32 v12, v15, v12
	v_ldexp_f32 v5, v5, v12
	v_sub_u32_e32 v16, 0, v11
	v_ldexp_f32 v36, |v7|, v16
	v_ldexp_f32 v16, |v8|, v16
	v_mul_f32_e32 v16, v16, v16
	v_fmac_f32_e32 v16, v36, v36
	v_sqrt_f32_e32 v16, v16
	v_mul_f32_e32 v12, v5, v5
	v_cmp_gt_i32_e64 s[2:3], 0, v7
	v_cmp_class_f32_e64 s[22:23], v8, s42
	v_ldexp_f32 v11, v16, v11
	v_cndmask_b32_e32 v11, v29, v11, vcc
	v_cmp_gt_f32_e32 vcc, s44, v11
	v_cndmask_b32_e64 v13, 0, 32, vcc
	v_ldexp_f32 v11, v11, v13
	v_log_f32_e32 v11, v11
	v_cndmask_b32_e32 v13, 0, v35, vcc
	v_mul_f32_e32 v14, 0x3f317217, v11
	v_fma_f32 v14, v11, s45, -v14
	v_fmac_f32_e32 v14, 0x3377d1cf, v11
	v_fmac_f32_e32 v14, 0x3f317217, v11
	v_cmp_lt_f32_e64 vcc, |v11|, s40
	v_cndmask_b32_e32 v11, v11, v14, vcc
	v_sub_f32_e32 v11, v11, v13
	v_mov_b32_e32 v13, 0xbc7a590c
	v_fmac_f32_e32 v13, 0x3b2d2a58, v12
	v_fma_f32 v13, v12, v13, v23
	v_fma_f32 v13, v12, v13, v24
	;; [unrolled: 1-line block ×6, first 2 shown]
	v_mul_f32_e32 v12, v12, v13
	v_fmac_f32_e32 v5, v5, v12
	v_sub_f32_e32 v12, 0x3fc90fdb, v5
	v_cndmask_b32_e64 v5, v5, v12, s[0:1]
	v_sub_f32_e32 v12, 0x40490fdb, v5
	v_cmp_gt_f32_e32 vcc, 0, v7
	v_cndmask_b32_e32 v5, v5, v12, vcc
	v_cndmask_b32_e64 v12, 0, v32, s[2:3]
	v_cmp_eq_f32_e64 s[2:3], 0, v8
	v_cndmask_b32_e64 v5, v5, v12, s[2:3]
	v_cmp_class_f32_e64 s[2:3], v7, s42
	v_cndmask_b32_e32 v12, v33, v34, vcc
	s_and_b64 vcc, s[2:3], s[22:23]
	v_cndmask_b32_e32 v5, v5, v12, vcc
.LBB168_56:                             ;   in Loop: Header=BB168_5 Depth=1
	s_or_b64 exec, exec, s[20:21]
                                        ; implicit-def: $vgpr12
.LBB168_57:                             ;   in Loop: Header=BB168_5 Depth=1
	s_andn2_saveexec_b64 s[18:19], s[18:19]
	s_cbranch_execz .LBB168_63
; %bb.58:                               ;   in Loop: Header=BB168_5 Depth=1
	v_cmp_ngt_f32_e32 vcc, s46, v12
                                        ; implicit-def: $vgpr5
	s_and_saveexec_b64 s[2:3], vcc
	s_xor_b64 s[20:21], exec, s[2:3]
	s_cbranch_execz .LBB168_60
; %bb.59:                               ;   in Loop: Header=BB168_5 Depth=1
	v_mul_f32_e32 v5, v12, v12
	v_add_f32_e32 v13, 1.0, v5
	v_cvt_f64_f32_e32 v[11:12], v13
	v_add_f32_e32 v14, -1.0, v13
	v_sub_f32_e32 v15, v14, v13
	v_sub_f32_e32 v14, v5, v14
	v_frexp_exp_i32_f64_e32 v11, v[11:12]
	v_frexp_mant_f32_e32 v12, v13
	v_cmp_gt_f32_e32 vcc, s38, v12
	v_add_f32_e32 v15, 1.0, v15
	v_add_f32_e32 v14, v14, v15
	v_cmp_gt_i32_e64 s[2:3], 0, v7
	v_cmp_class_f32_e64 s[22:23], v8, s42
	v_subbrev_co_u32_e32 v11, vcc, 0, v11, vcc
	v_sub_u32_e32 v12, 0, v11
	v_ldexp_f32 v13, v13, v12
	v_ldexp_f32 v12, v14, v12
	v_add_f32_e32 v14, -1.0, v13
	v_add_f32_e32 v15, 1.0, v13
	v_add_f32_e32 v16, 1.0, v14
	v_add_f32_e32 v37, -1.0, v15
	v_sub_f32_e32 v16, v13, v16
	v_sub_f32_e32 v13, v13, v37
	v_add_f32_e32 v16, v12, v16
	v_add_f32_e32 v12, v12, v13
	;; [unrolled: 1-line block ×3, first 2 shown]
	v_rcp_f32_e32 v37, v13
	v_add_f32_e32 v36, v14, v16
	v_sub_f32_e32 v15, v15, v13
	v_sub_f32_e32 v14, v14, v36
	v_add_f32_e32 v12, v12, v15
	v_mul_f32_e32 v15, v36, v37
	v_add_f32_e32 v14, v16, v14
	v_mul_f32_e32 v16, v13, v15
	v_fma_f32 v38, v15, v13, -v16
	v_fmac_f32_e32 v38, v15, v12
	v_add_f32_e32 v39, v16, v38
	v_sub_f32_e32 v40, v36, v39
	v_sub_f32_e32 v36, v36, v40
	;; [unrolled: 1-line block ×4, first 2 shown]
	v_add_f32_e32 v14, v14, v36
	v_sub_f32_e32 v16, v16, v38
	v_add_f32_e32 v14, v16, v14
	v_add_f32_e32 v16, v40, v14
	v_mul_f32_e32 v36, v37, v16
	v_mul_f32_e32 v38, v13, v36
	v_fma_f32 v13, v36, v13, -v38
	v_fmac_f32_e32 v13, v36, v12
	v_sub_f32_e32 v12, v40, v16
	v_add_f32_e32 v12, v14, v12
	v_add_f32_e32 v14, v38, v13
	v_sub_f32_e32 v39, v16, v14
	v_sub_f32_e32 v16, v16, v39
	;; [unrolled: 1-line block ×4, first 2 shown]
	v_add_f32_e32 v12, v12, v14
	v_sub_f32_e32 v13, v38, v13
	v_cvt_f32_i32_e32 v11, v11
	v_add_f32_e32 v12, v13, v12
	v_add_f32_e32 v13, v15, v36
	;; [unrolled: 1-line block ×3, first 2 shown]
	v_sub_f32_e32 v14, v13, v15
	v_mul_f32_e32 v12, v37, v12
	v_sub_f32_e32 v14, v36, v14
	v_add_f32_e32 v12, v14, v12
	v_mul_f32_e32 v36, 0x3f317218, v11
	v_add_f32_e32 v14, v13, v12
	v_fma_f32 v37, v11, s39, -v36
	v_mul_f32_e32 v15, v14, v14
	v_mov_b32_e32 v16, 0x3ecc95a3
	v_fmac_f32_e32 v37, 0xb102e308, v11
	v_sub_f32_e32 v11, v14, v13
	v_fmac_f32_e32 v16, 0x3e9b6dac, v15
	v_sub_f32_e32 v11, v12, v11
	v_add_f32_e32 v12, v36, v37
	v_fma_f32 v16, v15, v16, v22
	v_sub_f32_e32 v13, v12, v36
	v_ldexp_f32 v36, v14, 1
	v_mul_f32_e32 v14, v14, v15
	v_mul_f32_e32 v14, v14, v16
	v_add_f32_e32 v15, v36, v14
	v_sub_f32_e32 v16, v15, v36
	v_ldexp_f32 v11, v11, 1
	v_sub_f32_e32 v14, v14, v16
	v_add_f32_e32 v11, v11, v14
	v_add_f32_e32 v14, v15, v11
	v_sub_f32_e32 v15, v14, v15
	v_sub_f32_e32 v11, v11, v15
	v_add_f32_e32 v15, v12, v14
	v_sub_f32_e32 v16, v15, v12
	v_sub_f32_e32 v36, v15, v16
	v_sub_f32_e32 v13, v37, v13
	v_sub_f32_e32 v12, v12, v36
	v_sub_f32_e32 v14, v14, v16
	v_add_f32_e32 v12, v14, v12
	v_add_f32_e32 v14, v13, v11
	v_sub_f32_e32 v16, v14, v13
	v_sub_f32_e32 v36, v14, v16
	;; [unrolled: 1-line block ×4, first 2 shown]
	v_add_f32_e32 v12, v14, v12
	v_add_f32_e32 v11, v11, v13
	;; [unrolled: 1-line block ×3, first 2 shown]
	v_sub_f32_e32 v14, v13, v15
	v_sub_f32_e32 v12, v12, v14
	v_add_f32_e32 v11, v11, v12
	v_add_f32_e32 v11, v13, v11
	v_cmp_neq_f32_e32 vcc, s40, v5
	v_cndmask_b32_e32 v11, v29, v11, vcc
	v_cmp_lt_f32_e64 vcc, |v5|, s41
	v_cndmask_b32_e32 v5, v11, v5, vcc
	v_mul_f32_e32 v11, 0.5, v5
	v_max_f32_e64 v5, |v8|, |v8|
	v_max_f32_e64 v12, |v7|, |v7|
	v_min_f32_e32 v13, v12, v5
	v_max_f32_e32 v5, v12, v5
	v_frexp_mant_f32_e32 v12, v5
	v_rcp_f32_e32 v12, v12
	v_frexp_exp_i32_f32_e32 v5, v5
	v_frexp_exp_i32_f32_e32 v14, v13
	v_frexp_mant_f32_e32 v13, v13
	v_mul_f32_e32 v12, v13, v12
	v_sub_u32_e32 v5, v14, v5
	v_ldexp_f32 v5, v12, v5
	v_mul_f32_e32 v12, v5, v5
	v_mov_b32_e32 v13, 0xbc7a590c
	v_fmac_f32_e32 v13, 0x3b2d2a58, v12
	v_fma_f32 v13, v12, v13, v23
	v_fma_f32 v13, v12, v13, v24
	;; [unrolled: 1-line block ×6, first 2 shown]
	v_mul_f32_e32 v12, v12, v13
	v_fmac_f32_e32 v5, v5, v12
	v_sub_f32_e32 v12, 0x3fc90fdb, v5
	v_cndmask_b32_e64 v5, v5, v12, s[0:1]
	v_sub_f32_e32 v12, 0x40490fdb, v5
	v_cmp_gt_f32_e32 vcc, 0, v7
	v_cndmask_b32_e32 v5, v5, v12, vcc
	v_cndmask_b32_e64 v12, 0, v32, s[2:3]
	v_cmp_eq_f32_e64 s[2:3], 0, v8
	v_cndmask_b32_e64 v5, v5, v12, s[2:3]
	v_cmp_class_f32_e64 s[2:3], v7, s42
	v_cndmask_b32_e32 v12, v33, v34, vcc
	s_and_b64 vcc, s[2:3], s[22:23]
	v_cndmask_b32_e32 v5, v5, v12, vcc
                                        ; implicit-def: $vgpr12
.LBB168_60:                             ;   in Loop: Header=BB168_5 Depth=1
	s_andn2_saveexec_b64 s[20:21], s[20:21]
	s_cbranch_execz .LBB168_62
; %bb.61:                               ;   in Loop: Header=BB168_5 Depth=1
	v_mul_f32_e32 v5, 0.5, v12
	v_mul_f32_e32 v11, v12, v5
	v_max_f32_e64 v5, |v8|, |v8|
	v_max_f32_e64 v12, |v7|, |v7|
	v_min_f32_e32 v13, v12, v5
	v_max_f32_e32 v5, v12, v5
	v_frexp_mant_f32_e32 v12, v5
	v_rcp_f32_e32 v12, v12
	v_frexp_exp_i32_f32_e32 v5, v5
	v_frexp_exp_i32_f32_e32 v14, v13
	v_frexp_mant_f32_e32 v13, v13
	v_mul_f32_e32 v12, v13, v12
	v_sub_u32_e32 v5, v14, v5
	v_ldexp_f32 v5, v12, v5
	v_mul_f32_e32 v12, v5, v5
	v_mov_b32_e32 v13, 0xbc7a590c
	v_fmac_f32_e32 v13, 0x3b2d2a58, v12
	v_fma_f32 v13, v12, v13, v23
	v_fma_f32 v13, v12, v13, v24
	;; [unrolled: 1-line block ×6, first 2 shown]
	v_mul_f32_e32 v12, v12, v13
	v_fmac_f32_e32 v5, v5, v12
	v_sub_f32_e32 v12, 0x3fc90fdb, v5
	v_cndmask_b32_e64 v5, v5, v12, s[0:1]
	v_sub_f32_e32 v12, 0x40490fdb, v5
	v_cmp_gt_f32_e32 vcc, 0, v7
	v_cmp_gt_i32_e64 s[2:3], 0, v7
	v_cndmask_b32_e32 v5, v5, v12, vcc
	v_cndmask_b32_e64 v12, 0, v32, s[2:3]
	v_cmp_eq_f32_e64 s[2:3], 0, v8
	v_cndmask_b32_e64 v5, v5, v12, s[2:3]
	v_cmp_class_f32_e64 s[2:3], v7, s42
	v_cmp_class_f32_e64 s[22:23], v8, s42
	v_cndmask_b32_e32 v12, v33, v34, vcc
	s_and_b64 vcc, s[2:3], s[22:23]
	v_cndmask_b32_e32 v5, v5, v12, vcc
.LBB168_62:                             ;   in Loop: Header=BB168_5 Depth=1
	s_or_b64 exec, exec, s[20:21]
.LBB168_63:                             ;   in Loop: Header=BB168_5 Depth=1
	s_or_b64 exec, exec, s[18:19]
.LBB168_64:                             ;   in Loop: Header=BB168_5 Depth=1
	s_andn2_saveexec_b64 s[16:17], s[16:17]
	s_cbranch_execz .LBB168_66
; %bb.65:                               ;   in Loop: Header=BB168_5 Depth=1
	v_div_scale_f32 v5, s[2:3], s47, s47, v7
	v_div_scale_f32 v11, s[2:3], s47, s47, v8
	v_div_scale_f32 v12, vcc, v7, s47, v7
	v_div_scale_f32 v13, s[2:3], v8, s47, v8
	v_rcp_f32_e32 v14, v5
	v_rcp_f32_e32 v15, v11
	v_fma_f32 v16, -v5, v14, 1.0
	v_fmac_f32_e32 v14, v16, v14
	v_fma_f32 v36, -v11, v15, 1.0
	v_fmac_f32_e32 v15, v36, v15
	v_mul_f32_e32 v16, v12, v14
	v_mul_f32_e32 v36, v13, v15
	v_fma_f32 v37, -v5, v16, v12
	v_fma_f32 v38, -v11, v36, v13
	v_fmac_f32_e32 v16, v37, v14
	v_fmac_f32_e32 v36, v38, v15
	v_fma_f32 v5, -v5, v16, v12
	v_fma_f32 v11, -v11, v36, v13
	v_div_fmas_f32 v5, v5, v14, v16
	s_mov_b64 vcc, s[2:3]
	v_div_fmas_f32 v11, v11, v15, v36
	v_max_f32_e64 v12, |v8|, |v8|
	v_max_f32_e64 v13, |v7|, |v7|
	v_min_f32_e32 v15, v13, v12
	v_max_f32_e32 v12, v13, v12
	v_frexp_exp_i32_f32_e32 v13, v12
	v_frexp_exp_i32_f32_e32 v16, v15
	v_sub_u32_e32 v13, v16, v13
	v_frexp_mant_f32_e32 v12, v12
	v_rcp_f32_e32 v36, v12
	v_frexp_mant_f32_e32 v15, v15
	v_mov_b32_e32 v14, 0xbc7a590c
	v_cmp_class_f32_e64 s[2:3], v8, s42
	v_mul_f32_e32 v15, v15, v36
	v_div_fixup_f32 v5, v5, s47, v7
	v_ldexp_f32 v13, v15, v13
	v_div_fixup_f32 v16, v11, s47, v8
	v_max_f32_e64 v37, |v5|, |v16|
	v_cvt_f64_f32_e32 v[11:12], v37
	v_mul_f32_e32 v15, v13, v13
	v_fmac_f32_e32 v14, 0x3b2d2a58, v15
	v_cmp_neq_f32_e32 vcc, s40, v37
	v_frexp_exp_i32_f64_e32 v11, v[11:12]
	v_fma_f32 v12, v15, v14, v23
	v_fma_f32 v12, v15, v12, v24
	;; [unrolled: 1-line block ×6, first 2 shown]
	v_mul_f32_e32 v12, v15, v12
	v_sub_u32_e32 v14, 0, v11
	v_ldexp_f32 v5, |v5|, v14
	v_ldexp_f32 v14, |v16|, v14
	v_mul_f32_e32 v14, v14, v14
	v_fmac_f32_e32 v14, v5, v5
	v_sqrt_f32_e32 v5, v14
	v_fmac_f32_e32 v13, v13, v12
	v_sub_f32_e32 v12, 0x3fc90fdb, v13
	v_cndmask_b32_e64 v12, v13, v12, s[0:1]
	v_ldexp_f32 v5, v5, v11
	v_cndmask_b32_e32 v5, v29, v5, vcc
	v_cmp_gt_f32_e32 vcc, s44, v5
	v_cndmask_b32_e64 v11, 0, 32, vcc
	v_ldexp_f32 v5, v5, v11
	v_log_f32_e32 v5, v5
	v_cndmask_b32_e32 v11, 0, v35, vcc
	v_sub_f32_e32 v13, 0x40490fdb, v12
	v_cmp_gt_i32_e64 s[0:1], 0, v7
	v_mul_f32_e32 v14, 0x3f317217, v5
	v_fma_f32 v14, v5, s45, -v14
	v_fmac_f32_e32 v14, 0x3377d1cf, v5
	v_fmac_f32_e32 v14, 0x3f317217, v5
	v_cmp_lt_f32_e64 vcc, |v5|, s40
	v_cndmask_b32_e32 v5, v5, v14, vcc
	v_sub_f32_e32 v5, v5, v11
	v_cmp_gt_f32_e32 vcc, 0, v7
	v_add_f32_e32 v11, 1.0, v5
	v_cndmask_b32_e32 v5, v12, v13, vcc
	v_cndmask_b32_e64 v12, 0, v32, s[0:1]
	v_cmp_eq_f32_e64 s[0:1], 0, v8
	v_cndmask_b32_e64 v5, v5, v12, s[0:1]
	v_cmp_class_f32_e64 s[0:1], v7, s42
	v_cndmask_b32_e32 v12, v33, v34, vcc
	s_and_b64 vcc, s[0:1], s[2:3]
	v_cndmask_b32_e32 v5, v5, v12, vcc
.LBB168_66:                             ;   in Loop: Header=BB168_5 Depth=1
	s_or_b64 exec, exec, s[16:17]
.LBB168_67:                             ;   in Loop: Header=BB168_5 Depth=1
	s_andn2_saveexec_b64 s[0:1], s[14:15]
	s_cbranch_execz .LBB168_73
; %bb.68:                               ;   in Loop: Header=BB168_5 Depth=1
	v_cmp_nlt_f32_e64 s[2:3], |v7|, s48
	v_cmp_nlt_f32_e64 s[14:15], |v8|, s48
	s_or_b64 s[2:3], s[2:3], s[14:15]
                                        ; implicit-def: $vgpr5
	s_and_saveexec_b64 s[14:15], s[2:3]
	s_xor_b64 s[2:3], exec, s[14:15]
; %bb.69:                               ;   in Loop: Header=BB168_5 Depth=1
	v_mul_f32_e32 v5, v8, v8
	v_fmac_f32_e32 v5, v7, v7
; %bb.70:                               ;   in Loop: Header=BB168_5 Depth=1
	s_andn2_saveexec_b64 s[2:3], s[2:3]
; %bb.71:                               ;   in Loop: Header=BB168_5 Depth=1
	v_mul_f32_e32 v5, 4.0, v7
	v_mul_f32_e32 v7, 4.0, v8
	v_mul_f32_e32 v7, v7, v7
	v_fmac_f32_e32 v7, v5, v5
	v_mul_f32_e32 v5, 0x3d800000, v7
; %bb.72:                               ;   in Loop: Header=BB168_5 Depth=1
	s_or_b64 exec, exec, s[2:3]
	v_cmp_gt_f32_e32 vcc, s44, v5
	v_cndmask_b32_e64 v7, 0, 32, vcc
	v_ldexp_f32 v5, v5, v7
	v_log_f32_e32 v5, v5
	v_cndmask_b32_e32 v7, 0, v35, vcc
	v_mul_f32_e32 v11, 0x3f317217, v5
	v_fma_f32 v11, v5, s45, -v11
	v_fmac_f32_e32 v11, 0x3377d1cf, v5
	v_fmac_f32_e32 v11, 0x3f317217, v5
	v_cmp_lt_f32_e64 vcc, |v5|, s40
	v_cndmask_b32_e32 v5, v5, v11, vcc
	v_sub_f32_e32 v11, v5, v7
	v_mov_b32_e32 v5, 0x7fc00000
.LBB168_73:                             ;   in Loop: Header=BB168_5 Depth=1
	s_or_b64 exec, exec, s[0:1]
	s_waitcnt vmcnt(0)
	v_cmp_o_f32_e32 vcc, v2, v1
                                        ; implicit-def: $vgpr13
                                        ; implicit-def: $vgpr7
	s_and_saveexec_b64 s[0:1], vcc
	s_xor_b64 s[14:15], exec, s[0:1]
	s_cbranch_execz .LBB168_101
; %bb.74:                               ;   in Loop: Header=BB168_5 Depth=1
	v_cmp_lt_f32_e64 s[0:1], |v1|, |v2|
	v_cndmask_b32_e64 v12, |v2|, |v1|, s[0:1]
	v_cmp_nlt_f32_e32 vcc, s30, v12
                                        ; implicit-def: $vgpr13
                                        ; implicit-def: $vgpr7
	s_and_saveexec_b64 s[2:3], vcc
	s_xor_b64 s[16:17], exec, s[2:3]
	s_cbranch_execz .LBB168_98
; %bb.75:                               ;   in Loop: Header=BB168_5 Depth=1
	v_and_b32_e32 v7, 0x7fffffff, v2
	v_cndmask_b32_e64 v14, |v1|, v7, s[0:1]
	v_cmp_neq_f32_e32 vcc, 1.0, v14
                                        ; implicit-def: $vgpr13
                                        ; implicit-def: $vgpr7
	s_and_saveexec_b64 s[2:3], vcc
	s_xor_b64 s[18:19], exec, s[2:3]
	s_cbranch_execz .LBB168_91
; %bb.76:                               ;   in Loop: Header=BB168_5 Depth=1
	v_max_f32_e32 v7, v12, v12
	v_max_f32_e32 v13, v14, v14
	v_min_f32_e32 v15, v13, v7
	v_max_f32_e32 v7, v13, v7
	v_cmp_ngt_f32_e32 vcc, s31, v15
	v_cmp_nlt_f32_e64 s[2:3], s37, v7
	s_and_b64 s[2:3], s[2:3], vcc
                                        ; implicit-def: $vgpr13
                                        ; implicit-def: $vgpr7
	s_and_saveexec_b64 s[20:21], s[2:3]
	s_xor_b64 s[20:21], exec, s[20:21]
	s_cbranch_execz .LBB168_88
; %bb.77:                               ;   in Loop: Header=BB168_5 Depth=1
	v_cmp_le_f32_e32 vcc, 1.0, v14
                                        ; implicit-def: $vgpr13
                                        ; implicit-def: $vgpr7
	s_and_saveexec_b64 s[2:3], vcc
	s_xor_b64 s[22:23], exec, s[2:3]
	s_cbranch_execz .LBB168_79
; %bb.78:                               ;   in Loop: Header=BB168_5 Depth=1
	v_add_f32_e32 v7, -1.0, v14
	v_add_f32_e32 v13, 1.0, v14
	v_mul_f32_e32 v7, v7, v13
	v_fmac_f32_e32 v7, v12, v12
	v_add_f32_e32 v14, 1.0, v7
	v_cvt_f64_f32_e32 v[12:13], v14
	v_add_f32_e32 v15, -1.0, v14
	v_sub_f32_e32 v16, v15, v14
	v_sub_f32_e32 v15, v7, v15
	v_frexp_exp_i32_f64_e32 v12, v[12:13]
	v_frexp_mant_f32_e32 v13, v14
	v_cmp_gt_f32_e32 vcc, s38, v13
	v_add_f32_e32 v16, 1.0, v16
	v_add_f32_e32 v15, v15, v16
	v_cmp_gt_i32_e64 s[2:3], 0, v1
	v_cmp_class_f32_e64 s[24:25], v2, s42
	v_subbrev_co_u32_e32 v12, vcc, 0, v12, vcc
	v_sub_u32_e32 v13, 0, v12
	v_ldexp_f32 v14, v14, v13
	v_ldexp_f32 v13, v15, v13
	v_add_f32_e32 v15, -1.0, v14
	v_add_f32_e32 v37, 1.0, v14
	v_add_f32_e32 v16, 1.0, v15
	v_add_f32_e32 v38, -1.0, v37
	v_sub_f32_e32 v16, v14, v16
	v_sub_f32_e32 v14, v14, v38
	v_add_f32_e32 v16, v13, v16
	v_add_f32_e32 v13, v13, v14
	;; [unrolled: 1-line block ×3, first 2 shown]
	v_rcp_f32_e32 v38, v14
	v_add_f32_e32 v36, v15, v16
	v_sub_f32_e32 v15, v36, v15
	v_sub_f32_e32 v15, v16, v15
	;; [unrolled: 1-line block ×4, first 2 shown]
	v_mul_f32_e32 v16, v36, v38
	v_mul_f32_e32 v37, v14, v16
	v_fma_f32 v39, v16, v14, -v37
	v_fmac_f32_e32 v39, v16, v13
	v_add_f32_e32 v40, v37, v39
	v_sub_f32_e32 v41, v36, v40
	v_sub_f32_e32 v36, v36, v41
	v_sub_f32_e32 v37, v40, v37
	v_sub_f32_e32 v36, v36, v40
	v_add_f32_e32 v15, v15, v36
	v_sub_f32_e32 v36, v37, v39
	v_add_f32_e32 v15, v36, v15
	v_add_f32_e32 v36, v41, v15
	v_mul_f32_e32 v37, v38, v36
	v_mul_f32_e32 v39, v14, v37
	v_fma_f32 v14, v37, v14, -v39
	v_fmac_f32_e32 v14, v37, v13
	v_sub_f32_e32 v13, v41, v36
	v_add_f32_e32 v13, v15, v13
	v_add_f32_e32 v15, v39, v14
	v_sub_f32_e32 v40, v36, v15
	v_sub_f32_e32 v36, v36, v40
	;; [unrolled: 1-line block ×4, first 2 shown]
	v_add_f32_e32 v13, v13, v15
	v_sub_f32_e32 v14, v39, v14
	v_cvt_f32_i32_e32 v12, v12
	v_add_f32_e32 v13, v14, v13
	v_add_f32_e32 v14, v16, v37
	;; [unrolled: 1-line block ×3, first 2 shown]
	v_sub_f32_e32 v15, v14, v16
	v_mul_f32_e32 v13, v38, v13
	v_sub_f32_e32 v15, v37, v15
	v_add_f32_e32 v13, v15, v13
	v_mul_f32_e32 v37, 0x3f317218, v12
	v_add_f32_e32 v15, v14, v13
	v_fma_f32 v38, v12, s39, -v37
	v_mul_f32_e32 v16, v15, v15
	v_mov_b32_e32 v36, 0x3ecc95a3
	v_fmac_f32_e32 v38, 0xb102e308, v12
	v_sub_f32_e32 v12, v15, v14
	v_fmac_f32_e32 v36, 0x3e9b6dac, v16
	v_sub_f32_e32 v12, v13, v12
	v_add_f32_e32 v13, v37, v38
	v_fma_f32 v36, v16, v36, v22
	v_sub_f32_e32 v14, v13, v37
	v_ldexp_f32 v37, v15, 1
	v_mul_f32_e32 v15, v15, v16
	v_mul_f32_e32 v15, v15, v36
	v_add_f32_e32 v16, v37, v15
	v_sub_f32_e32 v36, v16, v37
	v_ldexp_f32 v12, v12, 1
	v_sub_f32_e32 v15, v15, v36
	v_add_f32_e32 v12, v12, v15
	v_add_f32_e32 v15, v16, v12
	v_sub_f32_e32 v16, v15, v16
	v_sub_f32_e32 v12, v12, v16
	v_add_f32_e32 v16, v13, v15
	v_sub_f32_e32 v36, v16, v13
	v_sub_f32_e32 v37, v16, v36
	;; [unrolled: 1-line block ×5, first 2 shown]
	v_add_f32_e32 v13, v15, v13
	v_add_f32_e32 v15, v14, v12
	v_sub_f32_e32 v36, v15, v14
	v_sub_f32_e32 v37, v15, v36
	;; [unrolled: 1-line block ×4, first 2 shown]
	v_add_f32_e32 v13, v15, v13
	v_add_f32_e32 v12, v12, v14
	;; [unrolled: 1-line block ×3, first 2 shown]
	v_sub_f32_e32 v15, v14, v16
	v_sub_f32_e32 v13, v13, v15
	v_add_f32_e32 v12, v12, v13
	v_add_f32_e32 v12, v14, v12
	v_cmp_neq_f32_e32 vcc, s40, v7
	v_cndmask_b32_e32 v12, v29, v12, vcc
	v_cmp_ngt_f32_e32 vcc, -1.0, v7
	v_cndmask_b32_e32 v12, v30, v12, vcc
	v_cmp_neq_f32_e32 vcc, -1.0, v7
	v_cndmask_b32_e32 v12, v31, v12, vcc
	v_cmp_lt_f32_e64 vcc, |v7|, s41
	v_cndmask_b32_e32 v7, v12, v7, vcc
	v_mul_f32_e32 v13, 0.5, v7
	v_max_f32_e64 v7, |v2|, |v2|
	v_max_f32_e64 v12, |v1|, |v1|
	v_min_f32_e32 v14, v12, v7
	v_max_f32_e32 v7, v12, v7
	v_frexp_mant_f32_e32 v12, v7
	v_rcp_f32_e32 v12, v12
	v_frexp_exp_i32_f32_e32 v7, v7
	v_frexp_exp_i32_f32_e32 v15, v14
	v_frexp_mant_f32_e32 v14, v14
	v_mul_f32_e32 v12, v14, v12
	v_sub_u32_e32 v7, v15, v7
	v_ldexp_f32 v7, v12, v7
	v_mul_f32_e32 v12, v7, v7
	v_mov_b32_e32 v14, 0xbc7a590c
	v_fmac_f32_e32 v14, 0x3b2d2a58, v12
	v_fma_f32 v14, v12, v14, v23
	v_fma_f32 v14, v12, v14, v24
	;; [unrolled: 1-line block ×6, first 2 shown]
	v_mul_f32_e32 v12, v12, v14
	v_fmac_f32_e32 v7, v7, v12
	v_sub_f32_e32 v12, 0x3fc90fdb, v7
	v_cndmask_b32_e64 v7, v7, v12, s[0:1]
	v_sub_f32_e32 v12, 0x40490fdb, v7
	v_cmp_gt_f32_e32 vcc, 0, v1
	v_cndmask_b32_e32 v7, v7, v12, vcc
	v_cndmask_b32_e64 v12, 0, v32, s[2:3]
	v_cmp_eq_f32_e64 s[2:3], 0, v2
	v_cndmask_b32_e64 v7, v7, v12, s[2:3]
	v_cmp_class_f32_e64 s[2:3], v1, s42
	v_cndmask_b32_e32 v12, v33, v34, vcc
	s_and_b64 vcc, s[2:3], s[24:25]
	v_cndmask_b32_e32 v7, v7, v12, vcc
                                        ; implicit-def: $vgpr12
                                        ; implicit-def: $vgpr14
.LBB168_79:                             ;   in Loop: Header=BB168_5 Depth=1
	s_andn2_saveexec_b64 s[22:23], s[22:23]
	s_cbranch_execz .LBB168_87
; %bb.80:                               ;   in Loop: Header=BB168_5 Depth=1
	v_mul_f32_e32 v15, v12, v12
	v_fmac_f32_e32 v15, v14, v14
	v_cmp_ge_f32_e32 vcc, s43, v15
                                        ; implicit-def: $vgpr13
                                        ; implicit-def: $vgpr7
	s_and_saveexec_b64 s[2:3], vcc
	s_xor_b64 s[24:25], exec, s[2:3]
	s_cbranch_execz .LBB168_82
; %bb.81:                               ;   in Loop: Header=BB168_5 Depth=1
	v_cmp_gt_f32_e32 vcc, s44, v15
	v_cndmask_b32_e64 v7, 0, 32, vcc
	v_ldexp_f32 v7, v15, v7
	v_log_f32_e32 v7, v7
	v_cndmask_b32_e32 v12, 0, v35, vcc
	v_cmp_gt_i32_e64 s[2:3], 0, v1
	v_cmp_class_f32_e64 s[26:27], v2, s42
	v_mul_f32_e32 v13, 0x3f317217, v7
	v_fma_f32 v13, v7, s45, -v13
	v_fmac_f32_e32 v13, 0x3377d1cf, v7
	v_fmac_f32_e32 v13, 0x3f317217, v7
	v_cmp_lt_f32_e64 vcc, |v7|, s40
	v_cndmask_b32_e32 v7, v7, v13, vcc
	v_sub_f32_e32 v7, v7, v12
	v_mul_f32_e32 v13, 0.5, v7
	v_max_f32_e64 v7, |v2|, |v2|
	v_max_f32_e64 v12, |v1|, |v1|
	v_min_f32_e32 v14, v12, v7
	v_max_f32_e32 v7, v12, v7
	v_frexp_mant_f32_e32 v12, v7
	v_rcp_f32_e32 v12, v12
	v_frexp_exp_i32_f32_e32 v7, v7
	v_frexp_exp_i32_f32_e32 v15, v14
	v_frexp_mant_f32_e32 v14, v14
	v_mul_f32_e32 v12, v14, v12
	v_sub_u32_e32 v7, v15, v7
	v_ldexp_f32 v7, v12, v7
	v_mul_f32_e32 v12, v7, v7
	v_mov_b32_e32 v14, 0xbc7a590c
	v_fmac_f32_e32 v14, 0x3b2d2a58, v12
	v_fma_f32 v14, v12, v14, v23
	v_fma_f32 v14, v12, v14, v24
	;; [unrolled: 1-line block ×6, first 2 shown]
	v_mul_f32_e32 v12, v12, v14
	v_fmac_f32_e32 v7, v7, v12
	v_sub_f32_e32 v12, 0x3fc90fdb, v7
	v_cndmask_b32_e64 v7, v7, v12, s[0:1]
	v_sub_f32_e32 v12, 0x40490fdb, v7
	v_cmp_gt_f32_e32 vcc, 0, v1
	v_cndmask_b32_e32 v7, v7, v12, vcc
	v_cndmask_b32_e64 v12, 0, v32, s[2:3]
	v_cmp_eq_f32_e64 s[2:3], 0, v2
	v_cndmask_b32_e64 v7, v7, v12, s[2:3]
	v_cmp_class_f32_e64 s[2:3], v1, s42
	v_cndmask_b32_e32 v12, v33, v34, vcc
	s_and_b64 vcc, s[2:3], s[26:27]
	v_cndmask_b32_e32 v7, v7, v12, vcc
                                        ; implicit-def: $vgpr14
                                        ; implicit-def: $vgpr12
.LBB168_82:                             ;   in Loop: Header=BB168_5 Depth=1
	s_andn2_saveexec_b64 s[24:25], s[24:25]
	s_cbranch_execz .LBB168_86
; %bb.83:                               ;   in Loop: Header=BB168_5 Depth=1
	v_and_b32_e32 v13, 0x7fff0000, v14
	v_sub_f32_e32 v7, v14, v13
	v_and_b32_e32 v38, 0xffff0000, v7
	v_and_b32_e32 v14, 0x7fff0000, v12
	v_sub_f32_e32 v40, v7, v38
	v_sub_f32_e32 v7, v12, v14
	v_and_b32_e32 v39, 0xffff0000, v7
	v_add_f32_e32 v16, v13, v13
	v_add_f32_e32 v42, v14, v14
	v_sub_f32_e32 v41, v7, v39
	v_mul_f32_e32 v7, v13, v13
	v_mul_f32_e32 v12, v14, v14
	;; [unrolled: 1-line block ×6, first 2 shown]
	v_add_f32_e32 v38, v38, v38
	v_add_f32_e32 v39, v39, v39
	v_mul_f32_e32 v36, v16, v40
	v_mul_f32_e32 v16, v42, v41
	;; [unrolled: 1-line block ×6, first 2 shown]
	s_mov_b64 s[26:27], 0
.LBB168_84:                             ;   Parent Loop BB168_5 Depth=1
                                        ; =>  This Inner Loop Header: Depth=2
	v_cmp_nlt_f32_e32 vcc, v7, v12
	v_mov_b32_e32 v42, v41
	v_cndmask_b32_e32 v41, v7, v12, vcc
	v_cmp_nlt_f32_e64 s[2:3], v41, v15
	v_cndmask_b32_e64 v43, v41, v15, s[2:3]
	v_cndmask_b32_e32 v7, v12, v7, vcc
	s_and_b64 s[50:51], vcc, s[2:3]
	v_cmp_nlt_f32_e32 vcc, v43, v14
	v_cndmask_b32_e64 v12, v15, v41, s[2:3]
	v_cndmask_b32_e32 v41, v43, v14, vcc
	v_cmp_nlt_f32_e64 s[2:3], v41, v37
	v_cndmask_b32_e32 v15, v14, v43, vcc
	v_cndmask_b32_e64 v43, v41, v37, s[2:3]
	s_and_b64 s[52:53], vcc, s[2:3]
	v_cmp_nlt_f32_e32 vcc, v43, v13
	v_cndmask_b32_e64 v14, v37, v41, s[2:3]
	v_cndmask_b32_e32 v41, v43, v13, vcc
	v_cmp_nlt_f32_e64 s[2:3], v41, v36
	v_cndmask_b32_e32 v37, v13, v43, vcc
	v_cndmask_b32_e64 v43, v41, v36, s[2:3]
	v_cndmask_b32_e64 v13, v36, v41, s[2:3]
	s_and_b64 s[2:3], vcc, s[2:3]
	v_cmp_nlt_f32_e32 vcc, v43, v16
	v_cndmask_b32_e32 v41, v43, v16, vcc
	v_cndmask_b32_e32 v36, v16, v43, vcc
	s_and_b64 s[2:3], s[2:3], vcc
	v_cmp_nlt_f32_e32 vcc, v41, v38
	v_cndmask_b32_e32 v43, v41, v38, vcc
	v_cndmask_b32_e32 v16, v38, v41, vcc
	s_and_b64 s[2:3], s[2:3], vcc
	;; [unrolled: 4-line block ×4, first 2 shown]
	v_cmp_nlt_f32_e32 vcc, v43, v42
	s_and_b64 s[2:3], s[2:3], vcc
	s_and_b64 s[2:3], s[2:3], s[52:53]
	s_and_b64 s[2:3], s[2:3], s[50:51]
	s_and_b64 s[2:3], exec, s[2:3]
	v_cndmask_b32_e32 v41, v43, v42, vcc
	s_or_b64 s[26:27], s[2:3], s[26:27]
	v_cndmask_b32_e32 v40, v42, v43, vcc
	s_andn2_b64 exec, exec, s[26:27]
	s_cbranch_execnz .LBB168_84
; %bb.85:                               ;   in Loop: Header=BB168_5 Depth=1
	s_or_b64 exec, exec, s[26:27]
	v_add_f32_e32 v7, -1.0, v7
	v_add_f32_e32 v7, v7, v12
	v_add_f32_e32 v7, v7, v15
	;; [unrolled: 1-line block ×11, first 2 shown]
	v_add_f32_e32 v14, 1.0, v7
	v_cvt_f64_f32_e32 v[12:13], v14
	v_add_f32_e32 v15, -1.0, v14
	v_sub_f32_e32 v16, v15, v14
	v_sub_f32_e32 v15, v7, v15
	v_frexp_exp_i32_f64_e32 v12, v[12:13]
	v_frexp_mant_f32_e32 v13, v14
	v_cmp_gt_f32_e32 vcc, s38, v13
	v_add_f32_e32 v16, 1.0, v16
	v_add_f32_e32 v15, v15, v16
	v_cmp_gt_i32_e64 s[2:3], 0, v1
	v_cmp_class_f32_e64 s[26:27], v2, s42
	v_subbrev_co_u32_e32 v12, vcc, 0, v12, vcc
	v_sub_u32_e32 v13, 0, v12
	v_ldexp_f32 v14, v14, v13
	v_ldexp_f32 v13, v15, v13
	v_add_f32_e32 v15, -1.0, v14
	v_add_f32_e32 v16, 1.0, v14
	v_add_f32_e32 v36, 1.0, v15
	v_add_f32_e32 v38, -1.0, v16
	v_sub_f32_e32 v36, v14, v36
	v_sub_f32_e32 v14, v14, v38
	v_add_f32_e32 v36, v13, v36
	v_add_f32_e32 v13, v13, v14
	;; [unrolled: 1-line block ×3, first 2 shown]
	v_rcp_f32_e32 v38, v14
	v_add_f32_e32 v37, v15, v36
	v_sub_f32_e32 v16, v14, v16
	v_sub_f32_e32 v15, v37, v15
	;; [unrolled: 1-line block ×3, first 2 shown]
	v_mul_f32_e32 v16, v37, v38
	v_sub_f32_e32 v15, v36, v15
	v_mul_f32_e32 v36, v14, v16
	v_fma_f32 v39, v16, v14, -v36
	v_fmac_f32_e32 v39, v16, v13
	v_add_f32_e32 v40, v36, v39
	v_sub_f32_e32 v41, v37, v40
	v_sub_f32_e32 v37, v37, v41
	;; [unrolled: 1-line block ×4, first 2 shown]
	v_add_f32_e32 v15, v15, v37
	v_sub_f32_e32 v36, v36, v39
	v_add_f32_e32 v15, v36, v15
	v_add_f32_e32 v36, v41, v15
	v_mul_f32_e32 v37, v38, v36
	v_mul_f32_e32 v39, v14, v37
	v_fma_f32 v14, v37, v14, -v39
	v_fmac_f32_e32 v14, v37, v13
	v_sub_f32_e32 v13, v41, v36
	v_add_f32_e32 v13, v15, v13
	v_add_f32_e32 v15, v39, v14
	v_sub_f32_e32 v40, v36, v15
	v_sub_f32_e32 v36, v36, v40
	;; [unrolled: 1-line block ×4, first 2 shown]
	v_add_f32_e32 v13, v13, v15
	v_sub_f32_e32 v14, v39, v14
	v_cvt_f32_i32_e32 v12, v12
	v_add_f32_e32 v13, v14, v13
	v_add_f32_e32 v14, v16, v37
	;; [unrolled: 1-line block ×3, first 2 shown]
	v_sub_f32_e32 v15, v14, v16
	v_mul_f32_e32 v13, v38, v13
	v_sub_f32_e32 v15, v37, v15
	v_add_f32_e32 v13, v15, v13
	v_mul_f32_e32 v37, 0x3f317218, v12
	v_add_f32_e32 v15, v14, v13
	v_fma_f32 v38, v12, s39, -v37
	v_mul_f32_e32 v16, v15, v15
	v_mov_b32_e32 v36, 0x3ecc95a3
	v_fmac_f32_e32 v38, 0xb102e308, v12
	v_sub_f32_e32 v12, v15, v14
	v_fmac_f32_e32 v36, 0x3e9b6dac, v16
	v_sub_f32_e32 v12, v13, v12
	v_add_f32_e32 v13, v37, v38
	v_fma_f32 v36, v16, v36, v22
	v_sub_f32_e32 v14, v13, v37
	v_ldexp_f32 v37, v15, 1
	v_mul_f32_e32 v15, v15, v16
	v_mul_f32_e32 v15, v15, v36
	v_add_f32_e32 v16, v37, v15
	v_sub_f32_e32 v36, v16, v37
	v_ldexp_f32 v12, v12, 1
	v_sub_f32_e32 v15, v15, v36
	v_add_f32_e32 v12, v12, v15
	v_add_f32_e32 v15, v16, v12
	v_sub_f32_e32 v16, v15, v16
	v_sub_f32_e32 v12, v12, v16
	v_add_f32_e32 v16, v13, v15
	v_sub_f32_e32 v36, v16, v13
	v_sub_f32_e32 v37, v16, v36
	;; [unrolled: 1-line block ×5, first 2 shown]
	v_add_f32_e32 v13, v15, v13
	v_add_f32_e32 v15, v14, v12
	v_sub_f32_e32 v36, v15, v14
	v_sub_f32_e32 v37, v15, v36
	;; [unrolled: 1-line block ×4, first 2 shown]
	v_add_f32_e32 v13, v15, v13
	v_add_f32_e32 v12, v12, v14
	;; [unrolled: 1-line block ×3, first 2 shown]
	v_sub_f32_e32 v15, v14, v16
	v_sub_f32_e32 v13, v13, v15
	v_add_f32_e32 v12, v12, v13
	v_add_f32_e32 v12, v14, v12
	v_cmp_neq_f32_e32 vcc, s40, v7
	v_cndmask_b32_e32 v12, v29, v12, vcc
	v_cmp_ngt_f32_e32 vcc, -1.0, v7
	v_cndmask_b32_e32 v12, v30, v12, vcc
	v_cmp_neq_f32_e32 vcc, -1.0, v7
	v_cndmask_b32_e32 v12, v31, v12, vcc
	v_cmp_lt_f32_e64 vcc, |v7|, s41
	v_cndmask_b32_e32 v7, v12, v7, vcc
	v_mul_f32_e32 v13, 0.5, v7
	v_max_f32_e64 v7, |v2|, |v2|
	v_max_f32_e64 v12, |v1|, |v1|
	v_min_f32_e32 v14, v12, v7
	v_max_f32_e32 v7, v12, v7
	v_frexp_mant_f32_e32 v12, v7
	v_rcp_f32_e32 v12, v12
	v_frexp_exp_i32_f32_e32 v7, v7
	v_frexp_exp_i32_f32_e32 v15, v14
	v_frexp_mant_f32_e32 v14, v14
	v_mul_f32_e32 v12, v14, v12
	v_sub_u32_e32 v7, v15, v7
	v_ldexp_f32 v7, v12, v7
	v_mul_f32_e32 v12, v7, v7
	v_mov_b32_e32 v14, 0xbc7a590c
	v_fmac_f32_e32 v14, 0x3b2d2a58, v12
	v_fma_f32 v14, v12, v14, v23
	v_fma_f32 v14, v12, v14, v24
	;; [unrolled: 1-line block ×6, first 2 shown]
	v_mul_f32_e32 v12, v12, v14
	v_fmac_f32_e32 v7, v7, v12
	v_sub_f32_e32 v12, 0x3fc90fdb, v7
	v_cndmask_b32_e64 v7, v7, v12, s[0:1]
	v_sub_f32_e32 v12, 0x40490fdb, v7
	v_cmp_gt_f32_e32 vcc, 0, v1
	v_cndmask_b32_e32 v7, v7, v12, vcc
	v_cndmask_b32_e64 v12, 0, v32, s[2:3]
	v_cmp_eq_f32_e64 s[2:3], 0, v2
	v_cndmask_b32_e64 v7, v7, v12, s[2:3]
	v_cmp_class_f32_e64 s[2:3], v1, s42
	v_cndmask_b32_e32 v12, v33, v34, vcc
	s_and_b64 vcc, s[2:3], s[26:27]
	v_cndmask_b32_e32 v7, v7, v12, vcc
.LBB168_86:                             ;   in Loop: Header=BB168_5 Depth=1
	s_or_b64 exec, exec, s[24:25]
.LBB168_87:                             ;   in Loop: Header=BB168_5 Depth=1
	s_or_b64 exec, exec, s[22:23]
.LBB168_88:                             ;   in Loop: Header=BB168_5 Depth=1
	s_andn2_saveexec_b64 s[20:21], s[20:21]
	s_cbranch_execz .LBB168_90
; %bb.89:                               ;   in Loop: Header=BB168_5 Depth=1
	v_max_f32_e64 v7, |v2|, |v2|
	v_max_f32_e64 v14, |v1|, |v1|
	v_max_f32_e32 v15, v14, v7
	v_cvt_f64_f32_e32 v[12:13], v15
	v_min_f32_e32 v7, v14, v7
	v_frexp_mant_f32_e32 v14, v15
	v_rcp_f32_e32 v14, v14
	v_frexp_exp_i32_f64_e32 v12, v[12:13]
	v_cmp_neq_f32_e32 vcc, s40, v15
	v_frexp_exp_i32_f32_e32 v16, v7
	v_frexp_mant_f32_e32 v7, v7
	v_mul_f32_e32 v7, v7, v14
	v_frexp_exp_i32_f32_e32 v13, v15
	v_sub_u32_e32 v13, v16, v13
	v_ldexp_f32 v7, v7, v13
	v_sub_u32_e32 v36, 0, v12
	v_ldexp_f32 v37, |v1|, v36
	v_ldexp_f32 v36, |v2|, v36
	v_mul_f32_e32 v36, v36, v36
	v_fmac_f32_e32 v36, v37, v37
	v_sqrt_f32_e32 v36, v36
	v_cmp_gt_i32_e64 s[2:3], 0, v1
	v_cmp_class_f32_e64 s[22:23], v2, s42
	v_ldexp_f32 v12, v36, v12
	v_cndmask_b32_e32 v12, v29, v12, vcc
	v_cmp_gt_f32_e32 vcc, s44, v12
	v_cndmask_b32_e64 v14, 0, 32, vcc
	v_ldexp_f32 v12, v12, v14
	v_log_f32_e32 v12, v12
	v_cndmask_b32_e32 v13, 0, v35, vcc
	v_mul_f32_e32 v14, v7, v7
	v_mul_f32_e32 v15, 0x3f317217, v12
	v_fma_f32 v15, v12, s45, -v15
	v_fmac_f32_e32 v15, 0x3377d1cf, v12
	v_fmac_f32_e32 v15, 0x3f317217, v12
	v_cmp_lt_f32_e64 vcc, |v12|, s40
	v_cndmask_b32_e32 v12, v12, v15, vcc
	v_sub_f32_e32 v13, v12, v13
	v_mov_b32_e32 v12, 0xbc7a590c
	v_fmac_f32_e32 v12, 0x3b2d2a58, v14
	v_fma_f32 v12, v14, v12, v23
	v_fma_f32 v12, v14, v12, v24
	;; [unrolled: 1-line block ×6, first 2 shown]
	v_mul_f32_e32 v12, v14, v12
	v_fmac_f32_e32 v7, v7, v12
	v_sub_f32_e32 v12, 0x3fc90fdb, v7
	v_cndmask_b32_e64 v7, v7, v12, s[0:1]
	v_sub_f32_e32 v12, 0x40490fdb, v7
	v_cmp_gt_f32_e32 vcc, 0, v1
	v_cndmask_b32_e32 v7, v7, v12, vcc
	v_cndmask_b32_e64 v12, 0, v32, s[2:3]
	v_cmp_eq_f32_e64 s[2:3], 0, v2
	v_cndmask_b32_e64 v7, v7, v12, s[2:3]
	v_cmp_class_f32_e64 s[2:3], v1, s42
	v_cndmask_b32_e32 v12, v33, v34, vcc
	s_and_b64 vcc, s[2:3], s[22:23]
	v_cndmask_b32_e32 v7, v7, v12, vcc
.LBB168_90:                             ;   in Loop: Header=BB168_5 Depth=1
	s_or_b64 exec, exec, s[20:21]
                                        ; implicit-def: $vgpr12
.LBB168_91:                             ;   in Loop: Header=BB168_5 Depth=1
	s_andn2_saveexec_b64 s[18:19], s[18:19]
	s_cbranch_execz .LBB168_97
; %bb.92:                               ;   in Loop: Header=BB168_5 Depth=1
	v_cmp_ngt_f32_e32 vcc, s46, v12
                                        ; implicit-def: $vgpr13
                                        ; implicit-def: $vgpr7
	s_and_saveexec_b64 s[2:3], vcc
	s_xor_b64 s[20:21], exec, s[2:3]
	s_cbranch_execz .LBB168_94
; %bb.93:                               ;   in Loop: Header=BB168_5 Depth=1
	v_mul_f32_e32 v7, v12, v12
	v_add_f32_e32 v14, 1.0, v7
	v_cvt_f64_f32_e32 v[12:13], v14
	v_add_f32_e32 v15, -1.0, v14
	v_sub_f32_e32 v16, v15, v14
	v_sub_f32_e32 v15, v7, v15
	v_frexp_exp_i32_f64_e32 v12, v[12:13]
	v_frexp_mant_f32_e32 v13, v14
	v_cmp_gt_f32_e32 vcc, s38, v13
	v_add_f32_e32 v16, 1.0, v16
	v_add_f32_e32 v15, v15, v16
	v_cmp_gt_i32_e64 s[2:3], 0, v1
	v_cmp_class_f32_e64 s[22:23], v2, s42
	v_subbrev_co_u32_e32 v12, vcc, 0, v12, vcc
	v_sub_u32_e32 v13, 0, v12
	v_ldexp_f32 v14, v14, v13
	v_ldexp_f32 v13, v15, v13
	v_add_f32_e32 v15, -1.0, v14
	v_add_f32_e32 v16, 1.0, v14
	v_add_f32_e32 v36, 1.0, v15
	v_add_f32_e32 v38, -1.0, v16
	v_sub_f32_e32 v36, v14, v36
	v_sub_f32_e32 v14, v14, v38
	v_add_f32_e32 v36, v13, v36
	v_add_f32_e32 v13, v13, v14
	;; [unrolled: 1-line block ×3, first 2 shown]
	v_rcp_f32_e32 v38, v14
	v_add_f32_e32 v37, v15, v36
	v_sub_f32_e32 v16, v16, v14
	v_sub_f32_e32 v15, v15, v37
	v_add_f32_e32 v13, v13, v16
	v_mul_f32_e32 v16, v37, v38
	v_add_f32_e32 v15, v36, v15
	v_mul_f32_e32 v36, v14, v16
	v_fma_f32 v39, v16, v14, -v36
	v_fmac_f32_e32 v39, v16, v13
	v_add_f32_e32 v40, v36, v39
	v_sub_f32_e32 v41, v37, v40
	v_sub_f32_e32 v37, v37, v41
	;; [unrolled: 1-line block ×4, first 2 shown]
	v_add_f32_e32 v15, v15, v37
	v_sub_f32_e32 v36, v36, v39
	v_add_f32_e32 v15, v36, v15
	v_add_f32_e32 v36, v41, v15
	v_mul_f32_e32 v37, v38, v36
	v_mul_f32_e32 v39, v14, v37
	v_fma_f32 v14, v37, v14, -v39
	v_fmac_f32_e32 v14, v37, v13
	v_sub_f32_e32 v13, v41, v36
	v_add_f32_e32 v13, v15, v13
	v_add_f32_e32 v15, v39, v14
	v_sub_f32_e32 v40, v36, v15
	v_sub_f32_e32 v36, v36, v40
	;; [unrolled: 1-line block ×4, first 2 shown]
	v_add_f32_e32 v13, v13, v15
	v_sub_f32_e32 v14, v39, v14
	v_cvt_f32_i32_e32 v12, v12
	v_add_f32_e32 v13, v14, v13
	v_add_f32_e32 v14, v16, v37
	;; [unrolled: 1-line block ×3, first 2 shown]
	v_sub_f32_e32 v15, v14, v16
	v_mul_f32_e32 v13, v38, v13
	v_sub_f32_e32 v15, v37, v15
	v_add_f32_e32 v13, v15, v13
	v_mul_f32_e32 v37, 0x3f317218, v12
	v_add_f32_e32 v15, v14, v13
	v_fma_f32 v38, v12, s39, -v37
	v_mul_f32_e32 v16, v15, v15
	v_mov_b32_e32 v36, 0x3ecc95a3
	v_fmac_f32_e32 v38, 0xb102e308, v12
	v_sub_f32_e32 v12, v15, v14
	v_fmac_f32_e32 v36, 0x3e9b6dac, v16
	v_sub_f32_e32 v12, v13, v12
	v_add_f32_e32 v13, v37, v38
	v_fma_f32 v36, v16, v36, v22
	v_sub_f32_e32 v14, v13, v37
	v_ldexp_f32 v37, v15, 1
	v_mul_f32_e32 v15, v15, v16
	v_mul_f32_e32 v15, v15, v36
	v_add_f32_e32 v16, v37, v15
	v_sub_f32_e32 v36, v16, v37
	v_ldexp_f32 v12, v12, 1
	v_sub_f32_e32 v15, v15, v36
	v_add_f32_e32 v12, v12, v15
	v_add_f32_e32 v15, v16, v12
	v_sub_f32_e32 v16, v15, v16
	v_sub_f32_e32 v12, v12, v16
	v_add_f32_e32 v16, v13, v15
	v_sub_f32_e32 v36, v16, v13
	v_sub_f32_e32 v37, v16, v36
	;; [unrolled: 1-line block ×5, first 2 shown]
	v_add_f32_e32 v13, v15, v13
	v_add_f32_e32 v15, v14, v12
	v_sub_f32_e32 v36, v15, v14
	v_sub_f32_e32 v37, v15, v36
	;; [unrolled: 1-line block ×4, first 2 shown]
	v_add_f32_e32 v13, v15, v13
	v_add_f32_e32 v12, v12, v14
	;; [unrolled: 1-line block ×3, first 2 shown]
	v_sub_f32_e32 v15, v14, v16
	v_sub_f32_e32 v13, v13, v15
	v_add_f32_e32 v12, v12, v13
	v_add_f32_e32 v12, v14, v12
	v_cmp_neq_f32_e32 vcc, s40, v7
	v_cndmask_b32_e32 v12, v29, v12, vcc
	v_cmp_lt_f32_e64 vcc, |v7|, s41
	v_cndmask_b32_e32 v7, v12, v7, vcc
	v_mul_f32_e32 v13, 0.5, v7
	v_max_f32_e64 v7, |v2|, |v2|
	v_max_f32_e64 v12, |v1|, |v1|
	v_min_f32_e32 v14, v12, v7
	v_max_f32_e32 v7, v12, v7
	v_frexp_mant_f32_e32 v12, v7
	v_rcp_f32_e32 v12, v12
	v_frexp_exp_i32_f32_e32 v7, v7
	v_frexp_exp_i32_f32_e32 v15, v14
	v_frexp_mant_f32_e32 v14, v14
	v_mul_f32_e32 v12, v14, v12
	v_sub_u32_e32 v7, v15, v7
	v_ldexp_f32 v7, v12, v7
	v_mul_f32_e32 v12, v7, v7
	v_mov_b32_e32 v14, 0xbc7a590c
	v_fmac_f32_e32 v14, 0x3b2d2a58, v12
	v_fma_f32 v14, v12, v14, v23
	v_fma_f32 v14, v12, v14, v24
	;; [unrolled: 1-line block ×6, first 2 shown]
	v_mul_f32_e32 v12, v12, v14
	v_fmac_f32_e32 v7, v7, v12
	v_sub_f32_e32 v12, 0x3fc90fdb, v7
	v_cndmask_b32_e64 v7, v7, v12, s[0:1]
	v_sub_f32_e32 v12, 0x40490fdb, v7
	v_cmp_gt_f32_e32 vcc, 0, v1
	v_cndmask_b32_e32 v7, v7, v12, vcc
	v_cndmask_b32_e64 v12, 0, v32, s[2:3]
	v_cmp_eq_f32_e64 s[2:3], 0, v2
	v_cndmask_b32_e64 v7, v7, v12, s[2:3]
	v_cmp_class_f32_e64 s[2:3], v1, s42
	v_cndmask_b32_e32 v12, v33, v34, vcc
	s_and_b64 vcc, s[2:3], s[22:23]
	v_cndmask_b32_e32 v7, v7, v12, vcc
                                        ; implicit-def: $vgpr12
.LBB168_94:                             ;   in Loop: Header=BB168_5 Depth=1
	s_andn2_saveexec_b64 s[20:21], s[20:21]
	s_cbranch_execz .LBB168_96
; %bb.95:                               ;   in Loop: Header=BB168_5 Depth=1
	v_mul_f32_e32 v7, 0.5, v12
	v_mul_f32_e32 v13, v12, v7
	v_max_f32_e64 v7, |v2|, |v2|
	v_max_f32_e64 v12, |v1|, |v1|
	v_min_f32_e32 v14, v12, v7
	v_max_f32_e32 v7, v12, v7
	v_frexp_mant_f32_e32 v12, v7
	v_rcp_f32_e32 v12, v12
	v_frexp_exp_i32_f32_e32 v7, v7
	v_frexp_exp_i32_f32_e32 v15, v14
	v_frexp_mant_f32_e32 v14, v14
	v_mul_f32_e32 v12, v14, v12
	v_sub_u32_e32 v7, v15, v7
	v_ldexp_f32 v7, v12, v7
	v_mul_f32_e32 v12, v7, v7
	v_mov_b32_e32 v14, 0xbc7a590c
	v_fmac_f32_e32 v14, 0x3b2d2a58, v12
	v_fma_f32 v14, v12, v14, v23
	v_fma_f32 v14, v12, v14, v24
	;; [unrolled: 1-line block ×6, first 2 shown]
	v_mul_f32_e32 v12, v12, v14
	v_fmac_f32_e32 v7, v7, v12
	v_sub_f32_e32 v12, 0x3fc90fdb, v7
	v_cndmask_b32_e64 v7, v7, v12, s[0:1]
	v_sub_f32_e32 v12, 0x40490fdb, v7
	v_cmp_gt_f32_e32 vcc, 0, v1
	v_cmp_gt_i32_e64 s[2:3], 0, v1
	v_cndmask_b32_e32 v7, v7, v12, vcc
	v_cndmask_b32_e64 v12, 0, v32, s[2:3]
	v_cmp_eq_f32_e64 s[2:3], 0, v2
	v_cndmask_b32_e64 v7, v7, v12, s[2:3]
	v_cmp_class_f32_e64 s[2:3], v1, s42
	v_cmp_class_f32_e64 s[22:23], v2, s42
	v_cndmask_b32_e32 v12, v33, v34, vcc
	s_and_b64 vcc, s[2:3], s[22:23]
	v_cndmask_b32_e32 v7, v7, v12, vcc
.LBB168_96:                             ;   in Loop: Header=BB168_5 Depth=1
	s_or_b64 exec, exec, s[20:21]
.LBB168_97:                             ;   in Loop: Header=BB168_5 Depth=1
	s_or_b64 exec, exec, s[18:19]
.LBB168_98:                             ;   in Loop: Header=BB168_5 Depth=1
	s_andn2_saveexec_b64 s[16:17], s[16:17]
	s_cbranch_execz .LBB168_100
; %bb.99:                               ;   in Loop: Header=BB168_5 Depth=1
	v_div_scale_f32 v7, s[2:3], s47, s47, v1
	v_div_scale_f32 v12, s[2:3], s47, s47, v2
	v_div_scale_f32 v13, vcc, v1, s47, v1
	v_div_scale_f32 v14, s[2:3], v2, s47, v2
	v_rcp_f32_e32 v15, v7
	v_rcp_f32_e32 v16, v12
	v_fma_f32 v36, -v7, v15, 1.0
	v_fmac_f32_e32 v15, v36, v15
	v_fma_f32 v37, -v12, v16, 1.0
	v_fmac_f32_e32 v16, v37, v16
	v_mul_f32_e32 v36, v13, v15
	v_mul_f32_e32 v37, v14, v16
	v_fma_f32 v38, -v7, v36, v13
	v_fma_f32 v39, -v12, v37, v14
	v_fmac_f32_e32 v36, v38, v15
	v_fmac_f32_e32 v37, v39, v16
	v_fma_f32 v7, -v7, v36, v13
	v_fma_f32 v12, -v12, v37, v14
	v_div_fmas_f32 v7, v7, v15, v36
	s_mov_b64 vcc, s[2:3]
	v_div_fmas_f32 v12, v12, v16, v37
	v_max_f32_e64 v13, |v2|, |v2|
	v_max_f32_e64 v14, |v1|, |v1|
	v_min_f32_e32 v16, v14, v13
	v_max_f32_e32 v13, v14, v13
	v_frexp_exp_i32_f32_e32 v14, v13
	v_frexp_exp_i32_f32_e32 v36, v16
	v_sub_u32_e32 v14, v36, v14
	v_frexp_mant_f32_e32 v13, v13
	v_rcp_f32_e32 v37, v13
	v_frexp_mant_f32_e32 v16, v16
	v_mov_b32_e32 v15, 0xbc7a590c
	v_cmp_class_f32_e64 s[2:3], v2, s42
	v_mul_f32_e32 v16, v16, v37
	v_div_fixup_f32 v7, v7, s47, v1
	v_ldexp_f32 v14, v16, v14
	v_div_fixup_f32 v36, v12, s47, v2
	v_max_f32_e64 v38, |v7|, |v36|
	v_cvt_f64_f32_e32 v[12:13], v38
	v_mul_f32_e32 v16, v14, v14
	v_fmac_f32_e32 v15, 0x3b2d2a58, v16
	v_cmp_neq_f32_e32 vcc, s40, v38
	v_frexp_exp_i32_f64_e32 v12, v[12:13]
	v_fma_f32 v13, v16, v15, v23
	v_fma_f32 v13, v16, v13, v24
	;; [unrolled: 1-line block ×6, first 2 shown]
	v_mul_f32_e32 v13, v16, v13
	v_sub_u32_e32 v15, 0, v12
	v_ldexp_f32 v7, |v7|, v15
	v_ldexp_f32 v15, |v36|, v15
	v_mul_f32_e32 v15, v15, v15
	v_fmac_f32_e32 v15, v7, v7
	v_sqrt_f32_e32 v7, v15
	v_fmac_f32_e32 v14, v14, v13
	v_sub_f32_e32 v13, 0x3fc90fdb, v14
	v_ldexp_f32 v7, v7, v12
	v_cndmask_b32_e32 v7, v29, v7, vcc
	v_cmp_gt_f32_e32 vcc, s44, v7
	v_cndmask_b32_e64 v12, 0, 32, vcc
	v_ldexp_f32 v7, v7, v12
	v_log_f32_e32 v7, v7
	v_cndmask_b32_e64 v12, v14, v13, s[0:1]
	v_cndmask_b32_e32 v13, 0, v35, vcc
	v_sub_f32_e32 v14, 0x40490fdb, v12
	v_mul_f32_e32 v15, 0x3f317217, v7
	v_fma_f32 v15, v7, s45, -v15
	v_fmac_f32_e32 v15, 0x3377d1cf, v7
	v_fmac_f32_e32 v15, 0x3f317217, v7
	v_cmp_lt_f32_e64 vcc, |v7|, s40
	v_cndmask_b32_e32 v7, v7, v15, vcc
	v_sub_f32_e32 v7, v7, v13
	v_cmp_gt_f32_e32 vcc, 0, v1
	v_cmp_gt_i32_e64 s[0:1], 0, v1
	v_add_f32_e32 v13, 1.0, v7
	v_cndmask_b32_e32 v7, v12, v14, vcc
	v_cndmask_b32_e64 v12, 0, v32, s[0:1]
	v_cmp_eq_f32_e64 s[0:1], 0, v2
	v_cndmask_b32_e64 v7, v7, v12, s[0:1]
	v_cmp_class_f32_e64 s[0:1], v1, s42
	v_cndmask_b32_e32 v12, v33, v34, vcc
	s_and_b64 vcc, s[0:1], s[2:3]
	v_cndmask_b32_e32 v7, v7, v12, vcc
.LBB168_100:                            ;   in Loop: Header=BB168_5 Depth=1
	s_or_b64 exec, exec, s[16:17]
.LBB168_101:                            ;   in Loop: Header=BB168_5 Depth=1
	s_andn2_saveexec_b64 s[0:1], s[14:15]
	s_cbranch_execz .LBB168_107
; %bb.102:                              ;   in Loop: Header=BB168_5 Depth=1
	v_cmp_nlt_f32_e64 s[2:3], |v1|, s48
	v_cmp_nlt_f32_e64 s[14:15], |v2|, s48
	s_or_b64 s[2:3], s[2:3], s[14:15]
                                        ; implicit-def: $vgpr7
	s_and_saveexec_b64 s[14:15], s[2:3]
	s_xor_b64 s[2:3], exec, s[14:15]
; %bb.103:                              ;   in Loop: Header=BB168_5 Depth=1
	v_mul_f32_e32 v7, v2, v2
	v_fmac_f32_e32 v7, v1, v1
; %bb.104:                              ;   in Loop: Header=BB168_5 Depth=1
	s_andn2_saveexec_b64 s[2:3], s[2:3]
; %bb.105:                              ;   in Loop: Header=BB168_5 Depth=1
	v_mul_f32_e32 v7, 4.0, v2
	v_mul_f32_e32 v1, 4.0, v1
	v_mul_f32_e32 v7, v7, v7
	v_fmac_f32_e32 v7, v1, v1
	v_mul_f32_e32 v7, 0x3d800000, v7
; %bb.106:                              ;   in Loop: Header=BB168_5 Depth=1
	s_or_b64 exec, exec, s[2:3]
	v_cmp_gt_f32_e32 vcc, s44, v7
	v_cndmask_b32_e64 v1, 0, 32, vcc
	v_ldexp_f32 v1, v7, v1
	v_log_f32_e32 v1, v1
	v_cndmask_b32_e32 v7, 0, v35, vcc
	v_mul_f32_e32 v12, 0x3f317217, v1
	v_fma_f32 v12, v1, s45, -v12
	v_fmac_f32_e32 v12, 0x3377d1cf, v1
	v_fmac_f32_e32 v12, 0x3f317217, v1
	v_cmp_lt_f32_e64 vcc, |v1|, s40
	v_cndmask_b32_e32 v1, v1, v12, vcc
	v_sub_f32_e32 v13, v1, v7
	v_mov_b32_e32 v7, 0x7fc00000
.LBB168_107:                            ;   in Loop: Header=BB168_5 Depth=1
	s_or_b64 exec, exec, s[0:1]
	v_cmp_o_f32_e32 vcc, v4, v3
                                        ; implicit-def: $vgpr1
	s_and_saveexec_b64 s[0:1], vcc
	s_xor_b64 s[14:15], exec, s[0:1]
	s_cbranch_execz .LBB168_135
; %bb.108:                              ;   in Loop: Header=BB168_5 Depth=1
	v_cmp_lt_f32_e64 s[0:1], |v3|, |v4|
	v_cndmask_b32_e64 v12, |v4|, |v3|, s[0:1]
	v_cmp_nlt_f32_e32 vcc, s30, v12
                                        ; implicit-def: $vgpr1
	s_and_saveexec_b64 s[2:3], vcc
	s_xor_b64 s[16:17], exec, s[2:3]
	s_cbranch_execz .LBB168_132
; %bb.109:                              ;   in Loop: Header=BB168_5 Depth=1
	v_and_b32_e32 v1, 0x7fffffff, v4
	v_cndmask_b32_e64 v14, |v3|, v1, s[0:1]
	v_cmp_neq_f32_e32 vcc, 1.0, v14
                                        ; implicit-def: $vgpr1
	s_and_saveexec_b64 s[2:3], vcc
	s_xor_b64 s[18:19], exec, s[2:3]
	s_cbranch_execz .LBB168_125
; %bb.110:                              ;   in Loop: Header=BB168_5 Depth=1
	v_max_f32_e32 v1, v12, v12
	v_max_f32_e32 v15, v14, v14
	v_min_f32_e32 v16, v15, v1
	v_max_f32_e32 v1, v15, v1
	v_cmp_ngt_f32_e32 vcc, s31, v16
	v_cmp_nlt_f32_e64 s[2:3], s37, v1
	s_and_b64 s[2:3], s[2:3], vcc
                                        ; implicit-def: $vgpr1
	s_and_saveexec_b64 s[20:21], s[2:3]
	s_xor_b64 s[20:21], exec, s[20:21]
	s_cbranch_execz .LBB168_122
; %bb.111:                              ;   in Loop: Header=BB168_5 Depth=1
	v_cmp_le_f32_e32 vcc, 1.0, v14
                                        ; implicit-def: $vgpr1
	s_and_saveexec_b64 s[2:3], vcc
	s_xor_b64 s[22:23], exec, s[2:3]
	s_cbranch_execz .LBB168_113
; %bb.112:                              ;   in Loop: Header=BB168_5 Depth=1
	v_add_f32_e32 v1, -1.0, v14
	v_add_f32_e32 v14, 1.0, v14
	v_mul_f32_e32 v1, v1, v14
	v_fmac_f32_e32 v1, v12, v12
	v_add_f32_e32 v12, 1.0, v1
	v_cvt_f64_f32_e32 v[14:15], v12
	v_add_f32_e32 v16, -1.0, v12
	v_sub_f32_e32 v36, v16, v12
	v_sub_f32_e32 v16, v1, v16
	v_frexp_exp_i32_f64_e32 v14, v[14:15]
	v_frexp_mant_f32_e32 v15, v12
	v_cmp_gt_f32_e32 vcc, s38, v15
	v_add_f32_e32 v36, 1.0, v36
	v_add_f32_e32 v16, v16, v36
	v_cmp_gt_i32_e64 s[2:3], 0, v3
	v_cmp_class_f32_e64 s[24:25], v4, s42
	v_subbrev_co_u32_e32 v14, vcc, 0, v14, vcc
	v_sub_u32_e32 v15, 0, v14
	v_ldexp_f32 v12, v12, v15
	v_ldexp_f32 v15, v16, v15
	v_add_f32_e32 v16, -1.0, v12
	v_add_f32_e32 v38, 1.0, v12
	v_add_f32_e32 v36, 1.0, v16
	v_add_f32_e32 v39, -1.0, v38
	v_sub_f32_e32 v36, v12, v36
	v_sub_f32_e32 v12, v12, v39
	v_add_f32_e32 v12, v15, v12
	v_add_f32_e32 v36, v15, v36
	;; [unrolled: 1-line block ×3, first 2 shown]
	v_rcp_f32_e32 v39, v15
	v_add_f32_e32 v37, v16, v36
	v_sub_f32_e32 v16, v37, v16
	v_sub_f32_e32 v16, v36, v16
	;; [unrolled: 1-line block ×4, first 2 shown]
	v_mul_f32_e32 v36, v37, v39
	v_mul_f32_e32 v38, v15, v36
	v_fma_f32 v40, v36, v15, -v38
	v_fmac_f32_e32 v40, v36, v12
	v_add_f32_e32 v41, v38, v40
	v_sub_f32_e32 v42, v37, v41
	v_sub_f32_e32 v37, v37, v42
	;; [unrolled: 1-line block ×4, first 2 shown]
	v_add_f32_e32 v16, v16, v37
	v_sub_f32_e32 v37, v38, v40
	v_add_f32_e32 v16, v37, v16
	v_add_f32_e32 v37, v42, v16
	v_mul_f32_e32 v38, v39, v37
	v_mul_f32_e32 v40, v15, v38
	v_fma_f32 v15, v38, v15, -v40
	v_fmac_f32_e32 v15, v38, v12
	v_sub_f32_e32 v12, v42, v37
	v_add_f32_e32 v12, v16, v12
	v_add_f32_e32 v16, v40, v15
	v_sub_f32_e32 v41, v37, v16
	v_sub_f32_e32 v37, v37, v41
	;; [unrolled: 1-line block ×4, first 2 shown]
	v_add_f32_e32 v12, v12, v16
	v_sub_f32_e32 v15, v40, v15
	v_cvt_f32_i32_e32 v14, v14
	v_add_f32_e32 v12, v15, v12
	v_add_f32_e32 v15, v36, v38
	;; [unrolled: 1-line block ×3, first 2 shown]
	v_sub_f32_e32 v16, v15, v36
	v_mul_f32_e32 v12, v39, v12
	v_sub_f32_e32 v16, v38, v16
	v_add_f32_e32 v12, v16, v12
	v_mul_f32_e32 v38, 0x3f317218, v14
	v_add_f32_e32 v16, v15, v12
	v_fma_f32 v39, v14, s39, -v38
	v_mul_f32_e32 v36, v16, v16
	v_mov_b32_e32 v37, 0x3ecc95a3
	v_fmac_f32_e32 v39, 0xb102e308, v14
	v_sub_f32_e32 v14, v16, v15
	v_fmac_f32_e32 v37, 0x3e9b6dac, v36
	v_sub_f32_e32 v12, v12, v14
	v_add_f32_e32 v14, v38, v39
	v_fma_f32 v37, v36, v37, v22
	v_sub_f32_e32 v15, v14, v38
	v_ldexp_f32 v38, v16, 1
	v_mul_f32_e32 v16, v16, v36
	v_mul_f32_e32 v16, v16, v37
	v_add_f32_e32 v36, v38, v16
	v_sub_f32_e32 v37, v36, v38
	v_ldexp_f32 v12, v12, 1
	v_sub_f32_e32 v16, v16, v37
	v_add_f32_e32 v12, v12, v16
	v_add_f32_e32 v16, v36, v12
	v_sub_f32_e32 v36, v16, v36
	v_sub_f32_e32 v12, v12, v36
	v_add_f32_e32 v36, v14, v16
	v_sub_f32_e32 v37, v36, v14
	v_sub_f32_e32 v38, v36, v37
	;; [unrolled: 1-line block ×5, first 2 shown]
	v_add_f32_e32 v14, v16, v14
	v_add_f32_e32 v16, v15, v12
	v_sub_f32_e32 v37, v16, v15
	v_sub_f32_e32 v38, v16, v37
	;; [unrolled: 1-line block ×4, first 2 shown]
	v_add_f32_e32 v14, v16, v14
	v_add_f32_e32 v12, v12, v15
	;; [unrolled: 1-line block ×3, first 2 shown]
	v_sub_f32_e32 v16, v15, v36
	v_sub_f32_e32 v14, v14, v16
	v_add_f32_e32 v12, v12, v14
	v_add_f32_e32 v12, v15, v12
	v_cmp_neq_f32_e32 vcc, s40, v1
	v_cndmask_b32_e32 v12, v29, v12, vcc
	v_cmp_ngt_f32_e32 vcc, -1.0, v1
	v_cndmask_b32_e32 v12, v30, v12, vcc
	v_cmp_neq_f32_e32 vcc, -1.0, v1
	v_cndmask_b32_e32 v12, v31, v12, vcc
	v_cmp_lt_f32_e64 vcc, |v1|, s41
	v_cndmask_b32_e32 v1, v12, v1, vcc
	v_mul_f32_e32 v15, 0.5, v1
	v_max_f32_e64 v1, |v4|, |v4|
	v_max_f32_e64 v12, |v3|, |v3|
	v_min_f32_e32 v14, v12, v1
	v_max_f32_e32 v1, v12, v1
	v_frexp_mant_f32_e32 v12, v1
	v_rcp_f32_e32 v12, v12
	v_frexp_exp_i32_f32_e32 v1, v1
	v_frexp_exp_i32_f32_e32 v16, v14
	v_frexp_mant_f32_e32 v14, v14
	v_mul_f32_e32 v12, v14, v12
	v_sub_u32_e32 v1, v16, v1
	v_ldexp_f32 v1, v12, v1
	v_mul_f32_e32 v12, v1, v1
	v_mov_b32_e32 v14, 0xbc7a590c
	v_fmac_f32_e32 v14, 0x3b2d2a58, v12
	v_fma_f32 v14, v12, v14, v23
	v_fma_f32 v14, v12, v14, v24
	;; [unrolled: 1-line block ×6, first 2 shown]
	v_mul_f32_e32 v12, v12, v14
	v_fmac_f32_e32 v1, v1, v12
	v_sub_f32_e32 v12, 0x3fc90fdb, v1
	v_cndmask_b32_e64 v1, v1, v12, s[0:1]
	v_sub_f32_e32 v12, 0x40490fdb, v1
	v_cmp_gt_f32_e32 vcc, 0, v3
	v_cndmask_b32_e32 v1, v1, v12, vcc
	v_cndmask_b32_e64 v12, 0, v32, s[2:3]
	v_cmp_eq_f32_e64 s[2:3], 0, v4
	v_cndmask_b32_e64 v1, v1, v12, s[2:3]
	v_cmp_class_f32_e64 s[2:3], v3, s42
	v_cndmask_b32_e32 v12, v33, v34, vcc
	s_and_b64 vcc, s[2:3], s[24:25]
	v_cndmask_b32_e32 v1, v1, v12, vcc
                                        ; implicit-def: $vgpr12
                                        ; implicit-def: $vgpr14
.LBB168_113:                            ;   in Loop: Header=BB168_5 Depth=1
	s_andn2_saveexec_b64 s[22:23], s[22:23]
	s_cbranch_execz .LBB168_121
; %bb.114:                              ;   in Loop: Header=BB168_5 Depth=1
	v_mul_f32_e32 v15, v12, v12
	v_fmac_f32_e32 v15, v14, v14
	v_cmp_ge_f32_e32 vcc, s43, v15
                                        ; implicit-def: $vgpr1
	s_and_saveexec_b64 s[2:3], vcc
	s_xor_b64 s[24:25], exec, s[2:3]
	s_cbranch_execz .LBB168_116
; %bb.115:                              ;   in Loop: Header=BB168_5 Depth=1
	v_cmp_gt_f32_e32 vcc, s44, v15
	v_cndmask_b32_e64 v1, 0, 32, vcc
	v_ldexp_f32 v1, v15, v1
	v_log_f32_e32 v1, v1
	v_cndmask_b32_e32 v12, 0, v35, vcc
	v_cmp_gt_i32_e64 s[2:3], 0, v3
	v_cmp_class_f32_e64 s[26:27], v4, s42
	v_mul_f32_e32 v14, 0x3f317217, v1
	v_fma_f32 v14, v1, s45, -v14
	v_fmac_f32_e32 v14, 0x3377d1cf, v1
	v_fmac_f32_e32 v14, 0x3f317217, v1
	v_cmp_lt_f32_e64 vcc, |v1|, s40
	v_cndmask_b32_e32 v1, v1, v14, vcc
	v_sub_f32_e32 v1, v1, v12
	v_mul_f32_e32 v15, 0.5, v1
	v_max_f32_e64 v1, |v4|, |v4|
	v_max_f32_e64 v12, |v3|, |v3|
	v_min_f32_e32 v14, v12, v1
	v_max_f32_e32 v1, v12, v1
	v_frexp_mant_f32_e32 v12, v1
	v_rcp_f32_e32 v12, v12
	v_frexp_exp_i32_f32_e32 v1, v1
	v_frexp_exp_i32_f32_e32 v16, v14
	v_frexp_mant_f32_e32 v14, v14
	v_mul_f32_e32 v12, v14, v12
	v_sub_u32_e32 v1, v16, v1
	v_ldexp_f32 v1, v12, v1
	v_mul_f32_e32 v12, v1, v1
	v_mov_b32_e32 v14, 0xbc7a590c
	v_fmac_f32_e32 v14, 0x3b2d2a58, v12
	v_fma_f32 v14, v12, v14, v23
	v_fma_f32 v14, v12, v14, v24
	;; [unrolled: 1-line block ×6, first 2 shown]
	v_mul_f32_e32 v12, v12, v14
	v_fmac_f32_e32 v1, v1, v12
	v_sub_f32_e32 v12, 0x3fc90fdb, v1
	v_cndmask_b32_e64 v1, v1, v12, s[0:1]
	v_sub_f32_e32 v12, 0x40490fdb, v1
	v_cmp_gt_f32_e32 vcc, 0, v3
	v_cndmask_b32_e32 v1, v1, v12, vcc
	v_cndmask_b32_e64 v12, 0, v32, s[2:3]
	v_cmp_eq_f32_e64 s[2:3], 0, v4
	v_cndmask_b32_e64 v1, v1, v12, s[2:3]
	v_cmp_class_f32_e64 s[2:3], v3, s42
	v_cndmask_b32_e32 v12, v33, v34, vcc
	s_and_b64 vcc, s[2:3], s[26:27]
	v_cndmask_b32_e32 v1, v1, v12, vcc
                                        ; implicit-def: $vgpr14
                                        ; implicit-def: $vgpr12
.LBB168_116:                            ;   in Loop: Header=BB168_5 Depth=1
	s_andn2_saveexec_b64 s[24:25], s[24:25]
	s_cbranch_execz .LBB168_120
; %bb.117:                              ;   in Loop: Header=BB168_5 Depth=1
	v_and_b32_e32 v15, 0x7fff0000, v14
	v_sub_f32_e32 v1, v14, v15
	v_and_b32_e32 v39, 0xffff0000, v1
	v_and_b32_e32 v14, 0x7fff0000, v12
	v_sub_f32_e32 v41, v1, v39
	v_sub_f32_e32 v1, v12, v14
	v_and_b32_e32 v40, 0xffff0000, v1
	v_add_f32_e32 v36, v15, v15
	v_add_f32_e32 v43, v14, v14
	v_sub_f32_e32 v42, v1, v40
	v_mul_f32_e32 v1, v15, v15
	v_mul_f32_e32 v12, v14, v14
	v_mul_f32_e32 v16, v36, v39
	v_mul_f32_e32 v15, v43, v40
	v_mul_f32_e32 v38, v39, v39
	v_mul_f32_e32 v14, v40, v40
	v_add_f32_e32 v39, v39, v39
	v_add_f32_e32 v40, v40, v40
	v_mul_f32_e32 v37, v36, v41
	v_mul_f32_e32 v36, v43, v42
	;; [unrolled: 1-line block ×6, first 2 shown]
	s_mov_b64 s[26:27], 0
.LBB168_118:                            ;   Parent Loop BB168_5 Depth=1
                                        ; =>  This Inner Loop Header: Depth=2
	v_cmp_nlt_f32_e32 vcc, v1, v12
	v_mov_b32_e32 v43, v42
	v_cndmask_b32_e32 v42, v1, v12, vcc
	v_cmp_nlt_f32_e64 s[2:3], v42, v16
	v_cndmask_b32_e64 v44, v42, v16, s[2:3]
	v_cndmask_b32_e32 v1, v12, v1, vcc
	s_and_b64 s[50:51], vcc, s[2:3]
	v_cmp_nlt_f32_e32 vcc, v44, v15
	v_cndmask_b32_e64 v12, v16, v42, s[2:3]
	v_cndmask_b32_e32 v42, v44, v15, vcc
	v_cmp_nlt_f32_e64 s[2:3], v42, v38
	v_cndmask_b32_e32 v16, v15, v44, vcc
	v_cndmask_b32_e64 v44, v42, v38, s[2:3]
	s_and_b64 s[52:53], vcc, s[2:3]
	v_cmp_nlt_f32_e32 vcc, v44, v14
	v_cndmask_b32_e64 v15, v38, v42, s[2:3]
	v_cndmask_b32_e32 v42, v44, v14, vcc
	v_cmp_nlt_f32_e64 s[2:3], v42, v37
	v_cndmask_b32_e32 v38, v14, v44, vcc
	v_cndmask_b32_e64 v44, v42, v37, s[2:3]
	v_cndmask_b32_e64 v14, v37, v42, s[2:3]
	s_and_b64 s[2:3], vcc, s[2:3]
	v_cmp_nlt_f32_e32 vcc, v44, v36
	v_cndmask_b32_e32 v42, v44, v36, vcc
	v_cndmask_b32_e32 v37, v36, v44, vcc
	s_and_b64 s[2:3], s[2:3], vcc
	v_cmp_nlt_f32_e32 vcc, v42, v39
	v_cndmask_b32_e32 v44, v42, v39, vcc
	v_cndmask_b32_e32 v36, v39, v42, vcc
	s_and_b64 s[2:3], s[2:3], vcc
	;; [unrolled: 4-line block ×4, first 2 shown]
	v_cmp_nlt_f32_e32 vcc, v44, v43
	s_and_b64 s[2:3], s[2:3], vcc
	s_and_b64 s[2:3], s[2:3], s[52:53]
	s_and_b64 s[2:3], s[2:3], s[50:51]
	s_and_b64 s[2:3], exec, s[2:3]
	v_cndmask_b32_e32 v42, v44, v43, vcc
	s_or_b64 s[26:27], s[2:3], s[26:27]
	v_cndmask_b32_e32 v41, v43, v44, vcc
	s_andn2_b64 exec, exec, s[26:27]
	s_cbranch_execnz .LBB168_118
; %bb.119:                              ;   in Loop: Header=BB168_5 Depth=1
	s_or_b64 exec, exec, s[26:27]
	v_add_f32_e32 v1, -1.0, v1
	v_add_f32_e32 v1, v1, v12
	v_add_f32_e32 v1, v1, v16
	;; [unrolled: 1-line block ×11, first 2 shown]
	v_add_f32_e32 v12, 1.0, v1
	v_cvt_f64_f32_e32 v[14:15], v12
	v_add_f32_e32 v16, -1.0, v12
	v_sub_f32_e32 v36, v16, v12
	v_sub_f32_e32 v16, v1, v16
	v_frexp_exp_i32_f64_e32 v14, v[14:15]
	v_frexp_mant_f32_e32 v15, v12
	v_cmp_gt_f32_e32 vcc, s38, v15
	v_add_f32_e32 v36, 1.0, v36
	v_add_f32_e32 v16, v16, v36
	v_cmp_gt_i32_e64 s[2:3], 0, v3
	v_cmp_class_f32_e64 s[26:27], v4, s42
	v_subbrev_co_u32_e32 v14, vcc, 0, v14, vcc
	v_sub_u32_e32 v15, 0, v14
	v_ldexp_f32 v12, v12, v15
	v_ldexp_f32 v15, v16, v15
	v_add_f32_e32 v16, -1.0, v12
	v_add_f32_e32 v36, 1.0, v12
	v_add_f32_e32 v37, 1.0, v16
	v_add_f32_e32 v39, -1.0, v36
	v_sub_f32_e32 v37, v12, v37
	v_sub_f32_e32 v12, v12, v39
	v_add_f32_e32 v12, v15, v12
	v_add_f32_e32 v37, v15, v37
	;; [unrolled: 1-line block ×3, first 2 shown]
	v_rcp_f32_e32 v39, v15
	v_add_f32_e32 v38, v16, v37
	v_sub_f32_e32 v36, v15, v36
	v_sub_f32_e32 v16, v38, v16
	;; [unrolled: 1-line block ×3, first 2 shown]
	v_mul_f32_e32 v36, v38, v39
	v_sub_f32_e32 v16, v37, v16
	v_mul_f32_e32 v37, v15, v36
	v_fma_f32 v40, v36, v15, -v37
	v_fmac_f32_e32 v40, v36, v12
	v_add_f32_e32 v41, v37, v40
	v_sub_f32_e32 v42, v38, v41
	v_sub_f32_e32 v38, v38, v42
	;; [unrolled: 1-line block ×4, first 2 shown]
	v_add_f32_e32 v16, v16, v38
	v_sub_f32_e32 v37, v37, v40
	v_add_f32_e32 v16, v37, v16
	v_add_f32_e32 v37, v42, v16
	v_mul_f32_e32 v38, v39, v37
	v_mul_f32_e32 v40, v15, v38
	v_fma_f32 v15, v38, v15, -v40
	v_fmac_f32_e32 v15, v38, v12
	v_sub_f32_e32 v12, v42, v37
	v_add_f32_e32 v12, v16, v12
	v_add_f32_e32 v16, v40, v15
	v_sub_f32_e32 v41, v37, v16
	v_sub_f32_e32 v37, v37, v41
	;; [unrolled: 1-line block ×4, first 2 shown]
	v_add_f32_e32 v12, v12, v16
	v_sub_f32_e32 v15, v40, v15
	v_cvt_f32_i32_e32 v14, v14
	v_add_f32_e32 v12, v15, v12
	v_add_f32_e32 v15, v36, v38
	;; [unrolled: 1-line block ×3, first 2 shown]
	v_sub_f32_e32 v16, v15, v36
	v_mul_f32_e32 v12, v39, v12
	v_sub_f32_e32 v16, v38, v16
	v_add_f32_e32 v12, v16, v12
	v_mul_f32_e32 v38, 0x3f317218, v14
	v_add_f32_e32 v16, v15, v12
	v_fma_f32 v39, v14, s39, -v38
	v_mul_f32_e32 v36, v16, v16
	v_mov_b32_e32 v37, 0x3ecc95a3
	v_fmac_f32_e32 v39, 0xb102e308, v14
	v_sub_f32_e32 v14, v16, v15
	v_fmac_f32_e32 v37, 0x3e9b6dac, v36
	v_sub_f32_e32 v12, v12, v14
	v_add_f32_e32 v14, v38, v39
	v_fma_f32 v37, v36, v37, v22
	v_sub_f32_e32 v15, v14, v38
	v_ldexp_f32 v38, v16, 1
	v_mul_f32_e32 v16, v16, v36
	v_mul_f32_e32 v16, v16, v37
	v_add_f32_e32 v36, v38, v16
	v_sub_f32_e32 v37, v36, v38
	v_ldexp_f32 v12, v12, 1
	v_sub_f32_e32 v16, v16, v37
	v_add_f32_e32 v12, v12, v16
	v_add_f32_e32 v16, v36, v12
	v_sub_f32_e32 v36, v16, v36
	v_sub_f32_e32 v12, v12, v36
	v_add_f32_e32 v36, v14, v16
	v_sub_f32_e32 v37, v36, v14
	v_sub_f32_e32 v38, v36, v37
	;; [unrolled: 1-line block ×5, first 2 shown]
	v_add_f32_e32 v14, v16, v14
	v_add_f32_e32 v16, v15, v12
	v_sub_f32_e32 v37, v16, v15
	v_sub_f32_e32 v38, v16, v37
	;; [unrolled: 1-line block ×4, first 2 shown]
	v_add_f32_e32 v14, v16, v14
	v_add_f32_e32 v12, v12, v15
	v_add_f32_e32 v15, v36, v14
	v_sub_f32_e32 v16, v15, v36
	v_sub_f32_e32 v14, v14, v16
	v_add_f32_e32 v12, v12, v14
	v_add_f32_e32 v12, v15, v12
	v_cmp_neq_f32_e32 vcc, s40, v1
	v_cndmask_b32_e32 v12, v29, v12, vcc
	v_cmp_ngt_f32_e32 vcc, -1.0, v1
	v_cndmask_b32_e32 v12, v30, v12, vcc
	v_cmp_neq_f32_e32 vcc, -1.0, v1
	v_cndmask_b32_e32 v12, v31, v12, vcc
	v_cmp_lt_f32_e64 vcc, |v1|, s41
	v_cndmask_b32_e32 v1, v12, v1, vcc
	v_mul_f32_e32 v15, 0.5, v1
	v_max_f32_e64 v1, |v4|, |v4|
	v_max_f32_e64 v12, |v3|, |v3|
	v_min_f32_e32 v14, v12, v1
	v_max_f32_e32 v1, v12, v1
	v_frexp_mant_f32_e32 v12, v1
	v_rcp_f32_e32 v12, v12
	v_frexp_exp_i32_f32_e32 v1, v1
	v_frexp_exp_i32_f32_e32 v16, v14
	v_frexp_mant_f32_e32 v14, v14
	v_mul_f32_e32 v12, v14, v12
	v_sub_u32_e32 v1, v16, v1
	v_ldexp_f32 v1, v12, v1
	v_mul_f32_e32 v12, v1, v1
	v_mov_b32_e32 v14, 0xbc7a590c
	v_fmac_f32_e32 v14, 0x3b2d2a58, v12
	v_fma_f32 v14, v12, v14, v23
	v_fma_f32 v14, v12, v14, v24
	;; [unrolled: 1-line block ×6, first 2 shown]
	v_mul_f32_e32 v12, v12, v14
	v_fmac_f32_e32 v1, v1, v12
	v_sub_f32_e32 v12, 0x3fc90fdb, v1
	v_cndmask_b32_e64 v1, v1, v12, s[0:1]
	v_sub_f32_e32 v12, 0x40490fdb, v1
	v_cmp_gt_f32_e32 vcc, 0, v3
	v_cndmask_b32_e32 v1, v1, v12, vcc
	v_cndmask_b32_e64 v12, 0, v32, s[2:3]
	v_cmp_eq_f32_e64 s[2:3], 0, v4
	v_cndmask_b32_e64 v1, v1, v12, s[2:3]
	v_cmp_class_f32_e64 s[2:3], v3, s42
	v_cndmask_b32_e32 v12, v33, v34, vcc
	s_and_b64 vcc, s[2:3], s[26:27]
	v_cndmask_b32_e32 v1, v1, v12, vcc
.LBB168_120:                            ;   in Loop: Header=BB168_5 Depth=1
	s_or_b64 exec, exec, s[24:25]
.LBB168_121:                            ;   in Loop: Header=BB168_5 Depth=1
	s_or_b64 exec, exec, s[22:23]
.LBB168_122:                            ;   in Loop: Header=BB168_5 Depth=1
	s_andn2_saveexec_b64 s[20:21], s[20:21]
	s_cbranch_execz .LBB168_124
; %bb.123:                              ;   in Loop: Header=BB168_5 Depth=1
	v_max_f32_e64 v1, |v4|, |v4|
	v_max_f32_e64 v12, |v3|, |v3|
	v_max_f32_e32 v16, v12, v1
	v_cvt_f64_f32_e32 v[14:15], v16
	v_cmp_neq_f32_e32 vcc, s40, v16
	v_min_f32_e32 v1, v12, v1
	v_frexp_exp_i32_f32_e32 v36, v1
	v_frexp_exp_i32_f64_e32 v14, v[14:15]
	v_frexp_mant_f32_e32 v15, v16
	v_rcp_f32_e32 v15, v15
	v_frexp_mant_f32_e32 v1, v1
	v_frexp_exp_i32_f32_e32 v12, v16
	v_sub_u32_e32 v12, v36, v12
	v_mul_f32_e32 v1, v1, v15
	v_ldexp_f32 v1, v1, v12
	v_sub_u32_e32 v37, 0, v14
	v_ldexp_f32 v38, |v3|, v37
	v_ldexp_f32 v37, |v4|, v37
	v_mul_f32_e32 v37, v37, v37
	v_fmac_f32_e32 v37, v38, v38
	v_sqrt_f32_e32 v37, v37
	v_mul_f32_e32 v12, v1, v1
	v_cmp_gt_i32_e64 s[2:3], 0, v3
	v_cmp_class_f32_e64 s[22:23], v4, s42
	v_ldexp_f32 v14, v37, v14
	v_cndmask_b32_e32 v14, v29, v14, vcc
	v_cmp_gt_f32_e32 vcc, s44, v14
	v_cndmask_b32_e64 v15, 0, 32, vcc
	v_ldexp_f32 v14, v14, v15
	v_log_f32_e32 v14, v14
	v_cndmask_b32_e32 v15, 0, v35, vcc
	v_mul_f32_e32 v16, 0x3f317217, v14
	v_fma_f32 v16, v14, s45, -v16
	v_fmac_f32_e32 v16, 0x3377d1cf, v14
	v_fmac_f32_e32 v16, 0x3f317217, v14
	v_cmp_lt_f32_e64 vcc, |v14|, s40
	v_cndmask_b32_e32 v14, v14, v16, vcc
	v_sub_f32_e32 v15, v14, v15
	v_mov_b32_e32 v14, 0xbc7a590c
	v_fmac_f32_e32 v14, 0x3b2d2a58, v12
	v_fma_f32 v14, v12, v14, v23
	v_fma_f32 v14, v12, v14, v24
	;; [unrolled: 1-line block ×6, first 2 shown]
	v_mul_f32_e32 v12, v12, v14
	v_fmac_f32_e32 v1, v1, v12
	v_sub_f32_e32 v12, 0x3fc90fdb, v1
	v_cndmask_b32_e64 v1, v1, v12, s[0:1]
	v_sub_f32_e32 v12, 0x40490fdb, v1
	v_cmp_gt_f32_e32 vcc, 0, v3
	v_cndmask_b32_e32 v1, v1, v12, vcc
	v_cndmask_b32_e64 v12, 0, v32, s[2:3]
	v_cmp_eq_f32_e64 s[2:3], 0, v4
	v_cndmask_b32_e64 v1, v1, v12, s[2:3]
	v_cmp_class_f32_e64 s[2:3], v3, s42
	v_cndmask_b32_e32 v12, v33, v34, vcc
	s_and_b64 vcc, s[2:3], s[22:23]
	v_cndmask_b32_e32 v1, v1, v12, vcc
.LBB168_124:                            ;   in Loop: Header=BB168_5 Depth=1
	s_or_b64 exec, exec, s[20:21]
                                        ; implicit-def: $vgpr12
.LBB168_125:                            ;   in Loop: Header=BB168_5 Depth=1
	s_andn2_saveexec_b64 s[18:19], s[18:19]
	s_cbranch_execz .LBB168_131
; %bb.126:                              ;   in Loop: Header=BB168_5 Depth=1
	v_cmp_ngt_f32_e32 vcc, s46, v12
                                        ; implicit-def: $vgpr1
	s_and_saveexec_b64 s[2:3], vcc
	s_xor_b64 s[20:21], exec, s[2:3]
	s_cbranch_execz .LBB168_128
; %bb.127:                              ;   in Loop: Header=BB168_5 Depth=1
	v_mul_f32_e32 v1, v12, v12
	v_add_f32_e32 v12, 1.0, v1
	v_cvt_f64_f32_e32 v[14:15], v12
	v_add_f32_e32 v16, -1.0, v12
	v_sub_f32_e32 v36, v16, v12
	v_sub_f32_e32 v16, v1, v16
	v_frexp_exp_i32_f64_e32 v14, v[14:15]
	v_frexp_mant_f32_e32 v15, v12
	v_cmp_gt_f32_e32 vcc, s38, v15
	v_add_f32_e32 v36, 1.0, v36
	v_add_f32_e32 v16, v16, v36
	v_cmp_gt_i32_e64 s[2:3], 0, v3
	v_cmp_class_f32_e64 s[22:23], v4, s42
	v_subbrev_co_u32_e32 v14, vcc, 0, v14, vcc
	v_sub_u32_e32 v15, 0, v14
	v_ldexp_f32 v12, v12, v15
	v_ldexp_f32 v15, v16, v15
	v_add_f32_e32 v16, -1.0, v12
	v_add_f32_e32 v36, 1.0, v12
	v_add_f32_e32 v37, 1.0, v16
	v_add_f32_e32 v39, -1.0, v36
	v_sub_f32_e32 v37, v12, v37
	v_sub_f32_e32 v12, v12, v39
	v_add_f32_e32 v12, v15, v12
	v_add_f32_e32 v37, v15, v37
	;; [unrolled: 1-line block ×3, first 2 shown]
	v_rcp_f32_e32 v39, v15
	v_add_f32_e32 v38, v16, v37
	v_sub_f32_e32 v36, v36, v15
	v_sub_f32_e32 v16, v16, v38
	v_add_f32_e32 v12, v12, v36
	v_mul_f32_e32 v36, v38, v39
	v_add_f32_e32 v16, v37, v16
	v_mul_f32_e32 v37, v15, v36
	v_fma_f32 v40, v36, v15, -v37
	v_fmac_f32_e32 v40, v36, v12
	v_add_f32_e32 v41, v37, v40
	v_sub_f32_e32 v42, v38, v41
	v_sub_f32_e32 v38, v38, v42
	;; [unrolled: 1-line block ×4, first 2 shown]
	v_add_f32_e32 v16, v16, v38
	v_sub_f32_e32 v37, v37, v40
	v_add_f32_e32 v16, v37, v16
	v_add_f32_e32 v37, v42, v16
	v_mul_f32_e32 v38, v39, v37
	v_mul_f32_e32 v40, v15, v38
	v_fma_f32 v15, v38, v15, -v40
	v_fmac_f32_e32 v15, v38, v12
	v_sub_f32_e32 v12, v42, v37
	v_add_f32_e32 v12, v16, v12
	v_add_f32_e32 v16, v40, v15
	v_sub_f32_e32 v41, v37, v16
	v_sub_f32_e32 v37, v37, v41
	;; [unrolled: 1-line block ×4, first 2 shown]
	v_add_f32_e32 v12, v12, v16
	v_sub_f32_e32 v15, v40, v15
	v_cvt_f32_i32_e32 v14, v14
	v_add_f32_e32 v12, v15, v12
	v_add_f32_e32 v15, v36, v38
	;; [unrolled: 1-line block ×3, first 2 shown]
	v_sub_f32_e32 v16, v15, v36
	v_mul_f32_e32 v12, v39, v12
	v_sub_f32_e32 v16, v38, v16
	v_add_f32_e32 v12, v16, v12
	v_mul_f32_e32 v38, 0x3f317218, v14
	v_add_f32_e32 v16, v15, v12
	v_fma_f32 v39, v14, s39, -v38
	v_mul_f32_e32 v36, v16, v16
	v_mov_b32_e32 v37, 0x3ecc95a3
	v_fmac_f32_e32 v39, 0xb102e308, v14
	v_sub_f32_e32 v14, v16, v15
	v_fmac_f32_e32 v37, 0x3e9b6dac, v36
	v_sub_f32_e32 v12, v12, v14
	v_add_f32_e32 v14, v38, v39
	v_fma_f32 v37, v36, v37, v22
	v_sub_f32_e32 v15, v14, v38
	v_ldexp_f32 v38, v16, 1
	v_mul_f32_e32 v16, v16, v36
	v_mul_f32_e32 v16, v16, v37
	v_add_f32_e32 v36, v38, v16
	v_sub_f32_e32 v37, v36, v38
	v_ldexp_f32 v12, v12, 1
	v_sub_f32_e32 v16, v16, v37
	v_add_f32_e32 v12, v12, v16
	v_add_f32_e32 v16, v36, v12
	v_sub_f32_e32 v36, v16, v36
	v_sub_f32_e32 v12, v12, v36
	v_add_f32_e32 v36, v14, v16
	v_sub_f32_e32 v37, v36, v14
	v_sub_f32_e32 v38, v36, v37
	;; [unrolled: 1-line block ×5, first 2 shown]
	v_add_f32_e32 v14, v16, v14
	v_add_f32_e32 v16, v15, v12
	v_sub_f32_e32 v37, v16, v15
	v_sub_f32_e32 v38, v16, v37
	;; [unrolled: 1-line block ×4, first 2 shown]
	v_add_f32_e32 v14, v16, v14
	v_add_f32_e32 v12, v12, v15
	;; [unrolled: 1-line block ×3, first 2 shown]
	v_sub_f32_e32 v16, v15, v36
	v_sub_f32_e32 v14, v14, v16
	v_add_f32_e32 v12, v12, v14
	v_add_f32_e32 v12, v15, v12
	v_cmp_neq_f32_e32 vcc, s40, v1
	v_cndmask_b32_e32 v12, v29, v12, vcc
	v_cmp_lt_f32_e64 vcc, |v1|, s41
	v_cndmask_b32_e32 v1, v12, v1, vcc
	v_mul_f32_e32 v15, 0.5, v1
	v_max_f32_e64 v1, |v4|, |v4|
	v_max_f32_e64 v12, |v3|, |v3|
	v_min_f32_e32 v14, v12, v1
	v_max_f32_e32 v1, v12, v1
	v_frexp_mant_f32_e32 v12, v1
	v_rcp_f32_e32 v12, v12
	v_frexp_exp_i32_f32_e32 v1, v1
	v_frexp_exp_i32_f32_e32 v16, v14
	v_frexp_mant_f32_e32 v14, v14
	v_mul_f32_e32 v12, v14, v12
	v_sub_u32_e32 v1, v16, v1
	v_ldexp_f32 v1, v12, v1
	v_mul_f32_e32 v12, v1, v1
	v_mov_b32_e32 v14, 0xbc7a590c
	v_fmac_f32_e32 v14, 0x3b2d2a58, v12
	v_fma_f32 v14, v12, v14, v23
	v_fma_f32 v14, v12, v14, v24
	;; [unrolled: 1-line block ×6, first 2 shown]
	v_mul_f32_e32 v12, v12, v14
	v_fmac_f32_e32 v1, v1, v12
	v_sub_f32_e32 v12, 0x3fc90fdb, v1
	v_cndmask_b32_e64 v1, v1, v12, s[0:1]
	v_sub_f32_e32 v12, 0x40490fdb, v1
	v_cmp_gt_f32_e32 vcc, 0, v3
	v_cndmask_b32_e32 v1, v1, v12, vcc
	v_cndmask_b32_e64 v12, 0, v32, s[2:3]
	v_cmp_eq_f32_e64 s[2:3], 0, v4
	v_cndmask_b32_e64 v1, v1, v12, s[2:3]
	v_cmp_class_f32_e64 s[2:3], v3, s42
	v_cndmask_b32_e32 v12, v33, v34, vcc
	s_and_b64 vcc, s[2:3], s[22:23]
	v_cndmask_b32_e32 v1, v1, v12, vcc
                                        ; implicit-def: $vgpr12
.LBB168_128:                            ;   in Loop: Header=BB168_5 Depth=1
	s_andn2_saveexec_b64 s[20:21], s[20:21]
	s_cbranch_execz .LBB168_130
; %bb.129:                              ;   in Loop: Header=BB168_5 Depth=1
	v_mul_f32_e32 v1, 0.5, v12
	v_mul_f32_e32 v15, v12, v1
	v_max_f32_e64 v1, |v4|, |v4|
	v_max_f32_e64 v12, |v3|, |v3|
	v_min_f32_e32 v14, v12, v1
	v_max_f32_e32 v1, v12, v1
	v_frexp_mant_f32_e32 v12, v1
	v_rcp_f32_e32 v12, v12
	v_frexp_exp_i32_f32_e32 v1, v1
	v_frexp_exp_i32_f32_e32 v16, v14
	v_frexp_mant_f32_e32 v14, v14
	v_mul_f32_e32 v12, v14, v12
	v_sub_u32_e32 v1, v16, v1
	v_ldexp_f32 v1, v12, v1
	v_mul_f32_e32 v12, v1, v1
	v_mov_b32_e32 v14, 0xbc7a590c
	v_fmac_f32_e32 v14, 0x3b2d2a58, v12
	v_fma_f32 v14, v12, v14, v23
	v_fma_f32 v14, v12, v14, v24
	;; [unrolled: 1-line block ×6, first 2 shown]
	v_mul_f32_e32 v12, v12, v14
	v_fmac_f32_e32 v1, v1, v12
	v_sub_f32_e32 v12, 0x3fc90fdb, v1
	v_cndmask_b32_e64 v1, v1, v12, s[0:1]
	v_sub_f32_e32 v12, 0x40490fdb, v1
	v_cmp_gt_f32_e32 vcc, 0, v3
	v_cmp_gt_i32_e64 s[2:3], 0, v3
	v_cndmask_b32_e32 v1, v1, v12, vcc
	v_cndmask_b32_e64 v12, 0, v32, s[2:3]
	v_cmp_eq_f32_e64 s[2:3], 0, v4
	v_cndmask_b32_e64 v1, v1, v12, s[2:3]
	v_cmp_class_f32_e64 s[2:3], v3, s42
	v_cmp_class_f32_e64 s[22:23], v4, s42
	v_cndmask_b32_e32 v12, v33, v34, vcc
	s_and_b64 vcc, s[2:3], s[22:23]
	v_cndmask_b32_e32 v1, v1, v12, vcc
.LBB168_130:                            ;   in Loop: Header=BB168_5 Depth=1
	s_or_b64 exec, exec, s[20:21]
.LBB168_131:                            ;   in Loop: Header=BB168_5 Depth=1
	s_or_b64 exec, exec, s[18:19]
.LBB168_132:                            ;   in Loop: Header=BB168_5 Depth=1
	s_andn2_saveexec_b64 s[16:17], s[16:17]
	s_cbranch_execz .LBB168_134
; %bb.133:                              ;   in Loop: Header=BB168_5 Depth=1
	v_div_scale_f32 v1, s[2:3], s47, s47, v3
	v_div_scale_f32 v12, s[2:3], s47, s47, v4
	v_div_scale_f32 v14, vcc, v3, s47, v3
	v_div_scale_f32 v15, s[2:3], v4, s47, v4
	v_rcp_f32_e32 v16, v1
	v_rcp_f32_e32 v36, v12
	v_fma_f32 v37, -v1, v16, 1.0
	v_fmac_f32_e32 v16, v37, v16
	v_fma_f32 v38, -v12, v36, 1.0
	v_fmac_f32_e32 v36, v38, v36
	v_mul_f32_e32 v37, v14, v16
	v_mul_f32_e32 v38, v15, v36
	v_fma_f32 v39, -v1, v37, v14
	v_fma_f32 v40, -v12, v38, v15
	v_fmac_f32_e32 v37, v39, v16
	v_fmac_f32_e32 v38, v40, v36
	v_fma_f32 v1, -v1, v37, v14
	v_fma_f32 v12, -v12, v38, v15
	v_div_fmas_f32 v1, v1, v16, v37
	s_mov_b64 vcc, s[2:3]
	v_div_fmas_f32 v12, v12, v36, v38
	v_max_f32_e64 v14, |v4|, |v4|
	v_max_f32_e64 v15, |v3|, |v3|
	v_min_f32_e32 v36, v15, v14
	v_max_f32_e32 v14, v15, v14
	v_frexp_exp_i32_f32_e32 v15, v14
	v_frexp_mant_f32_e32 v14, v14
	v_frexp_exp_i32_f32_e32 v37, v36
	v_rcp_f32_e32 v38, v14
	v_sub_u32_e32 v37, v37, v15
	v_frexp_mant_f32_e32 v36, v36
	v_mov_b32_e32 v16, 0xbc7a590c
	v_mul_f32_e32 v36, v36, v38
	v_ldexp_f32 v36, v36, v37
	v_div_fixup_f32 v1, v1, s47, v3
	v_mul_f32_e32 v37, v36, v36
	v_div_fixup_f32 v12, v12, s47, v4
	v_max_f32_e64 v39, |v1|, |v12|
	v_cvt_f64_f32_e32 v[14:15], v39
	v_fmac_f32_e32 v16, 0x3b2d2a58, v37
	v_cmp_neq_f32_e32 vcc, s40, v39
	v_cmp_class_f32_e64 s[2:3], v4, s42
	v_frexp_exp_i32_f64_e32 v14, v[14:15]
	v_fma_f32 v15, v37, v16, v23
	v_fma_f32 v15, v37, v15, v24
	;; [unrolled: 1-line block ×6, first 2 shown]
	v_sub_u32_e32 v16, 0, v14
	v_ldexp_f32 v12, |v12|, v16
	v_ldexp_f32 v1, |v1|, v16
	v_mul_f32_e32 v12, v12, v12
	v_fmac_f32_e32 v12, v1, v1
	v_sqrt_f32_e32 v1, v12
	v_mul_f32_e32 v12, v37, v15
	v_fmac_f32_e32 v36, v36, v12
	v_sub_f32_e32 v12, 0x3fc90fdb, v36
	v_ldexp_f32 v1, v1, v14
	v_cndmask_b32_e32 v1, v29, v1, vcc
	v_cmp_gt_f32_e32 vcc, s44, v1
	v_cndmask_b32_e64 v14, 0, 32, vcc
	v_ldexp_f32 v1, v1, v14
	v_log_f32_e32 v1, v1
	v_cndmask_b32_e32 v15, 0, v35, vcc
	v_cndmask_b32_e64 v12, v36, v12, s[0:1]
	v_sub_f32_e32 v14, 0x40490fdb, v12
	v_mul_f32_e32 v16, 0x3f317217, v1
	v_fma_f32 v16, v1, s45, -v16
	v_fmac_f32_e32 v16, 0x3377d1cf, v1
	v_fmac_f32_e32 v16, 0x3f317217, v1
	v_cmp_lt_f32_e64 vcc, |v1|, s40
	v_cndmask_b32_e32 v1, v1, v16, vcc
	v_sub_f32_e32 v1, v1, v15
	v_cmp_gt_f32_e32 vcc, 0, v3
	v_cmp_gt_i32_e64 s[0:1], 0, v3
	v_add_f32_e32 v15, 1.0, v1
	v_cndmask_b32_e32 v1, v12, v14, vcc
	v_cndmask_b32_e64 v12, 0, v32, s[0:1]
	v_cmp_eq_f32_e64 s[0:1], 0, v4
	v_cndmask_b32_e64 v1, v1, v12, s[0:1]
	v_cmp_class_f32_e64 s[0:1], v3, s42
	v_cndmask_b32_e32 v12, v33, v34, vcc
	s_and_b64 vcc, s[0:1], s[2:3]
	v_cndmask_b32_e32 v1, v1, v12, vcc
.LBB168_134:                            ;   in Loop: Header=BB168_5 Depth=1
	s_or_b64 exec, exec, s[16:17]
.LBB168_135:                            ;   in Loop: Header=BB168_5 Depth=1
	s_andn2_saveexec_b64 s[0:1], s[14:15]
	s_cbranch_execz .LBB168_4
; %bb.136:                              ;   in Loop: Header=BB168_5 Depth=1
	v_cmp_nlt_f32_e64 s[2:3], |v3|, s48
	v_cmp_nlt_f32_e64 s[14:15], |v4|, s48
	s_or_b64 s[2:3], s[2:3], s[14:15]
                                        ; implicit-def: $vgpr1
	s_and_saveexec_b64 s[14:15], s[2:3]
	s_xor_b64 s[2:3], exec, s[14:15]
; %bb.137:                              ;   in Loop: Header=BB168_5 Depth=1
	v_mul_f32_e32 v1, v4, v4
	v_fmac_f32_e32 v1, v3, v3
; %bb.138:                              ;   in Loop: Header=BB168_5 Depth=1
	s_andn2_saveexec_b64 s[2:3], s[2:3]
	s_cbranch_execz .LBB168_3
; %bb.139:                              ;   in Loop: Header=BB168_5 Depth=1
	v_mul_f32_e32 v1, 4.0, v3
	v_mul_f32_e32 v3, 4.0, v4
	v_mul_f32_e32 v3, v3, v3
	v_fmac_f32_e32 v3, v1, v1
	v_mul_f32_e32 v1, 0x3d800000, v3
	s_branch .LBB168_3
.LBB168_140:
	s_or_b64 exec, exec, s[10:11]
	s_mov_b64 s[0:1], 0
.LBB168_141:
	s_andn2_b64 vcc, exec, s[0:1]
	s_cbranch_vccnz .LBB168_297
; %bb.142:
	v_cmp_lt_i64_e64 s[0:1], s[6:7], 1
	s_and_b64 vcc, exec, s[0:1]
	s_cbranch_vccnz .LBB168_297
; %bb.143:
	v_mov_b32_e32 v1, 0x10000
	s_load_dword s2, s[4:5], 0xc5c
	v_mov_b32_e32 v2, 0
	v_cmp_lt_i64_e32 vcc, s[6:7], v[1:2]
	s_mov_b64 s[16:17], 0
	s_and_b64 s[0:1], vcc, exec
	v_cmp_lt_u64_e32 vcc, s[6:7], v[1:2]
	s_cselect_b32 s13, s7, 0
	s_cselect_b32 s12, s6, 0x10000
	s_waitcnt lgkmcnt(0)
	s_and_b32 s37, s2, 0xffff
	s_and_b64 s[0:1], vcc, exec
	s_cselect_b32 s15, s7, 0
	s_cselect_b32 s14, s6, 0x10000
	s_lshl_b32 s38, s37, 1
	s_mul_i32 s39, s37, 3
	s_lshl_b32 s40, s37, 2
	s_brev_b32 s41, -2
	s_mov_b32 s42, 0x77f684df
	s_mov_b32 s43, 0x358637bd
	;; [unrolled: 1-line block ×4, first 2 shown]
	v_mov_b32_e32 v19, 0x3f2aaada
	s_mov_b32 s46, 0x3f317218
	s_mov_b32 s47, 0x7f800000
	;; [unrolled: 1-line block ×3, first 2 shown]
	v_mov_b32_e32 v20, 0x3d29fb3f
	v_mov_b32_e32 v21, 0xbd97d4d7
	v_mov_b32_e32 v22, 0x3dd931b2
	v_mov_b32_e32 v23, 0xbe1160e6
	v_mov_b32_e32 v24, 0x3e4cb8bf
	v_mov_b32_e32 v25, 0xbeaaaa62
	s_movk_i32 s49, 0x204
	s_mov_b32 s50, 0x3f333333
	s_mov_b32 s51, 0x800000
	;; [unrolled: 1-line block ×5, first 2 shown]
	s_brev_b32 s55, 4
	v_mov_b32_e32 v26, 0x7f800000
	v_mov_b32_e32 v27, 0x7fc00000
	;; [unrolled: 1-line block ×7, first 2 shown]
	s_branch .LBB168_145
.LBB168_144:                            ;   in Loop: Header=BB168_145 Depth=1
	s_or_b64 exec, exec, s[0:1]
	s_add_u32 s16, s16, s40
	v_mov_b32_e32 v1, s12
	s_addc_u32 s17, s17, 0
	v_mov_b32_e32 v2, s13
	v_cmp_ge_i64_e32 vcc, s[16:17], v[1:2]
	s_cbranch_vccnz .LBB168_297
.LBB168_145:                            ; =>This Loop Header: Depth=1
                                        ;     Child Loop BB168_164 Depth 2
                                        ;     Child Loop BB168_198 Depth 2
	;; [unrolled: 1-line block ×4, first 2 shown]
	v_mov_b32_e32 v2, s17
	v_add_co_u32_e32 v1, vcc, s16, v0
	v_addc_co_u32_e32 v2, vcc, 0, v2, vcc
	v_cmp_gt_u64_e64 s[0:1], s[14:15], v[1:2]
	v_mov_b32_e32 v8, 0
	v_mov_b32_e32 v7, 0
	s_and_saveexec_b64 s[2:3], s[0:1]
	s_cbranch_execz .LBB168_147
; %bb.146:                              ;   in Loop: Header=BB168_145 Depth=1
	v_lshlrev_b64 v[3:4], 3, v[1:2]
	v_mov_b32_e32 v5, s34
	v_add_co_u32_e32 v3, vcc, s33, v3
	v_addc_co_u32_e32 v4, vcc, v5, v4, vcc
	global_load_dwordx2 v[7:8], v[3:4], off
.LBB168_147:                            ;   in Loop: Header=BB168_145 Depth=1
	s_or_b64 exec, exec, s[2:3]
	v_add_co_u32_e32 v5, vcc, s37, v1
	v_addc_co_u32_e32 v6, vcc, 0, v2, vcc
	v_cmp_gt_u64_e64 s[2:3], s[14:15], v[5:6]
	v_mov_b32_e32 v4, 0
	v_mov_b32_e32 v12, 0
	;; [unrolled: 1-line block ×3, first 2 shown]
	s_and_saveexec_b64 s[4:5], s[2:3]
	s_cbranch_execz .LBB168_149
; %bb.148:                              ;   in Loop: Header=BB168_145 Depth=1
	v_lshlrev_b64 v[9:10], 3, v[5:6]
	v_mov_b32_e32 v3, s34
	v_add_co_u32_e32 v9, vcc, s33, v9
	v_addc_co_u32_e32 v10, vcc, v3, v10, vcc
	global_load_dwordx2 v[11:12], v[9:10], off
.LBB168_149:                            ;   in Loop: Header=BB168_145 Depth=1
	s_or_b64 exec, exec, s[4:5]
	v_add_co_u32_e32 v9, vcc, s38, v1
	v_addc_co_u32_e32 v10, vcc, 0, v2, vcc
	v_cmp_gt_u64_e64 s[4:5], s[14:15], v[9:10]
	v_mov_b32_e32 v3, 0
	s_and_saveexec_b64 s[6:7], s[4:5]
	s_cbranch_execz .LBB168_151
; %bb.150:                              ;   in Loop: Header=BB168_145 Depth=1
	v_lshlrev_b64 v[3:4], 3, v[9:10]
	v_mov_b32_e32 v13, s34
	v_add_co_u32_e32 v3, vcc, s33, v3
	v_addc_co_u32_e32 v4, vcc, v13, v4, vcc
	global_load_dwordx2 v[3:4], v[3:4], off
.LBB168_151:                            ;   in Loop: Header=BB168_145 Depth=1
	s_or_b64 exec, exec, s[6:7]
	v_add_co_u32_e32 v13, vcc, s39, v1
	v_addc_co_u32_e32 v14, vcc, 0, v2, vcc
	v_cmp_gt_u64_e64 s[6:7], s[14:15], v[13:14]
	v_mov_b32_e32 v16, 0
	v_mov_b32_e32 v15, 0
	s_and_saveexec_b64 s[8:9], s[6:7]
	s_cbranch_execz .LBB168_153
; %bb.152:                              ;   in Loop: Header=BB168_145 Depth=1
	v_lshlrev_b64 v[15:16], 3, v[13:14]
	v_mov_b32_e32 v17, s34
	v_add_co_u32_e32 v15, vcc, s33, v15
	v_addc_co_u32_e32 v16, vcc, v17, v16, vcc
	global_load_dwordx2 v[15:16], v[15:16], off
.LBB168_153:                            ;   in Loop: Header=BB168_145 Depth=1
	s_or_b64 exec, exec, s[8:9]
	s_waitcnt vmcnt(0)
	v_cmp_o_f32_e32 vcc, v8, v7
                                        ; implicit-def: $vgpr17
                                        ; implicit-def: $vgpr18
	s_and_saveexec_b64 s[8:9], vcc
	s_xor_b64 s[18:19], exec, s[8:9]
	s_cbranch_execz .LBB168_181
; %bb.154:                              ;   in Loop: Header=BB168_145 Depth=1
	v_cmp_lt_f32_e64 s[8:9], |v7|, |v8|
	v_cndmask_b32_e64 v33, |v8|, |v7|, s[8:9]
	v_cmp_nlt_f32_e32 vcc, s42, v33
                                        ; implicit-def: $vgpr17
                                        ; implicit-def: $vgpr18
	s_and_saveexec_b64 s[10:11], vcc
	s_xor_b64 s[20:21], exec, s[10:11]
	s_cbranch_execz .LBB168_178
; %bb.155:                              ;   in Loop: Header=BB168_145 Depth=1
	v_and_b32_e32 v17, 0x7fffffff, v8
	v_cndmask_b32_e64 v34, |v7|, v17, s[8:9]
	v_cmp_neq_f32_e32 vcc, 1.0, v34
                                        ; implicit-def: $vgpr17
                                        ; implicit-def: $vgpr18
	s_and_saveexec_b64 s[10:11], vcc
	s_xor_b64 s[22:23], exec, s[10:11]
	s_cbranch_execz .LBB168_171
; %bb.156:                              ;   in Loop: Header=BB168_145 Depth=1
	v_max_f32_e32 v17, v33, v33
	v_max_f32_e32 v18, v34, v34
	v_min_f32_e32 v35, v18, v17
	v_max_f32_e32 v17, v18, v17
	v_cmp_ngt_f32_e32 vcc, s43, v35
	v_cmp_nlt_f32_e64 s[10:11], s44, v17
	s_and_b64 s[10:11], s[10:11], vcc
                                        ; implicit-def: $vgpr17
                                        ; implicit-def: $vgpr18
	s_and_saveexec_b64 s[24:25], s[10:11]
	s_xor_b64 s[24:25], exec, s[24:25]
	s_cbranch_execz .LBB168_168
; %bb.157:                              ;   in Loop: Header=BB168_145 Depth=1
	v_cmp_le_f32_e32 vcc, 1.0, v34
                                        ; implicit-def: $vgpr17
                                        ; implicit-def: $vgpr18
	s_and_saveexec_b64 s[10:11], vcc
	s_xor_b64 s[26:27], exec, s[10:11]
	s_cbranch_execz .LBB168_159
; %bb.158:                              ;   in Loop: Header=BB168_145 Depth=1
	v_add_f32_e32 v17, -1.0, v34
	v_add_f32_e32 v18, 1.0, v34
	v_mul_f32_e32 v34, v17, v18
	v_fmac_f32_e32 v34, v33, v33
	v_add_f32_e32 v33, 1.0, v34
	v_cvt_f64_f32_e32 v[17:18], v33
	v_add_f32_e32 v35, -1.0, v33
	v_sub_f32_e32 v36, v35, v33
	v_sub_f32_e32 v35, v34, v35
	v_frexp_exp_i32_f64_e32 v17, v[17:18]
	v_frexp_mant_f32_e32 v18, v33
	v_cmp_gt_f32_e32 vcc, s45, v18
	v_add_f32_e32 v36, 1.0, v36
	v_add_f32_e32 v35, v35, v36
	v_cmp_gt_i32_e64 s[10:11], 0, v7
	v_cmp_class_f32_e64 s[28:29], v8, s49
	v_subbrev_co_u32_e32 v17, vcc, 0, v17, vcc
	v_sub_u32_e32 v18, 0, v17
	v_ldexp_f32 v33, v33, v18
	v_ldexp_f32 v18, v35, v18
	v_add_f32_e32 v35, -1.0, v33
	v_add_f32_e32 v38, 1.0, v33
	v_add_f32_e32 v36, 1.0, v35
	v_add_f32_e32 v39, -1.0, v38
	v_sub_f32_e32 v36, v33, v36
	v_sub_f32_e32 v33, v33, v39
	v_add_f32_e32 v36, v18, v36
	v_add_f32_e32 v18, v18, v33
	;; [unrolled: 1-line block ×3, first 2 shown]
	v_rcp_f32_e32 v39, v33
	v_add_f32_e32 v37, v35, v36
	v_sub_f32_e32 v35, v37, v35
	v_sub_f32_e32 v35, v36, v35
	v_sub_f32_e32 v36, v33, v38
	v_sub_f32_e32 v18, v18, v36
	v_mul_f32_e32 v36, v37, v39
	v_mul_f32_e32 v38, v33, v36
	v_fma_f32 v40, v36, v33, -v38
	v_fmac_f32_e32 v40, v36, v18
	v_add_f32_e32 v41, v38, v40
	v_sub_f32_e32 v42, v37, v41
	v_sub_f32_e32 v37, v37, v42
	;; [unrolled: 1-line block ×4, first 2 shown]
	v_add_f32_e32 v35, v35, v37
	v_sub_f32_e32 v37, v38, v40
	v_add_f32_e32 v35, v37, v35
	v_add_f32_e32 v37, v42, v35
	v_mul_f32_e32 v38, v39, v37
	v_mul_f32_e32 v40, v33, v38
	v_fma_f32 v33, v38, v33, -v40
	v_fmac_f32_e32 v33, v38, v18
	v_sub_f32_e32 v18, v42, v37
	v_add_f32_e32 v18, v35, v18
	v_add_f32_e32 v35, v40, v33
	v_sub_f32_e32 v41, v37, v35
	v_sub_f32_e32 v37, v37, v41
	;; [unrolled: 1-line block ×4, first 2 shown]
	v_add_f32_e32 v18, v18, v35
	v_sub_f32_e32 v33, v40, v33
	v_cvt_f32_i32_e32 v17, v17
	v_add_f32_e32 v18, v33, v18
	v_add_f32_e32 v33, v36, v38
	;; [unrolled: 1-line block ×3, first 2 shown]
	v_sub_f32_e32 v35, v33, v36
	v_mul_f32_e32 v18, v39, v18
	v_sub_f32_e32 v35, v38, v35
	v_add_f32_e32 v18, v35, v18
	v_mul_f32_e32 v38, 0x3f317218, v17
	v_add_f32_e32 v35, v33, v18
	v_fma_f32 v39, v17, s46, -v38
	v_mul_f32_e32 v36, v35, v35
	v_mov_b32_e32 v37, 0x3ecc95a3
	v_fmac_f32_e32 v39, 0xb102e308, v17
	v_sub_f32_e32 v17, v35, v33
	v_fmac_f32_e32 v37, 0x3e9b6dac, v36
	v_sub_f32_e32 v17, v18, v17
	v_add_f32_e32 v18, v38, v39
	v_fma_f32 v37, v36, v37, v19
	v_sub_f32_e32 v33, v18, v38
	v_ldexp_f32 v38, v35, 1
	v_mul_f32_e32 v35, v35, v36
	v_mul_f32_e32 v35, v35, v37
	v_add_f32_e32 v36, v38, v35
	v_sub_f32_e32 v37, v36, v38
	v_ldexp_f32 v17, v17, 1
	v_sub_f32_e32 v35, v35, v37
	v_add_f32_e32 v17, v17, v35
	v_add_f32_e32 v35, v36, v17
	v_sub_f32_e32 v36, v35, v36
	v_sub_f32_e32 v17, v17, v36
	v_add_f32_e32 v36, v18, v35
	v_sub_f32_e32 v37, v36, v18
	v_sub_f32_e32 v38, v36, v37
	v_sub_f32_e32 v33, v39, v33
	v_sub_f32_e32 v18, v18, v38
	v_sub_f32_e32 v35, v35, v37
	v_add_f32_e32 v18, v35, v18
	v_add_f32_e32 v35, v33, v17
	v_sub_f32_e32 v37, v35, v33
	v_sub_f32_e32 v38, v35, v37
	;; [unrolled: 1-line block ×4, first 2 shown]
	v_add_f32_e32 v18, v35, v18
	v_add_f32_e32 v17, v17, v33
	;; [unrolled: 1-line block ×3, first 2 shown]
	v_sub_f32_e32 v35, v33, v36
	v_sub_f32_e32 v18, v18, v35
	v_add_f32_e32 v17, v17, v18
	v_add_f32_e32 v17, v33, v17
	v_cmp_neq_f32_e32 vcc, s47, v34
	v_cndmask_b32_e32 v17, v26, v17, vcc
	v_cmp_ngt_f32_e32 vcc, -1.0, v34
	v_cndmask_b32_e32 v17, v27, v17, vcc
	v_cmp_neq_f32_e32 vcc, -1.0, v34
	v_cndmask_b32_e32 v17, v28, v17, vcc
	v_cmp_lt_f32_e64 vcc, |v34|, s48
	v_max_f32_e64 v18, |v8|, |v8|
	v_max_f32_e64 v33, |v7|, |v7|
	v_cndmask_b32_e32 v17, v17, v34, vcc
	v_min_f32_e32 v34, v33, v18
	v_max_f32_e32 v18, v33, v18
	v_frexp_mant_f32_e32 v33, v18
	v_rcp_f32_e32 v33, v33
	v_frexp_exp_i32_f32_e32 v18, v18
	v_frexp_exp_i32_f32_e32 v35, v34
	v_frexp_mant_f32_e32 v34, v34
	v_mul_f32_e32 v33, v34, v33
	v_sub_u32_e32 v18, v35, v18
	v_ldexp_f32 v18, v33, v18
	v_mul_f32_e32 v33, v18, v18
	v_mov_b32_e32 v34, 0xbc7a590c
	v_fmac_f32_e32 v34, 0x3b2d2a58, v33
	v_fma_f32 v34, v33, v34, v20
	v_fma_f32 v34, v33, v34, v21
	;; [unrolled: 1-line block ×6, first 2 shown]
	v_mul_f32_e32 v33, v33, v34
	v_fmac_f32_e32 v18, v18, v33
	v_sub_f32_e32 v33, 0x3fc90fdb, v18
	v_cndmask_b32_e64 v18, v18, v33, s[8:9]
	v_sub_f32_e32 v33, 0x40490fdb, v18
	v_cmp_gt_f32_e32 vcc, 0, v7
	v_cndmask_b32_e32 v18, v18, v33, vcc
	v_cndmask_b32_e64 v33, 0, v29, s[10:11]
	v_cmp_eq_f32_e64 s[10:11], 0, v8
	v_cndmask_b32_e64 v18, v18, v33, s[10:11]
	v_cmp_class_f32_e64 s[10:11], v7, s49
	v_cndmask_b32_e32 v33, v30, v31, vcc
	s_and_b64 vcc, s[28:29], s[10:11]
	v_mul_f32_e32 v17, 0.5, v17
	v_cndmask_b32_e32 v18, v18, v33, vcc
                                        ; implicit-def: $vgpr33
                                        ; implicit-def: $vgpr34
.LBB168_159:                            ;   in Loop: Header=BB168_145 Depth=1
	s_andn2_saveexec_b64 s[26:27], s[26:27]
	s_cbranch_execz .LBB168_167
; %bb.160:                              ;   in Loop: Header=BB168_145 Depth=1
	v_mul_f32_e32 v35, v33, v33
	v_fmac_f32_e32 v35, v34, v34
	v_cmp_ge_f32_e32 vcc, s50, v35
                                        ; implicit-def: $vgpr17
                                        ; implicit-def: $vgpr18
	s_and_saveexec_b64 s[10:11], vcc
	s_xor_b64 s[28:29], exec, s[10:11]
	s_cbranch_execz .LBB168_162
; %bb.161:                              ;   in Loop: Header=BB168_145 Depth=1
	v_cmp_gt_f32_e32 vcc, s51, v35
	v_cndmask_b32_e64 v17, 0, 32, vcc
	v_ldexp_f32 v17, v35, v17
	v_log_f32_e32 v17, v17
	v_cndmask_b32_e32 v18, 0, v32, vcc
	v_cmp_gt_i32_e64 s[10:11], 0, v7
	v_cmp_class_f32_e64 s[30:31], v8, s49
	v_mul_f32_e32 v33, 0x3f317217, v17
	v_fma_f32 v33, v17, s52, -v33
	v_fmac_f32_e32 v33, 0x3377d1cf, v17
	v_fmac_f32_e32 v33, 0x3f317217, v17
	v_cmp_lt_f32_e64 vcc, |v17|, s47
	v_cndmask_b32_e32 v17, v17, v33, vcc
	v_sub_f32_e32 v17, v17, v18
	v_max_f32_e64 v18, |v8|, |v8|
	v_max_f32_e64 v33, |v7|, |v7|
	v_min_f32_e32 v34, v33, v18
	v_max_f32_e32 v18, v33, v18
	v_frexp_mant_f32_e32 v33, v18
	v_rcp_f32_e32 v33, v33
	v_frexp_exp_i32_f32_e32 v18, v18
	v_frexp_exp_i32_f32_e32 v35, v34
	v_frexp_mant_f32_e32 v34, v34
	v_mul_f32_e32 v33, v34, v33
	v_sub_u32_e32 v18, v35, v18
	v_ldexp_f32 v18, v33, v18
	v_mul_f32_e32 v33, v18, v18
	v_mov_b32_e32 v34, 0xbc7a590c
	v_fmac_f32_e32 v34, 0x3b2d2a58, v33
	v_fma_f32 v34, v33, v34, v20
	v_fma_f32 v34, v33, v34, v21
	;; [unrolled: 1-line block ×6, first 2 shown]
	v_mul_f32_e32 v33, v33, v34
	v_fmac_f32_e32 v18, v18, v33
	v_sub_f32_e32 v33, 0x3fc90fdb, v18
	v_cndmask_b32_e64 v18, v18, v33, s[8:9]
	v_sub_f32_e32 v33, 0x40490fdb, v18
	v_cmp_gt_f32_e32 vcc, 0, v7
	v_cndmask_b32_e32 v18, v18, v33, vcc
	v_cndmask_b32_e64 v33, 0, v29, s[10:11]
	v_cmp_eq_f32_e64 s[10:11], 0, v8
	v_cndmask_b32_e64 v18, v18, v33, s[10:11]
	v_cmp_class_f32_e64 s[10:11], v7, s49
	v_cndmask_b32_e32 v33, v30, v31, vcc
	s_and_b64 vcc, s[30:31], s[10:11]
	v_mul_f32_e32 v17, 0.5, v17
	v_cndmask_b32_e32 v18, v18, v33, vcc
                                        ; implicit-def: $vgpr34
                                        ; implicit-def: $vgpr33
.LBB168_162:                            ;   in Loop: Header=BB168_145 Depth=1
	s_andn2_saveexec_b64 s[28:29], s[28:29]
	s_cbranch_execz .LBB168_166
; %bb.163:                              ;   in Loop: Header=BB168_145 Depth=1
	v_and_b32_e32 v35, 0x7fff0000, v34
	v_sub_f32_e32 v17, v34, v35
	v_and_b32_e32 v39, 0xffff0000, v17
	v_and_b32_e32 v34, 0x7fff0000, v33
	v_sub_f32_e32 v41, v17, v39
	v_sub_f32_e32 v17, v33, v34
	v_and_b32_e32 v40, 0xffff0000, v17
	v_add_f32_e32 v36, v35, v35
	v_add_f32_e32 v43, v34, v34
	v_sub_f32_e32 v42, v17, v40
	v_mul_f32_e32 v17, v35, v35
	v_mul_f32_e32 v18, v34, v34
	;; [unrolled: 1-line block ×6, first 2 shown]
	v_add_f32_e32 v39, v39, v39
	v_add_f32_e32 v40, v40, v40
	v_mul_f32_e32 v37, v36, v41
	v_mul_f32_e32 v36, v43, v42
	;; [unrolled: 1-line block ×6, first 2 shown]
	s_mov_b64 s[30:31], 0
.LBB168_164:                            ;   Parent Loop BB168_145 Depth=1
                                        ; =>  This Inner Loop Header: Depth=2
	v_cmp_nlt_f32_e32 vcc, v17, v18
	v_mov_b32_e32 v43, v42
	v_cndmask_b32_e32 v42, v17, v18, vcc
	v_cmp_nlt_f32_e64 s[10:11], v42, v35
	v_cndmask_b32_e64 v44, v42, v35, s[10:11]
	v_cndmask_b32_e32 v17, v18, v17, vcc
	s_and_b64 s[56:57], vcc, s[10:11]
	v_cmp_nlt_f32_e32 vcc, v44, v34
	v_cndmask_b32_e64 v18, v35, v42, s[10:11]
	v_cndmask_b32_e32 v42, v44, v34, vcc
	v_cmp_nlt_f32_e64 s[10:11], v42, v38
	v_cndmask_b32_e32 v35, v34, v44, vcc
	v_cndmask_b32_e64 v44, v42, v38, s[10:11]
	s_and_b64 s[58:59], vcc, s[10:11]
	v_cmp_nlt_f32_e32 vcc, v44, v33
	v_cndmask_b32_e64 v34, v38, v42, s[10:11]
	v_cndmask_b32_e32 v42, v44, v33, vcc
	v_cmp_nlt_f32_e64 s[10:11], v42, v37
	v_cndmask_b32_e32 v38, v33, v44, vcc
	v_cndmask_b32_e64 v44, v42, v37, s[10:11]
	v_cndmask_b32_e64 v33, v37, v42, s[10:11]
	s_and_b64 s[10:11], vcc, s[10:11]
	v_cmp_nlt_f32_e32 vcc, v44, v36
	v_cndmask_b32_e32 v42, v44, v36, vcc
	v_cndmask_b32_e32 v37, v36, v44, vcc
	s_and_b64 s[10:11], s[10:11], vcc
	v_cmp_nlt_f32_e32 vcc, v42, v39
	v_cndmask_b32_e32 v44, v42, v39, vcc
	v_cndmask_b32_e32 v36, v39, v42, vcc
	s_and_b64 s[10:11], s[10:11], vcc
	;; [unrolled: 4-line block ×4, first 2 shown]
	v_cmp_nlt_f32_e32 vcc, v44, v43
	s_and_b64 s[10:11], s[10:11], vcc
	s_and_b64 s[10:11], s[10:11], s[58:59]
	s_and_b64 s[10:11], s[10:11], s[56:57]
	s_and_b64 s[10:11], exec, s[10:11]
	v_cndmask_b32_e32 v42, v44, v43, vcc
	s_or_b64 s[30:31], s[10:11], s[30:31]
	v_cndmask_b32_e32 v41, v43, v44, vcc
	s_andn2_b64 exec, exec, s[30:31]
	s_cbranch_execnz .LBB168_164
; %bb.165:                              ;   in Loop: Header=BB168_145 Depth=1
	s_or_b64 exec, exec, s[30:31]
	v_add_f32_e32 v17, -1.0, v17
	v_add_f32_e32 v17, v17, v18
	v_add_f32_e32 v17, v17, v35
	;; [unrolled: 1-line block ×11, first 2 shown]
	v_add_f32_e32 v34, 1.0, v33
	v_cvt_f64_f32_e32 v[17:18], v34
	v_add_f32_e32 v35, -1.0, v34
	v_sub_f32_e32 v36, v35, v34
	v_sub_f32_e32 v35, v33, v35
	v_frexp_exp_i32_f64_e32 v17, v[17:18]
	v_frexp_mant_f32_e32 v18, v34
	v_cmp_gt_f32_e32 vcc, s45, v18
	v_add_f32_e32 v36, 1.0, v36
	v_add_f32_e32 v35, v35, v36
	v_cmp_gt_i32_e64 s[10:11], 0, v7
	v_cmp_class_f32_e64 s[30:31], v8, s49
	v_subbrev_co_u32_e32 v17, vcc, 0, v17, vcc
	v_sub_u32_e32 v18, 0, v17
	v_ldexp_f32 v34, v34, v18
	v_ldexp_f32 v18, v35, v18
	v_add_f32_e32 v35, -1.0, v34
	v_add_f32_e32 v36, 1.0, v34
	v_add_f32_e32 v37, 1.0, v35
	v_add_f32_e32 v39, -1.0, v36
	v_sub_f32_e32 v37, v34, v37
	v_sub_f32_e32 v34, v34, v39
	v_add_f32_e32 v37, v18, v37
	v_add_f32_e32 v18, v18, v34
	;; [unrolled: 1-line block ×3, first 2 shown]
	v_rcp_f32_e32 v39, v34
	v_add_f32_e32 v38, v35, v37
	v_sub_f32_e32 v36, v34, v36
	v_sub_f32_e32 v35, v38, v35
	;; [unrolled: 1-line block ×3, first 2 shown]
	v_mul_f32_e32 v36, v38, v39
	v_sub_f32_e32 v35, v37, v35
	v_mul_f32_e32 v37, v34, v36
	v_fma_f32 v40, v36, v34, -v37
	v_fmac_f32_e32 v40, v36, v18
	v_add_f32_e32 v41, v37, v40
	v_sub_f32_e32 v42, v38, v41
	v_sub_f32_e32 v38, v38, v42
	;; [unrolled: 1-line block ×4, first 2 shown]
	v_add_f32_e32 v35, v35, v38
	v_sub_f32_e32 v37, v37, v40
	v_add_f32_e32 v35, v37, v35
	v_add_f32_e32 v37, v42, v35
	v_mul_f32_e32 v38, v39, v37
	v_mul_f32_e32 v40, v34, v38
	v_fma_f32 v34, v38, v34, -v40
	v_fmac_f32_e32 v34, v38, v18
	v_sub_f32_e32 v18, v42, v37
	v_add_f32_e32 v18, v35, v18
	v_add_f32_e32 v35, v40, v34
	v_sub_f32_e32 v41, v37, v35
	v_sub_f32_e32 v37, v37, v41
	;; [unrolled: 1-line block ×4, first 2 shown]
	v_add_f32_e32 v18, v18, v35
	v_sub_f32_e32 v34, v40, v34
	v_cvt_f32_i32_e32 v17, v17
	v_add_f32_e32 v18, v34, v18
	v_add_f32_e32 v34, v36, v38
	;; [unrolled: 1-line block ×3, first 2 shown]
	v_sub_f32_e32 v35, v34, v36
	v_mul_f32_e32 v18, v39, v18
	v_sub_f32_e32 v35, v38, v35
	v_add_f32_e32 v18, v35, v18
	v_mul_f32_e32 v38, 0x3f317218, v17
	v_add_f32_e32 v35, v34, v18
	v_fma_f32 v39, v17, s46, -v38
	v_mul_f32_e32 v36, v35, v35
	v_mov_b32_e32 v37, 0x3ecc95a3
	v_fmac_f32_e32 v39, 0xb102e308, v17
	v_sub_f32_e32 v17, v35, v34
	v_fmac_f32_e32 v37, 0x3e9b6dac, v36
	v_sub_f32_e32 v17, v18, v17
	v_add_f32_e32 v18, v38, v39
	v_fma_f32 v37, v36, v37, v19
	v_sub_f32_e32 v34, v18, v38
	v_ldexp_f32 v38, v35, 1
	v_mul_f32_e32 v35, v35, v36
	v_mul_f32_e32 v35, v35, v37
	v_add_f32_e32 v36, v38, v35
	v_sub_f32_e32 v37, v36, v38
	v_ldexp_f32 v17, v17, 1
	v_sub_f32_e32 v35, v35, v37
	v_add_f32_e32 v17, v17, v35
	v_add_f32_e32 v35, v36, v17
	v_sub_f32_e32 v36, v35, v36
	v_sub_f32_e32 v17, v17, v36
	v_add_f32_e32 v36, v18, v35
	v_sub_f32_e32 v37, v36, v18
	v_sub_f32_e32 v38, v36, v37
	;; [unrolled: 1-line block ×5, first 2 shown]
	v_add_f32_e32 v18, v35, v18
	v_add_f32_e32 v35, v34, v17
	v_sub_f32_e32 v37, v35, v34
	v_sub_f32_e32 v38, v35, v37
	;; [unrolled: 1-line block ×4, first 2 shown]
	v_add_f32_e32 v18, v35, v18
	v_add_f32_e32 v17, v17, v34
	;; [unrolled: 1-line block ×3, first 2 shown]
	v_sub_f32_e32 v35, v34, v36
	v_sub_f32_e32 v18, v18, v35
	v_add_f32_e32 v17, v17, v18
	v_add_f32_e32 v17, v34, v17
	v_cmp_neq_f32_e32 vcc, s47, v33
	v_cndmask_b32_e32 v17, v26, v17, vcc
	v_cmp_ngt_f32_e32 vcc, -1.0, v33
	v_cndmask_b32_e32 v17, v27, v17, vcc
	v_cmp_neq_f32_e32 vcc, -1.0, v33
	v_cndmask_b32_e32 v17, v28, v17, vcc
	v_cmp_lt_f32_e64 vcc, |v33|, s48
	v_cndmask_b32_e32 v17, v17, v33, vcc
	v_max_f32_e64 v18, |v8|, |v8|
	v_max_f32_e64 v33, |v7|, |v7|
	v_min_f32_e32 v34, v33, v18
	v_max_f32_e32 v18, v33, v18
	v_frexp_mant_f32_e32 v33, v18
	v_rcp_f32_e32 v33, v33
	v_frexp_exp_i32_f32_e32 v18, v18
	v_frexp_exp_i32_f32_e32 v35, v34
	v_frexp_mant_f32_e32 v34, v34
	v_mul_f32_e32 v33, v34, v33
	v_sub_u32_e32 v18, v35, v18
	v_ldexp_f32 v18, v33, v18
	v_mul_f32_e32 v33, v18, v18
	v_mov_b32_e32 v34, 0xbc7a590c
	v_fmac_f32_e32 v34, 0x3b2d2a58, v33
	v_fma_f32 v34, v33, v34, v20
	v_fma_f32 v34, v33, v34, v21
	;; [unrolled: 1-line block ×6, first 2 shown]
	v_mul_f32_e32 v33, v33, v34
	v_fmac_f32_e32 v18, v18, v33
	v_sub_f32_e32 v33, 0x3fc90fdb, v18
	v_cndmask_b32_e64 v18, v18, v33, s[8:9]
	v_sub_f32_e32 v33, 0x40490fdb, v18
	v_cmp_gt_f32_e32 vcc, 0, v7
	v_cndmask_b32_e32 v18, v18, v33, vcc
	v_cndmask_b32_e64 v33, 0, v29, s[10:11]
	v_cmp_eq_f32_e64 s[10:11], 0, v8
	v_cndmask_b32_e64 v18, v18, v33, s[10:11]
	v_cmp_class_f32_e64 s[10:11], v7, s49
	v_cndmask_b32_e32 v33, v30, v31, vcc
	s_and_b64 vcc, s[30:31], s[10:11]
	v_mul_f32_e32 v17, 0.5, v17
	v_cndmask_b32_e32 v18, v18, v33, vcc
.LBB168_166:                            ;   in Loop: Header=BB168_145 Depth=1
	s_or_b64 exec, exec, s[28:29]
.LBB168_167:                            ;   in Loop: Header=BB168_145 Depth=1
	s_or_b64 exec, exec, s[26:27]
.LBB168_168:                            ;   in Loop: Header=BB168_145 Depth=1
	s_andn2_saveexec_b64 s[24:25], s[24:25]
	s_cbranch_execz .LBB168_170
; %bb.169:                              ;   in Loop: Header=BB168_145 Depth=1
	v_max_f32_e64 v33, |v8|, |v8|
	v_max_f32_e64 v34, |v7|, |v7|
	v_max_f32_e32 v35, v34, v33
	v_cvt_f64_f32_e32 v[17:18], v35
	v_cmp_neq_f32_e32 vcc, s47, v35
	v_cmp_gt_i32_e64 s[10:11], 0, v7
	v_cmp_class_f32_e64 s[26:27], v8, s49
	v_frexp_exp_i32_f64_e32 v17, v[17:18]
	v_min_f32_e32 v18, v34, v33
	v_frexp_mant_f32_e32 v34, v35
	v_rcp_f32_e32 v34, v34
	v_frexp_exp_i32_f32_e32 v36, v18
	v_frexp_mant_f32_e32 v18, v18
	v_frexp_exp_i32_f32_e32 v33, v35
	v_mul_f32_e32 v18, v18, v34
	v_sub_u32_e32 v37, 0, v17
	v_ldexp_f32 v38, |v7|, v37
	v_ldexp_f32 v37, |v8|, v37
	v_mul_f32_e32 v37, v37, v37
	v_fmac_f32_e32 v37, v38, v38
	v_sqrt_f32_e32 v37, v37
	v_sub_u32_e32 v33, v36, v33
	v_ldexp_f32 v18, v18, v33
	v_mul_f32_e32 v33, v18, v18
	v_ldexp_f32 v17, v37, v17
	v_cndmask_b32_e32 v17, v26, v17, vcc
	v_cmp_gt_f32_e32 vcc, s51, v17
	v_cndmask_b32_e64 v34, 0, 32, vcc
	v_ldexp_f32 v17, v17, v34
	v_log_f32_e32 v17, v17
	v_cndmask_b32_e32 v34, 0, v32, vcc
	v_mul_f32_e32 v35, 0x3f317217, v17
	v_fma_f32 v35, v17, s52, -v35
	v_fmac_f32_e32 v35, 0x3377d1cf, v17
	v_fmac_f32_e32 v35, 0x3f317217, v17
	v_cmp_lt_f32_e64 vcc, |v17|, s47
	v_cndmask_b32_e32 v17, v17, v35, vcc
	v_sub_f32_e32 v17, v17, v34
	v_mov_b32_e32 v34, 0xbc7a590c
	v_fmac_f32_e32 v34, 0x3b2d2a58, v33
	v_fma_f32 v34, v33, v34, v20
	v_fma_f32 v34, v33, v34, v21
	;; [unrolled: 1-line block ×6, first 2 shown]
	v_mul_f32_e32 v33, v33, v34
	v_fmac_f32_e32 v18, v18, v33
	v_sub_f32_e32 v33, 0x3fc90fdb, v18
	v_cndmask_b32_e64 v18, v18, v33, s[8:9]
	v_sub_f32_e32 v33, 0x40490fdb, v18
	v_cmp_gt_f32_e32 vcc, 0, v7
	v_cndmask_b32_e32 v18, v18, v33, vcc
	v_cndmask_b32_e64 v33, 0, v29, s[10:11]
	v_cmp_eq_f32_e64 s[10:11], 0, v8
	v_cndmask_b32_e64 v18, v18, v33, s[10:11]
	v_cmp_class_f32_e64 s[10:11], v7, s49
	v_cndmask_b32_e32 v33, v30, v31, vcc
	s_and_b64 vcc, s[26:27], s[10:11]
	v_cndmask_b32_e32 v18, v18, v33, vcc
.LBB168_170:                            ;   in Loop: Header=BB168_145 Depth=1
	s_or_b64 exec, exec, s[24:25]
                                        ; implicit-def: $vgpr33
.LBB168_171:                            ;   in Loop: Header=BB168_145 Depth=1
	s_andn2_saveexec_b64 s[22:23], s[22:23]
	s_cbranch_execz .LBB168_177
; %bb.172:                              ;   in Loop: Header=BB168_145 Depth=1
	v_cmp_ngt_f32_e32 vcc, s53, v33
                                        ; implicit-def: $vgpr17
                                        ; implicit-def: $vgpr18
	s_and_saveexec_b64 s[10:11], vcc
	s_xor_b64 s[24:25], exec, s[10:11]
	s_cbranch_execz .LBB168_174
; %bb.173:                              ;   in Loop: Header=BB168_145 Depth=1
	v_mul_f32_e32 v33, v33, v33
	v_add_f32_e32 v34, 1.0, v33
	v_cvt_f64_f32_e32 v[17:18], v34
	v_add_f32_e32 v35, -1.0, v34
	v_sub_f32_e32 v36, v35, v34
	v_sub_f32_e32 v35, v33, v35
	v_frexp_exp_i32_f64_e32 v17, v[17:18]
	v_frexp_mant_f32_e32 v18, v34
	v_cmp_gt_f32_e32 vcc, s45, v18
	v_add_f32_e32 v36, 1.0, v36
	v_add_f32_e32 v35, v35, v36
	v_cmp_gt_i32_e64 s[10:11], 0, v7
	v_cmp_class_f32_e64 s[26:27], v8, s49
	v_subbrev_co_u32_e32 v17, vcc, 0, v17, vcc
	v_sub_u32_e32 v18, 0, v17
	v_ldexp_f32 v34, v34, v18
	v_ldexp_f32 v18, v35, v18
	v_add_f32_e32 v35, -1.0, v34
	v_add_f32_e32 v36, 1.0, v34
	v_add_f32_e32 v37, 1.0, v35
	v_add_f32_e32 v39, -1.0, v36
	v_sub_f32_e32 v37, v34, v37
	v_sub_f32_e32 v34, v34, v39
	v_add_f32_e32 v37, v18, v37
	v_add_f32_e32 v18, v18, v34
	;; [unrolled: 1-line block ×3, first 2 shown]
	v_rcp_f32_e32 v39, v34
	v_add_f32_e32 v38, v35, v37
	v_sub_f32_e32 v36, v36, v34
	v_sub_f32_e32 v35, v35, v38
	v_add_f32_e32 v18, v18, v36
	v_mul_f32_e32 v36, v38, v39
	v_add_f32_e32 v35, v37, v35
	v_mul_f32_e32 v37, v34, v36
	v_fma_f32 v40, v36, v34, -v37
	v_fmac_f32_e32 v40, v36, v18
	v_add_f32_e32 v41, v37, v40
	v_sub_f32_e32 v42, v38, v41
	v_sub_f32_e32 v38, v38, v42
	;; [unrolled: 1-line block ×4, first 2 shown]
	v_add_f32_e32 v35, v35, v38
	v_sub_f32_e32 v37, v37, v40
	v_add_f32_e32 v35, v37, v35
	v_add_f32_e32 v37, v42, v35
	v_mul_f32_e32 v38, v39, v37
	v_mul_f32_e32 v40, v34, v38
	v_fma_f32 v34, v38, v34, -v40
	v_fmac_f32_e32 v34, v38, v18
	v_sub_f32_e32 v18, v42, v37
	v_add_f32_e32 v18, v35, v18
	v_add_f32_e32 v35, v40, v34
	v_sub_f32_e32 v41, v37, v35
	v_sub_f32_e32 v37, v37, v41
	;; [unrolled: 1-line block ×4, first 2 shown]
	v_add_f32_e32 v18, v18, v35
	v_sub_f32_e32 v34, v40, v34
	v_cvt_f32_i32_e32 v17, v17
	v_add_f32_e32 v18, v34, v18
	v_add_f32_e32 v34, v36, v38
	;; [unrolled: 1-line block ×3, first 2 shown]
	v_sub_f32_e32 v35, v34, v36
	v_mul_f32_e32 v18, v39, v18
	v_sub_f32_e32 v35, v38, v35
	v_add_f32_e32 v18, v35, v18
	v_mul_f32_e32 v38, 0x3f317218, v17
	v_add_f32_e32 v35, v34, v18
	v_fma_f32 v39, v17, s46, -v38
	v_mul_f32_e32 v36, v35, v35
	v_mov_b32_e32 v37, 0x3ecc95a3
	v_fmac_f32_e32 v39, 0xb102e308, v17
	v_sub_f32_e32 v17, v35, v34
	v_fmac_f32_e32 v37, 0x3e9b6dac, v36
	v_sub_f32_e32 v17, v18, v17
	v_add_f32_e32 v18, v38, v39
	v_fma_f32 v37, v36, v37, v19
	v_sub_f32_e32 v34, v18, v38
	v_ldexp_f32 v38, v35, 1
	v_mul_f32_e32 v35, v35, v36
	v_mul_f32_e32 v35, v35, v37
	v_add_f32_e32 v36, v38, v35
	v_sub_f32_e32 v37, v36, v38
	v_ldexp_f32 v17, v17, 1
	v_sub_f32_e32 v35, v35, v37
	v_add_f32_e32 v17, v17, v35
	v_add_f32_e32 v35, v36, v17
	v_sub_f32_e32 v36, v35, v36
	v_sub_f32_e32 v17, v17, v36
	v_add_f32_e32 v36, v18, v35
	v_sub_f32_e32 v37, v36, v18
	v_sub_f32_e32 v38, v36, v37
	;; [unrolled: 1-line block ×5, first 2 shown]
	v_add_f32_e32 v18, v35, v18
	v_add_f32_e32 v35, v34, v17
	v_sub_f32_e32 v37, v35, v34
	v_sub_f32_e32 v38, v35, v37
	;; [unrolled: 1-line block ×4, first 2 shown]
	v_add_f32_e32 v18, v35, v18
	v_add_f32_e32 v17, v17, v34
	v_add_f32_e32 v34, v36, v18
	v_sub_f32_e32 v35, v34, v36
	v_sub_f32_e32 v18, v18, v35
	v_add_f32_e32 v17, v17, v18
	v_add_f32_e32 v17, v34, v17
	v_cmp_neq_f32_e32 vcc, s47, v33
	v_cndmask_b32_e32 v17, v26, v17, vcc
	v_cmp_lt_f32_e64 vcc, |v33|, s48
	v_cndmask_b32_e32 v17, v17, v33, vcc
	v_max_f32_e64 v18, |v8|, |v8|
	v_max_f32_e64 v33, |v7|, |v7|
	v_min_f32_e32 v34, v33, v18
	v_max_f32_e32 v18, v33, v18
	v_frexp_mant_f32_e32 v33, v18
	v_rcp_f32_e32 v33, v33
	v_frexp_exp_i32_f32_e32 v18, v18
	v_frexp_exp_i32_f32_e32 v35, v34
	v_frexp_mant_f32_e32 v34, v34
	v_mul_f32_e32 v33, v34, v33
	v_sub_u32_e32 v18, v35, v18
	v_ldexp_f32 v18, v33, v18
	v_mul_f32_e32 v33, v18, v18
	v_mov_b32_e32 v34, 0xbc7a590c
	v_fmac_f32_e32 v34, 0x3b2d2a58, v33
	v_fma_f32 v34, v33, v34, v20
	v_fma_f32 v34, v33, v34, v21
	;; [unrolled: 1-line block ×6, first 2 shown]
	v_mul_f32_e32 v33, v33, v34
	v_fmac_f32_e32 v18, v18, v33
	v_sub_f32_e32 v33, 0x3fc90fdb, v18
	v_cndmask_b32_e64 v18, v18, v33, s[8:9]
	v_sub_f32_e32 v33, 0x40490fdb, v18
	v_cmp_gt_f32_e32 vcc, 0, v7
	v_cndmask_b32_e32 v18, v18, v33, vcc
	v_cndmask_b32_e64 v33, 0, v29, s[10:11]
	v_cmp_eq_f32_e64 s[10:11], 0, v8
	v_cndmask_b32_e64 v18, v18, v33, s[10:11]
	v_cmp_class_f32_e64 s[10:11], v7, s49
	v_cndmask_b32_e32 v33, v30, v31, vcc
	s_and_b64 vcc, s[26:27], s[10:11]
	v_mul_f32_e32 v17, 0.5, v17
	v_cndmask_b32_e32 v18, v18, v33, vcc
                                        ; implicit-def: $vgpr33
.LBB168_174:                            ;   in Loop: Header=BB168_145 Depth=1
	s_andn2_saveexec_b64 s[24:25], s[24:25]
	s_cbranch_execz .LBB168_176
; %bb.175:                              ;   in Loop: Header=BB168_145 Depth=1
	v_mul_f32_e32 v17, 0.5, v33
	v_mul_f32_e32 v17, v33, v17
	v_max_f32_e64 v18, |v8|, |v8|
	v_max_f32_e64 v33, |v7|, |v7|
	v_min_f32_e32 v34, v33, v18
	v_max_f32_e32 v18, v33, v18
	v_frexp_mant_f32_e32 v33, v18
	v_rcp_f32_e32 v33, v33
	v_frexp_exp_i32_f32_e32 v18, v18
	v_frexp_exp_i32_f32_e32 v35, v34
	v_frexp_mant_f32_e32 v34, v34
	v_mul_f32_e32 v33, v34, v33
	v_sub_u32_e32 v18, v35, v18
	v_ldexp_f32 v18, v33, v18
	v_mul_f32_e32 v33, v18, v18
	v_mov_b32_e32 v34, 0xbc7a590c
	v_fmac_f32_e32 v34, 0x3b2d2a58, v33
	v_fma_f32 v34, v33, v34, v20
	v_fma_f32 v34, v33, v34, v21
	;; [unrolled: 1-line block ×6, first 2 shown]
	v_mul_f32_e32 v33, v33, v34
	v_fmac_f32_e32 v18, v18, v33
	v_sub_f32_e32 v33, 0x3fc90fdb, v18
	v_cndmask_b32_e64 v18, v18, v33, s[8:9]
	v_sub_f32_e32 v33, 0x40490fdb, v18
	v_cmp_gt_f32_e32 vcc, 0, v7
	v_cmp_gt_i32_e64 s[10:11], 0, v7
	v_cndmask_b32_e32 v18, v18, v33, vcc
	v_cndmask_b32_e64 v33, 0, v29, s[10:11]
	v_cmp_eq_f32_e64 s[10:11], 0, v8
	v_cndmask_b32_e64 v18, v18, v33, s[10:11]
	v_cmp_class_f32_e64 s[10:11], v7, s49
	v_cmp_class_f32_e64 s[26:27], v8, s49
	v_cndmask_b32_e32 v33, v30, v31, vcc
	s_and_b64 vcc, s[26:27], s[10:11]
	v_cndmask_b32_e32 v18, v18, v33, vcc
.LBB168_176:                            ;   in Loop: Header=BB168_145 Depth=1
	s_or_b64 exec, exec, s[24:25]
.LBB168_177:                            ;   in Loop: Header=BB168_145 Depth=1
	s_or_b64 exec, exec, s[22:23]
.LBB168_178:                            ;   in Loop: Header=BB168_145 Depth=1
	s_andn2_saveexec_b64 s[20:21], s[20:21]
	s_cbranch_execz .LBB168_180
; %bb.179:                              ;   in Loop: Header=BB168_145 Depth=1
	v_div_scale_f32 v17, s[10:11], s54, s54, v7
	v_div_scale_f32 v18, s[10:11], s54, s54, v8
	v_div_scale_f32 v33, vcc, v7, s54, v7
	v_div_scale_f32 v34, s[10:11], v8, s54, v8
	v_rcp_f32_e32 v35, v17
	v_rcp_f32_e32 v36, v18
	v_fma_f32 v37, -v17, v35, 1.0
	v_fmac_f32_e32 v35, v37, v35
	v_fma_f32 v38, -v18, v36, 1.0
	v_fmac_f32_e32 v36, v38, v36
	v_mul_f32_e32 v37, v33, v35
	v_mul_f32_e32 v38, v34, v36
	v_fma_f32 v39, -v17, v37, v33
	v_fma_f32 v40, -v18, v38, v34
	v_fmac_f32_e32 v37, v39, v35
	v_fmac_f32_e32 v38, v40, v36
	v_fma_f32 v17, -v17, v37, v33
	v_fma_f32 v18, -v18, v38, v34
	v_div_fmas_f32 v17, v17, v35, v37
	s_mov_b64 vcc, s[10:11]
	v_div_fmas_f32 v18, v18, v36, v38
	v_max_f32_e64 v33, |v8|, |v8|
	v_max_f32_e64 v34, |v7|, |v7|
	v_min_f32_e32 v36, v34, v33
	v_max_f32_e32 v33, v34, v33
	v_frexp_exp_i32_f32_e32 v34, v33
	v_frexp_exp_i32_f32_e32 v37, v36
	v_sub_u32_e32 v34, v37, v34
	v_frexp_mant_f32_e32 v33, v33
	v_rcp_f32_e32 v33, v33
	v_frexp_mant_f32_e32 v36, v36
	v_mov_b32_e32 v35, 0xbc7a590c
	v_cmp_class_f32_e64 s[10:11], v8, s49
	v_mul_f32_e32 v33, v36, v33
	v_div_fixup_f32 v37, v17, s54, v7
	v_ldexp_f32 v33, v33, v34
	v_div_fixup_f32 v38, v18, s54, v8
	v_max_f32_e64 v39, |v37|, |v38|
	v_cvt_f64_f32_e32 v[17:18], v39
	v_mul_f32_e32 v34, v33, v33
	v_fmac_f32_e32 v35, 0x3b2d2a58, v34
	v_cmp_neq_f32_e32 vcc, s47, v39
	v_frexp_exp_i32_f64_e32 v17, v[17:18]
	v_fma_f32 v18, v34, v35, v20
	v_fma_f32 v18, v34, v18, v21
	;; [unrolled: 1-line block ×6, first 2 shown]
	v_mul_f32_e32 v18, v34, v18
	v_sub_u32_e32 v35, 0, v17
	v_ldexp_f32 v36, |v37|, v35
	v_ldexp_f32 v35, |v38|, v35
	v_mul_f32_e32 v35, v35, v35
	v_fmac_f32_e32 v35, v36, v36
	v_sqrt_f32_e32 v35, v35
	v_fmac_f32_e32 v33, v33, v18
	v_sub_f32_e32 v18, 0x3fc90fdb, v33
	v_cndmask_b32_e64 v18, v33, v18, s[8:9]
	v_ldexp_f32 v17, v35, v17
	v_cndmask_b32_e32 v17, v26, v17, vcc
	v_cmp_gt_f32_e32 vcc, s51, v17
	v_cndmask_b32_e64 v34, 0, 32, vcc
	v_ldexp_f32 v17, v17, v34
	v_log_f32_e32 v17, v17
	v_cndmask_b32_e32 v34, 0, v32, vcc
	v_sub_f32_e32 v33, 0x40490fdb, v18
	v_cmp_gt_i32_e64 s[8:9], 0, v7
	v_mul_f32_e32 v35, 0x3f317217, v17
	v_fma_f32 v35, v17, s52, -v35
	v_fmac_f32_e32 v35, 0x3377d1cf, v17
	v_fmac_f32_e32 v35, 0x3f317217, v17
	v_cmp_lt_f32_e64 vcc, |v17|, s47
	v_cndmask_b32_e32 v17, v17, v35, vcc
	v_cmp_gt_f32_e32 vcc, 0, v7
	v_cndmask_b32_e32 v18, v18, v33, vcc
	v_cndmask_b32_e64 v33, 0, v29, s[8:9]
	v_cmp_eq_f32_e64 s[8:9], 0, v8
	v_cndmask_b32_e64 v18, v18, v33, s[8:9]
	v_cmp_class_f32_e64 s[8:9], v7, s49
	v_sub_f32_e32 v17, v17, v34
	v_cndmask_b32_e32 v33, v30, v31, vcc
	s_and_b64 vcc, s[10:11], s[8:9]
	v_add_f32_e32 v17, 1.0, v17
	v_cndmask_b32_e32 v18, v18, v33, vcc
.LBB168_180:                            ;   in Loop: Header=BB168_145 Depth=1
	s_or_b64 exec, exec, s[20:21]
.LBB168_181:                            ;   in Loop: Header=BB168_145 Depth=1
	s_andn2_saveexec_b64 s[8:9], s[18:19]
	s_cbranch_execz .LBB168_187
; %bb.182:                              ;   in Loop: Header=BB168_145 Depth=1
	v_cmp_nlt_f32_e64 s[10:11], |v7|, s55
	v_cmp_nlt_f32_e64 s[18:19], |v8|, s55
	s_or_b64 s[10:11], s[18:19], s[10:11]
                                        ; implicit-def: $vgpr17
	s_and_saveexec_b64 s[18:19], s[10:11]
	s_xor_b64 s[10:11], exec, s[18:19]
; %bb.183:                              ;   in Loop: Header=BB168_145 Depth=1
	v_mul_f32_e32 v17, v7, v7
	v_fmac_f32_e32 v17, v8, v8
; %bb.184:                              ;   in Loop: Header=BB168_145 Depth=1
	s_andn2_saveexec_b64 s[10:11], s[10:11]
; %bb.185:                              ;   in Loop: Header=BB168_145 Depth=1
	v_mul_f32_e32 v7, 4.0, v7
	v_mul_f32_e32 v17, 4.0, v8
	v_mul_f32_e32 v7, v7, v7
	v_fmac_f32_e32 v7, v17, v17
	v_mul_f32_e32 v17, 0x3d800000, v7
; %bb.186:                              ;   in Loop: Header=BB168_145 Depth=1
	s_or_b64 exec, exec, s[10:11]
	v_cmp_gt_f32_e32 vcc, s51, v17
	v_cndmask_b32_e64 v7, 0, 32, vcc
	v_ldexp_f32 v7, v17, v7
	v_log_f32_e32 v7, v7
	v_cndmask_b32_e32 v17, 0, v32, vcc
	v_mul_f32_e32 v18, 0x3f317217, v7
	v_fma_f32 v18, v7, s52, -v18
	v_fmac_f32_e32 v18, 0x3377d1cf, v7
	v_fmac_f32_e32 v18, 0x3f317217, v7
	v_cmp_lt_f32_e64 vcc, |v7|, s47
	v_cndmask_b32_e32 v7, v7, v18, vcc
	v_sub_f32_e32 v17, v7, v17
	v_mov_b32_e32 v18, 0x7fc00000
.LBB168_187:                            ;   in Loop: Header=BB168_145 Depth=1
	s_or_b64 exec, exec, s[8:9]
	v_cmp_o_f32_e32 vcc, v12, v11
                                        ; implicit-def: $vgpr7
                                        ; implicit-def: $vgpr33
	s_and_saveexec_b64 s[8:9], vcc
	s_xor_b64 s[18:19], exec, s[8:9]
	s_cbranch_execz .LBB168_215
; %bb.188:                              ;   in Loop: Header=BB168_145 Depth=1
	v_cmp_lt_f32_e64 s[8:9], |v11|, |v12|
	v_cndmask_b32_e64 v34, |v12|, |v11|, s[8:9]
	v_cmp_nlt_f32_e32 vcc, s42, v34
                                        ; implicit-def: $vgpr7
                                        ; implicit-def: $vgpr33
	s_and_saveexec_b64 s[10:11], vcc
	s_xor_b64 s[20:21], exec, s[10:11]
	s_cbranch_execz .LBB168_212
; %bb.189:                              ;   in Loop: Header=BB168_145 Depth=1
	v_and_b32_e32 v7, 0x7fffffff, v12
	v_cndmask_b32_e64 v35, |v11|, v7, s[8:9]
	v_cmp_neq_f32_e32 vcc, 1.0, v35
                                        ; implicit-def: $vgpr7
                                        ; implicit-def: $vgpr33
	s_and_saveexec_b64 s[10:11], vcc
	s_xor_b64 s[22:23], exec, s[10:11]
	s_cbranch_execz .LBB168_205
; %bb.190:                              ;   in Loop: Header=BB168_145 Depth=1
	v_max_f32_e32 v7, v34, v34
	v_max_f32_e32 v33, v35, v35
	v_min_f32_e32 v36, v33, v7
	v_max_f32_e32 v7, v33, v7
	v_cmp_ngt_f32_e32 vcc, s43, v36
	v_cmp_nlt_f32_e64 s[10:11], s44, v7
	s_and_b64 s[10:11], s[10:11], vcc
                                        ; implicit-def: $vgpr7
                                        ; implicit-def: $vgpr33
	s_and_saveexec_b64 s[24:25], s[10:11]
	s_xor_b64 s[24:25], exec, s[24:25]
	s_cbranch_execz .LBB168_202
; %bb.191:                              ;   in Loop: Header=BB168_145 Depth=1
	v_cmp_le_f32_e32 vcc, 1.0, v35
                                        ; implicit-def: $vgpr7
                                        ; implicit-def: $vgpr33
	s_and_saveexec_b64 s[10:11], vcc
	s_xor_b64 s[26:27], exec, s[10:11]
	s_cbranch_execz .LBB168_193
; %bb.192:                              ;   in Loop: Header=BB168_145 Depth=1
	v_add_f32_e32 v7, -1.0, v35
	v_add_f32_e32 v33, 1.0, v35
	v_mul_f32_e32 v7, v7, v33
	v_fmac_f32_e32 v7, v34, v34
	v_add_f32_e32 v35, 1.0, v7
	v_cvt_f64_f32_e32 v[33:34], v35
	v_add_f32_e32 v36, -1.0, v35
	v_sub_f32_e32 v37, v36, v35
	v_sub_f32_e32 v36, v7, v36
	v_frexp_exp_i32_f64_e32 v33, v[33:34]
	v_frexp_mant_f32_e32 v34, v35
	v_cmp_gt_f32_e32 vcc, s45, v34
	v_add_f32_e32 v37, 1.0, v37
	v_add_f32_e32 v36, v36, v37
	v_cmp_gt_i32_e64 s[10:11], 0, v11
	v_cmp_class_f32_e64 s[28:29], v12, s49
	v_subbrev_co_u32_e32 v33, vcc, 0, v33, vcc
	v_sub_u32_e32 v34, 0, v33
	v_ldexp_f32 v35, v35, v34
	v_ldexp_f32 v34, v36, v34
	v_add_f32_e32 v36, -1.0, v35
	v_add_f32_e32 v39, 1.0, v35
	v_add_f32_e32 v37, 1.0, v36
	v_add_f32_e32 v40, -1.0, v39
	v_sub_f32_e32 v37, v35, v37
	v_sub_f32_e32 v35, v35, v40
	v_add_f32_e32 v37, v34, v37
	v_add_f32_e32 v34, v34, v35
	;; [unrolled: 1-line block ×3, first 2 shown]
	v_rcp_f32_e32 v40, v35
	v_add_f32_e32 v38, v36, v37
	v_sub_f32_e32 v36, v38, v36
	v_sub_f32_e32 v36, v37, v36
	;; [unrolled: 1-line block ×4, first 2 shown]
	v_mul_f32_e32 v37, v38, v40
	v_mul_f32_e32 v39, v35, v37
	v_fma_f32 v41, v37, v35, -v39
	v_fmac_f32_e32 v41, v37, v34
	v_add_f32_e32 v42, v39, v41
	v_sub_f32_e32 v43, v38, v42
	v_sub_f32_e32 v38, v38, v43
	;; [unrolled: 1-line block ×4, first 2 shown]
	v_add_f32_e32 v36, v36, v38
	v_sub_f32_e32 v38, v39, v41
	v_add_f32_e32 v36, v38, v36
	v_add_f32_e32 v38, v43, v36
	v_mul_f32_e32 v39, v40, v38
	v_mul_f32_e32 v41, v35, v39
	v_fma_f32 v35, v39, v35, -v41
	v_fmac_f32_e32 v35, v39, v34
	v_sub_f32_e32 v34, v43, v38
	v_add_f32_e32 v34, v36, v34
	v_add_f32_e32 v36, v41, v35
	v_sub_f32_e32 v42, v38, v36
	v_sub_f32_e32 v38, v38, v42
	;; [unrolled: 1-line block ×4, first 2 shown]
	v_add_f32_e32 v34, v34, v36
	v_sub_f32_e32 v35, v41, v35
	v_cvt_f32_i32_e32 v33, v33
	v_add_f32_e32 v34, v35, v34
	v_add_f32_e32 v35, v37, v39
	;; [unrolled: 1-line block ×3, first 2 shown]
	v_sub_f32_e32 v36, v35, v37
	v_mul_f32_e32 v34, v40, v34
	v_sub_f32_e32 v36, v39, v36
	v_add_f32_e32 v34, v36, v34
	v_mul_f32_e32 v39, 0x3f317218, v33
	v_add_f32_e32 v36, v35, v34
	v_fma_f32 v40, v33, s46, -v39
	v_mul_f32_e32 v37, v36, v36
	v_mov_b32_e32 v38, 0x3ecc95a3
	v_fmac_f32_e32 v40, 0xb102e308, v33
	v_sub_f32_e32 v33, v36, v35
	v_fmac_f32_e32 v38, 0x3e9b6dac, v37
	v_sub_f32_e32 v33, v34, v33
	v_add_f32_e32 v34, v39, v40
	v_fma_f32 v38, v37, v38, v19
	v_sub_f32_e32 v35, v34, v39
	v_ldexp_f32 v39, v36, 1
	v_mul_f32_e32 v36, v36, v37
	v_mul_f32_e32 v36, v36, v38
	v_add_f32_e32 v37, v39, v36
	v_sub_f32_e32 v38, v37, v39
	v_ldexp_f32 v33, v33, 1
	v_sub_f32_e32 v36, v36, v38
	v_add_f32_e32 v33, v33, v36
	v_add_f32_e32 v36, v37, v33
	v_sub_f32_e32 v37, v36, v37
	v_sub_f32_e32 v33, v33, v37
	v_add_f32_e32 v37, v34, v36
	v_sub_f32_e32 v38, v37, v34
	v_sub_f32_e32 v39, v37, v38
	v_sub_f32_e32 v35, v40, v35
	v_sub_f32_e32 v34, v34, v39
	v_sub_f32_e32 v36, v36, v38
	v_add_f32_e32 v34, v36, v34
	v_add_f32_e32 v36, v35, v33
	v_sub_f32_e32 v38, v36, v35
	v_sub_f32_e32 v39, v36, v38
	v_sub_f32_e32 v35, v35, v39
	v_sub_f32_e32 v33, v33, v38
	v_add_f32_e32 v34, v36, v34
	v_add_f32_e32 v33, v33, v35
	;; [unrolled: 1-line block ×3, first 2 shown]
	v_sub_f32_e32 v36, v35, v37
	v_sub_f32_e32 v34, v34, v36
	v_add_f32_e32 v33, v33, v34
	v_add_f32_e32 v33, v35, v33
	v_cmp_neq_f32_e32 vcc, s47, v7
	v_cndmask_b32_e32 v33, v26, v33, vcc
	v_cmp_ngt_f32_e32 vcc, -1.0, v7
	v_cndmask_b32_e32 v33, v27, v33, vcc
	v_cmp_neq_f32_e32 vcc, -1.0, v7
	v_cndmask_b32_e32 v33, v28, v33, vcc
	v_cmp_lt_f32_e64 vcc, |v7|, s48
	v_cndmask_b32_e32 v7, v33, v7, vcc
	v_max_f32_e64 v33, |v12|, |v12|
	v_max_f32_e64 v34, |v11|, |v11|
	v_min_f32_e32 v35, v34, v33
	v_max_f32_e32 v33, v34, v33
	v_frexp_mant_f32_e32 v34, v33
	v_rcp_f32_e32 v34, v34
	v_frexp_exp_i32_f32_e32 v33, v33
	v_frexp_exp_i32_f32_e32 v36, v35
	v_frexp_mant_f32_e32 v35, v35
	v_mul_f32_e32 v34, v35, v34
	v_sub_u32_e32 v33, v36, v33
	v_ldexp_f32 v33, v34, v33
	v_mul_f32_e32 v34, v33, v33
	v_mov_b32_e32 v35, 0xbc7a590c
	v_fmac_f32_e32 v35, 0x3b2d2a58, v34
	v_fma_f32 v35, v34, v35, v20
	v_fma_f32 v35, v34, v35, v21
	v_fma_f32 v35, v34, v35, v22
	v_fma_f32 v35, v34, v35, v23
	v_fma_f32 v35, v34, v35, v24
	v_fma_f32 v35, v34, v35, v25
	v_mul_f32_e32 v34, v34, v35
	v_fmac_f32_e32 v33, v33, v34
	v_sub_f32_e32 v34, 0x3fc90fdb, v33
	v_cndmask_b32_e64 v33, v33, v34, s[8:9]
	v_sub_f32_e32 v34, 0x40490fdb, v33
	v_cmp_gt_f32_e32 vcc, 0, v11
	v_cndmask_b32_e32 v33, v33, v34, vcc
	v_cndmask_b32_e64 v34, 0, v29, s[10:11]
	v_cmp_eq_f32_e64 s[10:11], 0, v12
	v_cndmask_b32_e64 v33, v33, v34, s[10:11]
	v_cmp_class_f32_e64 s[10:11], v11, s49
	v_cndmask_b32_e32 v34, v30, v31, vcc
	s_and_b64 vcc, s[28:29], s[10:11]
	v_mul_f32_e32 v7, 0.5, v7
	v_cndmask_b32_e32 v33, v33, v34, vcc
                                        ; implicit-def: $vgpr34
                                        ; implicit-def: $vgpr35
.LBB168_193:                            ;   in Loop: Header=BB168_145 Depth=1
	s_andn2_saveexec_b64 s[26:27], s[26:27]
	s_cbranch_execz .LBB168_201
; %bb.194:                              ;   in Loop: Header=BB168_145 Depth=1
	v_mul_f32_e32 v36, v34, v34
	v_fmac_f32_e32 v36, v35, v35
	v_cmp_ge_f32_e32 vcc, s50, v36
                                        ; implicit-def: $vgpr7
                                        ; implicit-def: $vgpr33
	s_and_saveexec_b64 s[10:11], vcc
	s_xor_b64 s[28:29], exec, s[10:11]
	s_cbranch_execz .LBB168_196
; %bb.195:                              ;   in Loop: Header=BB168_145 Depth=1
	v_cmp_gt_f32_e32 vcc, s51, v36
	v_cndmask_b32_e64 v7, 0, 32, vcc
	v_ldexp_f32 v7, v36, v7
	v_log_f32_e32 v7, v7
	v_cndmask_b32_e32 v33, 0, v32, vcc
	v_cmp_gt_i32_e64 s[10:11], 0, v11
	v_cmp_class_f32_e64 s[30:31], v12, s49
	v_mul_f32_e32 v34, 0x3f317217, v7
	v_fma_f32 v34, v7, s52, -v34
	v_fmac_f32_e32 v34, 0x3377d1cf, v7
	v_fmac_f32_e32 v34, 0x3f317217, v7
	v_cmp_lt_f32_e64 vcc, |v7|, s47
	v_cndmask_b32_e32 v7, v7, v34, vcc
	v_sub_f32_e32 v7, v7, v33
	v_max_f32_e64 v33, |v12|, |v12|
	v_max_f32_e64 v34, |v11|, |v11|
	v_min_f32_e32 v35, v34, v33
	v_max_f32_e32 v33, v34, v33
	v_frexp_mant_f32_e32 v34, v33
	v_rcp_f32_e32 v34, v34
	v_frexp_exp_i32_f32_e32 v33, v33
	v_frexp_exp_i32_f32_e32 v36, v35
	v_frexp_mant_f32_e32 v35, v35
	v_mul_f32_e32 v34, v35, v34
	v_sub_u32_e32 v33, v36, v33
	v_ldexp_f32 v33, v34, v33
	v_mul_f32_e32 v34, v33, v33
	v_mov_b32_e32 v35, 0xbc7a590c
	v_fmac_f32_e32 v35, 0x3b2d2a58, v34
	v_fma_f32 v35, v34, v35, v20
	v_fma_f32 v35, v34, v35, v21
	;; [unrolled: 1-line block ×6, first 2 shown]
	v_mul_f32_e32 v34, v34, v35
	v_fmac_f32_e32 v33, v33, v34
	v_sub_f32_e32 v34, 0x3fc90fdb, v33
	v_cndmask_b32_e64 v33, v33, v34, s[8:9]
	v_sub_f32_e32 v34, 0x40490fdb, v33
	v_cmp_gt_f32_e32 vcc, 0, v11
	v_cndmask_b32_e32 v33, v33, v34, vcc
	v_cndmask_b32_e64 v34, 0, v29, s[10:11]
	v_cmp_eq_f32_e64 s[10:11], 0, v12
	v_cndmask_b32_e64 v33, v33, v34, s[10:11]
	v_cmp_class_f32_e64 s[10:11], v11, s49
	v_cndmask_b32_e32 v34, v30, v31, vcc
	s_and_b64 vcc, s[30:31], s[10:11]
	v_mul_f32_e32 v7, 0.5, v7
	v_cndmask_b32_e32 v33, v33, v34, vcc
                                        ; implicit-def: $vgpr35
                                        ; implicit-def: $vgpr34
.LBB168_196:                            ;   in Loop: Header=BB168_145 Depth=1
	s_andn2_saveexec_b64 s[28:29], s[28:29]
	s_cbranch_execz .LBB168_200
; %bb.197:                              ;   in Loop: Header=BB168_145 Depth=1
	v_and_b32_e32 v36, 0x7fff0000, v35
	v_sub_f32_e32 v7, v35, v36
	v_and_b32_e32 v40, 0xffff0000, v7
	v_and_b32_e32 v35, 0x7fff0000, v34
	v_sub_f32_e32 v42, v7, v40
	v_sub_f32_e32 v7, v34, v35
	v_and_b32_e32 v41, 0xffff0000, v7
	v_add_f32_e32 v37, v36, v36
	v_add_f32_e32 v44, v35, v35
	v_sub_f32_e32 v43, v7, v41
	v_mul_f32_e32 v7, v36, v36
	v_mul_f32_e32 v33, v35, v35
	;; [unrolled: 1-line block ×6, first 2 shown]
	v_add_f32_e32 v40, v40, v40
	v_add_f32_e32 v41, v41, v41
	v_mul_f32_e32 v38, v37, v42
	v_mul_f32_e32 v37, v44, v43
	;; [unrolled: 1-line block ×6, first 2 shown]
	s_mov_b64 s[30:31], 0
.LBB168_198:                            ;   Parent Loop BB168_145 Depth=1
                                        ; =>  This Inner Loop Header: Depth=2
	v_cmp_nlt_f32_e32 vcc, v7, v33
	v_mov_b32_e32 v44, v43
	v_cndmask_b32_e32 v43, v7, v33, vcc
	v_cmp_nlt_f32_e64 s[10:11], v43, v36
	v_cndmask_b32_e64 v45, v43, v36, s[10:11]
	v_cndmask_b32_e32 v7, v33, v7, vcc
	s_and_b64 s[56:57], vcc, s[10:11]
	v_cmp_nlt_f32_e32 vcc, v45, v35
	v_cndmask_b32_e64 v33, v36, v43, s[10:11]
	v_cndmask_b32_e32 v43, v45, v35, vcc
	v_cmp_nlt_f32_e64 s[10:11], v43, v39
	v_cndmask_b32_e32 v36, v35, v45, vcc
	v_cndmask_b32_e64 v45, v43, v39, s[10:11]
	s_and_b64 s[58:59], vcc, s[10:11]
	v_cmp_nlt_f32_e32 vcc, v45, v34
	v_cndmask_b32_e64 v35, v39, v43, s[10:11]
	v_cndmask_b32_e32 v43, v45, v34, vcc
	v_cmp_nlt_f32_e64 s[10:11], v43, v38
	v_cndmask_b32_e32 v39, v34, v45, vcc
	v_cndmask_b32_e64 v45, v43, v38, s[10:11]
	v_cndmask_b32_e64 v34, v38, v43, s[10:11]
	s_and_b64 s[10:11], vcc, s[10:11]
	v_cmp_nlt_f32_e32 vcc, v45, v37
	v_cndmask_b32_e32 v43, v45, v37, vcc
	v_cndmask_b32_e32 v38, v37, v45, vcc
	s_and_b64 s[10:11], s[10:11], vcc
	v_cmp_nlt_f32_e32 vcc, v43, v40
	v_cndmask_b32_e32 v45, v43, v40, vcc
	v_cndmask_b32_e32 v37, v40, v43, vcc
	s_and_b64 s[10:11], s[10:11], vcc
	;; [unrolled: 4-line block ×4, first 2 shown]
	v_cmp_nlt_f32_e32 vcc, v45, v44
	s_and_b64 s[10:11], s[10:11], vcc
	s_and_b64 s[10:11], s[10:11], s[58:59]
	s_and_b64 s[10:11], s[10:11], s[56:57]
	s_and_b64 s[10:11], exec, s[10:11]
	v_cndmask_b32_e32 v43, v45, v44, vcc
	s_or_b64 s[30:31], s[10:11], s[30:31]
	v_cndmask_b32_e32 v42, v44, v45, vcc
	s_andn2_b64 exec, exec, s[30:31]
	s_cbranch_execnz .LBB168_198
; %bb.199:                              ;   in Loop: Header=BB168_145 Depth=1
	s_or_b64 exec, exec, s[30:31]
	v_add_f32_e32 v7, -1.0, v7
	v_add_f32_e32 v7, v7, v33
	v_add_f32_e32 v7, v7, v36
	;; [unrolled: 1-line block ×11, first 2 shown]
	v_add_f32_e32 v35, 1.0, v7
	v_cvt_f64_f32_e32 v[33:34], v35
	v_add_f32_e32 v36, -1.0, v35
	v_sub_f32_e32 v37, v36, v35
	v_sub_f32_e32 v36, v7, v36
	v_frexp_exp_i32_f64_e32 v33, v[33:34]
	v_frexp_mant_f32_e32 v34, v35
	v_cmp_gt_f32_e32 vcc, s45, v34
	v_add_f32_e32 v37, 1.0, v37
	v_add_f32_e32 v36, v36, v37
	v_cmp_gt_i32_e64 s[10:11], 0, v11
	v_cmp_class_f32_e64 s[30:31], v12, s49
	v_subbrev_co_u32_e32 v33, vcc, 0, v33, vcc
	v_sub_u32_e32 v34, 0, v33
	v_ldexp_f32 v35, v35, v34
	v_ldexp_f32 v34, v36, v34
	v_add_f32_e32 v36, -1.0, v35
	v_add_f32_e32 v37, 1.0, v35
	v_add_f32_e32 v38, 1.0, v36
	v_add_f32_e32 v40, -1.0, v37
	v_sub_f32_e32 v38, v35, v38
	v_sub_f32_e32 v35, v35, v40
	v_add_f32_e32 v38, v34, v38
	v_add_f32_e32 v34, v34, v35
	;; [unrolled: 1-line block ×3, first 2 shown]
	v_rcp_f32_e32 v40, v35
	v_add_f32_e32 v39, v36, v38
	v_sub_f32_e32 v37, v35, v37
	v_sub_f32_e32 v36, v39, v36
	;; [unrolled: 1-line block ×3, first 2 shown]
	v_mul_f32_e32 v37, v39, v40
	v_sub_f32_e32 v36, v38, v36
	v_mul_f32_e32 v38, v35, v37
	v_fma_f32 v41, v37, v35, -v38
	v_fmac_f32_e32 v41, v37, v34
	v_add_f32_e32 v42, v38, v41
	v_sub_f32_e32 v43, v39, v42
	v_sub_f32_e32 v39, v39, v43
	;; [unrolled: 1-line block ×4, first 2 shown]
	v_add_f32_e32 v36, v36, v39
	v_sub_f32_e32 v38, v38, v41
	v_add_f32_e32 v36, v38, v36
	v_add_f32_e32 v38, v43, v36
	v_mul_f32_e32 v39, v40, v38
	v_mul_f32_e32 v41, v35, v39
	v_fma_f32 v35, v39, v35, -v41
	v_fmac_f32_e32 v35, v39, v34
	v_sub_f32_e32 v34, v43, v38
	v_add_f32_e32 v34, v36, v34
	v_add_f32_e32 v36, v41, v35
	v_sub_f32_e32 v42, v38, v36
	v_sub_f32_e32 v38, v38, v42
	;; [unrolled: 1-line block ×4, first 2 shown]
	v_add_f32_e32 v34, v34, v36
	v_sub_f32_e32 v35, v41, v35
	v_cvt_f32_i32_e32 v33, v33
	v_add_f32_e32 v34, v35, v34
	v_add_f32_e32 v35, v37, v39
	;; [unrolled: 1-line block ×3, first 2 shown]
	v_sub_f32_e32 v36, v35, v37
	v_mul_f32_e32 v34, v40, v34
	v_sub_f32_e32 v36, v39, v36
	v_add_f32_e32 v34, v36, v34
	v_mul_f32_e32 v39, 0x3f317218, v33
	v_add_f32_e32 v36, v35, v34
	v_fma_f32 v40, v33, s46, -v39
	v_mul_f32_e32 v37, v36, v36
	v_mov_b32_e32 v38, 0x3ecc95a3
	v_fmac_f32_e32 v40, 0xb102e308, v33
	v_sub_f32_e32 v33, v36, v35
	v_fmac_f32_e32 v38, 0x3e9b6dac, v37
	v_sub_f32_e32 v33, v34, v33
	v_add_f32_e32 v34, v39, v40
	v_fma_f32 v38, v37, v38, v19
	v_sub_f32_e32 v35, v34, v39
	v_ldexp_f32 v39, v36, 1
	v_mul_f32_e32 v36, v36, v37
	v_mul_f32_e32 v36, v36, v38
	v_add_f32_e32 v37, v39, v36
	v_sub_f32_e32 v38, v37, v39
	v_ldexp_f32 v33, v33, 1
	v_sub_f32_e32 v36, v36, v38
	v_add_f32_e32 v33, v33, v36
	v_add_f32_e32 v36, v37, v33
	v_sub_f32_e32 v37, v36, v37
	v_sub_f32_e32 v33, v33, v37
	v_add_f32_e32 v37, v34, v36
	v_sub_f32_e32 v38, v37, v34
	v_sub_f32_e32 v39, v37, v38
	;; [unrolled: 1-line block ×5, first 2 shown]
	v_add_f32_e32 v34, v36, v34
	v_add_f32_e32 v36, v35, v33
	v_sub_f32_e32 v38, v36, v35
	v_sub_f32_e32 v39, v36, v38
	;; [unrolled: 1-line block ×4, first 2 shown]
	v_add_f32_e32 v34, v36, v34
	v_add_f32_e32 v33, v33, v35
	;; [unrolled: 1-line block ×3, first 2 shown]
	v_sub_f32_e32 v36, v35, v37
	v_sub_f32_e32 v34, v34, v36
	v_add_f32_e32 v33, v33, v34
	v_add_f32_e32 v33, v35, v33
	v_cmp_neq_f32_e32 vcc, s47, v7
	v_cndmask_b32_e32 v33, v26, v33, vcc
	v_cmp_ngt_f32_e32 vcc, -1.0, v7
	v_cndmask_b32_e32 v33, v27, v33, vcc
	v_cmp_neq_f32_e32 vcc, -1.0, v7
	v_cndmask_b32_e32 v33, v28, v33, vcc
	v_cmp_lt_f32_e64 vcc, |v7|, s48
	v_cndmask_b32_e32 v7, v33, v7, vcc
	v_max_f32_e64 v33, |v12|, |v12|
	v_max_f32_e64 v34, |v11|, |v11|
	v_min_f32_e32 v35, v34, v33
	v_max_f32_e32 v33, v34, v33
	v_frexp_mant_f32_e32 v34, v33
	v_rcp_f32_e32 v34, v34
	v_frexp_exp_i32_f32_e32 v33, v33
	v_frexp_exp_i32_f32_e32 v36, v35
	v_frexp_mant_f32_e32 v35, v35
	v_mul_f32_e32 v34, v35, v34
	v_sub_u32_e32 v33, v36, v33
	v_ldexp_f32 v33, v34, v33
	v_mul_f32_e32 v34, v33, v33
	v_mov_b32_e32 v35, 0xbc7a590c
	v_fmac_f32_e32 v35, 0x3b2d2a58, v34
	v_fma_f32 v35, v34, v35, v20
	v_fma_f32 v35, v34, v35, v21
	v_fma_f32 v35, v34, v35, v22
	v_fma_f32 v35, v34, v35, v23
	v_fma_f32 v35, v34, v35, v24
	v_fma_f32 v35, v34, v35, v25
	v_mul_f32_e32 v34, v34, v35
	v_fmac_f32_e32 v33, v33, v34
	v_sub_f32_e32 v34, 0x3fc90fdb, v33
	v_cndmask_b32_e64 v33, v33, v34, s[8:9]
	v_sub_f32_e32 v34, 0x40490fdb, v33
	v_cmp_gt_f32_e32 vcc, 0, v11
	v_cndmask_b32_e32 v33, v33, v34, vcc
	v_cndmask_b32_e64 v34, 0, v29, s[10:11]
	v_cmp_eq_f32_e64 s[10:11], 0, v12
	v_cndmask_b32_e64 v33, v33, v34, s[10:11]
	v_cmp_class_f32_e64 s[10:11], v11, s49
	v_cndmask_b32_e32 v34, v30, v31, vcc
	s_and_b64 vcc, s[30:31], s[10:11]
	v_mul_f32_e32 v7, 0.5, v7
	v_cndmask_b32_e32 v33, v33, v34, vcc
.LBB168_200:                            ;   in Loop: Header=BB168_145 Depth=1
	s_or_b64 exec, exec, s[28:29]
.LBB168_201:                            ;   in Loop: Header=BB168_145 Depth=1
	s_or_b64 exec, exec, s[26:27]
.LBB168_202:                            ;   in Loop: Header=BB168_145 Depth=1
	s_andn2_saveexec_b64 s[24:25], s[24:25]
	s_cbranch_execz .LBB168_204
; %bb.203:                              ;   in Loop: Header=BB168_145 Depth=1
	v_max_f32_e64 v7, |v12|, |v12|
	v_max_f32_e64 v35, |v11|, |v11|
	v_max_f32_e32 v36, v35, v7
	v_cvt_f64_f32_e32 v[33:34], v36
	v_min_f32_e32 v7, v35, v7
	v_frexp_mant_f32_e32 v35, v36
	v_rcp_f32_e32 v35, v35
	v_frexp_exp_i32_f64_e32 v33, v[33:34]
	v_cmp_neq_f32_e32 vcc, s47, v36
	v_frexp_exp_i32_f32_e32 v37, v7
	v_frexp_mant_f32_e32 v7, v7
	v_mul_f32_e32 v7, v7, v35
	v_frexp_exp_i32_f32_e32 v34, v36
	v_sub_u32_e32 v34, v37, v34
	v_ldexp_f32 v34, v7, v34
	v_sub_u32_e32 v38, 0, v33
	v_ldexp_f32 v39, |v11|, v38
	v_ldexp_f32 v38, |v12|, v38
	v_mul_f32_e32 v38, v38, v38
	v_fmac_f32_e32 v38, v39, v39
	v_sqrt_f32_e32 v38, v38
	v_cmp_gt_i32_e64 s[10:11], 0, v11
	v_cmp_class_f32_e64 s[26:27], v12, s49
	v_ldexp_f32 v33, v38, v33
	v_cndmask_b32_e32 v33, v26, v33, vcc
	v_cmp_gt_f32_e32 vcc, s51, v33
	v_cndmask_b32_e64 v35, 0, 32, vcc
	v_ldexp_f32 v33, v33, v35
	v_log_f32_e32 v33, v33
	v_cndmask_b32_e32 v7, 0, v32, vcc
	v_mul_f32_e32 v35, v34, v34
	v_mul_f32_e32 v36, 0x3f317217, v33
	v_fma_f32 v36, v33, s52, -v36
	v_fmac_f32_e32 v36, 0x3377d1cf, v33
	v_fmac_f32_e32 v36, 0x3f317217, v33
	v_cmp_lt_f32_e64 vcc, |v33|, s47
	v_cndmask_b32_e32 v33, v33, v36, vcc
	v_sub_f32_e32 v7, v33, v7
	v_mov_b32_e32 v33, 0xbc7a590c
	v_fmac_f32_e32 v33, 0x3b2d2a58, v35
	v_fma_f32 v33, v35, v33, v20
	v_fma_f32 v33, v35, v33, v21
	;; [unrolled: 1-line block ×6, first 2 shown]
	v_mul_f32_e32 v33, v35, v33
	v_fmac_f32_e32 v34, v34, v33
	v_sub_f32_e32 v33, 0x3fc90fdb, v34
	v_cndmask_b32_e64 v33, v34, v33, s[8:9]
	v_sub_f32_e32 v34, 0x40490fdb, v33
	v_cmp_gt_f32_e32 vcc, 0, v11
	v_cndmask_b32_e32 v33, v33, v34, vcc
	v_cndmask_b32_e64 v34, 0, v29, s[10:11]
	v_cmp_eq_f32_e64 s[10:11], 0, v12
	v_cndmask_b32_e64 v33, v33, v34, s[10:11]
	v_cmp_class_f32_e64 s[10:11], v11, s49
	v_cndmask_b32_e32 v34, v30, v31, vcc
	s_and_b64 vcc, s[26:27], s[10:11]
	v_cndmask_b32_e32 v33, v33, v34, vcc
.LBB168_204:                            ;   in Loop: Header=BB168_145 Depth=1
	s_or_b64 exec, exec, s[24:25]
                                        ; implicit-def: $vgpr34
.LBB168_205:                            ;   in Loop: Header=BB168_145 Depth=1
	s_andn2_saveexec_b64 s[22:23], s[22:23]
	s_cbranch_execz .LBB168_211
; %bb.206:                              ;   in Loop: Header=BB168_145 Depth=1
	v_cmp_ngt_f32_e32 vcc, s53, v34
                                        ; implicit-def: $vgpr7
                                        ; implicit-def: $vgpr33
	s_and_saveexec_b64 s[10:11], vcc
	s_xor_b64 s[24:25], exec, s[10:11]
	s_cbranch_execz .LBB168_208
; %bb.207:                              ;   in Loop: Header=BB168_145 Depth=1
	v_mul_f32_e32 v7, v34, v34
	v_add_f32_e32 v35, 1.0, v7
	v_cvt_f64_f32_e32 v[33:34], v35
	v_add_f32_e32 v36, -1.0, v35
	v_sub_f32_e32 v37, v36, v35
	v_sub_f32_e32 v36, v7, v36
	v_frexp_exp_i32_f64_e32 v33, v[33:34]
	v_frexp_mant_f32_e32 v34, v35
	v_cmp_gt_f32_e32 vcc, s45, v34
	v_add_f32_e32 v37, 1.0, v37
	v_add_f32_e32 v36, v36, v37
	v_cmp_gt_i32_e64 s[10:11], 0, v11
	v_cmp_class_f32_e64 s[26:27], v12, s49
	v_subbrev_co_u32_e32 v33, vcc, 0, v33, vcc
	v_sub_u32_e32 v34, 0, v33
	v_ldexp_f32 v35, v35, v34
	v_ldexp_f32 v34, v36, v34
	v_add_f32_e32 v36, -1.0, v35
	v_add_f32_e32 v37, 1.0, v35
	v_add_f32_e32 v38, 1.0, v36
	v_add_f32_e32 v40, -1.0, v37
	v_sub_f32_e32 v38, v35, v38
	v_sub_f32_e32 v35, v35, v40
	v_add_f32_e32 v38, v34, v38
	v_add_f32_e32 v34, v34, v35
	v_add_f32_e32 v35, v37, v34
	v_rcp_f32_e32 v40, v35
	v_add_f32_e32 v39, v36, v38
	v_sub_f32_e32 v37, v37, v35
	v_sub_f32_e32 v36, v36, v39
	v_add_f32_e32 v34, v34, v37
	v_mul_f32_e32 v37, v39, v40
	v_add_f32_e32 v36, v38, v36
	v_mul_f32_e32 v38, v35, v37
	v_fma_f32 v41, v37, v35, -v38
	v_fmac_f32_e32 v41, v37, v34
	v_add_f32_e32 v42, v38, v41
	v_sub_f32_e32 v43, v39, v42
	v_sub_f32_e32 v39, v39, v43
	v_sub_f32_e32 v38, v42, v38
	v_sub_f32_e32 v39, v39, v42
	v_add_f32_e32 v36, v36, v39
	v_sub_f32_e32 v38, v38, v41
	v_add_f32_e32 v36, v38, v36
	v_add_f32_e32 v38, v43, v36
	v_mul_f32_e32 v39, v40, v38
	v_mul_f32_e32 v41, v35, v39
	v_fma_f32 v35, v39, v35, -v41
	v_fmac_f32_e32 v35, v39, v34
	v_sub_f32_e32 v34, v43, v38
	v_add_f32_e32 v34, v36, v34
	v_add_f32_e32 v36, v41, v35
	v_sub_f32_e32 v42, v38, v36
	v_sub_f32_e32 v38, v38, v42
	;; [unrolled: 1-line block ×4, first 2 shown]
	v_add_f32_e32 v34, v34, v36
	v_sub_f32_e32 v35, v41, v35
	v_cvt_f32_i32_e32 v33, v33
	v_add_f32_e32 v34, v35, v34
	v_add_f32_e32 v35, v37, v39
	;; [unrolled: 1-line block ×3, first 2 shown]
	v_sub_f32_e32 v36, v35, v37
	v_mul_f32_e32 v34, v40, v34
	v_sub_f32_e32 v36, v39, v36
	v_add_f32_e32 v34, v36, v34
	v_mul_f32_e32 v39, 0x3f317218, v33
	v_add_f32_e32 v36, v35, v34
	v_fma_f32 v40, v33, s46, -v39
	v_mul_f32_e32 v37, v36, v36
	v_mov_b32_e32 v38, 0x3ecc95a3
	v_fmac_f32_e32 v40, 0xb102e308, v33
	v_sub_f32_e32 v33, v36, v35
	v_fmac_f32_e32 v38, 0x3e9b6dac, v37
	v_sub_f32_e32 v33, v34, v33
	v_add_f32_e32 v34, v39, v40
	v_fma_f32 v38, v37, v38, v19
	v_sub_f32_e32 v35, v34, v39
	v_ldexp_f32 v39, v36, 1
	v_mul_f32_e32 v36, v36, v37
	v_mul_f32_e32 v36, v36, v38
	v_add_f32_e32 v37, v39, v36
	v_sub_f32_e32 v38, v37, v39
	v_ldexp_f32 v33, v33, 1
	v_sub_f32_e32 v36, v36, v38
	v_add_f32_e32 v33, v33, v36
	v_add_f32_e32 v36, v37, v33
	v_sub_f32_e32 v37, v36, v37
	v_sub_f32_e32 v33, v33, v37
	v_add_f32_e32 v37, v34, v36
	v_sub_f32_e32 v38, v37, v34
	v_sub_f32_e32 v39, v37, v38
	;; [unrolled: 1-line block ×5, first 2 shown]
	v_add_f32_e32 v34, v36, v34
	v_add_f32_e32 v36, v35, v33
	v_sub_f32_e32 v38, v36, v35
	v_sub_f32_e32 v39, v36, v38
	;; [unrolled: 1-line block ×4, first 2 shown]
	v_add_f32_e32 v34, v36, v34
	v_add_f32_e32 v33, v33, v35
	;; [unrolled: 1-line block ×3, first 2 shown]
	v_sub_f32_e32 v36, v35, v37
	v_sub_f32_e32 v34, v34, v36
	v_add_f32_e32 v33, v33, v34
	v_add_f32_e32 v33, v35, v33
	v_cmp_neq_f32_e32 vcc, s47, v7
	v_cndmask_b32_e32 v33, v26, v33, vcc
	v_cmp_lt_f32_e64 vcc, |v7|, s48
	v_cndmask_b32_e32 v7, v33, v7, vcc
	v_max_f32_e64 v33, |v12|, |v12|
	v_max_f32_e64 v34, |v11|, |v11|
	v_min_f32_e32 v35, v34, v33
	v_max_f32_e32 v33, v34, v33
	v_frexp_mant_f32_e32 v34, v33
	v_rcp_f32_e32 v34, v34
	v_frexp_exp_i32_f32_e32 v33, v33
	v_frexp_exp_i32_f32_e32 v36, v35
	v_frexp_mant_f32_e32 v35, v35
	v_mul_f32_e32 v34, v35, v34
	v_sub_u32_e32 v33, v36, v33
	v_ldexp_f32 v33, v34, v33
	v_mul_f32_e32 v34, v33, v33
	v_mov_b32_e32 v35, 0xbc7a590c
	v_fmac_f32_e32 v35, 0x3b2d2a58, v34
	v_fma_f32 v35, v34, v35, v20
	v_fma_f32 v35, v34, v35, v21
	;; [unrolled: 1-line block ×6, first 2 shown]
	v_mul_f32_e32 v34, v34, v35
	v_fmac_f32_e32 v33, v33, v34
	v_sub_f32_e32 v34, 0x3fc90fdb, v33
	v_cndmask_b32_e64 v33, v33, v34, s[8:9]
	v_sub_f32_e32 v34, 0x40490fdb, v33
	v_cmp_gt_f32_e32 vcc, 0, v11
	v_cndmask_b32_e32 v33, v33, v34, vcc
	v_cndmask_b32_e64 v34, 0, v29, s[10:11]
	v_cmp_eq_f32_e64 s[10:11], 0, v12
	v_cndmask_b32_e64 v33, v33, v34, s[10:11]
	v_cmp_class_f32_e64 s[10:11], v11, s49
	v_cndmask_b32_e32 v34, v30, v31, vcc
	s_and_b64 vcc, s[26:27], s[10:11]
	v_mul_f32_e32 v7, 0.5, v7
	v_cndmask_b32_e32 v33, v33, v34, vcc
                                        ; implicit-def: $vgpr34
.LBB168_208:                            ;   in Loop: Header=BB168_145 Depth=1
	s_andn2_saveexec_b64 s[24:25], s[24:25]
	s_cbranch_execz .LBB168_210
; %bb.209:                              ;   in Loop: Header=BB168_145 Depth=1
	v_mul_f32_e32 v7, 0.5, v34
	v_mul_f32_e32 v7, v34, v7
	v_max_f32_e64 v33, |v12|, |v12|
	v_max_f32_e64 v34, |v11|, |v11|
	v_min_f32_e32 v35, v34, v33
	v_max_f32_e32 v33, v34, v33
	v_frexp_mant_f32_e32 v34, v33
	v_rcp_f32_e32 v34, v34
	v_frexp_exp_i32_f32_e32 v33, v33
	v_frexp_exp_i32_f32_e32 v36, v35
	v_frexp_mant_f32_e32 v35, v35
	v_mul_f32_e32 v34, v35, v34
	v_sub_u32_e32 v33, v36, v33
	v_ldexp_f32 v33, v34, v33
	v_mul_f32_e32 v34, v33, v33
	v_mov_b32_e32 v35, 0xbc7a590c
	v_fmac_f32_e32 v35, 0x3b2d2a58, v34
	v_fma_f32 v35, v34, v35, v20
	v_fma_f32 v35, v34, v35, v21
	;; [unrolled: 1-line block ×6, first 2 shown]
	v_mul_f32_e32 v34, v34, v35
	v_fmac_f32_e32 v33, v33, v34
	v_sub_f32_e32 v34, 0x3fc90fdb, v33
	v_cndmask_b32_e64 v33, v33, v34, s[8:9]
	v_sub_f32_e32 v34, 0x40490fdb, v33
	v_cmp_gt_f32_e32 vcc, 0, v11
	v_cmp_gt_i32_e64 s[10:11], 0, v11
	v_cndmask_b32_e32 v33, v33, v34, vcc
	v_cndmask_b32_e64 v34, 0, v29, s[10:11]
	v_cmp_eq_f32_e64 s[10:11], 0, v12
	v_cndmask_b32_e64 v33, v33, v34, s[10:11]
	v_cmp_class_f32_e64 s[10:11], v11, s49
	v_cmp_class_f32_e64 s[26:27], v12, s49
	v_cndmask_b32_e32 v34, v30, v31, vcc
	s_and_b64 vcc, s[26:27], s[10:11]
	v_cndmask_b32_e32 v33, v33, v34, vcc
.LBB168_210:                            ;   in Loop: Header=BB168_145 Depth=1
	s_or_b64 exec, exec, s[24:25]
.LBB168_211:                            ;   in Loop: Header=BB168_145 Depth=1
	s_or_b64 exec, exec, s[22:23]
.LBB168_212:                            ;   in Loop: Header=BB168_145 Depth=1
	s_andn2_saveexec_b64 s[20:21], s[20:21]
	s_cbranch_execz .LBB168_214
; %bb.213:                              ;   in Loop: Header=BB168_145 Depth=1
	v_div_scale_f32 v7, s[10:11], s54, s54, v11
	v_div_scale_f32 v33, s[10:11], s54, s54, v12
	v_div_scale_f32 v34, vcc, v11, s54, v11
	v_div_scale_f32 v35, s[10:11], v12, s54, v12
	v_rcp_f32_e32 v36, v7
	v_rcp_f32_e32 v37, v33
	v_fma_f32 v38, -v7, v36, 1.0
	v_fmac_f32_e32 v36, v38, v36
	v_fma_f32 v39, -v33, v37, 1.0
	v_fmac_f32_e32 v37, v39, v37
	v_mul_f32_e32 v38, v34, v36
	v_mul_f32_e32 v39, v35, v37
	v_fma_f32 v40, -v7, v38, v34
	v_fma_f32 v41, -v33, v39, v35
	v_fmac_f32_e32 v38, v40, v36
	v_fmac_f32_e32 v39, v41, v37
	v_fma_f32 v7, -v7, v38, v34
	v_fma_f32 v33, -v33, v39, v35
	v_div_fmas_f32 v7, v7, v36, v38
	s_mov_b64 vcc, s[10:11]
	v_div_fmas_f32 v33, v33, v37, v39
	v_max_f32_e64 v34, |v12|, |v12|
	v_max_f32_e64 v35, |v11|, |v11|
	v_min_f32_e32 v37, v35, v34
	v_max_f32_e32 v34, v35, v34
	v_frexp_exp_i32_f32_e32 v35, v34
	v_frexp_exp_i32_f32_e32 v38, v37
	v_sub_u32_e32 v35, v38, v35
	v_frexp_mant_f32_e32 v34, v34
	v_rcp_f32_e32 v39, v34
	v_frexp_mant_f32_e32 v37, v37
	v_mov_b32_e32 v36, 0xbc7a590c
	v_cmp_class_f32_e64 s[10:11], v12, s49
	v_mul_f32_e32 v37, v37, v39
	v_div_fixup_f32 v7, v7, s54, v11
	v_ldexp_f32 v35, v37, v35
	v_div_fixup_f32 v38, v33, s54, v12
	v_max_f32_e64 v40, |v7|, |v38|
	v_cvt_f64_f32_e32 v[33:34], v40
	v_mul_f32_e32 v37, v35, v35
	v_fmac_f32_e32 v36, 0x3b2d2a58, v37
	v_cmp_neq_f32_e32 vcc, s47, v40
	v_frexp_exp_i32_f64_e32 v33, v[33:34]
	v_fma_f32 v34, v37, v36, v20
	v_fma_f32 v34, v37, v34, v21
	;; [unrolled: 1-line block ×6, first 2 shown]
	v_mul_f32_e32 v34, v37, v34
	v_sub_u32_e32 v36, 0, v33
	v_ldexp_f32 v7, |v7|, v36
	v_ldexp_f32 v36, |v38|, v36
	v_mul_f32_e32 v36, v36, v36
	v_fmac_f32_e32 v36, v7, v7
	v_sqrt_f32_e32 v7, v36
	v_fmac_f32_e32 v35, v35, v34
	v_sub_f32_e32 v34, 0x3fc90fdb, v35
	v_ldexp_f32 v7, v7, v33
	v_cndmask_b32_e32 v7, v26, v7, vcc
	v_cmp_gt_f32_e32 vcc, s51, v7
	v_cndmask_b32_e64 v33, 0, 32, vcc
	v_ldexp_f32 v7, v7, v33
	v_log_f32_e32 v7, v7
	v_cndmask_b32_e64 v33, v35, v34, s[8:9]
	v_cndmask_b32_e32 v35, 0, v32, vcc
	v_sub_f32_e32 v34, 0x40490fdb, v33
	v_mul_f32_e32 v36, 0x3f317217, v7
	v_fma_f32 v36, v7, s52, -v36
	v_fmac_f32_e32 v36, 0x3377d1cf, v7
	v_fmac_f32_e32 v36, 0x3f317217, v7
	v_cmp_lt_f32_e64 vcc, |v7|, s47
	v_cndmask_b32_e32 v7, v7, v36, vcc
	v_cmp_gt_f32_e32 vcc, 0, v11
	v_cmp_gt_i32_e64 s[8:9], 0, v11
	v_cndmask_b32_e32 v33, v33, v34, vcc
	v_cndmask_b32_e64 v34, 0, v29, s[8:9]
	v_cmp_eq_f32_e64 s[8:9], 0, v12
	v_cndmask_b32_e64 v33, v33, v34, s[8:9]
	v_cmp_class_f32_e64 s[8:9], v11, s49
	v_sub_f32_e32 v7, v7, v35
	v_cndmask_b32_e32 v34, v30, v31, vcc
	s_and_b64 vcc, s[10:11], s[8:9]
	v_add_f32_e32 v7, 1.0, v7
	v_cndmask_b32_e32 v33, v33, v34, vcc
.LBB168_214:                            ;   in Loop: Header=BB168_145 Depth=1
	s_or_b64 exec, exec, s[20:21]
.LBB168_215:                            ;   in Loop: Header=BB168_145 Depth=1
	s_andn2_saveexec_b64 s[8:9], s[18:19]
	s_cbranch_execz .LBB168_221
; %bb.216:                              ;   in Loop: Header=BB168_145 Depth=1
	v_cmp_nlt_f32_e64 s[10:11], |v11|, s55
	v_cmp_nlt_f32_e64 s[18:19], |v12|, s55
	s_or_b64 s[10:11], s[18:19], s[10:11]
                                        ; implicit-def: $vgpr7
	s_and_saveexec_b64 s[18:19], s[10:11]
	s_xor_b64 s[10:11], exec, s[18:19]
; %bb.217:                              ;   in Loop: Header=BB168_145 Depth=1
	v_mul_f32_e32 v7, v11, v11
	v_fmac_f32_e32 v7, v12, v12
; %bb.218:                              ;   in Loop: Header=BB168_145 Depth=1
	s_andn2_saveexec_b64 s[10:11], s[10:11]
; %bb.219:                              ;   in Loop: Header=BB168_145 Depth=1
	v_mul_f32_e32 v7, 4.0, v11
	v_mul_f32_e32 v11, 4.0, v12
	v_mul_f32_e32 v7, v7, v7
	v_fmac_f32_e32 v7, v11, v11
	v_mul_f32_e32 v7, 0x3d800000, v7
; %bb.220:                              ;   in Loop: Header=BB168_145 Depth=1
	s_or_b64 exec, exec, s[10:11]
	v_cmp_gt_f32_e32 vcc, s51, v7
	v_cndmask_b32_e64 v11, 0, 32, vcc
	v_ldexp_f32 v7, v7, v11
	v_log_f32_e32 v7, v7
	v_cndmask_b32_e32 v11, 0, v32, vcc
	v_mul_f32_e32 v33, 0x3f317217, v7
	v_fma_f32 v33, v7, s52, -v33
	v_fmac_f32_e32 v33, 0x3377d1cf, v7
	v_fmac_f32_e32 v33, 0x3f317217, v7
	v_cmp_lt_f32_e64 vcc, |v7|, s47
	v_cndmask_b32_e32 v7, v7, v33, vcc
	v_sub_f32_e32 v7, v7, v11
	v_mov_b32_e32 v33, 0x7fc00000
.LBB168_221:                            ;   in Loop: Header=BB168_145 Depth=1
	s_or_b64 exec, exec, s[8:9]
	v_cmp_o_f32_e32 vcc, v4, v3
                                        ; implicit-def: $vgpr11
                                        ; implicit-def: $vgpr34
	s_and_saveexec_b64 s[8:9], vcc
	s_xor_b64 s[18:19], exec, s[8:9]
	s_cbranch_execz .LBB168_249
; %bb.222:                              ;   in Loop: Header=BB168_145 Depth=1
	v_cmp_lt_f32_e64 s[8:9], |v3|, |v4|
	v_cndmask_b32_e64 v35, |v4|, |v3|, s[8:9]
	v_cmp_nlt_f32_e32 vcc, s42, v35
                                        ; implicit-def: $vgpr11
                                        ; implicit-def: $vgpr34
	s_and_saveexec_b64 s[10:11], vcc
	s_xor_b64 s[20:21], exec, s[10:11]
	s_cbranch_execz .LBB168_246
; %bb.223:                              ;   in Loop: Header=BB168_145 Depth=1
	v_and_b32_e32 v11, 0x7fffffff, v4
	v_cndmask_b32_e64 v36, |v3|, v11, s[8:9]
	v_cmp_neq_f32_e32 vcc, 1.0, v36
                                        ; implicit-def: $vgpr11
                                        ; implicit-def: $vgpr34
	s_and_saveexec_b64 s[10:11], vcc
	s_xor_b64 s[22:23], exec, s[10:11]
	s_cbranch_execz .LBB168_239
; %bb.224:                              ;   in Loop: Header=BB168_145 Depth=1
	v_max_f32_e32 v11, v35, v35
	v_max_f32_e32 v34, v36, v36
	v_min_f32_e32 v37, v34, v11
	v_max_f32_e32 v11, v34, v11
	v_cmp_ngt_f32_e32 vcc, s43, v37
	v_cmp_nlt_f32_e64 s[10:11], s44, v11
	s_and_b64 s[10:11], s[10:11], vcc
                                        ; implicit-def: $vgpr11
                                        ; implicit-def: $vgpr34
	s_and_saveexec_b64 s[24:25], s[10:11]
	s_xor_b64 s[24:25], exec, s[24:25]
	s_cbranch_execz .LBB168_236
; %bb.225:                              ;   in Loop: Header=BB168_145 Depth=1
	v_cmp_le_f32_e32 vcc, 1.0, v36
                                        ; implicit-def: $vgpr11
                                        ; implicit-def: $vgpr34
	s_and_saveexec_b64 s[10:11], vcc
	s_xor_b64 s[26:27], exec, s[10:11]
	s_cbranch_execz .LBB168_227
; %bb.226:                              ;   in Loop: Header=BB168_145 Depth=1
	v_add_f32_e32 v11, -1.0, v36
	v_add_f32_e32 v34, 1.0, v36
	v_mul_f32_e32 v11, v11, v34
	v_fmac_f32_e32 v11, v35, v35
	v_add_f32_e32 v36, 1.0, v11
	v_cvt_f64_f32_e32 v[34:35], v36
	v_add_f32_e32 v37, -1.0, v36
	v_sub_f32_e32 v38, v37, v36
	v_sub_f32_e32 v37, v11, v37
	v_frexp_exp_i32_f64_e32 v34, v[34:35]
	v_frexp_mant_f32_e32 v35, v36
	v_cmp_gt_f32_e32 vcc, s45, v35
	v_add_f32_e32 v38, 1.0, v38
	v_add_f32_e32 v37, v37, v38
	v_cmp_gt_i32_e64 s[10:11], 0, v3
	v_cmp_class_f32_e64 s[28:29], v4, s49
	v_subbrev_co_u32_e32 v34, vcc, 0, v34, vcc
	v_sub_u32_e32 v35, 0, v34
	v_ldexp_f32 v36, v36, v35
	v_ldexp_f32 v35, v37, v35
	v_add_f32_e32 v37, -1.0, v36
	v_add_f32_e32 v40, 1.0, v36
	v_add_f32_e32 v38, 1.0, v37
	v_add_f32_e32 v41, -1.0, v40
	v_sub_f32_e32 v38, v36, v38
	v_sub_f32_e32 v36, v36, v41
	v_add_f32_e32 v38, v35, v38
	v_add_f32_e32 v35, v35, v36
	;; [unrolled: 1-line block ×3, first 2 shown]
	v_rcp_f32_e32 v41, v36
	v_add_f32_e32 v39, v37, v38
	v_sub_f32_e32 v37, v39, v37
	v_sub_f32_e32 v37, v38, v37
	;; [unrolled: 1-line block ×4, first 2 shown]
	v_mul_f32_e32 v38, v39, v41
	v_mul_f32_e32 v40, v36, v38
	v_fma_f32 v42, v38, v36, -v40
	v_fmac_f32_e32 v42, v38, v35
	v_add_f32_e32 v43, v40, v42
	v_sub_f32_e32 v44, v39, v43
	v_sub_f32_e32 v39, v39, v44
	;; [unrolled: 1-line block ×4, first 2 shown]
	v_add_f32_e32 v37, v37, v39
	v_sub_f32_e32 v39, v40, v42
	v_add_f32_e32 v37, v39, v37
	v_add_f32_e32 v39, v44, v37
	v_mul_f32_e32 v40, v41, v39
	v_mul_f32_e32 v42, v36, v40
	v_fma_f32 v36, v40, v36, -v42
	v_fmac_f32_e32 v36, v40, v35
	v_sub_f32_e32 v35, v44, v39
	v_add_f32_e32 v35, v37, v35
	v_add_f32_e32 v37, v42, v36
	v_sub_f32_e32 v43, v39, v37
	v_sub_f32_e32 v39, v39, v43
	;; [unrolled: 1-line block ×4, first 2 shown]
	v_add_f32_e32 v35, v35, v37
	v_sub_f32_e32 v36, v42, v36
	v_cvt_f32_i32_e32 v34, v34
	v_add_f32_e32 v35, v36, v35
	v_add_f32_e32 v36, v38, v40
	;; [unrolled: 1-line block ×3, first 2 shown]
	v_sub_f32_e32 v37, v36, v38
	v_mul_f32_e32 v35, v41, v35
	v_sub_f32_e32 v37, v40, v37
	v_add_f32_e32 v35, v37, v35
	v_mul_f32_e32 v40, 0x3f317218, v34
	v_add_f32_e32 v37, v36, v35
	v_fma_f32 v41, v34, s46, -v40
	v_mul_f32_e32 v38, v37, v37
	v_mov_b32_e32 v39, 0x3ecc95a3
	v_fmac_f32_e32 v41, 0xb102e308, v34
	v_sub_f32_e32 v34, v37, v36
	v_fmac_f32_e32 v39, 0x3e9b6dac, v38
	v_sub_f32_e32 v34, v35, v34
	v_add_f32_e32 v35, v40, v41
	v_fma_f32 v39, v38, v39, v19
	v_sub_f32_e32 v36, v35, v40
	v_ldexp_f32 v40, v37, 1
	v_mul_f32_e32 v37, v37, v38
	v_mul_f32_e32 v37, v37, v39
	v_add_f32_e32 v38, v40, v37
	v_sub_f32_e32 v39, v38, v40
	v_ldexp_f32 v34, v34, 1
	v_sub_f32_e32 v37, v37, v39
	v_add_f32_e32 v34, v34, v37
	v_add_f32_e32 v37, v38, v34
	v_sub_f32_e32 v38, v37, v38
	v_sub_f32_e32 v34, v34, v38
	v_add_f32_e32 v38, v35, v37
	v_sub_f32_e32 v39, v38, v35
	v_sub_f32_e32 v40, v38, v39
	;; [unrolled: 1-line block ×5, first 2 shown]
	v_add_f32_e32 v35, v37, v35
	v_add_f32_e32 v37, v36, v34
	v_sub_f32_e32 v39, v37, v36
	v_sub_f32_e32 v40, v37, v39
	;; [unrolled: 1-line block ×4, first 2 shown]
	v_add_f32_e32 v35, v37, v35
	v_add_f32_e32 v34, v34, v36
	;; [unrolled: 1-line block ×3, first 2 shown]
	v_sub_f32_e32 v37, v36, v38
	v_sub_f32_e32 v35, v35, v37
	v_add_f32_e32 v34, v34, v35
	v_add_f32_e32 v34, v36, v34
	v_cmp_neq_f32_e32 vcc, s47, v11
	v_cndmask_b32_e32 v34, v26, v34, vcc
	v_cmp_ngt_f32_e32 vcc, -1.0, v11
	v_cndmask_b32_e32 v34, v27, v34, vcc
	v_cmp_neq_f32_e32 vcc, -1.0, v11
	v_cndmask_b32_e32 v34, v28, v34, vcc
	v_cmp_lt_f32_e64 vcc, |v11|, s48
	v_cndmask_b32_e32 v11, v34, v11, vcc
	v_max_f32_e64 v34, |v4|, |v4|
	v_max_f32_e64 v35, |v3|, |v3|
	v_min_f32_e32 v36, v35, v34
	v_max_f32_e32 v34, v35, v34
	v_frexp_mant_f32_e32 v35, v34
	v_rcp_f32_e32 v35, v35
	v_frexp_exp_i32_f32_e32 v34, v34
	v_frexp_exp_i32_f32_e32 v37, v36
	v_frexp_mant_f32_e32 v36, v36
	v_mul_f32_e32 v35, v36, v35
	v_sub_u32_e32 v34, v37, v34
	v_ldexp_f32 v34, v35, v34
	v_mul_f32_e32 v35, v34, v34
	v_mov_b32_e32 v36, 0xbc7a590c
	v_fmac_f32_e32 v36, 0x3b2d2a58, v35
	v_fma_f32 v36, v35, v36, v20
	v_fma_f32 v36, v35, v36, v21
	;; [unrolled: 1-line block ×6, first 2 shown]
	v_mul_f32_e32 v35, v35, v36
	v_fmac_f32_e32 v34, v34, v35
	v_sub_f32_e32 v35, 0x3fc90fdb, v34
	v_cndmask_b32_e64 v34, v34, v35, s[8:9]
	v_sub_f32_e32 v35, 0x40490fdb, v34
	v_cmp_gt_f32_e32 vcc, 0, v3
	v_cndmask_b32_e32 v34, v34, v35, vcc
	v_cndmask_b32_e64 v35, 0, v29, s[10:11]
	v_cmp_eq_f32_e64 s[10:11], 0, v4
	v_cndmask_b32_e64 v34, v34, v35, s[10:11]
	v_cmp_class_f32_e64 s[10:11], v3, s49
	v_cndmask_b32_e32 v35, v30, v31, vcc
	s_and_b64 vcc, s[28:29], s[10:11]
	v_mul_f32_e32 v11, 0.5, v11
	v_cndmask_b32_e32 v34, v34, v35, vcc
                                        ; implicit-def: $vgpr35
                                        ; implicit-def: $vgpr36
.LBB168_227:                            ;   in Loop: Header=BB168_145 Depth=1
	s_andn2_saveexec_b64 s[26:27], s[26:27]
	s_cbranch_execz .LBB168_235
; %bb.228:                              ;   in Loop: Header=BB168_145 Depth=1
	v_mul_f32_e32 v37, v35, v35
	v_fmac_f32_e32 v37, v36, v36
	v_cmp_ge_f32_e32 vcc, s50, v37
                                        ; implicit-def: $vgpr11
                                        ; implicit-def: $vgpr34
	s_and_saveexec_b64 s[10:11], vcc
	s_xor_b64 s[28:29], exec, s[10:11]
	s_cbranch_execz .LBB168_230
; %bb.229:                              ;   in Loop: Header=BB168_145 Depth=1
	v_cmp_gt_f32_e32 vcc, s51, v37
	v_cndmask_b32_e64 v11, 0, 32, vcc
	v_ldexp_f32 v11, v37, v11
	v_log_f32_e32 v11, v11
	v_cndmask_b32_e32 v34, 0, v32, vcc
	v_cmp_gt_i32_e64 s[10:11], 0, v3
	v_cmp_class_f32_e64 s[30:31], v4, s49
	v_mul_f32_e32 v35, 0x3f317217, v11
	v_fma_f32 v35, v11, s52, -v35
	v_fmac_f32_e32 v35, 0x3377d1cf, v11
	v_fmac_f32_e32 v35, 0x3f317217, v11
	v_cmp_lt_f32_e64 vcc, |v11|, s47
	v_cndmask_b32_e32 v11, v11, v35, vcc
	v_sub_f32_e32 v11, v11, v34
	v_max_f32_e64 v34, |v4|, |v4|
	v_max_f32_e64 v35, |v3|, |v3|
	v_min_f32_e32 v36, v35, v34
	v_max_f32_e32 v34, v35, v34
	v_frexp_mant_f32_e32 v35, v34
	v_rcp_f32_e32 v35, v35
	v_frexp_exp_i32_f32_e32 v34, v34
	v_frexp_exp_i32_f32_e32 v37, v36
	v_frexp_mant_f32_e32 v36, v36
	v_mul_f32_e32 v35, v36, v35
	v_sub_u32_e32 v34, v37, v34
	v_ldexp_f32 v34, v35, v34
	v_mul_f32_e32 v35, v34, v34
	v_mov_b32_e32 v36, 0xbc7a590c
	v_fmac_f32_e32 v36, 0x3b2d2a58, v35
	v_fma_f32 v36, v35, v36, v20
	v_fma_f32 v36, v35, v36, v21
	;; [unrolled: 1-line block ×6, first 2 shown]
	v_mul_f32_e32 v35, v35, v36
	v_fmac_f32_e32 v34, v34, v35
	v_sub_f32_e32 v35, 0x3fc90fdb, v34
	v_cndmask_b32_e64 v34, v34, v35, s[8:9]
	v_sub_f32_e32 v35, 0x40490fdb, v34
	v_cmp_gt_f32_e32 vcc, 0, v3
	v_cndmask_b32_e32 v34, v34, v35, vcc
	v_cndmask_b32_e64 v35, 0, v29, s[10:11]
	v_cmp_eq_f32_e64 s[10:11], 0, v4
	v_cndmask_b32_e64 v34, v34, v35, s[10:11]
	v_cmp_class_f32_e64 s[10:11], v3, s49
	v_cndmask_b32_e32 v35, v30, v31, vcc
	s_and_b64 vcc, s[30:31], s[10:11]
	v_mul_f32_e32 v11, 0.5, v11
	v_cndmask_b32_e32 v34, v34, v35, vcc
                                        ; implicit-def: $vgpr36
                                        ; implicit-def: $vgpr35
.LBB168_230:                            ;   in Loop: Header=BB168_145 Depth=1
	s_andn2_saveexec_b64 s[28:29], s[28:29]
	s_cbranch_execz .LBB168_234
; %bb.231:                              ;   in Loop: Header=BB168_145 Depth=1
	v_and_b32_e32 v37, 0x7fff0000, v36
	v_sub_f32_e32 v11, v36, v37
	v_and_b32_e32 v41, 0xffff0000, v11
	v_and_b32_e32 v36, 0x7fff0000, v35
	v_sub_f32_e32 v43, v11, v41
	v_sub_f32_e32 v11, v35, v36
	v_and_b32_e32 v42, 0xffff0000, v11
	v_add_f32_e32 v38, v37, v37
	v_add_f32_e32 v45, v36, v36
	v_sub_f32_e32 v44, v11, v42
	v_mul_f32_e32 v11, v37, v37
	v_mul_f32_e32 v34, v36, v36
	;; [unrolled: 1-line block ×6, first 2 shown]
	v_add_f32_e32 v41, v41, v41
	v_add_f32_e32 v42, v42, v42
	v_mul_f32_e32 v39, v38, v43
	v_mul_f32_e32 v38, v45, v44
	;; [unrolled: 1-line block ×6, first 2 shown]
	s_mov_b64 s[30:31], 0
.LBB168_232:                            ;   Parent Loop BB168_145 Depth=1
                                        ; =>  This Inner Loop Header: Depth=2
	v_cmp_nlt_f32_e32 vcc, v11, v34
	v_mov_b32_e32 v45, v44
	v_cndmask_b32_e32 v44, v11, v34, vcc
	v_cmp_nlt_f32_e64 s[10:11], v44, v37
	v_cndmask_b32_e64 v46, v44, v37, s[10:11]
	v_cndmask_b32_e32 v11, v34, v11, vcc
	s_and_b64 s[56:57], vcc, s[10:11]
	v_cmp_nlt_f32_e32 vcc, v46, v36
	v_cndmask_b32_e64 v34, v37, v44, s[10:11]
	v_cndmask_b32_e32 v44, v46, v36, vcc
	v_cmp_nlt_f32_e64 s[10:11], v44, v40
	v_cndmask_b32_e32 v37, v36, v46, vcc
	v_cndmask_b32_e64 v46, v44, v40, s[10:11]
	s_and_b64 s[58:59], vcc, s[10:11]
	v_cmp_nlt_f32_e32 vcc, v46, v35
	v_cndmask_b32_e64 v36, v40, v44, s[10:11]
	v_cndmask_b32_e32 v44, v46, v35, vcc
	v_cmp_nlt_f32_e64 s[10:11], v44, v39
	v_cndmask_b32_e32 v40, v35, v46, vcc
	v_cndmask_b32_e64 v46, v44, v39, s[10:11]
	v_cndmask_b32_e64 v35, v39, v44, s[10:11]
	s_and_b64 s[10:11], vcc, s[10:11]
	v_cmp_nlt_f32_e32 vcc, v46, v38
	v_cndmask_b32_e32 v44, v46, v38, vcc
	v_cndmask_b32_e32 v39, v38, v46, vcc
	s_and_b64 s[10:11], s[10:11], vcc
	v_cmp_nlt_f32_e32 vcc, v44, v41
	v_cndmask_b32_e32 v46, v44, v41, vcc
	v_cndmask_b32_e32 v38, v41, v44, vcc
	s_and_b64 s[10:11], s[10:11], vcc
	;; [unrolled: 4-line block ×4, first 2 shown]
	v_cmp_nlt_f32_e32 vcc, v46, v45
	s_and_b64 s[10:11], s[10:11], vcc
	s_and_b64 s[10:11], s[10:11], s[58:59]
	s_and_b64 s[10:11], s[10:11], s[56:57]
	s_and_b64 s[10:11], exec, s[10:11]
	v_cndmask_b32_e32 v44, v46, v45, vcc
	s_or_b64 s[30:31], s[10:11], s[30:31]
	v_cndmask_b32_e32 v43, v45, v46, vcc
	s_andn2_b64 exec, exec, s[30:31]
	s_cbranch_execnz .LBB168_232
; %bb.233:                              ;   in Loop: Header=BB168_145 Depth=1
	s_or_b64 exec, exec, s[30:31]
	v_add_f32_e32 v11, -1.0, v11
	v_add_f32_e32 v11, v11, v34
	v_add_f32_e32 v11, v11, v37
	;; [unrolled: 1-line block ×11, first 2 shown]
	v_add_f32_e32 v36, 1.0, v11
	v_cvt_f64_f32_e32 v[34:35], v36
	v_add_f32_e32 v37, -1.0, v36
	v_sub_f32_e32 v38, v37, v36
	v_sub_f32_e32 v37, v11, v37
	v_frexp_exp_i32_f64_e32 v34, v[34:35]
	v_frexp_mant_f32_e32 v35, v36
	v_cmp_gt_f32_e32 vcc, s45, v35
	v_add_f32_e32 v38, 1.0, v38
	v_add_f32_e32 v37, v37, v38
	v_cmp_gt_i32_e64 s[10:11], 0, v3
	v_cmp_class_f32_e64 s[30:31], v4, s49
	v_subbrev_co_u32_e32 v34, vcc, 0, v34, vcc
	v_sub_u32_e32 v35, 0, v34
	v_ldexp_f32 v36, v36, v35
	v_ldexp_f32 v35, v37, v35
	v_add_f32_e32 v37, -1.0, v36
	v_add_f32_e32 v38, 1.0, v36
	v_add_f32_e32 v39, 1.0, v37
	v_add_f32_e32 v41, -1.0, v38
	v_sub_f32_e32 v39, v36, v39
	v_sub_f32_e32 v36, v36, v41
	v_add_f32_e32 v39, v35, v39
	v_add_f32_e32 v35, v35, v36
	;; [unrolled: 1-line block ×3, first 2 shown]
	v_rcp_f32_e32 v41, v36
	v_add_f32_e32 v40, v37, v39
	v_sub_f32_e32 v38, v36, v38
	v_sub_f32_e32 v37, v40, v37
	;; [unrolled: 1-line block ×3, first 2 shown]
	v_mul_f32_e32 v38, v40, v41
	v_sub_f32_e32 v37, v39, v37
	v_mul_f32_e32 v39, v36, v38
	v_fma_f32 v42, v38, v36, -v39
	v_fmac_f32_e32 v42, v38, v35
	v_add_f32_e32 v43, v39, v42
	v_sub_f32_e32 v44, v40, v43
	v_sub_f32_e32 v40, v40, v44
	;; [unrolled: 1-line block ×4, first 2 shown]
	v_add_f32_e32 v37, v37, v40
	v_sub_f32_e32 v39, v39, v42
	v_add_f32_e32 v37, v39, v37
	v_add_f32_e32 v39, v44, v37
	v_mul_f32_e32 v40, v41, v39
	v_mul_f32_e32 v42, v36, v40
	v_fma_f32 v36, v40, v36, -v42
	v_fmac_f32_e32 v36, v40, v35
	v_sub_f32_e32 v35, v44, v39
	v_add_f32_e32 v35, v37, v35
	v_add_f32_e32 v37, v42, v36
	v_sub_f32_e32 v43, v39, v37
	v_sub_f32_e32 v39, v39, v43
	;; [unrolled: 1-line block ×4, first 2 shown]
	v_add_f32_e32 v35, v35, v37
	v_sub_f32_e32 v36, v42, v36
	v_cvt_f32_i32_e32 v34, v34
	v_add_f32_e32 v35, v36, v35
	v_add_f32_e32 v36, v38, v40
	;; [unrolled: 1-line block ×3, first 2 shown]
	v_sub_f32_e32 v37, v36, v38
	v_mul_f32_e32 v35, v41, v35
	v_sub_f32_e32 v37, v40, v37
	v_add_f32_e32 v35, v37, v35
	v_mul_f32_e32 v40, 0x3f317218, v34
	v_add_f32_e32 v37, v36, v35
	v_fma_f32 v41, v34, s46, -v40
	v_mul_f32_e32 v38, v37, v37
	v_mov_b32_e32 v39, 0x3ecc95a3
	v_fmac_f32_e32 v41, 0xb102e308, v34
	v_sub_f32_e32 v34, v37, v36
	v_fmac_f32_e32 v39, 0x3e9b6dac, v38
	v_sub_f32_e32 v34, v35, v34
	v_add_f32_e32 v35, v40, v41
	v_fma_f32 v39, v38, v39, v19
	v_sub_f32_e32 v36, v35, v40
	v_ldexp_f32 v40, v37, 1
	v_mul_f32_e32 v37, v37, v38
	v_mul_f32_e32 v37, v37, v39
	v_add_f32_e32 v38, v40, v37
	v_sub_f32_e32 v39, v38, v40
	v_ldexp_f32 v34, v34, 1
	v_sub_f32_e32 v37, v37, v39
	v_add_f32_e32 v34, v34, v37
	v_add_f32_e32 v37, v38, v34
	v_sub_f32_e32 v38, v37, v38
	v_sub_f32_e32 v34, v34, v38
	v_add_f32_e32 v38, v35, v37
	v_sub_f32_e32 v39, v38, v35
	v_sub_f32_e32 v40, v38, v39
	;; [unrolled: 1-line block ×5, first 2 shown]
	v_add_f32_e32 v35, v37, v35
	v_add_f32_e32 v37, v36, v34
	v_sub_f32_e32 v39, v37, v36
	v_sub_f32_e32 v40, v37, v39
	;; [unrolled: 1-line block ×4, first 2 shown]
	v_add_f32_e32 v35, v37, v35
	v_add_f32_e32 v34, v34, v36
	v_add_f32_e32 v36, v38, v35
	v_sub_f32_e32 v37, v36, v38
	v_sub_f32_e32 v35, v35, v37
	v_add_f32_e32 v34, v34, v35
	v_add_f32_e32 v34, v36, v34
	v_cmp_neq_f32_e32 vcc, s47, v11
	v_cndmask_b32_e32 v34, v26, v34, vcc
	v_cmp_ngt_f32_e32 vcc, -1.0, v11
	v_cndmask_b32_e32 v34, v27, v34, vcc
	v_cmp_neq_f32_e32 vcc, -1.0, v11
	v_cndmask_b32_e32 v34, v28, v34, vcc
	v_cmp_lt_f32_e64 vcc, |v11|, s48
	v_cndmask_b32_e32 v11, v34, v11, vcc
	v_max_f32_e64 v34, |v4|, |v4|
	v_max_f32_e64 v35, |v3|, |v3|
	v_min_f32_e32 v36, v35, v34
	v_max_f32_e32 v34, v35, v34
	v_frexp_mant_f32_e32 v35, v34
	v_rcp_f32_e32 v35, v35
	v_frexp_exp_i32_f32_e32 v34, v34
	v_frexp_exp_i32_f32_e32 v37, v36
	v_frexp_mant_f32_e32 v36, v36
	v_mul_f32_e32 v35, v36, v35
	v_sub_u32_e32 v34, v37, v34
	v_ldexp_f32 v34, v35, v34
	v_mul_f32_e32 v35, v34, v34
	v_mov_b32_e32 v36, 0xbc7a590c
	v_fmac_f32_e32 v36, 0x3b2d2a58, v35
	v_fma_f32 v36, v35, v36, v20
	v_fma_f32 v36, v35, v36, v21
	;; [unrolled: 1-line block ×6, first 2 shown]
	v_mul_f32_e32 v35, v35, v36
	v_fmac_f32_e32 v34, v34, v35
	v_sub_f32_e32 v35, 0x3fc90fdb, v34
	v_cndmask_b32_e64 v34, v34, v35, s[8:9]
	v_sub_f32_e32 v35, 0x40490fdb, v34
	v_cmp_gt_f32_e32 vcc, 0, v3
	v_cndmask_b32_e32 v34, v34, v35, vcc
	v_cndmask_b32_e64 v35, 0, v29, s[10:11]
	v_cmp_eq_f32_e64 s[10:11], 0, v4
	v_cndmask_b32_e64 v34, v34, v35, s[10:11]
	v_cmp_class_f32_e64 s[10:11], v3, s49
	v_cndmask_b32_e32 v35, v30, v31, vcc
	s_and_b64 vcc, s[30:31], s[10:11]
	v_mul_f32_e32 v11, 0.5, v11
	v_cndmask_b32_e32 v34, v34, v35, vcc
.LBB168_234:                            ;   in Loop: Header=BB168_145 Depth=1
	s_or_b64 exec, exec, s[28:29]
.LBB168_235:                            ;   in Loop: Header=BB168_145 Depth=1
	s_or_b64 exec, exec, s[26:27]
.LBB168_236:                            ;   in Loop: Header=BB168_145 Depth=1
	s_andn2_saveexec_b64 s[24:25], s[24:25]
	s_cbranch_execz .LBB168_238
; %bb.237:                              ;   in Loop: Header=BB168_145 Depth=1
	v_max_f32_e64 v11, |v4|, |v4|
	v_max_f32_e64 v36, |v3|, |v3|
	v_max_f32_e32 v37, v36, v11
	v_cvt_f64_f32_e32 v[34:35], v37
	v_min_f32_e32 v11, v36, v11
	v_frexp_mant_f32_e32 v36, v37
	v_rcp_f32_e32 v36, v36
	v_frexp_exp_i32_f64_e32 v34, v[34:35]
	v_cmp_neq_f32_e32 vcc, s47, v37
	v_frexp_exp_i32_f32_e32 v38, v11
	v_frexp_mant_f32_e32 v11, v11
	v_mul_f32_e32 v11, v11, v36
	v_frexp_exp_i32_f32_e32 v35, v37
	v_sub_u32_e32 v35, v38, v35
	v_ldexp_f32 v35, v11, v35
	v_sub_u32_e32 v39, 0, v34
	v_ldexp_f32 v40, |v3|, v39
	v_ldexp_f32 v39, |v4|, v39
	v_mul_f32_e32 v39, v39, v39
	v_fmac_f32_e32 v39, v40, v40
	v_sqrt_f32_e32 v39, v39
	v_cmp_gt_i32_e64 s[10:11], 0, v3
	v_cmp_class_f32_e64 s[26:27], v4, s49
	v_ldexp_f32 v34, v39, v34
	v_cndmask_b32_e32 v34, v26, v34, vcc
	v_cmp_gt_f32_e32 vcc, s51, v34
	v_cndmask_b32_e64 v36, 0, 32, vcc
	v_ldexp_f32 v34, v34, v36
	v_log_f32_e32 v34, v34
	v_cndmask_b32_e32 v11, 0, v32, vcc
	v_mul_f32_e32 v36, v35, v35
	v_mul_f32_e32 v37, 0x3f317217, v34
	v_fma_f32 v37, v34, s52, -v37
	v_fmac_f32_e32 v37, 0x3377d1cf, v34
	v_fmac_f32_e32 v37, 0x3f317217, v34
	v_cmp_lt_f32_e64 vcc, |v34|, s47
	v_cndmask_b32_e32 v34, v34, v37, vcc
	v_sub_f32_e32 v11, v34, v11
	v_mov_b32_e32 v34, 0xbc7a590c
	v_fmac_f32_e32 v34, 0x3b2d2a58, v36
	v_fma_f32 v34, v36, v34, v20
	v_fma_f32 v34, v36, v34, v21
	;; [unrolled: 1-line block ×6, first 2 shown]
	v_mul_f32_e32 v34, v36, v34
	v_fmac_f32_e32 v35, v35, v34
	v_sub_f32_e32 v34, 0x3fc90fdb, v35
	v_cndmask_b32_e64 v34, v35, v34, s[8:9]
	v_sub_f32_e32 v35, 0x40490fdb, v34
	v_cmp_gt_f32_e32 vcc, 0, v3
	v_cndmask_b32_e32 v34, v34, v35, vcc
	v_cndmask_b32_e64 v35, 0, v29, s[10:11]
	v_cmp_eq_f32_e64 s[10:11], 0, v4
	v_cndmask_b32_e64 v34, v34, v35, s[10:11]
	v_cmp_class_f32_e64 s[10:11], v3, s49
	v_cndmask_b32_e32 v35, v30, v31, vcc
	s_and_b64 vcc, s[26:27], s[10:11]
	v_cndmask_b32_e32 v34, v34, v35, vcc
.LBB168_238:                            ;   in Loop: Header=BB168_145 Depth=1
	s_or_b64 exec, exec, s[24:25]
                                        ; implicit-def: $vgpr35
.LBB168_239:                            ;   in Loop: Header=BB168_145 Depth=1
	s_andn2_saveexec_b64 s[22:23], s[22:23]
	s_cbranch_execz .LBB168_245
; %bb.240:                              ;   in Loop: Header=BB168_145 Depth=1
	v_cmp_ngt_f32_e32 vcc, s53, v35
                                        ; implicit-def: $vgpr11
                                        ; implicit-def: $vgpr34
	s_and_saveexec_b64 s[10:11], vcc
	s_xor_b64 s[24:25], exec, s[10:11]
	s_cbranch_execz .LBB168_242
; %bb.241:                              ;   in Loop: Header=BB168_145 Depth=1
	v_mul_f32_e32 v11, v35, v35
	v_add_f32_e32 v36, 1.0, v11
	v_cvt_f64_f32_e32 v[34:35], v36
	v_add_f32_e32 v37, -1.0, v36
	v_sub_f32_e32 v38, v37, v36
	v_sub_f32_e32 v37, v11, v37
	v_frexp_exp_i32_f64_e32 v34, v[34:35]
	v_frexp_mant_f32_e32 v35, v36
	v_cmp_gt_f32_e32 vcc, s45, v35
	v_add_f32_e32 v38, 1.0, v38
	v_add_f32_e32 v37, v37, v38
	v_cmp_gt_i32_e64 s[10:11], 0, v3
	v_cmp_class_f32_e64 s[26:27], v4, s49
	v_subbrev_co_u32_e32 v34, vcc, 0, v34, vcc
	v_sub_u32_e32 v35, 0, v34
	v_ldexp_f32 v36, v36, v35
	v_ldexp_f32 v35, v37, v35
	v_add_f32_e32 v37, -1.0, v36
	v_add_f32_e32 v38, 1.0, v36
	v_add_f32_e32 v39, 1.0, v37
	v_add_f32_e32 v41, -1.0, v38
	v_sub_f32_e32 v39, v36, v39
	v_sub_f32_e32 v36, v36, v41
	v_add_f32_e32 v39, v35, v39
	v_add_f32_e32 v35, v35, v36
	v_add_f32_e32 v36, v38, v35
	v_rcp_f32_e32 v41, v36
	v_add_f32_e32 v40, v37, v39
	v_sub_f32_e32 v38, v38, v36
	v_sub_f32_e32 v37, v37, v40
	v_add_f32_e32 v35, v35, v38
	v_mul_f32_e32 v38, v40, v41
	v_add_f32_e32 v37, v39, v37
	v_mul_f32_e32 v39, v36, v38
	v_fma_f32 v42, v38, v36, -v39
	v_fmac_f32_e32 v42, v38, v35
	v_add_f32_e32 v43, v39, v42
	v_sub_f32_e32 v44, v40, v43
	v_sub_f32_e32 v40, v40, v44
	;; [unrolled: 1-line block ×4, first 2 shown]
	v_add_f32_e32 v37, v37, v40
	v_sub_f32_e32 v39, v39, v42
	v_add_f32_e32 v37, v39, v37
	v_add_f32_e32 v39, v44, v37
	v_mul_f32_e32 v40, v41, v39
	v_mul_f32_e32 v42, v36, v40
	v_fma_f32 v36, v40, v36, -v42
	v_fmac_f32_e32 v36, v40, v35
	v_sub_f32_e32 v35, v44, v39
	v_add_f32_e32 v35, v37, v35
	v_add_f32_e32 v37, v42, v36
	v_sub_f32_e32 v43, v39, v37
	v_sub_f32_e32 v39, v39, v43
	;; [unrolled: 1-line block ×4, first 2 shown]
	v_add_f32_e32 v35, v35, v37
	v_sub_f32_e32 v36, v42, v36
	v_cvt_f32_i32_e32 v34, v34
	v_add_f32_e32 v35, v36, v35
	v_add_f32_e32 v36, v38, v40
	;; [unrolled: 1-line block ×3, first 2 shown]
	v_sub_f32_e32 v37, v36, v38
	v_mul_f32_e32 v35, v41, v35
	v_sub_f32_e32 v37, v40, v37
	v_add_f32_e32 v35, v37, v35
	v_mul_f32_e32 v40, 0x3f317218, v34
	v_add_f32_e32 v37, v36, v35
	v_fma_f32 v41, v34, s46, -v40
	v_mul_f32_e32 v38, v37, v37
	v_mov_b32_e32 v39, 0x3ecc95a3
	v_fmac_f32_e32 v41, 0xb102e308, v34
	v_sub_f32_e32 v34, v37, v36
	v_fmac_f32_e32 v39, 0x3e9b6dac, v38
	v_sub_f32_e32 v34, v35, v34
	v_add_f32_e32 v35, v40, v41
	v_fma_f32 v39, v38, v39, v19
	v_sub_f32_e32 v36, v35, v40
	v_ldexp_f32 v40, v37, 1
	v_mul_f32_e32 v37, v37, v38
	v_mul_f32_e32 v37, v37, v39
	v_add_f32_e32 v38, v40, v37
	v_sub_f32_e32 v39, v38, v40
	v_ldexp_f32 v34, v34, 1
	v_sub_f32_e32 v37, v37, v39
	v_add_f32_e32 v34, v34, v37
	v_add_f32_e32 v37, v38, v34
	v_sub_f32_e32 v38, v37, v38
	v_sub_f32_e32 v34, v34, v38
	v_add_f32_e32 v38, v35, v37
	v_sub_f32_e32 v39, v38, v35
	v_sub_f32_e32 v40, v38, v39
	;; [unrolled: 1-line block ×5, first 2 shown]
	v_add_f32_e32 v35, v37, v35
	v_add_f32_e32 v37, v36, v34
	v_sub_f32_e32 v39, v37, v36
	v_sub_f32_e32 v40, v37, v39
	;; [unrolled: 1-line block ×4, first 2 shown]
	v_add_f32_e32 v35, v37, v35
	v_add_f32_e32 v34, v34, v36
	v_add_f32_e32 v36, v38, v35
	v_sub_f32_e32 v37, v36, v38
	v_sub_f32_e32 v35, v35, v37
	v_add_f32_e32 v34, v34, v35
	v_add_f32_e32 v34, v36, v34
	v_cmp_neq_f32_e32 vcc, s47, v11
	v_cndmask_b32_e32 v34, v26, v34, vcc
	v_cmp_lt_f32_e64 vcc, |v11|, s48
	v_cndmask_b32_e32 v11, v34, v11, vcc
	v_max_f32_e64 v34, |v4|, |v4|
	v_max_f32_e64 v35, |v3|, |v3|
	v_min_f32_e32 v36, v35, v34
	v_max_f32_e32 v34, v35, v34
	v_frexp_mant_f32_e32 v35, v34
	v_rcp_f32_e32 v35, v35
	v_frexp_exp_i32_f32_e32 v34, v34
	v_frexp_exp_i32_f32_e32 v37, v36
	v_frexp_mant_f32_e32 v36, v36
	v_mul_f32_e32 v35, v36, v35
	v_sub_u32_e32 v34, v37, v34
	v_ldexp_f32 v34, v35, v34
	v_mul_f32_e32 v35, v34, v34
	v_mov_b32_e32 v36, 0xbc7a590c
	v_fmac_f32_e32 v36, 0x3b2d2a58, v35
	v_fma_f32 v36, v35, v36, v20
	v_fma_f32 v36, v35, v36, v21
	;; [unrolled: 1-line block ×6, first 2 shown]
	v_mul_f32_e32 v35, v35, v36
	v_fmac_f32_e32 v34, v34, v35
	v_sub_f32_e32 v35, 0x3fc90fdb, v34
	v_cndmask_b32_e64 v34, v34, v35, s[8:9]
	v_sub_f32_e32 v35, 0x40490fdb, v34
	v_cmp_gt_f32_e32 vcc, 0, v3
	v_cndmask_b32_e32 v34, v34, v35, vcc
	v_cndmask_b32_e64 v35, 0, v29, s[10:11]
	v_cmp_eq_f32_e64 s[10:11], 0, v4
	v_cndmask_b32_e64 v34, v34, v35, s[10:11]
	v_cmp_class_f32_e64 s[10:11], v3, s49
	v_cndmask_b32_e32 v35, v30, v31, vcc
	s_and_b64 vcc, s[26:27], s[10:11]
	v_mul_f32_e32 v11, 0.5, v11
	v_cndmask_b32_e32 v34, v34, v35, vcc
                                        ; implicit-def: $vgpr35
.LBB168_242:                            ;   in Loop: Header=BB168_145 Depth=1
	s_andn2_saveexec_b64 s[24:25], s[24:25]
	s_cbranch_execz .LBB168_244
; %bb.243:                              ;   in Loop: Header=BB168_145 Depth=1
	v_mul_f32_e32 v11, 0.5, v35
	v_mul_f32_e32 v11, v35, v11
	v_max_f32_e64 v34, |v4|, |v4|
	v_max_f32_e64 v35, |v3|, |v3|
	v_min_f32_e32 v36, v35, v34
	v_max_f32_e32 v34, v35, v34
	v_frexp_mant_f32_e32 v35, v34
	v_rcp_f32_e32 v35, v35
	v_frexp_exp_i32_f32_e32 v34, v34
	v_frexp_exp_i32_f32_e32 v37, v36
	v_frexp_mant_f32_e32 v36, v36
	v_mul_f32_e32 v35, v36, v35
	v_sub_u32_e32 v34, v37, v34
	v_ldexp_f32 v34, v35, v34
	v_mul_f32_e32 v35, v34, v34
	v_mov_b32_e32 v36, 0xbc7a590c
	v_fmac_f32_e32 v36, 0x3b2d2a58, v35
	v_fma_f32 v36, v35, v36, v20
	v_fma_f32 v36, v35, v36, v21
	;; [unrolled: 1-line block ×6, first 2 shown]
	v_mul_f32_e32 v35, v35, v36
	v_fmac_f32_e32 v34, v34, v35
	v_sub_f32_e32 v35, 0x3fc90fdb, v34
	v_cndmask_b32_e64 v34, v34, v35, s[8:9]
	v_sub_f32_e32 v35, 0x40490fdb, v34
	v_cmp_gt_f32_e32 vcc, 0, v3
	v_cmp_gt_i32_e64 s[10:11], 0, v3
	v_cndmask_b32_e32 v34, v34, v35, vcc
	v_cndmask_b32_e64 v35, 0, v29, s[10:11]
	v_cmp_eq_f32_e64 s[10:11], 0, v4
	v_cndmask_b32_e64 v34, v34, v35, s[10:11]
	v_cmp_class_f32_e64 s[10:11], v3, s49
	v_cmp_class_f32_e64 s[26:27], v4, s49
	v_cndmask_b32_e32 v35, v30, v31, vcc
	s_and_b64 vcc, s[26:27], s[10:11]
	v_cndmask_b32_e32 v34, v34, v35, vcc
.LBB168_244:                            ;   in Loop: Header=BB168_145 Depth=1
	s_or_b64 exec, exec, s[24:25]
.LBB168_245:                            ;   in Loop: Header=BB168_145 Depth=1
	s_or_b64 exec, exec, s[22:23]
.LBB168_246:                            ;   in Loop: Header=BB168_145 Depth=1
	s_andn2_saveexec_b64 s[20:21], s[20:21]
	s_cbranch_execz .LBB168_248
; %bb.247:                              ;   in Loop: Header=BB168_145 Depth=1
	v_div_scale_f32 v11, s[10:11], s54, s54, v3
	v_div_scale_f32 v34, s[10:11], s54, s54, v4
	v_div_scale_f32 v35, vcc, v3, s54, v3
	v_div_scale_f32 v36, s[10:11], v4, s54, v4
	v_rcp_f32_e32 v37, v11
	v_rcp_f32_e32 v38, v34
	v_fma_f32 v39, -v11, v37, 1.0
	v_fmac_f32_e32 v37, v39, v37
	v_fma_f32 v40, -v34, v38, 1.0
	v_fmac_f32_e32 v38, v40, v38
	v_mul_f32_e32 v39, v35, v37
	v_mul_f32_e32 v40, v36, v38
	v_fma_f32 v41, -v11, v39, v35
	v_fma_f32 v42, -v34, v40, v36
	v_fmac_f32_e32 v39, v41, v37
	v_fmac_f32_e32 v40, v42, v38
	v_fma_f32 v11, -v11, v39, v35
	v_fma_f32 v34, -v34, v40, v36
	v_div_fmas_f32 v11, v11, v37, v39
	s_mov_b64 vcc, s[10:11]
	v_div_fmas_f32 v34, v34, v38, v40
	v_max_f32_e64 v35, |v4|, |v4|
	v_max_f32_e64 v36, |v3|, |v3|
	v_min_f32_e32 v38, v36, v35
	v_max_f32_e32 v35, v36, v35
	v_frexp_exp_i32_f32_e32 v36, v35
	v_frexp_exp_i32_f32_e32 v39, v38
	v_sub_u32_e32 v36, v39, v36
	v_frexp_mant_f32_e32 v35, v35
	v_rcp_f32_e32 v40, v35
	v_frexp_mant_f32_e32 v38, v38
	v_mov_b32_e32 v37, 0xbc7a590c
	v_cmp_class_f32_e64 s[10:11], v4, s49
	v_mul_f32_e32 v38, v38, v40
	v_div_fixup_f32 v11, v11, s54, v3
	v_ldexp_f32 v36, v38, v36
	v_div_fixup_f32 v39, v34, s54, v4
	v_max_f32_e64 v41, |v11|, |v39|
	v_cvt_f64_f32_e32 v[34:35], v41
	v_mul_f32_e32 v38, v36, v36
	v_fmac_f32_e32 v37, 0x3b2d2a58, v38
	v_cmp_neq_f32_e32 vcc, s47, v41
	v_frexp_exp_i32_f64_e32 v34, v[34:35]
	v_fma_f32 v35, v38, v37, v20
	v_fma_f32 v35, v38, v35, v21
	;; [unrolled: 1-line block ×6, first 2 shown]
	v_mul_f32_e32 v35, v38, v35
	v_sub_u32_e32 v37, 0, v34
	v_ldexp_f32 v11, |v11|, v37
	v_ldexp_f32 v37, |v39|, v37
	v_mul_f32_e32 v37, v37, v37
	v_fmac_f32_e32 v37, v11, v11
	v_sqrt_f32_e32 v11, v37
	v_fmac_f32_e32 v36, v36, v35
	v_sub_f32_e32 v35, 0x3fc90fdb, v36
	v_ldexp_f32 v11, v11, v34
	v_cndmask_b32_e32 v11, v26, v11, vcc
	v_cmp_gt_f32_e32 vcc, s51, v11
	v_cndmask_b32_e64 v34, 0, 32, vcc
	v_ldexp_f32 v11, v11, v34
	v_log_f32_e32 v11, v11
	v_cndmask_b32_e64 v34, v36, v35, s[8:9]
	v_cndmask_b32_e32 v36, 0, v32, vcc
	v_sub_f32_e32 v35, 0x40490fdb, v34
	v_mul_f32_e32 v37, 0x3f317217, v11
	v_fma_f32 v37, v11, s52, -v37
	v_fmac_f32_e32 v37, 0x3377d1cf, v11
	v_fmac_f32_e32 v37, 0x3f317217, v11
	v_cmp_lt_f32_e64 vcc, |v11|, s47
	v_cndmask_b32_e32 v11, v11, v37, vcc
	v_cmp_gt_f32_e32 vcc, 0, v3
	v_cmp_gt_i32_e64 s[8:9], 0, v3
	v_cndmask_b32_e32 v34, v34, v35, vcc
	v_cndmask_b32_e64 v35, 0, v29, s[8:9]
	v_cmp_eq_f32_e64 s[8:9], 0, v4
	v_cndmask_b32_e64 v34, v34, v35, s[8:9]
	v_cmp_class_f32_e64 s[8:9], v3, s49
	v_sub_f32_e32 v11, v11, v36
	v_cndmask_b32_e32 v35, v30, v31, vcc
	s_and_b64 vcc, s[10:11], s[8:9]
	v_add_f32_e32 v11, 1.0, v11
	v_cndmask_b32_e32 v34, v34, v35, vcc
.LBB168_248:                            ;   in Loop: Header=BB168_145 Depth=1
	s_or_b64 exec, exec, s[20:21]
.LBB168_249:                            ;   in Loop: Header=BB168_145 Depth=1
	s_andn2_saveexec_b64 s[8:9], s[18:19]
	s_cbranch_execz .LBB168_255
; %bb.250:                              ;   in Loop: Header=BB168_145 Depth=1
	v_cmp_nlt_f32_e64 s[10:11], |v3|, s55
	v_cmp_nlt_f32_e64 s[18:19], |v4|, s55
	s_or_b64 s[10:11], s[18:19], s[10:11]
                                        ; implicit-def: $vgpr11
	s_and_saveexec_b64 s[18:19], s[10:11]
	s_xor_b64 s[10:11], exec, s[18:19]
; %bb.251:                              ;   in Loop: Header=BB168_145 Depth=1
	v_mul_f32_e32 v11, v3, v3
	v_fmac_f32_e32 v11, v4, v4
; %bb.252:                              ;   in Loop: Header=BB168_145 Depth=1
	s_andn2_saveexec_b64 s[10:11], s[10:11]
; %bb.253:                              ;   in Loop: Header=BB168_145 Depth=1
	v_mul_f32_e32 v3, 4.0, v3
	v_mul_f32_e32 v11, 4.0, v4
	v_mul_f32_e32 v3, v3, v3
	v_fmac_f32_e32 v3, v11, v11
	v_mul_f32_e32 v11, 0x3d800000, v3
; %bb.254:                              ;   in Loop: Header=BB168_145 Depth=1
	s_or_b64 exec, exec, s[10:11]
	v_cmp_gt_f32_e32 vcc, s51, v11
	v_cndmask_b32_e64 v3, 0, 32, vcc
	v_ldexp_f32 v3, v11, v3
	v_log_f32_e32 v3, v3
	v_cndmask_b32_e32 v11, 0, v32, vcc
	v_mul_f32_e32 v34, 0x3f317217, v3
	v_fma_f32 v34, v3, s52, -v34
	v_fmac_f32_e32 v34, 0x3377d1cf, v3
	v_fmac_f32_e32 v34, 0x3f317217, v3
	v_cmp_lt_f32_e64 vcc, |v3|, s47
	v_cndmask_b32_e32 v3, v3, v34, vcc
	v_sub_f32_e32 v11, v3, v11
	v_mov_b32_e32 v34, 0x7fc00000
.LBB168_255:                            ;   in Loop: Header=BB168_145 Depth=1
	s_or_b64 exec, exec, s[8:9]
	v_cmp_o_f32_e32 vcc, v16, v15
                                        ; implicit-def: $vgpr3
                                        ; implicit-def: $vgpr35
	s_and_saveexec_b64 s[8:9], vcc
	s_xor_b64 s[18:19], exec, s[8:9]
	s_cbranch_execnz .LBB168_261
; %bb.256:                              ;   in Loop: Header=BB168_145 Depth=1
	s_andn2_saveexec_b64 s[8:9], s[18:19]
	s_cbranch_execnz .LBB168_288
.LBB168_257:                            ;   in Loop: Header=BB168_145 Depth=1
	s_or_b64 exec, exec, s[8:9]
	s_and_saveexec_b64 s[8:9], s[0:1]
	s_xor_b64 s[0:1], exec, s[8:9]
	s_cbranch_execnz .LBB168_293
.LBB168_258:                            ;   in Loop: Header=BB168_145 Depth=1
	s_or_b64 exec, exec, s[0:1]
	s_and_saveexec_b64 s[0:1], s[2:3]
	s_cbranch_execnz .LBB168_294
.LBB168_259:                            ;   in Loop: Header=BB168_145 Depth=1
	s_or_b64 exec, exec, s[0:1]
	s_and_saveexec_b64 s[0:1], s[4:5]
	s_cbranch_execnz .LBB168_295
.LBB168_260:                            ;   in Loop: Header=BB168_145 Depth=1
	s_or_b64 exec, exec, s[0:1]
	s_and_saveexec_b64 s[0:1], s[6:7]
	s_cbranch_execz .LBB168_144
	s_branch .LBB168_296
.LBB168_261:                            ;   in Loop: Header=BB168_145 Depth=1
	v_cmp_lt_f32_e64 s[8:9], |v15|, |v16|
	v_cndmask_b32_e64 v36, |v16|, |v15|, s[8:9]
	v_cmp_nlt_f32_e32 vcc, s42, v36
                                        ; implicit-def: $vgpr3
                                        ; implicit-def: $vgpr35
	s_and_saveexec_b64 s[10:11], vcc
	s_xor_b64 s[20:21], exec, s[10:11]
	s_cbranch_execz .LBB168_285
; %bb.262:                              ;   in Loop: Header=BB168_145 Depth=1
	v_and_b32_e32 v3, 0x7fffffff, v16
	v_cndmask_b32_e64 v37, |v15|, v3, s[8:9]
	v_cmp_neq_f32_e32 vcc, 1.0, v37
                                        ; implicit-def: $vgpr3
                                        ; implicit-def: $vgpr35
	s_and_saveexec_b64 s[10:11], vcc
	s_xor_b64 s[22:23], exec, s[10:11]
	s_cbranch_execz .LBB168_278
; %bb.263:                              ;   in Loop: Header=BB168_145 Depth=1
	v_max_f32_e32 v3, v36, v36
	v_max_f32_e32 v35, v37, v37
	v_min_f32_e32 v38, v35, v3
	v_max_f32_e32 v3, v35, v3
	v_cmp_ngt_f32_e32 vcc, s43, v38
	v_cmp_nlt_f32_e64 s[10:11], s44, v3
	s_and_b64 s[10:11], s[10:11], vcc
                                        ; implicit-def: $vgpr3
                                        ; implicit-def: $vgpr35
	s_and_saveexec_b64 s[24:25], s[10:11]
	s_xor_b64 s[24:25], exec, s[24:25]
	s_cbranch_execz .LBB168_275
; %bb.264:                              ;   in Loop: Header=BB168_145 Depth=1
	v_cmp_le_f32_e32 vcc, 1.0, v37
                                        ; implicit-def: $vgpr3
                                        ; implicit-def: $vgpr35
	s_and_saveexec_b64 s[10:11], vcc
	s_xor_b64 s[26:27], exec, s[10:11]
	s_cbranch_execz .LBB168_266
; %bb.265:                              ;   in Loop: Header=BB168_145 Depth=1
	v_add_f32_e32 v3, -1.0, v37
	v_add_f32_e32 v35, 1.0, v37
	v_mul_f32_e32 v3, v3, v35
	v_fmac_f32_e32 v3, v36, v36
	v_add_f32_e32 v37, 1.0, v3
	v_cvt_f64_f32_e32 v[35:36], v37
	v_add_f32_e32 v38, -1.0, v37
	v_sub_f32_e32 v39, v38, v37
	v_sub_f32_e32 v38, v3, v38
	v_frexp_exp_i32_f64_e32 v35, v[35:36]
	v_frexp_mant_f32_e32 v36, v37
	v_cmp_gt_f32_e32 vcc, s45, v36
	v_add_f32_e32 v39, 1.0, v39
	v_add_f32_e32 v38, v38, v39
	v_cmp_gt_i32_e64 s[10:11], 0, v15
	v_cmp_class_f32_e64 s[28:29], v16, s49
	v_subbrev_co_u32_e32 v35, vcc, 0, v35, vcc
	v_sub_u32_e32 v36, 0, v35
	v_ldexp_f32 v37, v37, v36
	v_ldexp_f32 v36, v38, v36
	v_add_f32_e32 v38, -1.0, v37
	v_add_f32_e32 v41, 1.0, v37
	v_add_f32_e32 v39, 1.0, v38
	v_add_f32_e32 v42, -1.0, v41
	v_sub_f32_e32 v39, v37, v39
	v_sub_f32_e32 v37, v37, v42
	v_add_f32_e32 v39, v36, v39
	v_add_f32_e32 v36, v36, v37
	;; [unrolled: 1-line block ×3, first 2 shown]
	v_rcp_f32_e32 v42, v37
	v_add_f32_e32 v40, v38, v39
	v_sub_f32_e32 v38, v40, v38
	v_sub_f32_e32 v38, v39, v38
	;; [unrolled: 1-line block ×4, first 2 shown]
	v_mul_f32_e32 v39, v40, v42
	v_mul_f32_e32 v41, v37, v39
	v_fma_f32 v43, v39, v37, -v41
	v_fmac_f32_e32 v43, v39, v36
	v_add_f32_e32 v44, v41, v43
	v_sub_f32_e32 v45, v40, v44
	v_sub_f32_e32 v40, v40, v45
	;; [unrolled: 1-line block ×4, first 2 shown]
	v_add_f32_e32 v38, v38, v40
	v_sub_f32_e32 v40, v41, v43
	v_add_f32_e32 v38, v40, v38
	v_add_f32_e32 v40, v45, v38
	v_mul_f32_e32 v41, v42, v40
	v_mul_f32_e32 v43, v37, v41
	v_fma_f32 v37, v41, v37, -v43
	v_fmac_f32_e32 v37, v41, v36
	v_sub_f32_e32 v36, v45, v40
	v_add_f32_e32 v36, v38, v36
	v_add_f32_e32 v38, v43, v37
	v_sub_f32_e32 v44, v40, v38
	v_sub_f32_e32 v40, v40, v44
	;; [unrolled: 1-line block ×4, first 2 shown]
	v_add_f32_e32 v36, v36, v38
	v_sub_f32_e32 v37, v43, v37
	v_cvt_f32_i32_e32 v35, v35
	v_add_f32_e32 v36, v37, v36
	v_add_f32_e32 v37, v39, v41
	;; [unrolled: 1-line block ×3, first 2 shown]
	v_sub_f32_e32 v38, v37, v39
	v_mul_f32_e32 v36, v42, v36
	v_sub_f32_e32 v38, v41, v38
	v_add_f32_e32 v36, v38, v36
	v_mul_f32_e32 v41, 0x3f317218, v35
	v_add_f32_e32 v38, v37, v36
	v_fma_f32 v42, v35, s46, -v41
	v_mul_f32_e32 v39, v38, v38
	v_mov_b32_e32 v40, 0x3ecc95a3
	v_fmac_f32_e32 v42, 0xb102e308, v35
	v_sub_f32_e32 v35, v38, v37
	v_fmac_f32_e32 v40, 0x3e9b6dac, v39
	v_sub_f32_e32 v35, v36, v35
	v_add_f32_e32 v36, v41, v42
	v_fma_f32 v40, v39, v40, v19
	v_sub_f32_e32 v37, v36, v41
	v_ldexp_f32 v41, v38, 1
	v_mul_f32_e32 v38, v38, v39
	v_mul_f32_e32 v38, v38, v40
	v_add_f32_e32 v39, v41, v38
	v_sub_f32_e32 v40, v39, v41
	v_ldexp_f32 v35, v35, 1
	v_sub_f32_e32 v38, v38, v40
	v_add_f32_e32 v35, v35, v38
	v_add_f32_e32 v38, v39, v35
	v_sub_f32_e32 v39, v38, v39
	v_sub_f32_e32 v35, v35, v39
	v_add_f32_e32 v39, v36, v38
	v_sub_f32_e32 v40, v39, v36
	v_sub_f32_e32 v41, v39, v40
	;; [unrolled: 1-line block ×5, first 2 shown]
	v_add_f32_e32 v36, v38, v36
	v_add_f32_e32 v38, v37, v35
	v_sub_f32_e32 v40, v38, v37
	v_sub_f32_e32 v41, v38, v40
	v_sub_f32_e32 v37, v37, v41
	v_sub_f32_e32 v35, v35, v40
	v_add_f32_e32 v36, v38, v36
	v_add_f32_e32 v35, v35, v37
	;; [unrolled: 1-line block ×3, first 2 shown]
	v_sub_f32_e32 v38, v37, v39
	v_sub_f32_e32 v36, v36, v38
	v_add_f32_e32 v35, v35, v36
	v_add_f32_e32 v35, v37, v35
	v_cmp_neq_f32_e32 vcc, s47, v3
	v_cndmask_b32_e32 v35, v26, v35, vcc
	v_cmp_ngt_f32_e32 vcc, -1.0, v3
	v_cndmask_b32_e32 v35, v27, v35, vcc
	v_cmp_neq_f32_e32 vcc, -1.0, v3
	v_cndmask_b32_e32 v35, v28, v35, vcc
	v_cmp_lt_f32_e64 vcc, |v3|, s48
	v_cndmask_b32_e32 v3, v35, v3, vcc
	v_max_f32_e64 v35, |v16|, |v16|
	v_max_f32_e64 v36, |v15|, |v15|
	v_min_f32_e32 v37, v36, v35
	v_max_f32_e32 v35, v36, v35
	v_frexp_mant_f32_e32 v36, v35
	v_rcp_f32_e32 v36, v36
	v_frexp_exp_i32_f32_e32 v35, v35
	v_frexp_exp_i32_f32_e32 v38, v37
	v_frexp_mant_f32_e32 v37, v37
	v_mul_f32_e32 v36, v37, v36
	v_sub_u32_e32 v35, v38, v35
	v_ldexp_f32 v35, v36, v35
	v_mul_f32_e32 v36, v35, v35
	v_mov_b32_e32 v37, 0xbc7a590c
	v_fmac_f32_e32 v37, 0x3b2d2a58, v36
	v_fma_f32 v37, v36, v37, v20
	v_fma_f32 v37, v36, v37, v21
	;; [unrolled: 1-line block ×6, first 2 shown]
	v_mul_f32_e32 v36, v36, v37
	v_fmac_f32_e32 v35, v35, v36
	v_sub_f32_e32 v36, 0x3fc90fdb, v35
	v_cndmask_b32_e64 v35, v35, v36, s[8:9]
	v_sub_f32_e32 v36, 0x40490fdb, v35
	v_cmp_gt_f32_e32 vcc, 0, v15
	v_cndmask_b32_e32 v35, v35, v36, vcc
	v_cndmask_b32_e64 v36, 0, v29, s[10:11]
	v_cmp_eq_f32_e64 s[10:11], 0, v16
	v_cndmask_b32_e64 v35, v35, v36, s[10:11]
	v_cmp_class_f32_e64 s[10:11], v15, s49
	v_cndmask_b32_e32 v36, v30, v31, vcc
	s_and_b64 vcc, s[28:29], s[10:11]
	v_mul_f32_e32 v3, 0.5, v3
	v_cndmask_b32_e32 v35, v35, v36, vcc
                                        ; implicit-def: $vgpr36
                                        ; implicit-def: $vgpr37
.LBB168_266:                            ;   in Loop: Header=BB168_145 Depth=1
	s_andn2_saveexec_b64 s[26:27], s[26:27]
	s_cbranch_execz .LBB168_274
; %bb.267:                              ;   in Loop: Header=BB168_145 Depth=1
	v_mul_f32_e32 v38, v36, v36
	v_fmac_f32_e32 v38, v37, v37
	v_cmp_ge_f32_e32 vcc, s50, v38
                                        ; implicit-def: $vgpr3
                                        ; implicit-def: $vgpr35
	s_and_saveexec_b64 s[10:11], vcc
	s_xor_b64 s[28:29], exec, s[10:11]
	s_cbranch_execz .LBB168_269
; %bb.268:                              ;   in Loop: Header=BB168_145 Depth=1
	v_cmp_gt_f32_e32 vcc, s51, v38
	v_cndmask_b32_e64 v3, 0, 32, vcc
	v_ldexp_f32 v3, v38, v3
	v_log_f32_e32 v3, v3
	v_cndmask_b32_e32 v35, 0, v32, vcc
	v_cmp_gt_i32_e64 s[10:11], 0, v15
	v_cmp_class_f32_e64 s[30:31], v16, s49
	v_mul_f32_e32 v36, 0x3f317217, v3
	v_fma_f32 v36, v3, s52, -v36
	v_fmac_f32_e32 v36, 0x3377d1cf, v3
	v_fmac_f32_e32 v36, 0x3f317217, v3
	v_cmp_lt_f32_e64 vcc, |v3|, s47
	v_cndmask_b32_e32 v3, v3, v36, vcc
	v_sub_f32_e32 v3, v3, v35
	v_max_f32_e64 v35, |v16|, |v16|
	v_max_f32_e64 v36, |v15|, |v15|
	v_min_f32_e32 v37, v36, v35
	v_max_f32_e32 v35, v36, v35
	v_frexp_mant_f32_e32 v36, v35
	v_rcp_f32_e32 v36, v36
	v_frexp_exp_i32_f32_e32 v35, v35
	v_frexp_exp_i32_f32_e32 v38, v37
	v_frexp_mant_f32_e32 v37, v37
	v_mul_f32_e32 v36, v37, v36
	v_sub_u32_e32 v35, v38, v35
	v_ldexp_f32 v35, v36, v35
	v_mul_f32_e32 v36, v35, v35
	v_mov_b32_e32 v37, 0xbc7a590c
	v_fmac_f32_e32 v37, 0x3b2d2a58, v36
	v_fma_f32 v37, v36, v37, v20
	v_fma_f32 v37, v36, v37, v21
	;; [unrolled: 1-line block ×6, first 2 shown]
	v_mul_f32_e32 v36, v36, v37
	v_fmac_f32_e32 v35, v35, v36
	v_sub_f32_e32 v36, 0x3fc90fdb, v35
	v_cndmask_b32_e64 v35, v35, v36, s[8:9]
	v_sub_f32_e32 v36, 0x40490fdb, v35
	v_cmp_gt_f32_e32 vcc, 0, v15
	v_cndmask_b32_e32 v35, v35, v36, vcc
	v_cndmask_b32_e64 v36, 0, v29, s[10:11]
	v_cmp_eq_f32_e64 s[10:11], 0, v16
	v_cndmask_b32_e64 v35, v35, v36, s[10:11]
	v_cmp_class_f32_e64 s[10:11], v15, s49
	v_cndmask_b32_e32 v36, v30, v31, vcc
	s_and_b64 vcc, s[30:31], s[10:11]
	v_mul_f32_e32 v3, 0.5, v3
	v_cndmask_b32_e32 v35, v35, v36, vcc
                                        ; implicit-def: $vgpr37
                                        ; implicit-def: $vgpr36
.LBB168_269:                            ;   in Loop: Header=BB168_145 Depth=1
	s_andn2_saveexec_b64 s[28:29], s[28:29]
	s_cbranch_execz .LBB168_273
; %bb.270:                              ;   in Loop: Header=BB168_145 Depth=1
	v_and_b32_e32 v38, 0x7fff0000, v37
	v_sub_f32_e32 v3, v37, v38
	v_and_b32_e32 v42, 0xffff0000, v3
	v_and_b32_e32 v37, 0x7fff0000, v36
	v_sub_f32_e32 v44, v3, v42
	v_sub_f32_e32 v3, v36, v37
	v_and_b32_e32 v43, 0xffff0000, v3
	v_add_f32_e32 v39, v38, v38
	v_add_f32_e32 v46, v37, v37
	v_sub_f32_e32 v45, v3, v43
	v_mul_f32_e32 v3, v38, v38
	v_mul_f32_e32 v35, v37, v37
	;; [unrolled: 1-line block ×6, first 2 shown]
	v_add_f32_e32 v42, v42, v42
	v_add_f32_e32 v43, v43, v43
	v_mul_f32_e32 v40, v39, v44
	v_mul_f32_e32 v39, v46, v45
	;; [unrolled: 1-line block ×6, first 2 shown]
	s_mov_b64 s[30:31], 0
.LBB168_271:                            ;   Parent Loop BB168_145 Depth=1
                                        ; =>  This Inner Loop Header: Depth=2
	v_cmp_nlt_f32_e32 vcc, v3, v35
	v_mov_b32_e32 v46, v45
	v_cndmask_b32_e32 v45, v3, v35, vcc
	v_cmp_nlt_f32_e64 s[10:11], v45, v38
	v_cndmask_b32_e64 v47, v45, v38, s[10:11]
	v_cndmask_b32_e32 v3, v35, v3, vcc
	s_and_b64 s[56:57], vcc, s[10:11]
	v_cmp_nlt_f32_e32 vcc, v47, v37
	v_cndmask_b32_e64 v35, v38, v45, s[10:11]
	v_cndmask_b32_e32 v45, v47, v37, vcc
	v_cmp_nlt_f32_e64 s[10:11], v45, v41
	v_cndmask_b32_e32 v38, v37, v47, vcc
	v_cndmask_b32_e64 v47, v45, v41, s[10:11]
	s_and_b64 s[58:59], vcc, s[10:11]
	v_cmp_nlt_f32_e32 vcc, v47, v36
	v_cndmask_b32_e64 v37, v41, v45, s[10:11]
	v_cndmask_b32_e32 v45, v47, v36, vcc
	v_cmp_nlt_f32_e64 s[10:11], v45, v40
	v_cndmask_b32_e32 v41, v36, v47, vcc
	v_cndmask_b32_e64 v47, v45, v40, s[10:11]
	v_cndmask_b32_e64 v36, v40, v45, s[10:11]
	s_and_b64 s[10:11], vcc, s[10:11]
	v_cmp_nlt_f32_e32 vcc, v47, v39
	v_cndmask_b32_e32 v45, v47, v39, vcc
	v_cndmask_b32_e32 v40, v39, v47, vcc
	s_and_b64 s[10:11], s[10:11], vcc
	v_cmp_nlt_f32_e32 vcc, v45, v42
	v_cndmask_b32_e32 v47, v45, v42, vcc
	v_cndmask_b32_e32 v39, v42, v45, vcc
	s_and_b64 s[10:11], s[10:11], vcc
	;; [unrolled: 4-line block ×4, first 2 shown]
	v_cmp_nlt_f32_e32 vcc, v47, v46
	s_and_b64 s[10:11], s[10:11], vcc
	s_and_b64 s[10:11], s[10:11], s[58:59]
	s_and_b64 s[10:11], s[10:11], s[56:57]
	s_and_b64 s[10:11], exec, s[10:11]
	v_cndmask_b32_e32 v45, v47, v46, vcc
	s_or_b64 s[30:31], s[10:11], s[30:31]
	v_cndmask_b32_e32 v44, v46, v47, vcc
	s_andn2_b64 exec, exec, s[30:31]
	s_cbranch_execnz .LBB168_271
; %bb.272:                              ;   in Loop: Header=BB168_145 Depth=1
	s_or_b64 exec, exec, s[30:31]
	v_add_f32_e32 v3, -1.0, v3
	v_add_f32_e32 v3, v3, v35
	v_add_f32_e32 v3, v3, v38
	;; [unrolled: 1-line block ×11, first 2 shown]
	v_add_f32_e32 v37, 1.0, v3
	v_cvt_f64_f32_e32 v[35:36], v37
	v_add_f32_e32 v38, -1.0, v37
	v_sub_f32_e32 v39, v38, v37
	v_sub_f32_e32 v38, v3, v38
	v_frexp_exp_i32_f64_e32 v35, v[35:36]
	v_frexp_mant_f32_e32 v36, v37
	v_cmp_gt_f32_e32 vcc, s45, v36
	v_add_f32_e32 v39, 1.0, v39
	v_add_f32_e32 v38, v38, v39
	v_cmp_gt_i32_e64 s[10:11], 0, v15
	v_cmp_class_f32_e64 s[30:31], v16, s49
	v_subbrev_co_u32_e32 v35, vcc, 0, v35, vcc
	v_sub_u32_e32 v36, 0, v35
	v_ldexp_f32 v37, v37, v36
	v_ldexp_f32 v36, v38, v36
	v_add_f32_e32 v38, -1.0, v37
	v_add_f32_e32 v39, 1.0, v37
	v_add_f32_e32 v40, 1.0, v38
	v_add_f32_e32 v42, -1.0, v39
	v_sub_f32_e32 v40, v37, v40
	v_sub_f32_e32 v37, v37, v42
	v_add_f32_e32 v40, v36, v40
	v_add_f32_e32 v36, v36, v37
	;; [unrolled: 1-line block ×3, first 2 shown]
	v_rcp_f32_e32 v42, v37
	v_add_f32_e32 v41, v38, v40
	v_sub_f32_e32 v39, v37, v39
	v_sub_f32_e32 v38, v41, v38
	;; [unrolled: 1-line block ×3, first 2 shown]
	v_mul_f32_e32 v39, v41, v42
	v_sub_f32_e32 v38, v40, v38
	v_mul_f32_e32 v40, v37, v39
	v_fma_f32 v43, v39, v37, -v40
	v_fmac_f32_e32 v43, v39, v36
	v_add_f32_e32 v44, v40, v43
	v_sub_f32_e32 v45, v41, v44
	v_sub_f32_e32 v41, v41, v45
	;; [unrolled: 1-line block ×4, first 2 shown]
	v_add_f32_e32 v38, v38, v41
	v_sub_f32_e32 v40, v40, v43
	v_add_f32_e32 v38, v40, v38
	v_add_f32_e32 v40, v45, v38
	v_mul_f32_e32 v41, v42, v40
	v_mul_f32_e32 v43, v37, v41
	v_fma_f32 v37, v41, v37, -v43
	v_fmac_f32_e32 v37, v41, v36
	v_sub_f32_e32 v36, v45, v40
	v_add_f32_e32 v36, v38, v36
	v_add_f32_e32 v38, v43, v37
	v_sub_f32_e32 v44, v40, v38
	v_sub_f32_e32 v40, v40, v44
	;; [unrolled: 1-line block ×4, first 2 shown]
	v_add_f32_e32 v36, v36, v38
	v_sub_f32_e32 v37, v43, v37
	v_cvt_f32_i32_e32 v35, v35
	v_add_f32_e32 v36, v37, v36
	v_add_f32_e32 v37, v39, v41
	v_add_f32_e32 v36, v44, v36
	v_sub_f32_e32 v38, v37, v39
	v_mul_f32_e32 v36, v42, v36
	v_sub_f32_e32 v38, v41, v38
	v_add_f32_e32 v36, v38, v36
	v_mul_f32_e32 v41, 0x3f317218, v35
	v_add_f32_e32 v38, v37, v36
	v_fma_f32 v42, v35, s46, -v41
	v_mul_f32_e32 v39, v38, v38
	v_mov_b32_e32 v40, 0x3ecc95a3
	v_fmac_f32_e32 v42, 0xb102e308, v35
	v_sub_f32_e32 v35, v38, v37
	v_fmac_f32_e32 v40, 0x3e9b6dac, v39
	v_sub_f32_e32 v35, v36, v35
	v_add_f32_e32 v36, v41, v42
	v_fma_f32 v40, v39, v40, v19
	v_sub_f32_e32 v37, v36, v41
	v_ldexp_f32 v41, v38, 1
	v_mul_f32_e32 v38, v38, v39
	v_mul_f32_e32 v38, v38, v40
	v_add_f32_e32 v39, v41, v38
	v_sub_f32_e32 v40, v39, v41
	v_ldexp_f32 v35, v35, 1
	v_sub_f32_e32 v38, v38, v40
	v_add_f32_e32 v35, v35, v38
	v_add_f32_e32 v38, v39, v35
	v_sub_f32_e32 v39, v38, v39
	v_sub_f32_e32 v35, v35, v39
	v_add_f32_e32 v39, v36, v38
	v_sub_f32_e32 v40, v39, v36
	v_sub_f32_e32 v41, v39, v40
	;; [unrolled: 1-line block ×5, first 2 shown]
	v_add_f32_e32 v36, v38, v36
	v_add_f32_e32 v38, v37, v35
	v_sub_f32_e32 v40, v38, v37
	v_sub_f32_e32 v41, v38, v40
	v_sub_f32_e32 v37, v37, v41
	v_sub_f32_e32 v35, v35, v40
	v_add_f32_e32 v36, v38, v36
	v_add_f32_e32 v35, v35, v37
	;; [unrolled: 1-line block ×3, first 2 shown]
	v_sub_f32_e32 v38, v37, v39
	v_sub_f32_e32 v36, v36, v38
	v_add_f32_e32 v35, v35, v36
	v_add_f32_e32 v35, v37, v35
	v_cmp_neq_f32_e32 vcc, s47, v3
	v_cndmask_b32_e32 v35, v26, v35, vcc
	v_cmp_ngt_f32_e32 vcc, -1.0, v3
	v_cndmask_b32_e32 v35, v27, v35, vcc
	v_cmp_neq_f32_e32 vcc, -1.0, v3
	v_cndmask_b32_e32 v35, v28, v35, vcc
	v_cmp_lt_f32_e64 vcc, |v3|, s48
	v_cndmask_b32_e32 v3, v35, v3, vcc
	v_max_f32_e64 v35, |v16|, |v16|
	v_max_f32_e64 v36, |v15|, |v15|
	v_min_f32_e32 v37, v36, v35
	v_max_f32_e32 v35, v36, v35
	v_frexp_mant_f32_e32 v36, v35
	v_rcp_f32_e32 v36, v36
	v_frexp_exp_i32_f32_e32 v35, v35
	v_frexp_exp_i32_f32_e32 v38, v37
	v_frexp_mant_f32_e32 v37, v37
	v_mul_f32_e32 v36, v37, v36
	v_sub_u32_e32 v35, v38, v35
	v_ldexp_f32 v35, v36, v35
	v_mul_f32_e32 v36, v35, v35
	v_mov_b32_e32 v37, 0xbc7a590c
	v_fmac_f32_e32 v37, 0x3b2d2a58, v36
	v_fma_f32 v37, v36, v37, v20
	v_fma_f32 v37, v36, v37, v21
	;; [unrolled: 1-line block ×6, first 2 shown]
	v_mul_f32_e32 v36, v36, v37
	v_fmac_f32_e32 v35, v35, v36
	v_sub_f32_e32 v36, 0x3fc90fdb, v35
	v_cndmask_b32_e64 v35, v35, v36, s[8:9]
	v_sub_f32_e32 v36, 0x40490fdb, v35
	v_cmp_gt_f32_e32 vcc, 0, v15
	v_cndmask_b32_e32 v35, v35, v36, vcc
	v_cndmask_b32_e64 v36, 0, v29, s[10:11]
	v_cmp_eq_f32_e64 s[10:11], 0, v16
	v_cndmask_b32_e64 v35, v35, v36, s[10:11]
	v_cmp_class_f32_e64 s[10:11], v15, s49
	v_cndmask_b32_e32 v36, v30, v31, vcc
	s_and_b64 vcc, s[30:31], s[10:11]
	v_mul_f32_e32 v3, 0.5, v3
	v_cndmask_b32_e32 v35, v35, v36, vcc
.LBB168_273:                            ;   in Loop: Header=BB168_145 Depth=1
	s_or_b64 exec, exec, s[28:29]
.LBB168_274:                            ;   in Loop: Header=BB168_145 Depth=1
	s_or_b64 exec, exec, s[26:27]
.LBB168_275:                            ;   in Loop: Header=BB168_145 Depth=1
	s_andn2_saveexec_b64 s[24:25], s[24:25]
	s_cbranch_execz .LBB168_277
; %bb.276:                              ;   in Loop: Header=BB168_145 Depth=1
	v_max_f32_e64 v3, |v16|, |v16|
	v_max_f32_e64 v37, |v15|, |v15|
	v_max_f32_e32 v38, v37, v3
	v_cvt_f64_f32_e32 v[35:36], v38
	v_min_f32_e32 v3, v37, v3
	v_frexp_mant_f32_e32 v37, v38
	v_rcp_f32_e32 v37, v37
	v_frexp_exp_i32_f64_e32 v35, v[35:36]
	v_cmp_neq_f32_e32 vcc, s47, v38
	v_frexp_exp_i32_f32_e32 v39, v3
	v_frexp_mant_f32_e32 v3, v3
	v_mul_f32_e32 v3, v3, v37
	v_frexp_exp_i32_f32_e32 v36, v38
	v_sub_u32_e32 v36, v39, v36
	v_ldexp_f32 v36, v3, v36
	v_sub_u32_e32 v40, 0, v35
	v_ldexp_f32 v41, |v15|, v40
	v_ldexp_f32 v40, |v16|, v40
	v_mul_f32_e32 v40, v40, v40
	v_fmac_f32_e32 v40, v41, v41
	v_sqrt_f32_e32 v40, v40
	v_cmp_gt_i32_e64 s[10:11], 0, v15
	v_cmp_class_f32_e64 s[26:27], v16, s49
	v_ldexp_f32 v35, v40, v35
	v_cndmask_b32_e32 v35, v26, v35, vcc
	v_cmp_gt_f32_e32 vcc, s51, v35
	v_cndmask_b32_e64 v37, 0, 32, vcc
	v_ldexp_f32 v35, v35, v37
	v_log_f32_e32 v35, v35
	v_cndmask_b32_e32 v3, 0, v32, vcc
	v_mul_f32_e32 v37, v36, v36
	v_mul_f32_e32 v38, 0x3f317217, v35
	v_fma_f32 v38, v35, s52, -v38
	v_fmac_f32_e32 v38, 0x3377d1cf, v35
	v_fmac_f32_e32 v38, 0x3f317217, v35
	v_cmp_lt_f32_e64 vcc, |v35|, s47
	v_cndmask_b32_e32 v35, v35, v38, vcc
	v_sub_f32_e32 v3, v35, v3
	v_mov_b32_e32 v35, 0xbc7a590c
	v_fmac_f32_e32 v35, 0x3b2d2a58, v37
	v_fma_f32 v35, v37, v35, v20
	v_fma_f32 v35, v37, v35, v21
	;; [unrolled: 1-line block ×6, first 2 shown]
	v_mul_f32_e32 v35, v37, v35
	v_fmac_f32_e32 v36, v36, v35
	v_sub_f32_e32 v35, 0x3fc90fdb, v36
	v_cndmask_b32_e64 v35, v36, v35, s[8:9]
	v_sub_f32_e32 v36, 0x40490fdb, v35
	v_cmp_gt_f32_e32 vcc, 0, v15
	v_cndmask_b32_e32 v35, v35, v36, vcc
	v_cndmask_b32_e64 v36, 0, v29, s[10:11]
	v_cmp_eq_f32_e64 s[10:11], 0, v16
	v_cndmask_b32_e64 v35, v35, v36, s[10:11]
	v_cmp_class_f32_e64 s[10:11], v15, s49
	v_cndmask_b32_e32 v36, v30, v31, vcc
	s_and_b64 vcc, s[26:27], s[10:11]
	v_cndmask_b32_e32 v35, v35, v36, vcc
.LBB168_277:                            ;   in Loop: Header=BB168_145 Depth=1
	s_or_b64 exec, exec, s[24:25]
                                        ; implicit-def: $vgpr36
.LBB168_278:                            ;   in Loop: Header=BB168_145 Depth=1
	s_andn2_saveexec_b64 s[22:23], s[22:23]
	s_cbranch_execz .LBB168_284
; %bb.279:                              ;   in Loop: Header=BB168_145 Depth=1
	v_cmp_ngt_f32_e32 vcc, s53, v36
                                        ; implicit-def: $vgpr3
                                        ; implicit-def: $vgpr35
	s_and_saveexec_b64 s[10:11], vcc
	s_xor_b64 s[24:25], exec, s[10:11]
	s_cbranch_execz .LBB168_281
; %bb.280:                              ;   in Loop: Header=BB168_145 Depth=1
	v_mul_f32_e32 v3, v36, v36
	v_add_f32_e32 v37, 1.0, v3
	v_cvt_f64_f32_e32 v[35:36], v37
	v_add_f32_e32 v38, -1.0, v37
	v_sub_f32_e32 v39, v38, v37
	v_sub_f32_e32 v38, v3, v38
	v_frexp_exp_i32_f64_e32 v35, v[35:36]
	v_frexp_mant_f32_e32 v36, v37
	v_cmp_gt_f32_e32 vcc, s45, v36
	v_add_f32_e32 v39, 1.0, v39
	v_add_f32_e32 v38, v38, v39
	v_cmp_gt_i32_e64 s[10:11], 0, v15
	v_cmp_class_f32_e64 s[26:27], v16, s49
	v_subbrev_co_u32_e32 v35, vcc, 0, v35, vcc
	v_sub_u32_e32 v36, 0, v35
	v_ldexp_f32 v37, v37, v36
	v_ldexp_f32 v36, v38, v36
	v_add_f32_e32 v38, -1.0, v37
	v_add_f32_e32 v39, 1.0, v37
	v_add_f32_e32 v40, 1.0, v38
	v_add_f32_e32 v42, -1.0, v39
	v_sub_f32_e32 v40, v37, v40
	v_sub_f32_e32 v37, v37, v42
	v_add_f32_e32 v40, v36, v40
	v_add_f32_e32 v36, v36, v37
	;; [unrolled: 1-line block ×3, first 2 shown]
	v_rcp_f32_e32 v42, v37
	v_add_f32_e32 v41, v38, v40
	v_sub_f32_e32 v39, v39, v37
	v_sub_f32_e32 v38, v38, v41
	v_add_f32_e32 v36, v36, v39
	v_mul_f32_e32 v39, v41, v42
	v_add_f32_e32 v38, v40, v38
	v_mul_f32_e32 v40, v37, v39
	v_fma_f32 v43, v39, v37, -v40
	v_fmac_f32_e32 v43, v39, v36
	v_add_f32_e32 v44, v40, v43
	v_sub_f32_e32 v45, v41, v44
	v_sub_f32_e32 v41, v41, v45
	;; [unrolled: 1-line block ×4, first 2 shown]
	v_add_f32_e32 v38, v38, v41
	v_sub_f32_e32 v40, v40, v43
	v_add_f32_e32 v38, v40, v38
	v_add_f32_e32 v40, v45, v38
	v_mul_f32_e32 v41, v42, v40
	v_mul_f32_e32 v43, v37, v41
	v_fma_f32 v37, v41, v37, -v43
	v_fmac_f32_e32 v37, v41, v36
	v_sub_f32_e32 v36, v45, v40
	v_add_f32_e32 v36, v38, v36
	v_add_f32_e32 v38, v43, v37
	v_sub_f32_e32 v44, v40, v38
	v_sub_f32_e32 v40, v40, v44
	;; [unrolled: 1-line block ×4, first 2 shown]
	v_add_f32_e32 v36, v36, v38
	v_sub_f32_e32 v37, v43, v37
	v_cvt_f32_i32_e32 v35, v35
	v_add_f32_e32 v36, v37, v36
	v_add_f32_e32 v37, v39, v41
	;; [unrolled: 1-line block ×3, first 2 shown]
	v_sub_f32_e32 v38, v37, v39
	v_mul_f32_e32 v36, v42, v36
	v_sub_f32_e32 v38, v41, v38
	v_add_f32_e32 v36, v38, v36
	v_mul_f32_e32 v41, 0x3f317218, v35
	v_add_f32_e32 v38, v37, v36
	v_fma_f32 v42, v35, s46, -v41
	v_mul_f32_e32 v39, v38, v38
	v_mov_b32_e32 v40, 0x3ecc95a3
	v_fmac_f32_e32 v42, 0xb102e308, v35
	v_sub_f32_e32 v35, v38, v37
	v_fmac_f32_e32 v40, 0x3e9b6dac, v39
	v_sub_f32_e32 v35, v36, v35
	v_add_f32_e32 v36, v41, v42
	v_fma_f32 v40, v39, v40, v19
	v_sub_f32_e32 v37, v36, v41
	v_ldexp_f32 v41, v38, 1
	v_mul_f32_e32 v38, v38, v39
	v_mul_f32_e32 v38, v38, v40
	v_add_f32_e32 v39, v41, v38
	v_sub_f32_e32 v40, v39, v41
	v_ldexp_f32 v35, v35, 1
	v_sub_f32_e32 v38, v38, v40
	v_add_f32_e32 v35, v35, v38
	v_add_f32_e32 v38, v39, v35
	v_sub_f32_e32 v39, v38, v39
	v_sub_f32_e32 v35, v35, v39
	v_add_f32_e32 v39, v36, v38
	v_sub_f32_e32 v40, v39, v36
	v_sub_f32_e32 v41, v39, v40
	;; [unrolled: 1-line block ×5, first 2 shown]
	v_add_f32_e32 v36, v38, v36
	v_add_f32_e32 v38, v37, v35
	v_sub_f32_e32 v40, v38, v37
	v_sub_f32_e32 v41, v38, v40
	;; [unrolled: 1-line block ×4, first 2 shown]
	v_add_f32_e32 v36, v38, v36
	v_add_f32_e32 v35, v35, v37
	;; [unrolled: 1-line block ×3, first 2 shown]
	v_sub_f32_e32 v38, v37, v39
	v_sub_f32_e32 v36, v36, v38
	v_add_f32_e32 v35, v35, v36
	v_add_f32_e32 v35, v37, v35
	v_cmp_neq_f32_e32 vcc, s47, v3
	v_cndmask_b32_e32 v35, v26, v35, vcc
	v_cmp_lt_f32_e64 vcc, |v3|, s48
	v_cndmask_b32_e32 v3, v35, v3, vcc
	v_max_f32_e64 v35, |v16|, |v16|
	v_max_f32_e64 v36, |v15|, |v15|
	v_min_f32_e32 v37, v36, v35
	v_max_f32_e32 v35, v36, v35
	v_frexp_mant_f32_e32 v36, v35
	v_rcp_f32_e32 v36, v36
	v_frexp_exp_i32_f32_e32 v35, v35
	v_frexp_exp_i32_f32_e32 v38, v37
	v_frexp_mant_f32_e32 v37, v37
	v_mul_f32_e32 v36, v37, v36
	v_sub_u32_e32 v35, v38, v35
	v_ldexp_f32 v35, v36, v35
	v_mul_f32_e32 v36, v35, v35
	v_mov_b32_e32 v37, 0xbc7a590c
	v_fmac_f32_e32 v37, 0x3b2d2a58, v36
	v_fma_f32 v37, v36, v37, v20
	v_fma_f32 v37, v36, v37, v21
	;; [unrolled: 1-line block ×6, first 2 shown]
	v_mul_f32_e32 v36, v36, v37
	v_fmac_f32_e32 v35, v35, v36
	v_sub_f32_e32 v36, 0x3fc90fdb, v35
	v_cndmask_b32_e64 v35, v35, v36, s[8:9]
	v_sub_f32_e32 v36, 0x40490fdb, v35
	v_cmp_gt_f32_e32 vcc, 0, v15
	v_cndmask_b32_e32 v35, v35, v36, vcc
	v_cndmask_b32_e64 v36, 0, v29, s[10:11]
	v_cmp_eq_f32_e64 s[10:11], 0, v16
	v_cndmask_b32_e64 v35, v35, v36, s[10:11]
	v_cmp_class_f32_e64 s[10:11], v15, s49
	v_cndmask_b32_e32 v36, v30, v31, vcc
	s_and_b64 vcc, s[26:27], s[10:11]
	v_mul_f32_e32 v3, 0.5, v3
	v_cndmask_b32_e32 v35, v35, v36, vcc
                                        ; implicit-def: $vgpr36
.LBB168_281:                            ;   in Loop: Header=BB168_145 Depth=1
	s_andn2_saveexec_b64 s[24:25], s[24:25]
	s_cbranch_execz .LBB168_283
; %bb.282:                              ;   in Loop: Header=BB168_145 Depth=1
	v_mul_f32_e32 v3, 0.5, v36
	v_mul_f32_e32 v3, v36, v3
	v_max_f32_e64 v35, |v16|, |v16|
	v_max_f32_e64 v36, |v15|, |v15|
	v_min_f32_e32 v37, v36, v35
	v_max_f32_e32 v35, v36, v35
	v_frexp_mant_f32_e32 v36, v35
	v_rcp_f32_e32 v36, v36
	v_frexp_exp_i32_f32_e32 v35, v35
	v_frexp_exp_i32_f32_e32 v38, v37
	v_frexp_mant_f32_e32 v37, v37
	v_mul_f32_e32 v36, v37, v36
	v_sub_u32_e32 v35, v38, v35
	v_ldexp_f32 v35, v36, v35
	v_mul_f32_e32 v36, v35, v35
	v_mov_b32_e32 v37, 0xbc7a590c
	v_fmac_f32_e32 v37, 0x3b2d2a58, v36
	v_fma_f32 v37, v36, v37, v20
	v_fma_f32 v37, v36, v37, v21
	;; [unrolled: 1-line block ×6, first 2 shown]
	v_mul_f32_e32 v36, v36, v37
	v_fmac_f32_e32 v35, v35, v36
	v_sub_f32_e32 v36, 0x3fc90fdb, v35
	v_cndmask_b32_e64 v35, v35, v36, s[8:9]
	v_sub_f32_e32 v36, 0x40490fdb, v35
	v_cmp_gt_f32_e32 vcc, 0, v15
	v_cmp_gt_i32_e64 s[10:11], 0, v15
	v_cndmask_b32_e32 v35, v35, v36, vcc
	v_cndmask_b32_e64 v36, 0, v29, s[10:11]
	v_cmp_eq_f32_e64 s[10:11], 0, v16
	v_cndmask_b32_e64 v35, v35, v36, s[10:11]
	v_cmp_class_f32_e64 s[10:11], v15, s49
	v_cmp_class_f32_e64 s[26:27], v16, s49
	v_cndmask_b32_e32 v36, v30, v31, vcc
	s_and_b64 vcc, s[26:27], s[10:11]
	v_cndmask_b32_e32 v35, v35, v36, vcc
.LBB168_283:                            ;   in Loop: Header=BB168_145 Depth=1
	s_or_b64 exec, exec, s[24:25]
.LBB168_284:                            ;   in Loop: Header=BB168_145 Depth=1
	s_or_b64 exec, exec, s[22:23]
.LBB168_285:                            ;   in Loop: Header=BB168_145 Depth=1
	s_andn2_saveexec_b64 s[20:21], s[20:21]
	s_cbranch_execz .LBB168_287
; %bb.286:                              ;   in Loop: Header=BB168_145 Depth=1
	v_div_scale_f32 v3, s[10:11], s54, s54, v15
	v_div_scale_f32 v35, s[10:11], s54, s54, v16
	v_div_scale_f32 v36, vcc, v15, s54, v15
	v_div_scale_f32 v37, s[10:11], v16, s54, v16
	v_rcp_f32_e32 v38, v3
	v_rcp_f32_e32 v39, v35
	v_fma_f32 v40, -v3, v38, 1.0
	v_fmac_f32_e32 v38, v40, v38
	v_fma_f32 v41, -v35, v39, 1.0
	v_fmac_f32_e32 v39, v41, v39
	v_mul_f32_e32 v40, v36, v38
	v_mul_f32_e32 v41, v37, v39
	v_fma_f32 v42, -v3, v40, v36
	v_fma_f32 v43, -v35, v41, v37
	v_fmac_f32_e32 v40, v42, v38
	v_fmac_f32_e32 v41, v43, v39
	v_fma_f32 v3, -v3, v40, v36
	v_fma_f32 v35, -v35, v41, v37
	v_div_fmas_f32 v3, v3, v38, v40
	s_mov_b64 vcc, s[10:11]
	v_div_fmas_f32 v35, v35, v39, v41
	v_max_f32_e64 v36, |v16|, |v16|
	v_max_f32_e64 v37, |v15|, |v15|
	v_min_f32_e32 v39, v37, v36
	v_max_f32_e32 v36, v37, v36
	v_frexp_exp_i32_f32_e32 v37, v36
	v_frexp_exp_i32_f32_e32 v40, v39
	v_sub_u32_e32 v37, v40, v37
	v_frexp_mant_f32_e32 v36, v36
	v_rcp_f32_e32 v41, v36
	v_frexp_mant_f32_e32 v39, v39
	v_mov_b32_e32 v38, 0xbc7a590c
	v_cmp_class_f32_e64 s[10:11], v16, s49
	v_mul_f32_e32 v39, v39, v41
	v_div_fixup_f32 v3, v3, s54, v15
	v_ldexp_f32 v37, v39, v37
	v_div_fixup_f32 v40, v35, s54, v16
	v_max_f32_e64 v42, |v3|, |v40|
	v_cvt_f64_f32_e32 v[35:36], v42
	v_mul_f32_e32 v39, v37, v37
	v_fmac_f32_e32 v38, 0x3b2d2a58, v39
	v_cmp_neq_f32_e32 vcc, s47, v42
	v_frexp_exp_i32_f64_e32 v35, v[35:36]
	v_fma_f32 v36, v39, v38, v20
	v_fma_f32 v36, v39, v36, v21
	v_fma_f32 v36, v39, v36, v22
	v_fma_f32 v36, v39, v36, v23
	v_fma_f32 v36, v39, v36, v24
	v_fma_f32 v36, v39, v36, v25
	v_mul_f32_e32 v36, v39, v36
	v_sub_u32_e32 v38, 0, v35
	v_ldexp_f32 v3, |v3|, v38
	v_ldexp_f32 v38, |v40|, v38
	v_mul_f32_e32 v38, v38, v38
	v_fmac_f32_e32 v38, v3, v3
	v_sqrt_f32_e32 v3, v38
	v_fmac_f32_e32 v37, v37, v36
	v_sub_f32_e32 v36, 0x3fc90fdb, v37
	v_ldexp_f32 v3, v3, v35
	v_cndmask_b32_e32 v3, v26, v3, vcc
	v_cmp_gt_f32_e32 vcc, s51, v3
	v_cndmask_b32_e64 v35, 0, 32, vcc
	v_ldexp_f32 v3, v3, v35
	v_log_f32_e32 v3, v3
	v_cndmask_b32_e64 v35, v37, v36, s[8:9]
	v_cndmask_b32_e32 v37, 0, v32, vcc
	v_sub_f32_e32 v36, 0x40490fdb, v35
	v_mul_f32_e32 v38, 0x3f317217, v3
	v_fma_f32 v38, v3, s52, -v38
	v_fmac_f32_e32 v38, 0x3377d1cf, v3
	v_fmac_f32_e32 v38, 0x3f317217, v3
	v_cmp_lt_f32_e64 vcc, |v3|, s47
	v_cndmask_b32_e32 v3, v3, v38, vcc
	v_cmp_gt_f32_e32 vcc, 0, v15
	v_cmp_gt_i32_e64 s[8:9], 0, v15
	v_cndmask_b32_e32 v35, v35, v36, vcc
	v_cndmask_b32_e64 v36, 0, v29, s[8:9]
	v_cmp_eq_f32_e64 s[8:9], 0, v16
	v_cndmask_b32_e64 v35, v35, v36, s[8:9]
	v_cmp_class_f32_e64 s[8:9], v15, s49
	v_sub_f32_e32 v3, v3, v37
	v_cndmask_b32_e32 v36, v30, v31, vcc
	s_and_b64 vcc, s[10:11], s[8:9]
	v_add_f32_e32 v3, 1.0, v3
	v_cndmask_b32_e32 v35, v35, v36, vcc
.LBB168_287:                            ;   in Loop: Header=BB168_145 Depth=1
	s_or_b64 exec, exec, s[20:21]
	s_andn2_saveexec_b64 s[8:9], s[18:19]
	s_cbranch_execz .LBB168_257
.LBB168_288:                            ;   in Loop: Header=BB168_145 Depth=1
	v_cmp_nlt_f32_e64 s[10:11], |v15|, s55
	v_cmp_nlt_f32_e64 s[18:19], |v16|, s55
	s_or_b64 s[10:11], s[18:19], s[10:11]
                                        ; implicit-def: $vgpr3
	s_and_saveexec_b64 s[18:19], s[10:11]
	s_xor_b64 s[10:11], exec, s[18:19]
; %bb.289:                              ;   in Loop: Header=BB168_145 Depth=1
	v_mul_f32_e32 v3, v15, v15
	v_fmac_f32_e32 v3, v16, v16
; %bb.290:                              ;   in Loop: Header=BB168_145 Depth=1
	s_andn2_saveexec_b64 s[10:11], s[10:11]
; %bb.291:                              ;   in Loop: Header=BB168_145 Depth=1
	v_mul_f32_e32 v3, 4.0, v15
	v_mul_f32_e32 v15, 4.0, v16
	v_mul_f32_e32 v3, v3, v3
	v_fmac_f32_e32 v3, v15, v15
	v_mul_f32_e32 v3, 0x3d800000, v3
; %bb.292:                              ;   in Loop: Header=BB168_145 Depth=1
	s_or_b64 exec, exec, s[10:11]
	v_cmp_gt_f32_e32 vcc, s51, v3
	v_cndmask_b32_e64 v15, 0, 32, vcc
	v_ldexp_f32 v3, v3, v15
	v_log_f32_e32 v3, v3
	v_cndmask_b32_e32 v15, 0, v32, vcc
	v_mul_f32_e32 v35, 0x3f317217, v3
	v_fma_f32 v35, v3, s52, -v35
	v_fmac_f32_e32 v35, 0x3377d1cf, v3
	v_fmac_f32_e32 v35, 0x3f317217, v3
	v_cmp_lt_f32_e64 vcc, |v3|, s47
	v_cndmask_b32_e32 v3, v3, v35, vcc
	v_sub_f32_e32 v3, v3, v15
	v_mov_b32_e32 v35, 0x7fc00000
	s_or_b64 exec, exec, s[8:9]
	s_and_saveexec_b64 s[8:9], s[0:1]
	s_xor_b64 s[0:1], exec, s[8:9]
	s_cbranch_execz .LBB168_258
.LBB168_293:                            ;   in Loop: Header=BB168_145 Depth=1
	v_lshlrev_b64 v[1:2], 3, v[1:2]
	v_bfi_b32 v18, s41, v18, v8
	v_mov_b32_e32 v8, s36
	v_add_co_u32_e32 v1, vcc, s35, v1
	v_addc_co_u32_e32 v2, vcc, v8, v2, vcc
	global_store_dwordx2 v[1:2], v[17:18], off
	s_or_b64 exec, exec, s[0:1]
	s_and_saveexec_b64 s[0:1], s[2:3]
	s_cbranch_execz .LBB168_259
.LBB168_294:                            ;   in Loop: Header=BB168_145 Depth=1
	v_lshlrev_b64 v[1:2], 3, v[5:6]
	v_mov_b32_e32 v5, s36
	v_add_co_u32_e32 v1, vcc, s35, v1
	v_bfi_b32 v8, s41, v33, v12
	v_addc_co_u32_e32 v2, vcc, v5, v2, vcc
	global_store_dwordx2 v[1:2], v[7:8], off
	s_or_b64 exec, exec, s[0:1]
	s_and_saveexec_b64 s[0:1], s[4:5]
	s_cbranch_execz .LBB168_260
.LBB168_295:                            ;   in Loop: Header=BB168_145 Depth=1
	v_lshlrev_b64 v[1:2], 3, v[9:10]
	v_bfi_b32 v12, s41, v34, v4
	v_mov_b32_e32 v4, s36
	v_add_co_u32_e32 v1, vcc, s35, v1
	v_addc_co_u32_e32 v2, vcc, v4, v2, vcc
	global_store_dwordx2 v[1:2], v[11:12], off
	s_or_b64 exec, exec, s[0:1]
	s_and_saveexec_b64 s[0:1], s[6:7]
	s_cbranch_execz .LBB168_144
.LBB168_296:                            ;   in Loop: Header=BB168_145 Depth=1
	v_lshlrev_b64 v[1:2], 3, v[13:14]
	v_mov_b32_e32 v5, s36
	v_add_co_u32_e32 v1, vcc, s35, v1
	v_bfi_b32 v4, s41, v35, v16
	v_addc_co_u32_e32 v2, vcc, v5, v2, vcc
	global_store_dwordx2 v[1:2], v[3:4], off
	s_branch .LBB168_144
.LBB168_297:
	s_endpgm
	.section	.rodata,"a",@progbits
	.p2align	6, 0x0
	.amdhsa_kernel _ZN2at6native12_GLOBAL__N_125multi_tensor_apply_kernelINS1_18TensorListMetadataILi2EEENS1_14UnaryOpFunctorIN3c107complexIfEELi2ELi1ELi1EEEJNS0_3LogIS8_EEEEEvT_T0_DpT1_
		.amdhsa_group_segment_fixed_size 0
		.amdhsa_private_segment_fixed_size 0
		.amdhsa_kernarg_size 3408
		.amdhsa_user_sgpr_count 6
		.amdhsa_user_sgpr_private_segment_buffer 1
		.amdhsa_user_sgpr_dispatch_ptr 0
		.amdhsa_user_sgpr_queue_ptr 0
		.amdhsa_user_sgpr_kernarg_segment_ptr 1
		.amdhsa_user_sgpr_dispatch_id 0
		.amdhsa_user_sgpr_flat_scratch_init 0
		.amdhsa_user_sgpr_private_segment_size 0
		.amdhsa_uses_dynamic_stack 0
		.amdhsa_system_sgpr_private_segment_wavefront_offset 0
		.amdhsa_system_sgpr_workgroup_id_x 1
		.amdhsa_system_sgpr_workgroup_id_y 0
		.amdhsa_system_sgpr_workgroup_id_z 0
		.amdhsa_system_sgpr_workgroup_info 0
		.amdhsa_system_vgpr_workitem_id 0
		.amdhsa_next_free_vgpr 48
		.amdhsa_next_free_sgpr 60
		.amdhsa_reserve_vcc 1
		.amdhsa_reserve_flat_scratch 0
		.amdhsa_float_round_mode_32 0
		.amdhsa_float_round_mode_16_64 0
		.amdhsa_float_denorm_mode_32 3
		.amdhsa_float_denorm_mode_16_64 3
		.amdhsa_dx10_clamp 1
		.amdhsa_ieee_mode 1
		.amdhsa_fp16_overflow 0
		.amdhsa_exception_fp_ieee_invalid_op 0
		.amdhsa_exception_fp_denorm_src 0
		.amdhsa_exception_fp_ieee_div_zero 0
		.amdhsa_exception_fp_ieee_overflow 0
		.amdhsa_exception_fp_ieee_underflow 0
		.amdhsa_exception_fp_ieee_inexact 0
		.amdhsa_exception_int_div_zero 0
	.end_amdhsa_kernel
	.section	.text._ZN2at6native12_GLOBAL__N_125multi_tensor_apply_kernelINS1_18TensorListMetadataILi2EEENS1_14UnaryOpFunctorIN3c107complexIfEELi2ELi1ELi1EEEJNS0_3LogIS8_EEEEEvT_T0_DpT1_,"axG",@progbits,_ZN2at6native12_GLOBAL__N_125multi_tensor_apply_kernelINS1_18TensorListMetadataILi2EEENS1_14UnaryOpFunctorIN3c107complexIfEELi2ELi1ELi1EEEJNS0_3LogIS8_EEEEEvT_T0_DpT1_,comdat
.Lfunc_end168:
	.size	_ZN2at6native12_GLOBAL__N_125multi_tensor_apply_kernelINS1_18TensorListMetadataILi2EEENS1_14UnaryOpFunctorIN3c107complexIfEELi2ELi1ELi1EEEJNS0_3LogIS8_EEEEEvT_T0_DpT1_, .Lfunc_end168-_ZN2at6native12_GLOBAL__N_125multi_tensor_apply_kernelINS1_18TensorListMetadataILi2EEENS1_14UnaryOpFunctorIN3c107complexIfEELi2ELi1ELi1EEEJNS0_3LogIS8_EEEEEvT_T0_DpT1_
                                        ; -- End function
	.set _ZN2at6native12_GLOBAL__N_125multi_tensor_apply_kernelINS1_18TensorListMetadataILi2EEENS1_14UnaryOpFunctorIN3c107complexIfEELi2ELi1ELi1EEEJNS0_3LogIS8_EEEEEvT_T0_DpT1_.num_vgpr, 48
	.set _ZN2at6native12_GLOBAL__N_125multi_tensor_apply_kernelINS1_18TensorListMetadataILi2EEENS1_14UnaryOpFunctorIN3c107complexIfEELi2ELi1ELi1EEEJNS0_3LogIS8_EEEEEvT_T0_DpT1_.num_agpr, 0
	.set _ZN2at6native12_GLOBAL__N_125multi_tensor_apply_kernelINS1_18TensorListMetadataILi2EEENS1_14UnaryOpFunctorIN3c107complexIfEELi2ELi1ELi1EEEJNS0_3LogIS8_EEEEEvT_T0_DpT1_.numbered_sgpr, 60
	.set _ZN2at6native12_GLOBAL__N_125multi_tensor_apply_kernelINS1_18TensorListMetadataILi2EEENS1_14UnaryOpFunctorIN3c107complexIfEELi2ELi1ELi1EEEJNS0_3LogIS8_EEEEEvT_T0_DpT1_.num_named_barrier, 0
	.set _ZN2at6native12_GLOBAL__N_125multi_tensor_apply_kernelINS1_18TensorListMetadataILi2EEENS1_14UnaryOpFunctorIN3c107complexIfEELi2ELi1ELi1EEEJNS0_3LogIS8_EEEEEvT_T0_DpT1_.private_seg_size, 0
	.set _ZN2at6native12_GLOBAL__N_125multi_tensor_apply_kernelINS1_18TensorListMetadataILi2EEENS1_14UnaryOpFunctorIN3c107complexIfEELi2ELi1ELi1EEEJNS0_3LogIS8_EEEEEvT_T0_DpT1_.uses_vcc, 1
	.set _ZN2at6native12_GLOBAL__N_125multi_tensor_apply_kernelINS1_18TensorListMetadataILi2EEENS1_14UnaryOpFunctorIN3c107complexIfEELi2ELi1ELi1EEEJNS0_3LogIS8_EEEEEvT_T0_DpT1_.uses_flat_scratch, 0
	.set _ZN2at6native12_GLOBAL__N_125multi_tensor_apply_kernelINS1_18TensorListMetadataILi2EEENS1_14UnaryOpFunctorIN3c107complexIfEELi2ELi1ELi1EEEJNS0_3LogIS8_EEEEEvT_T0_DpT1_.has_dyn_sized_stack, 0
	.set _ZN2at6native12_GLOBAL__N_125multi_tensor_apply_kernelINS1_18TensorListMetadataILi2EEENS1_14UnaryOpFunctorIN3c107complexIfEELi2ELi1ELi1EEEJNS0_3LogIS8_EEEEEvT_T0_DpT1_.has_recursion, 0
	.set _ZN2at6native12_GLOBAL__N_125multi_tensor_apply_kernelINS1_18TensorListMetadataILi2EEENS1_14UnaryOpFunctorIN3c107complexIfEELi2ELi1ELi1EEEJNS0_3LogIS8_EEEEEvT_T0_DpT1_.has_indirect_call, 0
	.section	.AMDGPU.csdata,"",@progbits
; Kernel info:
; codeLenInByte = 37108
; TotalNumSgprs: 64
; NumVgprs: 48
; ScratchSize: 0
; MemoryBound: 1
; FloatMode: 240
; IeeeMode: 1
; LDSByteSize: 0 bytes/workgroup (compile time only)
; SGPRBlocks: 7
; VGPRBlocks: 11
; NumSGPRsForWavesPerEU: 64
; NumVGPRsForWavesPerEU: 48
; Occupancy: 5
; WaveLimiterHint : 0
; COMPUTE_PGM_RSRC2:SCRATCH_EN: 0
; COMPUTE_PGM_RSRC2:USER_SGPR: 6
; COMPUTE_PGM_RSRC2:TRAP_HANDLER: 0
; COMPUTE_PGM_RSRC2:TGID_X_EN: 1
; COMPUTE_PGM_RSRC2:TGID_Y_EN: 0
; COMPUTE_PGM_RSRC2:TGID_Z_EN: 0
; COMPUTE_PGM_RSRC2:TIDIG_COMP_CNT: 0
	.section	.text._ZN2at6native12_GLOBAL__N_125multi_tensor_apply_kernelINS1_18TensorListMetadataILi2EEENS1_14UnaryOpFunctorIN3c104HalfELi2ELi1ELi1EEEJNS0_3LogIfEEEEEvT_T0_DpT1_,"axG",@progbits,_ZN2at6native12_GLOBAL__N_125multi_tensor_apply_kernelINS1_18TensorListMetadataILi2EEENS1_14UnaryOpFunctorIN3c104HalfELi2ELi1ELi1EEEJNS0_3LogIfEEEEEvT_T0_DpT1_,comdat
	.globl	_ZN2at6native12_GLOBAL__N_125multi_tensor_apply_kernelINS1_18TensorListMetadataILi2EEENS1_14UnaryOpFunctorIN3c104HalfELi2ELi1ELi1EEEJNS0_3LogIfEEEEEvT_T0_DpT1_ ; -- Begin function _ZN2at6native12_GLOBAL__N_125multi_tensor_apply_kernelINS1_18TensorListMetadataILi2EEENS1_14UnaryOpFunctorIN3c104HalfELi2ELi1ELi1EEEJNS0_3LogIfEEEEEvT_T0_DpT1_
	.p2align	8
	.type	_ZN2at6native12_GLOBAL__N_125multi_tensor_apply_kernelINS1_18TensorListMetadataILi2EEENS1_14UnaryOpFunctorIN3c104HalfELi2ELi1ELi1EEEJNS0_3LogIfEEEEEvT_T0_DpT1_,@function
_ZN2at6native12_GLOBAL__N_125multi_tensor_apply_kernelINS1_18TensorListMetadataILi2EEENS1_14UnaryOpFunctorIN3c104HalfELi2ELi1ELi1EEEJNS0_3LogIfEEEEEvT_T0_DpT1_: ; @_ZN2at6native12_GLOBAL__N_125multi_tensor_apply_kernelINS1_18TensorListMetadataILi2EEENS1_14UnaryOpFunctorIN3c104HalfELi2ELi1ELi1EEEJNS0_3LogIfEEEEEvT_T0_DpT1_
; %bb.0:
	v_mov_b32_e32 v1, s6
	global_load_ubyte v1, v1, s[4:5] offset:1536
	s_add_u32 s0, s4, s6
	s_mul_hi_u32 s2, s6, 3
	s_mul_i32 s6, s6, 3
	s_addc_u32 s7, s5, 0
	s_add_u32 s6, s0, s6
	s_addc_u32 s7, s7, s2
	s_load_dword s6, s[6:7], 0x740
	s_mov_b32 s1, 0
	s_mov_b32 s3, s1
	s_waitcnt lgkmcnt(0)
	s_ashr_i32 s7, s6, 31
	s_lshl_b64 s[8:9], s[6:7], 17
	s_lshl_b64 s[6:7], s[6:7], 16
	s_waitcnt vmcnt(0)
	v_readfirstlane_b32 s0, v1
	s_lshl_b32 s0, s0, 3
	s_load_dwordx2 s[10:11], s[4:5], s0 offset:0x400
	s_load_dwordx2 s[16:17], s[4:5], s0 offset:0x0
	;; [unrolled: 1-line block ×3, first 2 shown]
	s_waitcnt lgkmcnt(0)
	s_add_u32 s0, s16, s8
	s_and_b32 s2, s14, 7
	s_and_b32 s0, s0, 7
	s_sub_u32 s12, s10, s6
	s_subb_u32 s13, s11, s7
	s_and_b32 s6, s10, 3
	s_mov_b32 s7, s1
	s_or_b64 s[2:3], s[2:3], s[6:7]
	s_or_b64 s[0:1], s[2:3], s[0:1]
	s_cmp_eq_u64 s[0:1], 0
	s_mov_b64 s[0:1], -1
	s_cbranch_scc0 .LBB169_5
; %bb.1:
	v_mov_b32_e32 v1, 0x10000
	v_mov_b32_e32 v2, 0
	v_cmp_lt_i64_e32 vcc, s[12:13], v[1:2]
	v_mov_b32_e32 v2, 0
	s_and_b64 s[0:1], vcc, exec
	s_cselect_b32 s11, s13, 0
	s_cselect_b32 s10, s12, 0x10000
	v_lshlrev_b32_e32 v1, 2, v0
	v_cmp_gt_i64_e32 vcc, s[10:11], v[1:2]
	s_and_saveexec_b64 s[18:19], vcc
	s_cbranch_execz .LBB169_4
; %bb.2:
	s_load_dword s0, s[4:5], 0xc5c
	v_mov_b32_e32 v1, v2
	v_lshlrev_b32_e32 v2, 3, v0
	v_mov_b32_e32 v4, s9
	v_add_co_u32_e32 v3, vcc, s8, v2
	s_waitcnt lgkmcnt(0)
	s_and_b32 s22, s0, 0xffff
	v_mov_b32_e32 v2, v1
	v_addc_co_u32_e32 v4, vcc, 0, v4, vcc
	s_lshl_b32 s23, s22, 3
	s_mov_b64 s[20:21], 0
	v_mov_b32_e32 v5, s17
	s_mov_b32 s24, 0x3f317217
	s_mov_b32 s25, 0x7f800000
	v_mov_b32_e32 v6, s15
	v_mov_b32_e32 v1, v0
.LBB169_3:                              ; =>This Inner Loop Header: Depth=1
	v_add_co_u32_e32 v7, vcc, s16, v3
	v_addc_co_u32_e32 v8, vcc, v5, v4, vcc
	global_load_dwordx2 v[7:8], v[7:8], off
	v_add_co_u32_e32 v9, vcc, s14, v3
	v_addc_co_u32_e32 v10, vcc, v6, v4, vcc
	v_add_co_u32_e32 v1, vcc, s22, v1
	v_addc_co_u32_e32 v2, vcc, 0, v2, vcc
	;; [unrolled: 2-line block ×3, first 2 shown]
	v_lshlrev_b64 v[11:12], 2, v[1:2]
	s_waitcnt vmcnt(0)
	v_cvt_f32_f16_e32 v13, v7
	v_cvt_f32_f16_sdwa v7, v7 dst_sel:DWORD dst_unused:UNUSED_PAD src0_sel:WORD_1
	v_cvt_f32_f16_e32 v14, v8
	v_cvt_f32_f16_sdwa v8, v8 dst_sel:DWORD dst_unused:UNUSED_PAD src0_sel:WORD_1
	v_log_f32_e32 v13, v13
	v_log_f32_e32 v7, v7
	;; [unrolled: 1-line block ×4, first 2 shown]
	v_mul_f32_e32 v15, 0x3f317217, v13
	v_mul_f32_e32 v16, 0x3f317217, v7
	;; [unrolled: 1-line block ×4, first 2 shown]
	v_fma_f32 v15, v13, s24, -v15
	v_fma_f32 v16, v7, s24, -v16
	;; [unrolled: 1-line block ×4, first 2 shown]
	v_fmac_f32_e32 v15, 0x3377d1cf, v13
	v_fmac_f32_e32 v16, 0x3377d1cf, v7
	;; [unrolled: 1-line block ×6, first 2 shown]
	v_cmp_lt_f32_e64 vcc, |v7|, s25
	v_fmac_f32_e32 v17, 0x3f317217, v14
	v_cmp_lt_f32_e64 s[0:1], |v14|, s25
	v_fmac_f32_e32 v18, 0x3f317217, v8
	v_cmp_lt_f32_e64 s[2:3], |v8|, s25
	v_cmp_lt_f32_e64 s[6:7], |v13|, s25
	v_cndmask_b32_e64 v13, v13, v15, s[6:7]
	v_cndmask_b32_e32 v7, v7, v16, vcc
	v_cndmask_b32_e64 v14, v14, v17, s[0:1]
	v_cndmask_b32_e64 v8, v8, v18, s[2:3]
	v_cvt_f16_f32_e32 v13, v13
	v_cvt_f16_f32_e32 v7, v7
	;; [unrolled: 1-line block ×4, first 2 shown]
	v_cmp_le_i64_e32 vcc, s[10:11], v[11:12]
	v_pack_b32_f16 v7, v13, v7
	s_or_b64 s[20:21], vcc, s[20:21]
	v_pack_b32_f16 v8, v14, v8
	global_store_dwordx2 v[9:10], v[7:8], off
	s_andn2_b64 exec, exec, s[20:21]
	s_cbranch_execnz .LBB169_3
.LBB169_4:
	s_or_b64 exec, exec, s[18:19]
	s_mov_b64 s[0:1], 0
.LBB169_5:
	s_andn2_b64 vcc, exec, s[0:1]
	s_cbranch_vccnz .LBB169_25
; %bb.6:
	v_cmp_lt_i64_e64 s[0:1], s[12:13], 1
	s_and_b64 vcc, exec, s[0:1]
	s_cbranch_vccnz .LBB169_25
; %bb.7:
	v_mov_b32_e32 v1, 0x10000
	s_load_dword s2, s[4:5], 0xc5c
	v_mov_b32_e32 v2, 0
	v_cmp_lt_i64_e32 vcc, s[12:13], v[1:2]
	v_mov_b32_e32 v10, 0
	s_and_b64 s[0:1], vcc, exec
	v_cmp_lt_u64_e32 vcc, s[12:13], v[1:2]
	s_cselect_b32 s11, s13, 0
	s_cselect_b32 s10, s12, 0x10000
	s_waitcnt lgkmcnt(0)
	s_and_b32 s2, s2, 0xffff
	v_lshlrev_b32_e32 v9, 1, v0
	s_and_b64 s[0:1], vcc, exec
	v_mov_b32_e32 v2, s17
	v_add_co_u32_e32 v1, vcc, s16, v9
	v_mad_u64_u32 v[7:8], s[0:1], s2, 6, v[9:10]
	v_addc_co_u32_e32 v2, vcc, 0, v2, vcc
	v_mov_b32_e32 v4, s15
	v_add_co_u32_e32 v3, vcc, s14, v9
	v_addc_co_u32_e32 v4, vcc, 0, v4, vcc
	v_mov_b32_e32 v6, s17
	v_add_co_u32_e32 v5, vcc, s16, v7
	;; [unrolled: 3-line block ×3, first 2 shown]
	s_cselect_b32 s13, s13, 0
	s_cselect_b32 s12, s12, 0x10000
	s_lshl_b32 s18, s2, 2
	v_addc_co_u32_e32 v8, vcc, v10, v8, vcc
	v_add_co_u32_e32 v11, vcc, s18, v9
	v_addc_co_u32_e64 v12, s[0:1], 0, 0, vcc
	v_mov_b32_e32 v10, s17
	v_add_co_u32_e32 v9, vcc, s16, v11
	v_addc_co_u32_e32 v10, vcc, v10, v12, vcc
	v_mov_b32_e32 v13, s15
	v_add_co_u32_e32 v11, vcc, s14, v11
	v_addc_co_u32_e32 v12, vcc, v13, v12, vcc
	v_add_co_u32_e32 v13, vcc, s2, v0
	v_lshlrev_b32_e32 v17, 1, v13
	v_addc_co_u32_e64 v14, s[0:1], 0, 0, vcc
	v_mov_b32_e32 v16, s17
	v_add_co_u32_e32 v15, vcc, s16, v17
	v_addc_co_u32_e32 v16, vcc, 0, v16, vcc
	v_mov_b32_e32 v18, s15
	v_add_co_u32_e32 v17, vcc, s14, v17
	s_mul_i32 s4, s2, 3
	v_addc_co_u32_e32 v18, vcc, 0, v18, vcc
	s_lshl_b32 s3, s2, 1
	v_add_co_u32_e32 v19, vcc, s4, v0
	v_addc_co_u32_e64 v20, s[0:1], 0, 0, vcc
	v_add_co_u32_e32 v21, vcc, s3, v0
	s_lshl_b32 s19, s2, 3
	s_mov_b64 s[14:15], 0
	s_mov_b32 s20, 0x800000
	s_mov_b32 s21, 0x3f317217
	s_mov_b32 s22, 0x7f800000
	v_addc_co_u32_e64 v22, s[0:1], 0, 0, vcc
	v_mov_b32_e32 v23, 0x41b17218
	s_branch .LBB169_9
.LBB169_8:                              ;   in Loop: Header=BB169_9 Depth=1
	s_or_b64 exec, exec, s[0:1]
	v_add_co_u32_e32 v1, vcc, s19, v1
	v_addc_co_u32_e32 v2, vcc, 0, v2, vcc
	v_add_co_u32_e32 v3, vcc, s19, v3
	v_addc_co_u32_e32 v4, vcc, 0, v4, vcc
	v_add_co_u32_e32 v5, vcc, s19, v5
	v_addc_co_u32_e32 v6, vcc, 0, v6, vcc
	v_add_co_u32_e32 v7, vcc, s19, v7
	v_addc_co_u32_e32 v8, vcc, 0, v8, vcc
	v_add_co_u32_e32 v9, vcc, s19, v9
	v_addc_co_u32_e32 v10, vcc, 0, v10, vcc
	v_add_co_u32_e32 v11, vcc, s19, v11
	v_addc_co_u32_e32 v12, vcc, 0, v12, vcc
	s_add_u32 s14, s14, s18
	v_add_co_u32_e32 v15, vcc, s19, v15
	v_mov_b32_e32 v25, s11
	s_addc_u32 s15, s15, 0
	v_addc_co_u32_e32 v16, vcc, 0, v16, vcc
	v_mov_b32_e32 v24, s10
	v_cmp_ge_i64_e32 vcc, s[14:15], v[24:25]
	v_add_co_u32_e64 v17, s[0:1], s19, v17
	v_addc_co_u32_e64 v18, s[0:1], 0, v18, s[0:1]
	s_cbranch_vccnz .LBB169_25
.LBB169_9:                              ; =>This Inner Loop Header: Depth=1
	v_mov_b32_e32 v25, s15
	v_add_co_u32_e32 v24, vcc, s14, v0
	v_addc_co_u32_e32 v25, vcc, 0, v25, vcc
	v_cmp_gt_u64_e64 s[4:5], s[12:13], v[24:25]
	v_mov_b32_e32 v26, 0
	s_and_saveexec_b64 s[0:1], s[4:5]
	s_cbranch_execz .LBB169_11
; %bb.10:                               ;   in Loop: Header=BB169_9 Depth=1
	v_mov_b32_e32 v25, s9
	v_add_co_u32_e32 v24, vcc, s8, v1
	v_addc_co_u32_e32 v25, vcc, v2, v25, vcc
	global_load_ushort v24, v[24:25], off
	s_waitcnt vmcnt(0)
	v_cvt_f32_f16_e32 v26, v24
.LBB169_11:                             ;   in Loop: Header=BB169_9 Depth=1
	s_or_b64 exec, exec, s[0:1]
	v_mov_b32_e32 v25, s15
	v_add_co_u32_e32 v24, vcc, s14, v13
	v_addc_co_u32_e32 v25, vcc, v14, v25, vcc
	v_cmp_gt_u64_e64 s[2:3], s[12:13], v[24:25]
	v_mov_b32_e32 v24, 0
	v_mov_b32_e32 v27, 0
	s_and_saveexec_b64 s[0:1], s[2:3]
	s_cbranch_execz .LBB169_13
; %bb.12:                               ;   in Loop: Header=BB169_9 Depth=1
	v_mov_b32_e32 v25, s9
	v_add_co_u32_e32 v27, vcc, s8, v15
	v_addc_co_u32_e32 v28, vcc, v16, v25, vcc
	global_load_ushort v25, v[27:28], off
	s_waitcnt vmcnt(0)
	v_cvt_f32_f16_e32 v27, v25
.LBB169_13:                             ;   in Loop: Header=BB169_9 Depth=1
	s_or_b64 exec, exec, s[0:1]
	v_mov_b32_e32 v25, s15
	v_add_co_u32_e32 v28, vcc, s14, v21
	v_addc_co_u32_e32 v29, vcc, v22, v25, vcc
	v_cmp_gt_u64_e64 s[0:1], s[12:13], v[28:29]
	s_and_saveexec_b64 s[6:7], s[0:1]
	s_cbranch_execz .LBB169_15
; %bb.14:                               ;   in Loop: Header=BB169_9 Depth=1
	v_mov_b32_e32 v25, s9
	v_add_co_u32_e32 v24, vcc, s8, v9
	v_addc_co_u32_e32 v25, vcc, v10, v25, vcc
	global_load_ushort v24, v[24:25], off
	s_waitcnt vmcnt(0)
	v_cvt_f32_f16_e32 v24, v24
.LBB169_15:                             ;   in Loop: Header=BB169_9 Depth=1
	s_or_b64 exec, exec, s[6:7]
	v_mov_b32_e32 v25, s15
	v_add_co_u32_e32 v28, vcc, s14, v19
	v_addc_co_u32_e32 v29, vcc, v20, v25, vcc
	v_cmp_gt_u64_e32 vcc, s[12:13], v[28:29]
	v_mov_b32_e32 v25, 0
	s_and_saveexec_b64 s[16:17], vcc
	s_cbranch_execnz .LBB169_20
; %bb.16:                               ;   in Loop: Header=BB169_9 Depth=1
	s_or_b64 exec, exec, s[16:17]
	s_and_saveexec_b64 s[16:17], s[4:5]
	s_cbranch_execnz .LBB169_21
.LBB169_17:                             ;   in Loop: Header=BB169_9 Depth=1
	s_or_b64 exec, exec, s[16:17]
	s_and_saveexec_b64 s[4:5], s[2:3]
	s_cbranch_execnz .LBB169_22
.LBB169_18:                             ;   in Loop: Header=BB169_9 Depth=1
	s_or_b64 exec, exec, s[4:5]
	s_and_saveexec_b64 s[2:3], s[0:1]
	s_cbranch_execnz .LBB169_23
.LBB169_19:                             ;   in Loop: Header=BB169_9 Depth=1
	s_or_b64 exec, exec, s[2:3]
	s_and_saveexec_b64 s[0:1], vcc
	s_cbranch_execz .LBB169_8
	s_branch .LBB169_24
.LBB169_20:                             ;   in Loop: Header=BB169_9 Depth=1
	v_mov_b32_e32 v25, s9
	v_add_co_u32_e64 v28, s[6:7], s8, v5
	v_addc_co_u32_e64 v29, s[6:7], v6, v25, s[6:7]
	global_load_ushort v25, v[28:29], off
	s_waitcnt vmcnt(0)
	v_cvt_f32_f16_e32 v25, v25
	s_or_b64 exec, exec, s[16:17]
	s_and_saveexec_b64 s[16:17], s[4:5]
	s_cbranch_execz .LBB169_17
.LBB169_21:                             ;   in Loop: Header=BB169_9 Depth=1
	v_cmp_gt_f32_e64 s[4:5], s20, v26
	v_cndmask_b32_e64 v28, 0, 32, s[4:5]
	v_ldexp_f32 v26, v26, v28
	v_log_f32_e32 v26, v26
	v_mov_b32_e32 v29, s9
	v_mul_f32_e32 v28, 0x3f317217, v26
	v_fma_f32 v28, v26, s21, -v28
	v_fmac_f32_e32 v28, 0x3377d1cf, v26
	v_fmac_f32_e32 v28, 0x3f317217, v26
	v_cmp_lt_f32_e64 s[6:7], |v26|, s22
	v_cndmask_b32_e64 v26, v26, v28, s[6:7]
	v_cndmask_b32_e64 v28, 0, v23, s[4:5]
	v_sub_f32_e32 v26, v26, v28
	v_cvt_f16_f32_e32 v26, v26
	v_add_co_u32_e64 v28, s[4:5], s8, v3
	v_addc_co_u32_e64 v29, s[4:5], v4, v29, s[4:5]
	global_store_short v[28:29], v26, off
	s_or_b64 exec, exec, s[16:17]
	s_and_saveexec_b64 s[4:5], s[2:3]
	s_cbranch_execz .LBB169_18
.LBB169_22:                             ;   in Loop: Header=BB169_9 Depth=1
	v_cmp_gt_f32_e64 s[2:3], s20, v27
	v_cndmask_b32_e64 v26, 0, 32, s[2:3]
	v_ldexp_f32 v26, v27, v26
	v_log_f32_e32 v26, v26
	v_cndmask_b32_e64 v27, 0, v23, s[2:3]
	v_mul_f32_e32 v28, 0x3f317217, v26
	v_fma_f32 v28, v26, s21, -v28
	v_fmac_f32_e32 v28, 0x3377d1cf, v26
	v_fmac_f32_e32 v28, 0x3f317217, v26
	v_cmp_lt_f32_e64 s[2:3], |v26|, s22
	v_cndmask_b32_e64 v26, v26, v28, s[2:3]
	v_sub_f32_e32 v26, v26, v27
	v_cvt_f16_f32_e32 v28, v26
	v_mov_b32_e32 v27, s9
	v_add_co_u32_e64 v26, s[2:3], s8, v17
	v_addc_co_u32_e64 v27, s[2:3], v18, v27, s[2:3]
	global_store_short v[26:27], v28, off
	s_or_b64 exec, exec, s[4:5]
	s_and_saveexec_b64 s[2:3], s[0:1]
	s_cbranch_execz .LBB169_19
.LBB169_23:                             ;   in Loop: Header=BB169_9 Depth=1
	v_cmp_gt_f32_e64 s[0:1], s20, v24
	v_cndmask_b32_e64 v26, 0, 32, s[0:1]
	v_ldexp_f32 v24, v24, v26
	v_log_f32_e32 v24, v24
	v_cndmask_b32_e64 v26, 0, v23, s[0:1]
	v_mul_f32_e32 v27, 0x3f317217, v24
	v_fma_f32 v27, v24, s21, -v27
	v_fmac_f32_e32 v27, 0x3377d1cf, v24
	v_fmac_f32_e32 v27, 0x3f317217, v24
	v_cmp_lt_f32_e64 s[0:1], |v24|, s22
	v_cndmask_b32_e64 v24, v24, v27, s[0:1]
	v_sub_f32_e32 v24, v24, v26
	v_cvt_f16_f32_e32 v24, v24
	v_mov_b32_e32 v27, s9
	v_add_co_u32_e64 v26, s[0:1], s8, v11
	v_addc_co_u32_e64 v27, s[0:1], v12, v27, s[0:1]
	global_store_short v[26:27], v24, off
	s_or_b64 exec, exec, s[2:3]
	s_and_saveexec_b64 s[0:1], vcc
	s_cbranch_execz .LBB169_8
.LBB169_24:                             ;   in Loop: Header=BB169_9 Depth=1
	v_cmp_gt_f32_e32 vcc, s20, v25
	v_cndmask_b32_e64 v24, 0, 32, vcc
	v_ldexp_f32 v24, v25, v24
	v_log_f32_e32 v24, v24
	v_cndmask_b32_e32 v25, 0, v23, vcc
	v_mul_f32_e32 v26, 0x3f317217, v24
	v_fma_f32 v26, v24, s21, -v26
	v_fmac_f32_e32 v26, 0x3377d1cf, v24
	v_fmac_f32_e32 v26, 0x3f317217, v24
	v_cmp_lt_f32_e64 vcc, |v24|, s22
	v_cndmask_b32_e32 v24, v24, v26, vcc
	v_sub_f32_e32 v24, v24, v25
	v_cvt_f16_f32_e32 v26, v24
	v_mov_b32_e32 v25, s9
	v_add_co_u32_e32 v24, vcc, s8, v7
	v_addc_co_u32_e32 v25, vcc, v8, v25, vcc
	global_store_short v[24:25], v26, off
	s_branch .LBB169_8
.LBB169_25:
	s_endpgm
	.section	.rodata,"a",@progbits
	.p2align	6, 0x0
	.amdhsa_kernel _ZN2at6native12_GLOBAL__N_125multi_tensor_apply_kernelINS1_18TensorListMetadataILi2EEENS1_14UnaryOpFunctorIN3c104HalfELi2ELi1ELi1EEEJNS0_3LogIfEEEEEvT_T0_DpT1_
		.amdhsa_group_segment_fixed_size 0
		.amdhsa_private_segment_fixed_size 0
		.amdhsa_kernarg_size 3408
		.amdhsa_user_sgpr_count 6
		.amdhsa_user_sgpr_private_segment_buffer 1
		.amdhsa_user_sgpr_dispatch_ptr 0
		.amdhsa_user_sgpr_queue_ptr 0
		.amdhsa_user_sgpr_kernarg_segment_ptr 1
		.amdhsa_user_sgpr_dispatch_id 0
		.amdhsa_user_sgpr_flat_scratch_init 0
		.amdhsa_user_sgpr_private_segment_size 0
		.amdhsa_uses_dynamic_stack 0
		.amdhsa_system_sgpr_private_segment_wavefront_offset 0
		.amdhsa_system_sgpr_workgroup_id_x 1
		.amdhsa_system_sgpr_workgroup_id_y 0
		.amdhsa_system_sgpr_workgroup_id_z 0
		.amdhsa_system_sgpr_workgroup_info 0
		.amdhsa_system_vgpr_workitem_id 0
		.amdhsa_next_free_vgpr 30
		.amdhsa_next_free_sgpr 26
		.amdhsa_reserve_vcc 1
		.amdhsa_reserve_flat_scratch 0
		.amdhsa_float_round_mode_32 0
		.amdhsa_float_round_mode_16_64 0
		.amdhsa_float_denorm_mode_32 3
		.amdhsa_float_denorm_mode_16_64 3
		.amdhsa_dx10_clamp 1
		.amdhsa_ieee_mode 1
		.amdhsa_fp16_overflow 0
		.amdhsa_exception_fp_ieee_invalid_op 0
		.amdhsa_exception_fp_denorm_src 0
		.amdhsa_exception_fp_ieee_div_zero 0
		.amdhsa_exception_fp_ieee_overflow 0
		.amdhsa_exception_fp_ieee_underflow 0
		.amdhsa_exception_fp_ieee_inexact 0
		.amdhsa_exception_int_div_zero 0
	.end_amdhsa_kernel
	.section	.text._ZN2at6native12_GLOBAL__N_125multi_tensor_apply_kernelINS1_18TensorListMetadataILi2EEENS1_14UnaryOpFunctorIN3c104HalfELi2ELi1ELi1EEEJNS0_3LogIfEEEEEvT_T0_DpT1_,"axG",@progbits,_ZN2at6native12_GLOBAL__N_125multi_tensor_apply_kernelINS1_18TensorListMetadataILi2EEENS1_14UnaryOpFunctorIN3c104HalfELi2ELi1ELi1EEEJNS0_3LogIfEEEEEvT_T0_DpT1_,comdat
.Lfunc_end169:
	.size	_ZN2at6native12_GLOBAL__N_125multi_tensor_apply_kernelINS1_18TensorListMetadataILi2EEENS1_14UnaryOpFunctorIN3c104HalfELi2ELi1ELi1EEEJNS0_3LogIfEEEEEvT_T0_DpT1_, .Lfunc_end169-_ZN2at6native12_GLOBAL__N_125multi_tensor_apply_kernelINS1_18TensorListMetadataILi2EEENS1_14UnaryOpFunctorIN3c104HalfELi2ELi1ELi1EEEJNS0_3LogIfEEEEEvT_T0_DpT1_
                                        ; -- End function
	.set _ZN2at6native12_GLOBAL__N_125multi_tensor_apply_kernelINS1_18TensorListMetadataILi2EEENS1_14UnaryOpFunctorIN3c104HalfELi2ELi1ELi1EEEJNS0_3LogIfEEEEEvT_T0_DpT1_.num_vgpr, 30
	.set _ZN2at6native12_GLOBAL__N_125multi_tensor_apply_kernelINS1_18TensorListMetadataILi2EEENS1_14UnaryOpFunctorIN3c104HalfELi2ELi1ELi1EEEJNS0_3LogIfEEEEEvT_T0_DpT1_.num_agpr, 0
	.set _ZN2at6native12_GLOBAL__N_125multi_tensor_apply_kernelINS1_18TensorListMetadataILi2EEENS1_14UnaryOpFunctorIN3c104HalfELi2ELi1ELi1EEEJNS0_3LogIfEEEEEvT_T0_DpT1_.numbered_sgpr, 26
	.set _ZN2at6native12_GLOBAL__N_125multi_tensor_apply_kernelINS1_18TensorListMetadataILi2EEENS1_14UnaryOpFunctorIN3c104HalfELi2ELi1ELi1EEEJNS0_3LogIfEEEEEvT_T0_DpT1_.num_named_barrier, 0
	.set _ZN2at6native12_GLOBAL__N_125multi_tensor_apply_kernelINS1_18TensorListMetadataILi2EEENS1_14UnaryOpFunctorIN3c104HalfELi2ELi1ELi1EEEJNS0_3LogIfEEEEEvT_T0_DpT1_.private_seg_size, 0
	.set _ZN2at6native12_GLOBAL__N_125multi_tensor_apply_kernelINS1_18TensorListMetadataILi2EEENS1_14UnaryOpFunctorIN3c104HalfELi2ELi1ELi1EEEJNS0_3LogIfEEEEEvT_T0_DpT1_.uses_vcc, 1
	.set _ZN2at6native12_GLOBAL__N_125multi_tensor_apply_kernelINS1_18TensorListMetadataILi2EEENS1_14UnaryOpFunctorIN3c104HalfELi2ELi1ELi1EEEJNS0_3LogIfEEEEEvT_T0_DpT1_.uses_flat_scratch, 0
	.set _ZN2at6native12_GLOBAL__N_125multi_tensor_apply_kernelINS1_18TensorListMetadataILi2EEENS1_14UnaryOpFunctorIN3c104HalfELi2ELi1ELi1EEEJNS0_3LogIfEEEEEvT_T0_DpT1_.has_dyn_sized_stack, 0
	.set _ZN2at6native12_GLOBAL__N_125multi_tensor_apply_kernelINS1_18TensorListMetadataILi2EEENS1_14UnaryOpFunctorIN3c104HalfELi2ELi1ELi1EEEJNS0_3LogIfEEEEEvT_T0_DpT1_.has_recursion, 0
	.set _ZN2at6native12_GLOBAL__N_125multi_tensor_apply_kernelINS1_18TensorListMetadataILi2EEENS1_14UnaryOpFunctorIN3c104HalfELi2ELi1ELi1EEEJNS0_3LogIfEEEEEvT_T0_DpT1_.has_indirect_call, 0
	.section	.AMDGPU.csdata,"",@progbits
; Kernel info:
; codeLenInByte = 1872
; TotalNumSgprs: 30
; NumVgprs: 30
; ScratchSize: 0
; MemoryBound: 0
; FloatMode: 240
; IeeeMode: 1
; LDSByteSize: 0 bytes/workgroup (compile time only)
; SGPRBlocks: 3
; VGPRBlocks: 7
; NumSGPRsForWavesPerEU: 30
; NumVGPRsForWavesPerEU: 30
; Occupancy: 8
; WaveLimiterHint : 0
; COMPUTE_PGM_RSRC2:SCRATCH_EN: 0
; COMPUTE_PGM_RSRC2:USER_SGPR: 6
; COMPUTE_PGM_RSRC2:TRAP_HANDLER: 0
; COMPUTE_PGM_RSRC2:TGID_X_EN: 1
; COMPUTE_PGM_RSRC2:TGID_Y_EN: 0
; COMPUTE_PGM_RSRC2:TGID_Z_EN: 0
; COMPUTE_PGM_RSRC2:TIDIG_COMP_CNT: 0
	.section	.text._ZN2at6native12_GLOBAL__N_125multi_tensor_apply_kernelINS1_18TensorListMetadataILi2EEENS1_14UnaryOpFunctorIN3c108BFloat16ELi2ELi1ELi1EEEJNS0_3LogIfEEEEEvT_T0_DpT1_,"axG",@progbits,_ZN2at6native12_GLOBAL__N_125multi_tensor_apply_kernelINS1_18TensorListMetadataILi2EEENS1_14UnaryOpFunctorIN3c108BFloat16ELi2ELi1ELi1EEEJNS0_3LogIfEEEEEvT_T0_DpT1_,comdat
	.globl	_ZN2at6native12_GLOBAL__N_125multi_tensor_apply_kernelINS1_18TensorListMetadataILi2EEENS1_14UnaryOpFunctorIN3c108BFloat16ELi2ELi1ELi1EEEJNS0_3LogIfEEEEEvT_T0_DpT1_ ; -- Begin function _ZN2at6native12_GLOBAL__N_125multi_tensor_apply_kernelINS1_18TensorListMetadataILi2EEENS1_14UnaryOpFunctorIN3c108BFloat16ELi2ELi1ELi1EEEJNS0_3LogIfEEEEEvT_T0_DpT1_
	.p2align	8
	.type	_ZN2at6native12_GLOBAL__N_125multi_tensor_apply_kernelINS1_18TensorListMetadataILi2EEENS1_14UnaryOpFunctorIN3c108BFloat16ELi2ELi1ELi1EEEJNS0_3LogIfEEEEEvT_T0_DpT1_,@function
_ZN2at6native12_GLOBAL__N_125multi_tensor_apply_kernelINS1_18TensorListMetadataILi2EEENS1_14UnaryOpFunctorIN3c108BFloat16ELi2ELi1ELi1EEEJNS0_3LogIfEEEEEvT_T0_DpT1_: ; @_ZN2at6native12_GLOBAL__N_125multi_tensor_apply_kernelINS1_18TensorListMetadataILi2EEENS1_14UnaryOpFunctorIN3c108BFloat16ELi2ELi1ELi1EEEJNS0_3LogIfEEEEEvT_T0_DpT1_
; %bb.0:
	v_mov_b32_e32 v1, s6
	global_load_ubyte v1, v1, s[4:5] offset:1536
	s_add_u32 s0, s4, s6
	s_mul_hi_u32 s2, s6, 3
	s_mul_i32 s6, s6, 3
	s_addc_u32 s7, s5, 0
	s_add_u32 s6, s0, s6
	s_addc_u32 s7, s7, s2
	s_load_dword s10, s[6:7], 0x740
	s_mov_b32 s1, 0
	s_mov_b32 s3, s1
	s_waitcnt lgkmcnt(0)
	s_ashr_i32 s11, s10, 31
	s_lshl_b64 s[8:9], s[10:11], 17
	s_lshl_b64 s[10:11], s[10:11], 16
	s_waitcnt vmcnt(0)
	v_readfirstlane_b32 s0, v1
	s_lshl_b32 s0, s0, 3
	s_load_dwordx2 s[16:17], s[4:5], s0 offset:0x400
	s_load_dwordx2 s[14:15], s[4:5], s0 offset:0x0
	;; [unrolled: 1-line block ×3, first 2 shown]
	s_waitcnt lgkmcnt(0)
	s_add_u32 s0, s14, s8
	s_and_b32 s2, s6, 7
	s_and_b32 s0, s0, 7
	s_sub_u32 s12, s16, s10
	s_subb_u32 s13, s17, s11
	s_and_b32 s10, s16, 3
	s_mov_b32 s11, s1
	s_or_b64 s[2:3], s[2:3], s[10:11]
	s_or_b64 s[0:1], s[2:3], s[0:1]
	s_cmp_eq_u64 s[0:1], 0
	s_mov_b64 s[0:1], -1
	s_cbranch_scc0 .LBB170_5
; %bb.1:
	v_mov_b32_e32 v1, 0x10000
	v_mov_b32_e32 v2, 0
	v_cmp_lt_i64_e32 vcc, s[12:13], v[1:2]
	v_mov_b32_e32 v2, 0
	s_and_b64 s[0:1], vcc, exec
	s_cselect_b32 s11, s13, 0
	s_cselect_b32 s10, s12, 0x10000
	v_lshlrev_b32_e32 v1, 2, v0
	v_cmp_gt_i64_e32 vcc, s[10:11], v[1:2]
	s_and_saveexec_b64 s[16:17], vcc
	s_cbranch_execz .LBB170_4
; %bb.2:
	s_load_dword s0, s[4:5], 0xc5c
	v_mov_b32_e32 v1, v2
	v_lshlrev_b32_e32 v2, 3, v0
	v_mov_b32_e32 v4, s9
	v_add_co_u32_e32 v3, vcc, s8, v2
	s_waitcnt lgkmcnt(0)
	s_and_b32 s20, s0, 0xffff
	v_mov_b32_e32 v2, v1
	v_addc_co_u32_e32 v4, vcc, 0, v4, vcc
	s_lshl_b32 s21, s20, 3
	s_mov_b64 s[18:19], 0
	v_mov_b32_e32 v5, s15
	s_mov_b32 s22, 0x800000
	s_mov_b32 s23, 0x3f317217
	;; [unrolled: 1-line block ×3, first 2 shown]
	v_mov_b32_e32 v6, 0x41b17218
	s_movk_i32 s25, 0x7fff
	v_mov_b32_e32 v7, s7
	v_mov_b32_e32 v8, 0x7fc00000
	;; [unrolled: 1-line block ×4, first 2 shown]
.LBB170_3:                              ; =>This Inner Loop Header: Depth=1
	v_add_co_u32_e32 v10, vcc, s14, v3
	v_addc_co_u32_e32 v11, vcc, v5, v4, vcc
	global_load_dwordx2 v[10:11], v[10:11], off
	v_add_co_u32_e32 v12, vcc, s6, v3
	v_addc_co_u32_e32 v13, vcc, v7, v4, vcc
	v_add_co_u32_e32 v1, vcc, s20, v1
	v_addc_co_u32_e32 v2, vcc, 0, v2, vcc
	v_add_co_u32_e32 v3, vcc, s21, v3
	v_lshlrev_b64 v[14:15], 2, v[1:2]
	v_addc_co_u32_e32 v4, vcc, 0, v4, vcc
	v_cmp_le_i64_e32 vcc, s[10:11], v[14:15]
	s_or_b64 s[18:19], vcc, s[18:19]
	s_waitcnt vmcnt(0)
	v_lshlrev_b32_e32 v15, 16, v10
	v_and_b32_e32 v14, 0xffff0000, v10
	v_alignbit_b32 v10, v11, v10, 16
	v_and_b32_e32 v11, 0xffff0000, v11
	v_cmp_gt_f32_e32 vcc, s22, v15
	v_cndmask_b32_e64 v16, 0, 32, vcc
	v_cmp_gt_f32_e64 s[0:1], s22, v14
	v_and_b32_e32 v10, 0xffff0000, v10
	v_cmp_gt_f32_e64 s[2:3], s22, v11
	v_cndmask_b32_e64 v17, 0, 32, s[0:1]
	v_cndmask_b32_e64 v18, 0, 32, s[2:3]
	v_ldexp_f32 v15, v15, v16
	v_cndmask_b32_e32 v16, 0, v6, vcc
	v_cmp_gt_f32_e32 vcc, s22, v10
	v_ldexp_f32 v14, v14, v17
	v_cndmask_b32_e64 v19, 0, 32, vcc
	v_ldexp_f32 v11, v11, v18
	v_log_f32_e32 v15, v15
	v_log_f32_e32 v14, v14
	v_ldexp_f32 v10, v10, v19
	v_log_f32_e32 v11, v11
	v_log_f32_e32 v10, v10
	v_mul_f32_e32 v20, 0x3f317217, v15
	v_mul_f32_e32 v21, 0x3f317217, v14
	;; [unrolled: 1-line block ×3, first 2 shown]
	v_fma_f32 v20, v15, s23, -v20
	v_fma_f32 v21, v14, s23, -v21
	v_mul_f32_e32 v23, 0x3f317217, v10
	v_fma_f32 v22, v11, s23, -v22
	v_fmac_f32_e32 v20, 0x3377d1cf, v15
	v_fmac_f32_e32 v21, 0x3377d1cf, v14
	v_fma_f32 v23, v10, s23, -v23
	v_fmac_f32_e32 v22, 0x3377d1cf, v11
	v_cndmask_b32_e64 v17, 0, v6, s[0:1]
	v_cndmask_b32_e64 v18, 0, v6, s[2:3]
	v_cndmask_b32_e32 v19, 0, v6, vcc
	v_fmac_f32_e32 v20, 0x3f317217, v15
	v_fmac_f32_e32 v21, 0x3f317217, v14
	v_cmp_lt_f32_e64 vcc, |v14|, s24
	v_fmac_f32_e32 v23, 0x3377d1cf, v10
	v_fmac_f32_e32 v22, 0x3f317217, v11
	v_cmp_lt_f32_e64 s[0:1], |v11|, s24
	v_cmp_lt_f32_e64 s[2:3], |v15|, s24
	v_cndmask_b32_e64 v15, v15, v20, s[2:3]
	v_cndmask_b32_e32 v14, v14, v21, vcc
	v_fmac_f32_e32 v23, 0x3f317217, v10
	v_cmp_lt_f32_e64 vcc, |v10|, s24
	v_cndmask_b32_e64 v11, v11, v22, s[0:1]
	v_sub_f32_e32 v15, v15, v16
	v_sub_f32_e32 v14, v14, v17
	v_cndmask_b32_e32 v10, v10, v23, vcc
	v_sub_f32_e32 v11, v11, v18
	v_bfe_u32 v16, v15, 16, 1
	v_bfe_u32 v17, v14, 16, 1
	v_sub_f32_e32 v10, v10, v19
	v_bfe_u32 v18, v11, 16, 1
	v_add3_u32 v16, v15, v16, s25
	v_add3_u32 v17, v14, v17, s25
	v_bfe_u32 v19, v10, 16, 1
	v_add3_u32 v18, v11, v18, s25
	v_lshrrev_b32_e32 v16, 16, v16
	v_and_b32_e32 v17, 0xffff0000, v17
	v_add3_u32 v19, v10, v19, s25
	v_and_b32_e32 v18, 0xffff0000, v18
	v_cmp_o_f32_e32 vcc, v11, v11
	v_cmp_o_f32_e64 s[0:1], v14, v14
	v_cmp_o_f32_e64 s[2:3], v15, v15
	v_lshrrev_b32_e32 v11, 16, v19
	v_cndmask_b32_e32 v14, v8, v18, vcc
	v_cndmask_b32_e64 v15, v8, v17, s[0:1]
	v_cndmask_b32_e64 v16, v9, v16, s[2:3]
	v_cmp_o_f32_e32 vcc, v10, v10
	v_cndmask_b32_e32 v10, v9, v11, vcc
	v_or_b32_e32 v15, v16, v15
	v_or3_b32 v11, 0, v10, v14
	v_or3_b32 v10, v15, 0, 0
	global_store_dwordx2 v[12:13], v[10:11], off
	s_andn2_b64 exec, exec, s[18:19]
	s_cbranch_execnz .LBB170_3
.LBB170_4:
	s_or_b64 exec, exec, s[16:17]
	s_mov_b64 s[0:1], 0
.LBB170_5:
	s_andn2_b64 vcc, exec, s[0:1]
	s_cbranch_vccnz .LBB170_25
; %bb.6:
	v_cmp_lt_i64_e64 s[0:1], s[12:13], 1
	s_and_b64 vcc, exec, s[0:1]
	s_cbranch_vccnz .LBB170_25
; %bb.7:
	v_mov_b32_e32 v1, 0x10000
	s_load_dword s2, s[4:5], 0xc5c
	v_mov_b32_e32 v2, 0
	v_cmp_lt_i64_e32 vcc, s[12:13], v[1:2]
	v_mov_b32_e32 v10, 0
	s_and_b64 s[0:1], vcc, exec
	v_cmp_lt_u64_e32 vcc, s[12:13], v[1:2]
	s_cselect_b32 s11, s13, 0
	s_cselect_b32 s10, s12, 0x10000
	s_waitcnt lgkmcnt(0)
	s_and_b32 s2, s2, 0xffff
	v_lshlrev_b32_e32 v9, 1, v0
	s_and_b64 s[0:1], vcc, exec
	v_mov_b32_e32 v2, s15
	v_add_co_u32_e32 v1, vcc, s14, v9
	v_mad_u64_u32 v[7:8], s[0:1], s2, 6, v[9:10]
	v_addc_co_u32_e32 v2, vcc, 0, v2, vcc
	v_mov_b32_e32 v4, s7
	v_add_co_u32_e32 v3, vcc, s6, v9
	v_addc_co_u32_e32 v4, vcc, 0, v4, vcc
	v_mov_b32_e32 v6, s15
	v_add_co_u32_e32 v5, vcc, s14, v7
	;; [unrolled: 3-line block ×3, first 2 shown]
	s_cselect_b32 s13, s13, 0
	s_cselect_b32 s12, s12, 0x10000
	s_lshl_b32 s18, s2, 2
	v_addc_co_u32_e32 v8, vcc, v10, v8, vcc
	v_add_co_u32_e32 v11, vcc, s18, v9
	v_addc_co_u32_e64 v12, s[0:1], 0, 0, vcc
	v_mov_b32_e32 v10, s15
	v_add_co_u32_e32 v9, vcc, s14, v11
	v_addc_co_u32_e32 v10, vcc, v10, v12, vcc
	v_mov_b32_e32 v13, s7
	v_add_co_u32_e32 v11, vcc, s6, v11
	v_addc_co_u32_e32 v12, vcc, v13, v12, vcc
	v_add_co_u32_e32 v13, vcc, s2, v0
	v_lshlrev_b32_e32 v17, 1, v13
	v_addc_co_u32_e64 v14, s[0:1], 0, 0, vcc
	v_mov_b32_e32 v16, s15
	v_add_co_u32_e32 v15, vcc, s14, v17
	v_addc_co_u32_e32 v16, vcc, 0, v16, vcc
	v_mov_b32_e32 v18, s7
	v_add_co_u32_e32 v17, vcc, s6, v17
	s_mul_i32 s4, s2, 3
	v_addc_co_u32_e32 v18, vcc, 0, v18, vcc
	s_lshl_b32 s3, s2, 1
	v_add_co_u32_e32 v19, vcc, s4, v0
	v_addc_co_u32_e64 v20, s[0:1], 0, 0, vcc
	v_add_co_u32_e32 v21, vcc, s3, v0
	s_lshl_b32 s19, s2, 3
	s_mov_b64 s[14:15], 0
	s_mov_b32 s20, 0x800000
	s_mov_b32 s21, 0x3f317217
	;; [unrolled: 1-line block ×3, first 2 shown]
	s_movk_i32 s23, 0x7fff
	v_addc_co_u32_e64 v22, s[0:1], 0, 0, vcc
	v_mov_b32_e32 v23, 0x41b17218
	v_mov_b32_e32 v24, 0x7fc0
	s_branch .LBB170_9
.LBB170_8:                              ;   in Loop: Header=BB170_9 Depth=1
	s_or_b64 exec, exec, s[2:3]
	v_add_co_u32_e32 v1, vcc, s19, v1
	v_addc_co_u32_e32 v2, vcc, 0, v2, vcc
	v_add_co_u32_e32 v3, vcc, s19, v3
	v_addc_co_u32_e32 v4, vcc, 0, v4, vcc
	;; [unrolled: 2-line block ×6, first 2 shown]
	s_add_u32 s14, s14, s18
	v_add_co_u32_e32 v15, vcc, s19, v15
	v_mov_b32_e32 v26, s11
	s_addc_u32 s15, s15, 0
	v_addc_co_u32_e32 v16, vcc, 0, v16, vcc
	v_mov_b32_e32 v25, s10
	v_cmp_ge_i64_e32 vcc, s[14:15], v[25:26]
	v_add_co_u32_e64 v17, s[0:1], s19, v17
	v_addc_co_u32_e64 v18, s[0:1], 0, v18, s[0:1]
	s_cbranch_vccnz .LBB170_25
.LBB170_9:                              ; =>This Inner Loop Header: Depth=1
	v_mov_b32_e32 v26, s15
	v_add_co_u32_e32 v25, vcc, s14, v0
	v_addc_co_u32_e32 v26, vcc, 0, v26, vcc
	v_cmp_gt_u64_e32 vcc, s[12:13], v[25:26]
	v_mov_b32_e32 v28, 0
	s_and_saveexec_b64 s[2:3], vcc
	s_cbranch_execz .LBB170_11
; %bb.10:                               ;   in Loop: Header=BB170_9 Depth=1
	v_mov_b32_e32 v26, s9
	v_add_co_u32_e64 v25, s[0:1], s8, v1
	v_addc_co_u32_e64 v26, s[0:1], v2, v26, s[0:1]
	global_load_ushort v25, v[25:26], off
	s_waitcnt vmcnt(0)
	v_lshlrev_b32_e32 v28, 16, v25
.LBB170_11:                             ;   in Loop: Header=BB170_9 Depth=1
	s_or_b64 exec, exec, s[2:3]
	v_mov_b32_e32 v26, s15
	v_add_co_u32_e64 v25, s[0:1], s14, v13
	v_addc_co_u32_e64 v26, s[0:1], v14, v26, s[0:1]
	v_cmp_gt_u64_e64 s[4:5], s[12:13], v[25:26]
	v_mov_b32_e32 v25, 0
	v_mov_b32_e32 v27, 0
	s_and_saveexec_b64 s[2:3], s[4:5]
	s_cbranch_execz .LBB170_13
; %bb.12:                               ;   in Loop: Header=BB170_9 Depth=1
	v_mov_b32_e32 v27, s9
	v_add_co_u32_e64 v26, s[0:1], s8, v15
	v_addc_co_u32_e64 v27, s[0:1], v16, v27, s[0:1]
	global_load_ushort v26, v[26:27], off
	s_waitcnt vmcnt(0)
	v_lshlrev_b32_e32 v27, 16, v26
.LBB170_13:                             ;   in Loop: Header=BB170_9 Depth=1
	s_or_b64 exec, exec, s[2:3]
	v_mov_b32_e32 v26, s15
	v_add_co_u32_e64 v29, s[0:1], s14, v21
	v_addc_co_u32_e64 v30, s[0:1], v22, v26, s[0:1]
	v_cmp_gt_u64_e64 s[2:3], s[12:13], v[29:30]
	s_and_saveexec_b64 s[6:7], s[2:3]
	s_cbranch_execz .LBB170_15
; %bb.14:                               ;   in Loop: Header=BB170_9 Depth=1
	v_mov_b32_e32 v26, s9
	v_add_co_u32_e64 v25, s[0:1], s8, v9
	v_addc_co_u32_e64 v26, s[0:1], v10, v26, s[0:1]
	global_load_ushort v25, v[25:26], off
	s_waitcnt vmcnt(0)
	v_lshlrev_b32_e32 v25, 16, v25
.LBB170_15:                             ;   in Loop: Header=BB170_9 Depth=1
	s_or_b64 exec, exec, s[6:7]
	v_mov_b32_e32 v26, s15
	v_add_co_u32_e64 v29, s[0:1], s14, v19
	v_addc_co_u32_e64 v30, s[0:1], v20, v26, s[0:1]
	v_cmp_gt_u64_e64 s[0:1], s[12:13], v[29:30]
	v_mov_b32_e32 v26, 0
	s_and_saveexec_b64 s[16:17], s[0:1]
	s_cbranch_execnz .LBB170_20
; %bb.16:                               ;   in Loop: Header=BB170_9 Depth=1
	s_or_b64 exec, exec, s[16:17]
	s_and_saveexec_b64 s[6:7], vcc
	s_cbranch_execnz .LBB170_21
.LBB170_17:                             ;   in Loop: Header=BB170_9 Depth=1
	s_or_b64 exec, exec, s[6:7]
	s_and_saveexec_b64 s[6:7], s[4:5]
	s_cbranch_execnz .LBB170_22
.LBB170_18:                             ;   in Loop: Header=BB170_9 Depth=1
	s_or_b64 exec, exec, s[6:7]
	s_and_saveexec_b64 s[4:5], s[2:3]
	s_cbranch_execnz .LBB170_23
.LBB170_19:                             ;   in Loop: Header=BB170_9 Depth=1
	s_or_b64 exec, exec, s[4:5]
	s_and_saveexec_b64 s[2:3], s[0:1]
	s_cbranch_execz .LBB170_8
	s_branch .LBB170_24
.LBB170_20:                             ;   in Loop: Header=BB170_9 Depth=1
	v_mov_b32_e32 v26, s9
	v_add_co_u32_e64 v29, s[6:7], s8, v5
	v_addc_co_u32_e64 v30, s[6:7], v6, v26, s[6:7]
	global_load_ushort v26, v[29:30], off
	s_waitcnt vmcnt(0)
	v_lshlrev_b32_e32 v26, 16, v26
	s_or_b64 exec, exec, s[16:17]
	s_and_saveexec_b64 s[6:7], vcc
	s_cbranch_execz .LBB170_17
.LBB170_21:                             ;   in Loop: Header=BB170_9 Depth=1
	v_cmp_gt_f32_e32 vcc, s20, v28
	v_cndmask_b32_e64 v29, 0, 32, vcc
	v_ldexp_f32 v28, v28, v29
	v_log_f32_e32 v28, v28
	v_cndmask_b32_e32 v29, 0, v23, vcc
	v_mul_f32_e32 v30, 0x3f317217, v28
	v_fma_f32 v30, v28, s21, -v30
	v_fmac_f32_e32 v30, 0x3377d1cf, v28
	v_fmac_f32_e32 v30, 0x3f317217, v28
	v_cmp_lt_f32_e64 vcc, |v28|, s22
	v_cndmask_b32_e32 v28, v28, v30, vcc
	v_sub_f32_e32 v28, v28, v29
	v_bfe_u32 v29, v28, 16, 1
	v_add3_u32 v29, v28, v29, s23
	v_cmp_o_f32_e32 vcc, v28, v28
	v_cndmask_b32_sdwa v30, v24, v29, vcc dst_sel:DWORD dst_unused:UNUSED_PAD src0_sel:DWORD src1_sel:WORD_1
	v_mov_b32_e32 v29, s9
	v_add_co_u32_e32 v28, vcc, s8, v3
	v_addc_co_u32_e32 v29, vcc, v4, v29, vcc
	global_store_short v[28:29], v30, off
	s_or_b64 exec, exec, s[6:7]
	s_and_saveexec_b64 s[6:7], s[4:5]
	s_cbranch_execz .LBB170_18
.LBB170_22:                             ;   in Loop: Header=BB170_9 Depth=1
	v_cmp_gt_f32_e32 vcc, s20, v27
	v_cndmask_b32_e64 v28, 0, 32, vcc
	v_ldexp_f32 v27, v27, v28
	v_log_f32_e32 v27, v27
	v_cndmask_b32_e32 v28, 0, v23, vcc
	v_mul_f32_e32 v29, 0x3f317217, v27
	v_fma_f32 v29, v27, s21, -v29
	v_fmac_f32_e32 v29, 0x3377d1cf, v27
	v_fmac_f32_e32 v29, 0x3f317217, v27
	v_cmp_lt_f32_e64 vcc, |v27|, s22
	v_cndmask_b32_e32 v27, v27, v29, vcc
	v_sub_f32_e32 v27, v27, v28
	v_bfe_u32 v28, v27, 16, 1
	v_add3_u32 v28, v27, v28, s23
	v_cmp_o_f32_e32 vcc, v27, v27
	v_cndmask_b32_sdwa v29, v24, v28, vcc dst_sel:DWORD dst_unused:UNUSED_PAD src0_sel:DWORD src1_sel:WORD_1
	v_mov_b32_e32 v28, s9
	v_add_co_u32_e32 v27, vcc, s8, v17
	v_addc_co_u32_e32 v28, vcc, v18, v28, vcc
	global_store_short v[27:28], v29, off
	s_or_b64 exec, exec, s[6:7]
	s_and_saveexec_b64 s[4:5], s[2:3]
	s_cbranch_execz .LBB170_19
.LBB170_23:                             ;   in Loop: Header=BB170_9 Depth=1
	v_cmp_gt_f32_e32 vcc, s20, v25
	v_cndmask_b32_e64 v27, 0, 32, vcc
	v_ldexp_f32 v25, v25, v27
	v_log_f32_e32 v25, v25
	v_cndmask_b32_e32 v27, 0, v23, vcc
	v_mul_f32_e32 v28, 0x3f317217, v25
	v_fma_f32 v28, v25, s21, -v28
	v_fmac_f32_e32 v28, 0x3377d1cf, v25
	v_fmac_f32_e32 v28, 0x3f317217, v25
	v_cmp_lt_f32_e64 vcc, |v25|, s22
	v_cndmask_b32_e32 v25, v25, v28, vcc
	v_sub_f32_e32 v25, v25, v27
	v_bfe_u32 v27, v25, 16, 1
	v_add3_u32 v27, v25, v27, s23
	v_cmp_o_f32_e32 vcc, v25, v25
	v_cndmask_b32_sdwa v25, v24, v27, vcc dst_sel:DWORD dst_unused:UNUSED_PAD src0_sel:DWORD src1_sel:WORD_1
	v_mov_b32_e32 v28, s9
	v_add_co_u32_e32 v27, vcc, s8, v11
	v_addc_co_u32_e32 v28, vcc, v12, v28, vcc
	global_store_short v[27:28], v25, off
	s_or_b64 exec, exec, s[4:5]
	s_and_saveexec_b64 s[2:3], s[0:1]
	s_cbranch_execz .LBB170_8
.LBB170_24:                             ;   in Loop: Header=BB170_9 Depth=1
	v_cmp_gt_f32_e32 vcc, s20, v26
	v_cndmask_b32_e64 v25, 0, 32, vcc
	v_ldexp_f32 v25, v26, v25
	v_log_f32_e32 v25, v25
	v_cndmask_b32_e32 v26, 0, v23, vcc
	v_mul_f32_e32 v27, 0x3f317217, v25
	v_fma_f32 v27, v25, s21, -v27
	v_fmac_f32_e32 v27, 0x3377d1cf, v25
	v_fmac_f32_e32 v27, 0x3f317217, v25
	v_cmp_lt_f32_e64 vcc, |v25|, s22
	v_cndmask_b32_e32 v25, v25, v27, vcc
	v_sub_f32_e32 v25, v25, v26
	v_bfe_u32 v26, v25, 16, 1
	v_add3_u32 v26, v25, v26, s23
	v_cmp_o_f32_e32 vcc, v25, v25
	v_cndmask_b32_sdwa v27, v24, v26, vcc dst_sel:DWORD dst_unused:UNUSED_PAD src0_sel:DWORD src1_sel:WORD_1
	v_mov_b32_e32 v26, s9
	v_add_co_u32_e32 v25, vcc, s8, v7
	v_addc_co_u32_e32 v26, vcc, v8, v26, vcc
	global_store_short v[25:26], v27, off
	s_branch .LBB170_8
.LBB170_25:
	s_endpgm
	.section	.rodata,"a",@progbits
	.p2align	6, 0x0
	.amdhsa_kernel _ZN2at6native12_GLOBAL__N_125multi_tensor_apply_kernelINS1_18TensorListMetadataILi2EEENS1_14UnaryOpFunctorIN3c108BFloat16ELi2ELi1ELi1EEEJNS0_3LogIfEEEEEvT_T0_DpT1_
		.amdhsa_group_segment_fixed_size 0
		.amdhsa_private_segment_fixed_size 0
		.amdhsa_kernarg_size 3408
		.amdhsa_user_sgpr_count 6
		.amdhsa_user_sgpr_private_segment_buffer 1
		.amdhsa_user_sgpr_dispatch_ptr 0
		.amdhsa_user_sgpr_queue_ptr 0
		.amdhsa_user_sgpr_kernarg_segment_ptr 1
		.amdhsa_user_sgpr_dispatch_id 0
		.amdhsa_user_sgpr_flat_scratch_init 0
		.amdhsa_user_sgpr_private_segment_size 0
		.amdhsa_uses_dynamic_stack 0
		.amdhsa_system_sgpr_private_segment_wavefront_offset 0
		.amdhsa_system_sgpr_workgroup_id_x 1
		.amdhsa_system_sgpr_workgroup_id_y 0
		.amdhsa_system_sgpr_workgroup_id_z 0
		.amdhsa_system_sgpr_workgroup_info 0
		.amdhsa_system_vgpr_workitem_id 0
		.amdhsa_next_free_vgpr 31
		.amdhsa_next_free_sgpr 26
		.amdhsa_reserve_vcc 1
		.amdhsa_reserve_flat_scratch 0
		.amdhsa_float_round_mode_32 0
		.amdhsa_float_round_mode_16_64 0
		.amdhsa_float_denorm_mode_32 3
		.amdhsa_float_denorm_mode_16_64 3
		.amdhsa_dx10_clamp 1
		.amdhsa_ieee_mode 1
		.amdhsa_fp16_overflow 0
		.amdhsa_exception_fp_ieee_invalid_op 0
		.amdhsa_exception_fp_denorm_src 0
		.amdhsa_exception_fp_ieee_div_zero 0
		.amdhsa_exception_fp_ieee_overflow 0
		.amdhsa_exception_fp_ieee_underflow 0
		.amdhsa_exception_fp_ieee_inexact 0
		.amdhsa_exception_int_div_zero 0
	.end_amdhsa_kernel
	.section	.text._ZN2at6native12_GLOBAL__N_125multi_tensor_apply_kernelINS1_18TensorListMetadataILi2EEENS1_14UnaryOpFunctorIN3c108BFloat16ELi2ELi1ELi1EEEJNS0_3LogIfEEEEEvT_T0_DpT1_,"axG",@progbits,_ZN2at6native12_GLOBAL__N_125multi_tensor_apply_kernelINS1_18TensorListMetadataILi2EEENS1_14UnaryOpFunctorIN3c108BFloat16ELi2ELi1ELi1EEEJNS0_3LogIfEEEEEvT_T0_DpT1_,comdat
.Lfunc_end170:
	.size	_ZN2at6native12_GLOBAL__N_125multi_tensor_apply_kernelINS1_18TensorListMetadataILi2EEENS1_14UnaryOpFunctorIN3c108BFloat16ELi2ELi1ELi1EEEJNS0_3LogIfEEEEEvT_T0_DpT1_, .Lfunc_end170-_ZN2at6native12_GLOBAL__N_125multi_tensor_apply_kernelINS1_18TensorListMetadataILi2EEENS1_14UnaryOpFunctorIN3c108BFloat16ELi2ELi1ELi1EEEJNS0_3LogIfEEEEEvT_T0_DpT1_
                                        ; -- End function
	.set _ZN2at6native12_GLOBAL__N_125multi_tensor_apply_kernelINS1_18TensorListMetadataILi2EEENS1_14UnaryOpFunctorIN3c108BFloat16ELi2ELi1ELi1EEEJNS0_3LogIfEEEEEvT_T0_DpT1_.num_vgpr, 31
	.set _ZN2at6native12_GLOBAL__N_125multi_tensor_apply_kernelINS1_18TensorListMetadataILi2EEENS1_14UnaryOpFunctorIN3c108BFloat16ELi2ELi1ELi1EEEJNS0_3LogIfEEEEEvT_T0_DpT1_.num_agpr, 0
	.set _ZN2at6native12_GLOBAL__N_125multi_tensor_apply_kernelINS1_18TensorListMetadataILi2EEENS1_14UnaryOpFunctorIN3c108BFloat16ELi2ELi1ELi1EEEJNS0_3LogIfEEEEEvT_T0_DpT1_.numbered_sgpr, 26
	.set _ZN2at6native12_GLOBAL__N_125multi_tensor_apply_kernelINS1_18TensorListMetadataILi2EEENS1_14UnaryOpFunctorIN3c108BFloat16ELi2ELi1ELi1EEEJNS0_3LogIfEEEEEvT_T0_DpT1_.num_named_barrier, 0
	.set _ZN2at6native12_GLOBAL__N_125multi_tensor_apply_kernelINS1_18TensorListMetadataILi2EEENS1_14UnaryOpFunctorIN3c108BFloat16ELi2ELi1ELi1EEEJNS0_3LogIfEEEEEvT_T0_DpT1_.private_seg_size, 0
	.set _ZN2at6native12_GLOBAL__N_125multi_tensor_apply_kernelINS1_18TensorListMetadataILi2EEENS1_14UnaryOpFunctorIN3c108BFloat16ELi2ELi1ELi1EEEJNS0_3LogIfEEEEEvT_T0_DpT1_.uses_vcc, 1
	.set _ZN2at6native12_GLOBAL__N_125multi_tensor_apply_kernelINS1_18TensorListMetadataILi2EEENS1_14UnaryOpFunctorIN3c108BFloat16ELi2ELi1ELi1EEEJNS0_3LogIfEEEEEvT_T0_DpT1_.uses_flat_scratch, 0
	.set _ZN2at6native12_GLOBAL__N_125multi_tensor_apply_kernelINS1_18TensorListMetadataILi2EEENS1_14UnaryOpFunctorIN3c108BFloat16ELi2ELi1ELi1EEEJNS0_3LogIfEEEEEvT_T0_DpT1_.has_dyn_sized_stack, 0
	.set _ZN2at6native12_GLOBAL__N_125multi_tensor_apply_kernelINS1_18TensorListMetadataILi2EEENS1_14UnaryOpFunctorIN3c108BFloat16ELi2ELi1ELi1EEEJNS0_3LogIfEEEEEvT_T0_DpT1_.has_recursion, 0
	.set _ZN2at6native12_GLOBAL__N_125multi_tensor_apply_kernelINS1_18TensorListMetadataILi2EEENS1_14UnaryOpFunctorIN3c108BFloat16ELi2ELi1ELi1EEEJNS0_3LogIfEEEEEvT_T0_DpT1_.has_indirect_call, 0
	.section	.AMDGPU.csdata,"",@progbits
; Kernel info:
; codeLenInByte = 2264
; TotalNumSgprs: 30
; NumVgprs: 31
; ScratchSize: 0
; MemoryBound: 0
; FloatMode: 240
; IeeeMode: 1
; LDSByteSize: 0 bytes/workgroup (compile time only)
; SGPRBlocks: 3
; VGPRBlocks: 7
; NumSGPRsForWavesPerEU: 30
; NumVGPRsForWavesPerEU: 31
; Occupancy: 8
; WaveLimiterHint : 0
; COMPUTE_PGM_RSRC2:SCRATCH_EN: 0
; COMPUTE_PGM_RSRC2:USER_SGPR: 6
; COMPUTE_PGM_RSRC2:TRAP_HANDLER: 0
; COMPUTE_PGM_RSRC2:TGID_X_EN: 1
; COMPUTE_PGM_RSRC2:TGID_Y_EN: 0
; COMPUTE_PGM_RSRC2:TGID_Z_EN: 0
; COMPUTE_PGM_RSRC2:TIDIG_COMP_CNT: 0
	.section	.text._ZN2at6native12_GLOBAL__N_125multi_tensor_apply_kernelINS1_18TensorListMetadataILi1EEENS1_14UnaryOpFunctorIdLi1ELi1ELi0EEEJNS0_3LogIdEEEEEvT_T0_DpT1_,"axG",@progbits,_ZN2at6native12_GLOBAL__N_125multi_tensor_apply_kernelINS1_18TensorListMetadataILi1EEENS1_14UnaryOpFunctorIdLi1ELi1ELi0EEEJNS0_3LogIdEEEEEvT_T0_DpT1_,comdat
	.globl	_ZN2at6native12_GLOBAL__N_125multi_tensor_apply_kernelINS1_18TensorListMetadataILi1EEENS1_14UnaryOpFunctorIdLi1ELi1ELi0EEEJNS0_3LogIdEEEEEvT_T0_DpT1_ ; -- Begin function _ZN2at6native12_GLOBAL__N_125multi_tensor_apply_kernelINS1_18TensorListMetadataILi1EEENS1_14UnaryOpFunctorIdLi1ELi1ELi0EEEJNS0_3LogIdEEEEEvT_T0_DpT1_
	.p2align	8
	.type	_ZN2at6native12_GLOBAL__N_125multi_tensor_apply_kernelINS1_18TensorListMetadataILi1EEENS1_14UnaryOpFunctorIdLi1ELi1ELi0EEEJNS0_3LogIdEEEEEvT_T0_DpT1_,@function
_ZN2at6native12_GLOBAL__N_125multi_tensor_apply_kernelINS1_18TensorListMetadataILi1EEENS1_14UnaryOpFunctorIdLi1ELi1ELi0EEEJNS0_3LogIdEEEEEvT_T0_DpT1_: ; @_ZN2at6native12_GLOBAL__N_125multi_tensor_apply_kernelINS1_18TensorListMetadataILi1EEENS1_14UnaryOpFunctorIdLi1ELi1ELi0EEEJNS0_3LogIdEEEEEvT_T0_DpT1_
; %bb.0:
	v_mov_b32_e32 v1, s6
	global_load_ubyte v1, v1, s[4:5] offset:1760
	s_add_u32 s0, s4, s6
	s_mul_hi_u32 s1, s6, 3
	s_mul_i32 s6, s6, 3
	s_addc_u32 s2, s5, 0
	s_add_u32 s0, s0, s6
	s_addc_u32 s1, s2, s1
	s_load_dword s0, s[0:1], 0x820
	s_mov_b32 s7, 0
	s_waitcnt vmcnt(0)
	v_readfirstlane_b32 s1, v1
	s_lshl_b32 s1, s1, 3
	s_load_dwordx2 s[2:3], s[4:5], s1 offset:0x370
	s_load_dwordx2 s[14:15], s[4:5], s1 offset:0x0
	s_waitcnt lgkmcnt(0)
	s_ashr_i32 s1, s0, 31
	s_lshl_b64 s[16:17], s[0:1], 19
	s_lshl_b64 s[0:1], s[0:1], 16
	s_and_b32 s6, s14, 31
	s_sub_u32 s18, s2, s0
	s_subb_u32 s19, s3, s1
	s_and_b32 s0, s2, 3
	s_mov_b32 s1, s7
	s_or_b64 s[0:1], s[6:7], s[0:1]
	s_cmp_eq_u64 s[0:1], 0
	s_cbranch_scc1 .LBB171_21
; %bb.1:
	v_cmp_lt_i64_e64 s[0:1], s[18:19], 1
	s_and_b64 vcc, exec, s[0:1]
	s_cbranch_vccnz .LBB171_20
; %bb.2:
	v_mov_b32_e32 v1, 0x10000
	s_load_dword s2, s[4:5], 0xd3c
	v_mov_b32_e32 v2, 0
	v_cmp_lt_i64_e32 vcc, s[18:19], v[1:2]
	s_mov_b32 s26, 0x55555555
	s_and_b64 s[0:1], vcc, exec
	v_cmp_lt_u64_e32 vcc, s[18:19], v[1:2]
	s_cselect_b32 s21, s19, 0
	s_cselect_b32 s20, s18, 0x10000
	s_waitcnt lgkmcnt(0)
	s_and_b32 s2, s2, 0xffff
	s_and_b64 s[0:1], vcc, exec
	s_cselect_b32 s23, s19, 0
	s_cselect_b32 s22, s18, 0x10000
	s_lshl_b32 s3, s2, 1
	s_lshl_b32 s33, s2, 2
	s_add_u32 s6, s14, s16
	v_lshlrev_b32_e32 v1, 3, v0
	s_addc_u32 s7, s15, s17
	v_mov_b32_e32 v2, s7
	v_add_co_u32_e32 v1, vcc, s6, v1
	s_mul_i32 s0, s2, 3
	v_addc_co_u32_e32 v2, vcc, 0, v2, vcc
	v_add_co_u32_e32 v15, vcc, s0, v0
	v_addc_co_u32_e64 v16, s[0:1], 0, 0, vcc
	v_add_co_u32_e32 v17, vcc, s3, v0
	v_addc_co_u32_e64 v18, s[0:1], 0, 0, vcc
	v_add_co_u32_e32 v19, vcc, s2, v0
	v_lshlrev_b32_e32 v3, 3, v19
	v_addc_co_u32_e64 v20, s[0:1], 0, 0, vcc
	v_mov_b32_e32 v4, s7
	v_add_co_u32_e32 v3, vcc, s6, v3
	s_mov_b32 s28, 0xfefa39ef
	s_mov_b32 s30, 0x3b39803f
	;; [unrolled: 1-line block ×7, first 2 shown]
	s_lshl_b32 s48, s2, 5
	s_mul_i32 s49, s2, 24
	s_lshl_b32 s50, s2, 4
	v_addc_co_u32_e32 v4, vcc, 0, v4, vcc
	s_mov_b64 s[24:25], 0
	s_movk_i32 s51, 0x204
	s_mov_b32 s27, 0x3fe55555
	s_mov_b32 s29, 0x3fe62e42
	s_mov_b32 s31, 0x3c7abc9e
	s_mov_b32 s35, 0x3fc3ab76
	s_mov_b32 s37, 0x3fc7474d
	s_mov_b32 s39, 0x3fcc71c0
	s_mov_b32 s41, 0x3fd24924
	s_mov_b32 s43, 0x3fd99999
	s_mov_b32 s44, 0x55555780
	v_mov_b32_e32 v5, 0x6b47b09a
	v_mov_b32_e32 v6, 0x3fc38538
	;; [unrolled: 1-line block ×4, first 2 shown]
	s_branch .LBB171_4
.LBB171_3:                              ;   in Loop: Header=BB171_4 Depth=1
	s_or_b64 exec, exec, s[0:1]
	s_add_u32 s24, s24, s33
	v_add_co_u32_e32 v1, vcc, s48, v1
	s_waitcnt vmcnt(0)
	v_mov_b32_e32 v7, s20
	s_addc_u32 s25, s25, 0
	v_addc_co_u32_e32 v2, vcc, 0, v2, vcc
	v_mov_b32_e32 v8, s21
	v_cmp_lt_i64_e32 vcc, s[24:25], v[7:8]
	v_add_co_u32_e64 v3, s[0:1], s48, v3
	v_addc_co_u32_e64 v4, s[0:1], 0, v4, s[0:1]
	s_cbranch_vccz .LBB171_20
.LBB171_4:                              ; =>This Inner Loop Header: Depth=1
	v_mov_b32_e32 v8, s25
	v_add_co_u32_e32 v7, vcc, s24, v0
	v_addc_co_u32_e32 v8, vcc, 0, v8, vcc
	v_cmp_gt_u64_e64 s[6:7], s[22:23], v[7:8]
	v_mov_b32_e32 v11, 0
	v_mov_b32_e32 v13, 0
	;; [unrolled: 1-line block ×4, first 2 shown]
	s_and_saveexec_b64 s[0:1], s[6:7]
	s_cbranch_execz .LBB171_6
; %bb.5:                                ;   in Loop: Header=BB171_4 Depth=1
	global_load_dwordx2 v[13:14], v[1:2], off
.LBB171_6:                              ;   in Loop: Header=BB171_4 Depth=1
	s_or_b64 exec, exec, s[0:1]
	v_mov_b32_e32 v8, s25
	v_add_co_u32_e32 v7, vcc, s24, v19
	v_addc_co_u32_e32 v8, vcc, v20, v8, vcc
	v_cmp_gt_u64_e64 s[2:3], s[22:23], v[7:8]
	s_and_saveexec_b64 s[0:1], s[2:3]
	s_cbranch_execz .LBB171_8
; %bb.7:                                ;   in Loop: Header=BB171_4 Depth=1
	global_load_dwordx2 v[11:12], v[3:4], off
.LBB171_8:                              ;   in Loop: Header=BB171_4 Depth=1
	s_or_b64 exec, exec, s[0:1]
	v_mov_b32_e32 v8, s25
	v_add_co_u32_e32 v7, vcc, s24, v17
	v_addc_co_u32_e32 v8, vcc, v18, v8, vcc
	v_cmp_gt_u64_e64 s[0:1], s[22:23], v[7:8]
	v_mov_b32_e32 v7, 0
	v_mov_b32_e32 v9, 0
	;; [unrolled: 1-line block ×4, first 2 shown]
	s_and_saveexec_b64 s[8:9], s[0:1]
	s_cbranch_execz .LBB171_10
; %bb.9:                                ;   in Loop: Header=BB171_4 Depth=1
	v_add_co_u32_e32 v9, vcc, s50, v1
	v_addc_co_u32_e32 v10, vcc, 0, v2, vcc
	global_load_dwordx2 v[9:10], v[9:10], off
.LBB171_10:                             ;   in Loop: Header=BB171_4 Depth=1
	s_or_b64 exec, exec, s[8:9]
	v_mov_b32_e32 v24, s25
	v_add_co_u32_e32 v23, vcc, s24, v15
	v_addc_co_u32_e32 v24, vcc, v16, v24, vcc
	v_cmp_gt_u64_e32 vcc, s[22:23], v[23:24]
	s_and_saveexec_b64 s[10:11], vcc
	s_cbranch_execnz .LBB171_15
; %bb.11:                               ;   in Loop: Header=BB171_4 Depth=1
	s_or_b64 exec, exec, s[10:11]
	s_and_saveexec_b64 s[46:47], s[6:7]
	s_cbranch_execnz .LBB171_16
.LBB171_12:                             ;   in Loop: Header=BB171_4 Depth=1
	s_or_b64 exec, exec, s[46:47]
	s_and_saveexec_b64 s[6:7], s[2:3]
	s_cbranch_execnz .LBB171_17
.LBB171_13:                             ;   in Loop: Header=BB171_4 Depth=1
	s_or_b64 exec, exec, s[6:7]
	s_and_saveexec_b64 s[2:3], s[0:1]
	s_cbranch_execnz .LBB171_18
.LBB171_14:                             ;   in Loop: Header=BB171_4 Depth=1
	s_or_b64 exec, exec, s[2:3]
	s_and_saveexec_b64 s[0:1], vcc
	s_cbranch_execz .LBB171_3
	s_branch .LBB171_19
.LBB171_15:                             ;   in Loop: Header=BB171_4 Depth=1
	v_add_co_u32_e64 v7, s[8:9], s49, v1
	v_addc_co_u32_e64 v8, s[8:9], 0, v2, s[8:9]
	global_load_dwordx2 v[7:8], v[7:8], off
	s_or_b64 exec, exec, s[10:11]
	s_and_saveexec_b64 s[46:47], s[6:7]
	s_cbranch_execz .LBB171_12
.LBB171_16:                             ;   in Loop: Header=BB171_4 Depth=1
	s_waitcnt vmcnt(0)
	v_frexp_mant_f64_e32 v[23:24], v[13:14]
	s_mov_b32 s45, s27
	v_cmp_ngt_f64_e64 s[8:9], 0, v[13:14]
	v_cmp_nge_f64_e64 s[10:11], 0, v[13:14]
	v_cmp_neq_f64_e64 s[12:13], 0, v[13:14]
	v_cmp_gt_f64_e64 s[6:7], s[26:27], v[23:24]
	v_cndmask_b32_e64 v25, 0, 1, s[6:7]
	v_ldexp_f64 v[23:24], v[23:24], v25
	v_add_f64 v[25:26], v[23:24], 1.0
	v_add_f64 v[31:32], v[23:24], -1.0
	v_rcp_f64_e32 v[27:28], v[25:26]
	v_add_f64 v[33:34], v[25:26], -1.0
	v_add_f64 v[23:24], v[23:24], -v[33:34]
	v_fma_f64 v[29:30], -v[25:26], v[27:28], 1.0
	v_fma_f64 v[27:28], v[29:30], v[27:28], v[27:28]
	v_fma_f64 v[29:30], -v[25:26], v[27:28], 1.0
	v_fma_f64 v[27:28], v[29:30], v[27:28], v[27:28]
	v_mul_f64 v[29:30], v[31:32], v[27:28]
	v_mul_f64 v[35:36], v[25:26], v[29:30]
	v_fma_f64 v[25:26], v[29:30], v[25:26], -v[35:36]
	v_fma_f64 v[23:24], v[29:30], v[23:24], v[25:26]
	v_add_f64 v[25:26], v[35:36], v[23:24]
	v_add_f64 v[33:34], v[31:32], -v[25:26]
	v_add_f64 v[35:36], v[25:26], -v[35:36]
	;; [unrolled: 1-line block ×5, first 2 shown]
	v_add_f64 v[23:24], v[23:24], v[25:26]
	v_add_f64 v[23:24], v[33:34], v[23:24]
	v_mul_f64 v[23:24], v[27:28], v[23:24]
	v_add_f64 v[25:26], v[29:30], v[23:24]
	v_mul_f64 v[27:28], v[25:26], v[25:26]
	v_fma_f64 v[31:32], v[27:28], s[34:35], v[5:6]
	v_mul_f64 v[33:34], v[25:26], v[27:28]
	v_fma_f64 v[31:32], v[27:28], v[31:32], s[36:37]
	v_fma_f64 v[31:32], v[27:28], v[31:32], s[38:39]
	;; [unrolled: 1-line block ×5, first 2 shown]
	v_ldexp_f64 v[31:32], v[25:26], 1
	v_add_f64 v[25:26], v[25:26], -v[29:30]
	v_mul_f64 v[27:28], v[33:34], v[27:28]
	v_frexp_exp_i32_f64_e32 v33, v[13:14]
	v_add_f64 v[23:24], v[23:24], -v[25:26]
	v_add_f64 v[29:30], v[31:32], v[27:28]
	v_subbrev_co_u32_e64 v33, s[6:7], 0, v33, s[6:7]
	v_cvt_f64_i32_e32 v[33:34], v33
	v_ldexp_f64 v[23:24], v[23:24], 1
	v_cmp_class_f64_e64 s[6:7], v[13:14], s51
	v_mul_f64 v[35:36], v[33:34], s[28:29]
	v_add_f64 v[25:26], v[29:30], -v[31:32]
	v_fma_f64 v[31:32], v[33:34], s[28:29], -v[35:36]
	v_add_f64 v[25:26], v[27:28], -v[25:26]
	v_fma_f64 v[27:28], v[33:34], s[30:31], v[31:32]
	v_add_f64 v[23:24], v[23:24], v[25:26]
	v_add_f64 v[25:26], v[35:36], v[27:28]
	;; [unrolled: 1-line block ×3, first 2 shown]
	v_add_f64 v[35:36], v[25:26], -v[35:36]
	v_add_f64 v[33:34], v[25:26], v[31:32]
	v_add_f64 v[29:30], v[31:32], -v[29:30]
	v_add_f64 v[27:28], v[27:28], -v[35:36]
	;; [unrolled: 1-line block ×6, first 2 shown]
	v_add_f64 v[31:32], v[27:28], v[23:24]
	v_add_f64 v[25:26], v[25:26], -v[39:40]
	v_add_f64 v[25:26], v[29:30], v[25:26]
	v_add_f64 v[29:30], v[31:32], -v[27:28]
	;; [unrolled: 2-line block ×3, first 2 shown]
	v_add_f64 v[23:24], v[23:24], -v[29:30]
	v_add_f64 v[35:36], v[33:34], v[25:26]
	v_add_f64 v[27:28], v[27:28], -v[31:32]
	v_add_f64 v[29:30], v[35:36], -v[33:34]
	v_add_f64 v[23:24], v[23:24], v[27:28]
	v_add_f64 v[25:26], v[25:26], -v[29:30]
	v_add_f64 v[23:24], v[23:24], v[25:26]
	v_add_f64 v[23:24], v[35:36], v[23:24]
	v_cndmask_b32_e64 v14, v24, v14, s[6:7]
	v_cndmask_b32_e64 v13, v23, v13, s[6:7]
	;; [unrolled: 1-line block ×5, first 2 shown]
	global_store_dwordx2 v[1:2], v[13:14], off
	s_or_b64 exec, exec, s[46:47]
	s_and_saveexec_b64 s[6:7], s[2:3]
	s_cbranch_execz .LBB171_13
.LBB171_17:                             ;   in Loop: Header=BB171_4 Depth=1
	s_waitcnt vmcnt(0)
	v_frexp_mant_f64_e32 v[13:14], v[11:12]
	s_mov_b32 s45, s27
	v_cmp_gt_f64_e64 s[2:3], s[26:27], v[13:14]
	v_cndmask_b32_e64 v23, 0, 1, s[2:3]
	v_ldexp_f64 v[13:14], v[13:14], v23
	v_add_f64 v[23:24], v[13:14], 1.0
	v_add_f64 v[29:30], v[13:14], -1.0
	v_rcp_f64_e32 v[25:26], v[23:24]
	v_add_f64 v[31:32], v[23:24], -1.0
	v_add_f64 v[13:14], v[13:14], -v[31:32]
	v_fma_f64 v[27:28], -v[23:24], v[25:26], 1.0
	v_fma_f64 v[25:26], v[27:28], v[25:26], v[25:26]
	v_fma_f64 v[27:28], -v[23:24], v[25:26], 1.0
	v_fma_f64 v[25:26], v[27:28], v[25:26], v[25:26]
	v_mul_f64 v[27:28], v[29:30], v[25:26]
	v_mul_f64 v[33:34], v[23:24], v[27:28]
	v_fma_f64 v[23:24], v[27:28], v[23:24], -v[33:34]
	v_fma_f64 v[13:14], v[27:28], v[13:14], v[23:24]
	v_add_f64 v[23:24], v[33:34], v[13:14]
	v_add_f64 v[31:32], v[29:30], -v[23:24]
	v_add_f64 v[33:34], v[23:24], -v[33:34]
	;; [unrolled: 1-line block ×5, first 2 shown]
	v_add_f64 v[13:14], v[13:14], v[23:24]
	v_add_f64 v[13:14], v[31:32], v[13:14]
	v_mul_f64 v[13:14], v[25:26], v[13:14]
	v_add_f64 v[23:24], v[27:28], v[13:14]
	v_mul_f64 v[25:26], v[23:24], v[23:24]
	v_fma_f64 v[29:30], v[25:26], s[34:35], v[5:6]
	v_mul_f64 v[31:32], v[23:24], v[25:26]
	v_fma_f64 v[29:30], v[25:26], v[29:30], s[36:37]
	v_fma_f64 v[29:30], v[25:26], v[29:30], s[38:39]
	;; [unrolled: 1-line block ×5, first 2 shown]
	v_ldexp_f64 v[29:30], v[23:24], 1
	v_add_f64 v[23:24], v[23:24], -v[27:28]
	v_mul_f64 v[25:26], v[31:32], v[25:26]
	v_frexp_exp_i32_f64_e32 v31, v[11:12]
	v_add_f64 v[13:14], v[13:14], -v[23:24]
	v_add_f64 v[27:28], v[29:30], v[25:26]
	v_subbrev_co_u32_e64 v31, s[2:3], 0, v31, s[2:3]
	v_cvt_f64_i32_e32 v[31:32], v31
	v_ldexp_f64 v[13:14], v[13:14], 1
	v_cmp_class_f64_e64 s[2:3], v[11:12], s51
	v_mul_f64 v[33:34], v[31:32], s[28:29]
	v_add_f64 v[23:24], v[27:28], -v[29:30]
	v_fma_f64 v[29:30], v[31:32], s[28:29], -v[33:34]
	v_add_f64 v[23:24], v[25:26], -v[23:24]
	v_fma_f64 v[25:26], v[31:32], s[30:31], v[29:30]
	v_add_f64 v[13:14], v[13:14], v[23:24]
	v_add_f64 v[23:24], v[33:34], v[25:26]
	;; [unrolled: 1-line block ×3, first 2 shown]
	v_add_f64 v[33:34], v[23:24], -v[33:34]
	v_add_f64 v[31:32], v[23:24], v[29:30]
	v_add_f64 v[27:28], v[29:30], -v[27:28]
	v_add_f64 v[25:26], v[25:26], -v[33:34]
	;; [unrolled: 1-line block ×6, first 2 shown]
	v_add_f64 v[29:30], v[25:26], v[13:14]
	v_add_f64 v[23:24], v[23:24], -v[37:38]
	v_add_f64 v[23:24], v[27:28], v[23:24]
	v_add_f64 v[27:28], v[29:30], -v[25:26]
	;; [unrolled: 2-line block ×3, first 2 shown]
	v_add_f64 v[13:14], v[13:14], -v[27:28]
	v_add_f64 v[33:34], v[31:32], v[23:24]
	v_add_f64 v[25:26], v[25:26], -v[29:30]
	v_add_f64 v[27:28], v[33:34], -v[31:32]
	v_add_f64 v[13:14], v[13:14], v[25:26]
	v_add_f64 v[23:24], v[23:24], -v[27:28]
	v_add_f64 v[13:14], v[13:14], v[23:24]
	v_add_f64 v[13:14], v[33:34], v[13:14]
	v_cndmask_b32_e64 v13, v13, v11, s[2:3]
	v_cndmask_b32_e64 v14, v14, v12, s[2:3]
	v_cmp_ngt_f64_e64 s[2:3], 0, v[11:12]
	v_cndmask_b32_e64 v14, v21, v14, s[2:3]
	v_cmp_nge_f64_e64 s[2:3], 0, v[11:12]
	v_cndmask_b32_e64 v13, 0, v13, s[2:3]
	v_cmp_neq_f64_e64 s[2:3], 0, v[11:12]
	v_cndmask_b32_e64 v14, v22, v14, s[2:3]
	global_store_dwordx2 v[3:4], v[13:14], off
	s_or_b64 exec, exec, s[6:7]
	s_and_saveexec_b64 s[2:3], s[0:1]
	s_cbranch_execz .LBB171_14
.LBB171_18:                             ;   in Loop: Header=BB171_4 Depth=1
	s_waitcnt vmcnt(0)
	v_frexp_mant_f64_e32 v[11:12], v[9:10]
	s_mov_b32 s45, s27
	v_cmp_gt_f64_e64 s[0:1], s[26:27], v[11:12]
	v_cndmask_b32_e64 v13, 0, 1, s[0:1]
	v_ldexp_f64 v[11:12], v[11:12], v13
	v_add_f64 v[13:14], v[11:12], 1.0
	v_add_f64 v[27:28], v[11:12], -1.0
	v_rcp_f64_e32 v[23:24], v[13:14]
	v_add_f64 v[29:30], v[13:14], -1.0
	v_add_f64 v[11:12], v[11:12], -v[29:30]
	v_fma_f64 v[25:26], -v[13:14], v[23:24], 1.0
	v_fma_f64 v[23:24], v[25:26], v[23:24], v[23:24]
	v_fma_f64 v[25:26], -v[13:14], v[23:24], 1.0
	v_fma_f64 v[23:24], v[25:26], v[23:24], v[23:24]
	v_mul_f64 v[25:26], v[27:28], v[23:24]
	v_mul_f64 v[31:32], v[13:14], v[25:26]
	v_fma_f64 v[13:14], v[25:26], v[13:14], -v[31:32]
	v_fma_f64 v[11:12], v[25:26], v[11:12], v[13:14]
	v_add_f64 v[13:14], v[31:32], v[11:12]
	v_add_f64 v[29:30], v[27:28], -v[13:14]
	v_add_f64 v[31:32], v[13:14], -v[31:32]
	;; [unrolled: 1-line block ×5, first 2 shown]
	v_add_f64 v[11:12], v[11:12], v[13:14]
	v_add_f64 v[11:12], v[29:30], v[11:12]
	v_mul_f64 v[11:12], v[23:24], v[11:12]
	v_add_f64 v[13:14], v[25:26], v[11:12]
	v_mul_f64 v[23:24], v[13:14], v[13:14]
	v_fma_f64 v[27:28], v[23:24], s[34:35], v[5:6]
	v_mul_f64 v[29:30], v[13:14], v[23:24]
	v_fma_f64 v[27:28], v[23:24], v[27:28], s[36:37]
	v_fma_f64 v[27:28], v[23:24], v[27:28], s[38:39]
	;; [unrolled: 1-line block ×5, first 2 shown]
	v_ldexp_f64 v[27:28], v[13:14], 1
	v_add_f64 v[13:14], v[13:14], -v[25:26]
	v_mul_f64 v[23:24], v[29:30], v[23:24]
	v_frexp_exp_i32_f64_e32 v29, v[9:10]
	v_add_f64 v[11:12], v[11:12], -v[13:14]
	v_add_f64 v[25:26], v[27:28], v[23:24]
	v_subbrev_co_u32_e64 v29, s[0:1], 0, v29, s[0:1]
	v_cvt_f64_i32_e32 v[29:30], v29
	v_ldexp_f64 v[11:12], v[11:12], 1
	v_cmp_class_f64_e64 s[0:1], v[9:10], s51
	v_mul_f64 v[31:32], v[29:30], s[28:29]
	v_add_f64 v[13:14], v[25:26], -v[27:28]
	v_fma_f64 v[27:28], v[29:30], s[28:29], -v[31:32]
	v_add_f64 v[13:14], v[23:24], -v[13:14]
	v_fma_f64 v[23:24], v[29:30], s[30:31], v[27:28]
	v_add_f64 v[11:12], v[11:12], v[13:14]
	v_add_f64 v[13:14], v[31:32], v[23:24]
	;; [unrolled: 1-line block ×3, first 2 shown]
	v_add_f64 v[31:32], v[13:14], -v[31:32]
	v_add_f64 v[29:30], v[13:14], v[27:28]
	v_add_f64 v[25:26], v[27:28], -v[25:26]
	v_add_f64 v[23:24], v[23:24], -v[31:32]
	;; [unrolled: 1-line block ×6, first 2 shown]
	v_add_f64 v[27:28], v[23:24], v[11:12]
	v_add_f64 v[13:14], v[13:14], -v[35:36]
	v_add_f64 v[13:14], v[25:26], v[13:14]
	v_add_f64 v[25:26], v[27:28], -v[23:24]
	;; [unrolled: 2-line block ×3, first 2 shown]
	v_add_f64 v[11:12], v[11:12], -v[25:26]
	v_add_f64 v[31:32], v[29:30], v[13:14]
	v_add_f64 v[23:24], v[23:24], -v[27:28]
	v_add_f64 v[25:26], v[31:32], -v[29:30]
	v_add_f64 v[11:12], v[11:12], v[23:24]
	v_add_f64 v[13:14], v[13:14], -v[25:26]
	v_add_f64 v[11:12], v[11:12], v[13:14]
	v_add_f64 v[11:12], v[31:32], v[11:12]
	v_cndmask_b32_e64 v11, v11, v9, s[0:1]
	v_cndmask_b32_e64 v12, v12, v10, s[0:1]
	v_cmp_ngt_f64_e64 s[0:1], 0, v[9:10]
	v_cndmask_b32_e64 v12, v21, v12, s[0:1]
	v_cmp_nge_f64_e64 s[0:1], 0, v[9:10]
	v_cndmask_b32_e64 v11, 0, v11, s[0:1]
	v_cmp_neq_f64_e64 s[0:1], 0, v[9:10]
	v_cndmask_b32_e64 v12, v22, v12, s[0:1]
	v_add_co_u32_e64 v9, s[0:1], s50, v1
	v_addc_co_u32_e64 v10, s[0:1], 0, v2, s[0:1]
	global_store_dwordx2 v[9:10], v[11:12], off
	s_or_b64 exec, exec, s[2:3]
	s_and_saveexec_b64 s[0:1], vcc
	s_cbranch_execz .LBB171_3
.LBB171_19:                             ;   in Loop: Header=BB171_4 Depth=1
	s_waitcnt vmcnt(0)
	v_frexp_mant_f64_e32 v[9:10], v[7:8]
	s_mov_b32 s45, s27
	v_cmp_gt_f64_e32 vcc, s[26:27], v[9:10]
	v_cndmask_b32_e64 v11, 0, 1, vcc
	v_ldexp_f64 v[9:10], v[9:10], v11
	v_add_f64 v[11:12], v[9:10], 1.0
	v_add_f64 v[25:26], v[9:10], -1.0
	v_rcp_f64_e32 v[13:14], v[11:12]
	v_add_f64 v[27:28], v[11:12], -1.0
	v_add_f64 v[9:10], v[9:10], -v[27:28]
	v_fma_f64 v[23:24], -v[11:12], v[13:14], 1.0
	v_fma_f64 v[13:14], v[23:24], v[13:14], v[13:14]
	v_fma_f64 v[23:24], -v[11:12], v[13:14], 1.0
	v_fma_f64 v[13:14], v[23:24], v[13:14], v[13:14]
	v_mul_f64 v[23:24], v[25:26], v[13:14]
	v_mul_f64 v[29:30], v[11:12], v[23:24]
	v_fma_f64 v[11:12], v[23:24], v[11:12], -v[29:30]
	v_fma_f64 v[9:10], v[23:24], v[9:10], v[11:12]
	v_add_f64 v[11:12], v[29:30], v[9:10]
	v_add_f64 v[27:28], v[25:26], -v[11:12]
	v_add_f64 v[29:30], v[11:12], -v[29:30]
	;; [unrolled: 1-line block ×5, first 2 shown]
	v_add_f64 v[9:10], v[9:10], v[11:12]
	v_add_f64 v[9:10], v[27:28], v[9:10]
	v_mul_f64 v[9:10], v[13:14], v[9:10]
	v_add_f64 v[11:12], v[23:24], v[9:10]
	v_mul_f64 v[13:14], v[11:12], v[11:12]
	v_fma_f64 v[25:26], v[13:14], s[34:35], v[5:6]
	v_mul_f64 v[27:28], v[11:12], v[13:14]
	v_fma_f64 v[25:26], v[13:14], v[25:26], s[36:37]
	v_fma_f64 v[25:26], v[13:14], v[25:26], s[38:39]
	;; [unrolled: 1-line block ×5, first 2 shown]
	v_ldexp_f64 v[25:26], v[11:12], 1
	v_add_f64 v[11:12], v[11:12], -v[23:24]
	v_mul_f64 v[13:14], v[27:28], v[13:14]
	v_frexp_exp_i32_f64_e32 v27, v[7:8]
	v_add_f64 v[9:10], v[9:10], -v[11:12]
	v_add_f64 v[23:24], v[25:26], v[13:14]
	v_subbrev_co_u32_e32 v27, vcc, 0, v27, vcc
	v_cvt_f64_i32_e32 v[27:28], v27
	v_ldexp_f64 v[9:10], v[9:10], 1
	v_cmp_class_f64_e64 vcc, v[7:8], s51
	v_mul_f64 v[29:30], v[27:28], s[28:29]
	v_add_f64 v[11:12], v[23:24], -v[25:26]
	v_fma_f64 v[25:26], v[27:28], s[28:29], -v[29:30]
	v_add_f64 v[11:12], v[13:14], -v[11:12]
	v_fma_f64 v[13:14], v[27:28], s[30:31], v[25:26]
	v_add_f64 v[9:10], v[9:10], v[11:12]
	v_add_f64 v[11:12], v[29:30], v[13:14]
	;; [unrolled: 1-line block ×3, first 2 shown]
	v_add_f64 v[29:30], v[11:12], -v[29:30]
	v_add_f64 v[27:28], v[11:12], v[25:26]
	v_add_f64 v[23:24], v[25:26], -v[23:24]
	v_add_f64 v[13:14], v[13:14], -v[29:30]
	;; [unrolled: 1-line block ×6, first 2 shown]
	v_add_f64 v[25:26], v[13:14], v[9:10]
	v_add_f64 v[11:12], v[11:12], -v[33:34]
	v_add_f64 v[11:12], v[23:24], v[11:12]
	v_add_f64 v[23:24], v[25:26], -v[13:14]
	;; [unrolled: 2-line block ×3, first 2 shown]
	v_add_f64 v[9:10], v[9:10], -v[23:24]
	v_add_f64 v[29:30], v[27:28], v[11:12]
	v_add_f64 v[13:14], v[13:14], -v[25:26]
	v_add_f64 v[23:24], v[29:30], -v[27:28]
	v_add_f64 v[9:10], v[9:10], v[13:14]
	v_add_f64 v[11:12], v[11:12], -v[23:24]
	v_add_f64 v[9:10], v[9:10], v[11:12]
	v_add_f64 v[9:10], v[29:30], v[9:10]
	v_cndmask_b32_e32 v9, v9, v7, vcc
	v_cndmask_b32_e32 v10, v10, v8, vcc
	v_cmp_ngt_f64_e32 vcc, 0, v[7:8]
	v_cndmask_b32_e32 v10, v21, v10, vcc
	v_cmp_nge_f64_e32 vcc, 0, v[7:8]
	v_cndmask_b32_e32 v9, 0, v9, vcc
	v_cmp_neq_f64_e32 vcc, 0, v[7:8]
	v_cndmask_b32_e32 v10, v22, v10, vcc
	v_add_co_u32_e32 v7, vcc, s49, v1
	v_addc_co_u32_e32 v8, vcc, 0, v2, vcc
	global_store_dwordx2 v[7:8], v[9:10], off
	s_branch .LBB171_3
.LBB171_20:
	s_cbranch_execz .LBB171_22
	s_branch .LBB171_25
.LBB171_21:
.LBB171_22:
	v_mov_b32_e32 v1, 0x10000
	v_mov_b32_e32 v2, 0
	v_cmp_lt_i64_e32 vcc, s[18:19], v[1:2]
	v_mov_b32_e32 v2, 0
	s_and_b64 s[0:1], vcc, exec
	s_cselect_b32 s1, s19, 0
	s_cselect_b32 s0, s18, 0x10000
	v_lshlrev_b32_e32 v1, 2, v0
	v_cmp_gt_i64_e32 vcc, s[0:1], v[1:2]
	s_and_saveexec_b64 s[2:3], vcc
	s_cbranch_execz .LBB171_25
; %bb.23:
	s_load_dword s2, s[4:5], 0xd3c
	v_mov_b32_e32 v1, v2
	v_lshlrev_b32_e32 v2, 5, v0
	s_mov_b32 s8, 0x6b47b09a
	s_mov_b32 s9, 0x3fc38538
	s_waitcnt lgkmcnt(0)
	s_and_b32 s22, s2, 0xffff
	s_add_u32 s2, s14, s16
	s_addc_u32 s3, s15, s17
	v_mov_b32_e32 v3, s3
	v_add_co_u32_e32 v2, vcc, s2, v2
	v_addc_co_u32_e32 v3, vcc, 0, v3, vcc
	s_mov_b32 s4, 0x55555555
	v_mov_b32_e32 v17, s9
	v_add_co_u32_e32 v14, vcc, 16, v2
	s_mov_b32 s5, 0x3fe55555
	s_mov_b32 s6, 0xbf559e2b
	v_mov_b32_e32 v16, s8
	s_mov_b32 s8, 0xd7f4df2e
	s_mov_b32 s10, 0x16291751
	;; [unrolled: 1-line block ×6, first 2 shown]
	v_addc_co_u32_e32 v15, vcc, 0, v3, vcc
	s_lshl_b32 s23, s22, 5
	s_mov_b64 s[2:3], 0
	s_mov_b32 s7, 0x3fc3ab76
	s_mov_b32 s9, 0x3fc7474d
	;; [unrolled: 1-line block ×8, first 2 shown]
	s_movk_i32 s24, 0x204
	v_mov_b32_e32 v18, 0x7ff80000
	v_mov_b32_e32 v19, 0xfff00000
	s_mov_b32 s17, s5
.LBB171_24:                             ; =>This Inner Loop Header: Depth=1
	global_load_dwordx4 v[2:5], v[14:15], off
	global_load_dwordx4 v[7:10], v[14:15], off offset:-16
	s_waitcnt vmcnt(0)
	v_frexp_mant_f64_e32 v[11:12], v[7:8]
	v_frexp_exp_i32_f64_e32 v6, v[7:8]
	v_cmp_gt_f64_e32 vcc, s[4:5], v[11:12]
	v_cndmask_b32_e64 v13, 0, 1, vcc
	v_ldexp_f64 v[11:12], v[11:12], v13
	v_subbrev_co_u32_e32 v6, vcc, 0, v6, vcc
	v_cmp_class_f64_e64 vcc, v[7:8], s24
	v_add_f64 v[22:23], v[11:12], 1.0
	v_add_f64 v[20:21], v[11:12], -1.0
	v_add_f64 v[24:25], v[22:23], -1.0
	v_add_f64 v[11:12], v[11:12], -v[24:25]
	v_rcp_f64_e32 v[24:25], v[22:23]
	v_fma_f64 v[26:27], -v[22:23], v[24:25], 1.0
	v_fma_f64 v[24:25], v[26:27], v[24:25], v[24:25]
	v_fma_f64 v[26:27], -v[22:23], v[24:25], 1.0
	v_fma_f64 v[24:25], v[26:27], v[24:25], v[24:25]
	v_mul_f64 v[26:27], v[20:21], v[24:25]
	v_mul_f64 v[28:29], v[22:23], v[26:27]
	v_fma_f64 v[22:23], v[26:27], v[22:23], -v[28:29]
	v_fma_f64 v[11:12], v[26:27], v[11:12], v[22:23]
	v_add_f64 v[22:23], v[28:29], v[11:12]
	v_add_f64 v[30:31], v[20:21], -v[22:23]
	v_add_f64 v[28:29], v[22:23], -v[28:29]
	v_add_f64 v[20:21], v[20:21], -v[30:31]
	v_add_f64 v[11:12], v[28:29], -v[11:12]
	v_add_f64 v[20:21], v[20:21], -v[22:23]
	v_add_f64 v[11:12], v[11:12], v[20:21]
	v_add_f64 v[11:12], v[30:31], v[11:12]
	v_mul_f64 v[11:12], v[24:25], v[11:12]
	v_add_f64 v[20:21], v[26:27], v[11:12]
	v_add_f64 v[22:23], v[20:21], -v[26:27]
	v_ldexp_f64 v[26:27], v[20:21], 1
	v_add_f64 v[11:12], v[11:12], -v[22:23]
	v_mul_f64 v[22:23], v[20:21], v[20:21]
	v_ldexp_f64 v[11:12], v[11:12], 1
	v_fma_f64 v[24:25], v[22:23], s[6:7], v[16:17]
	v_mul_f64 v[20:21], v[20:21], v[22:23]
	v_fma_f64 v[24:25], v[22:23], v[24:25], s[8:9]
	v_fma_f64 v[24:25], v[22:23], v[24:25], s[10:11]
	;; [unrolled: 1-line block ×5, first 2 shown]
	v_mul_f64 v[20:21], v[20:21], v[24:25]
	v_add_f64 v[22:23], v[26:27], v[20:21]
	v_add_f64 v[24:25], v[22:23], -v[26:27]
	v_add_f64 v[20:21], v[20:21], -v[24:25]
	v_add_f64 v[11:12], v[11:12], v[20:21]
	v_add_f64 v[20:21], v[22:23], v[11:12]
	v_add_f64 v[22:23], v[20:21], -v[22:23]
	v_add_f64 v[11:12], v[11:12], -v[22:23]
	v_cvt_f64_i32_e32 v[22:23], v6
	v_mul_f64 v[24:25], v[22:23], s[18:19]
	v_fma_f64 v[26:27], v[22:23], s[18:19], -v[24:25]
	v_fma_f64 v[22:23], v[22:23], s[20:21], v[26:27]
	v_add_f64 v[26:27], v[24:25], v[22:23]
	v_add_f64 v[24:25], v[26:27], -v[24:25]
	v_add_f64 v[22:23], v[22:23], -v[24:25]
	v_add_f64 v[24:25], v[26:27], v[20:21]
	v_add_f64 v[28:29], v[24:25], -v[26:27]
	v_add_f64 v[30:31], v[24:25], -v[28:29]
	;; [unrolled: 1-line block ×4, first 2 shown]
	v_add_f64 v[20:21], v[20:21], v[26:27]
	v_add_f64 v[26:27], v[22:23], v[11:12]
	v_add_f64 v[28:29], v[26:27], -v[22:23]
	v_add_f64 v[20:21], v[26:27], v[20:21]
	v_add_f64 v[30:31], v[26:27], -v[28:29]
	v_add_f64 v[11:12], v[11:12], -v[28:29]
	;; [unrolled: 1-line block ×3, first 2 shown]
	v_add_f64 v[11:12], v[11:12], v[22:23]
	v_add_f64 v[22:23], v[24:25], v[20:21]
	v_add_f64 v[24:25], v[22:23], -v[24:25]
	v_add_f64 v[20:21], v[20:21], -v[24:25]
	v_add_f64 v[11:12], v[11:12], v[20:21]
	v_add_f64 v[11:12], v[22:23], v[11:12]
	v_cndmask_b32_e32 v6, v11, v7, vcc
	v_cndmask_b32_e32 v11, v12, v8, vcc
	v_cmp_ngt_f64_e32 vcc, 0, v[7:8]
	v_cndmask_b32_e32 v11, v18, v11, vcc
	v_cmp_nge_f64_e32 vcc, 0, v[7:8]
	v_cndmask_b32_e32 v6, 0, v6, vcc
	v_cmp_neq_f64_e32 vcc, 0, v[7:8]
	v_frexp_exp_i32_f64_e32 v8, v[9:10]
	v_cndmask_b32_e32 v7, v19, v11, vcc
	v_frexp_mant_f64_e32 v[11:12], v[9:10]
	v_cmp_gt_f64_e32 vcc, s[4:5], v[11:12]
	v_cndmask_b32_e64 v13, 0, 1, vcc
	v_ldexp_f64 v[11:12], v[11:12], v13
	v_subbrev_co_u32_e32 v8, vcc, 0, v8, vcc
	v_cmp_class_f64_e64 vcc, v[9:10], s24
	v_add_f64 v[22:23], v[11:12], 1.0
	v_add_f64 v[20:21], v[11:12], -1.0
	v_add_f64 v[24:25], v[22:23], -1.0
	v_add_f64 v[11:12], v[11:12], -v[24:25]
	v_rcp_f64_e32 v[24:25], v[22:23]
	v_fma_f64 v[26:27], -v[22:23], v[24:25], 1.0
	v_fma_f64 v[24:25], v[26:27], v[24:25], v[24:25]
	v_fma_f64 v[26:27], -v[22:23], v[24:25], 1.0
	v_fma_f64 v[24:25], v[26:27], v[24:25], v[24:25]
	v_mul_f64 v[26:27], v[20:21], v[24:25]
	v_mul_f64 v[28:29], v[22:23], v[26:27]
	v_fma_f64 v[22:23], v[26:27], v[22:23], -v[28:29]
	v_fma_f64 v[11:12], v[26:27], v[11:12], v[22:23]
	v_add_f64 v[22:23], v[28:29], v[11:12]
	v_add_f64 v[30:31], v[20:21], -v[22:23]
	v_add_f64 v[28:29], v[22:23], -v[28:29]
	;; [unrolled: 1-line block ×5, first 2 shown]
	v_add_f64 v[11:12], v[11:12], v[20:21]
	v_add_f64 v[11:12], v[30:31], v[11:12]
	v_mul_f64 v[11:12], v[24:25], v[11:12]
	v_add_f64 v[20:21], v[26:27], v[11:12]
	v_add_f64 v[22:23], v[20:21], -v[26:27]
	v_ldexp_f64 v[26:27], v[20:21], 1
	v_add_f64 v[11:12], v[11:12], -v[22:23]
	v_mul_f64 v[22:23], v[20:21], v[20:21]
	v_ldexp_f64 v[11:12], v[11:12], 1
	v_fma_f64 v[24:25], v[22:23], s[6:7], v[16:17]
	v_mul_f64 v[20:21], v[20:21], v[22:23]
	v_fma_f64 v[24:25], v[22:23], v[24:25], s[8:9]
	v_fma_f64 v[24:25], v[22:23], v[24:25], s[10:11]
	;; [unrolled: 1-line block ×5, first 2 shown]
	v_mul_f64 v[20:21], v[20:21], v[24:25]
	v_add_f64 v[22:23], v[26:27], v[20:21]
	v_add_f64 v[24:25], v[22:23], -v[26:27]
	v_add_f64 v[20:21], v[20:21], -v[24:25]
	v_add_f64 v[11:12], v[11:12], v[20:21]
	v_add_f64 v[20:21], v[22:23], v[11:12]
	v_add_f64 v[22:23], v[20:21], -v[22:23]
	v_add_f64 v[11:12], v[11:12], -v[22:23]
	v_cvt_f64_i32_e32 v[22:23], v8
	v_mul_f64 v[24:25], v[22:23], s[18:19]
	v_fma_f64 v[26:27], v[22:23], s[18:19], -v[24:25]
	v_fma_f64 v[22:23], v[22:23], s[20:21], v[26:27]
	v_add_f64 v[26:27], v[24:25], v[22:23]
	v_add_f64 v[24:25], v[26:27], -v[24:25]
	v_add_f64 v[22:23], v[22:23], -v[24:25]
	v_add_f64 v[24:25], v[26:27], v[20:21]
	v_add_f64 v[28:29], v[24:25], -v[26:27]
	v_add_f64 v[30:31], v[24:25], -v[28:29]
	;; [unrolled: 1-line block ×4, first 2 shown]
	v_add_f64 v[20:21], v[20:21], v[26:27]
	v_add_f64 v[26:27], v[22:23], v[11:12]
	v_add_f64 v[28:29], v[26:27], -v[22:23]
	v_add_f64 v[20:21], v[26:27], v[20:21]
	v_add_f64 v[30:31], v[26:27], -v[28:29]
	v_add_f64 v[11:12], v[11:12], -v[28:29]
	;; [unrolled: 1-line block ×3, first 2 shown]
	v_add_f64 v[11:12], v[11:12], v[22:23]
	v_add_f64 v[22:23], v[24:25], v[20:21]
	v_add_f64 v[24:25], v[22:23], -v[24:25]
	v_add_f64 v[20:21], v[20:21], -v[24:25]
	v_add_f64 v[11:12], v[11:12], v[20:21]
	v_add_f64 v[11:12], v[22:23], v[11:12]
	v_cndmask_b32_e32 v8, v11, v9, vcc
	v_cndmask_b32_e32 v11, v12, v10, vcc
	v_cmp_ngt_f64_e32 vcc, 0, v[9:10]
	v_cndmask_b32_e32 v11, v18, v11, vcc
	v_cmp_nge_f64_e32 vcc, 0, v[9:10]
	v_cndmask_b32_e32 v8, 0, v8, vcc
	v_cmp_neq_f64_e32 vcc, 0, v[9:10]
	v_frexp_exp_i32_f64_e32 v10, v[2:3]
	v_cndmask_b32_e32 v9, v19, v11, vcc
	v_frexp_mant_f64_e32 v[11:12], v[2:3]
	v_cmp_gt_f64_e32 vcc, s[4:5], v[11:12]
	v_cndmask_b32_e64 v13, 0, 1, vcc
	v_ldexp_f64 v[11:12], v[11:12], v13
	v_subbrev_co_u32_e32 v30, vcc, 0, v10, vcc
	v_cmp_class_f64_e64 vcc, v[2:3], s24
	v_add_f64 v[22:23], v[11:12], 1.0
	v_add_f64 v[20:21], v[11:12], -1.0
	v_add_f64 v[24:25], v[22:23], -1.0
	v_add_f64 v[10:11], v[11:12], -v[24:25]
	v_rcp_f64_e32 v[12:13], v[22:23]
	v_fma_f64 v[24:25], -v[22:23], v[12:13], 1.0
	v_fma_f64 v[12:13], v[24:25], v[12:13], v[12:13]
	v_fma_f64 v[24:25], -v[22:23], v[12:13], 1.0
	v_fma_f64 v[12:13], v[24:25], v[12:13], v[12:13]
	v_mul_f64 v[24:25], v[20:21], v[12:13]
	v_mul_f64 v[26:27], v[22:23], v[24:25]
	v_fma_f64 v[22:23], v[24:25], v[22:23], -v[26:27]
	v_fma_f64 v[10:11], v[24:25], v[10:11], v[22:23]
	v_add_f64 v[22:23], v[26:27], v[10:11]
	v_add_f64 v[28:29], v[20:21], -v[22:23]
	v_add_f64 v[26:27], v[22:23], -v[26:27]
	;; [unrolled: 1-line block ×5, first 2 shown]
	v_add_f64 v[10:11], v[10:11], v[20:21]
	v_add_f64 v[10:11], v[28:29], v[10:11]
	v_mul_f64 v[10:11], v[12:13], v[10:11]
	v_add_f64 v[12:13], v[24:25], v[10:11]
	v_add_f64 v[20:21], v[12:13], -v[24:25]
	v_ldexp_f64 v[24:25], v[12:13], 1
	v_add_f64 v[10:11], v[10:11], -v[20:21]
	v_mul_f64 v[20:21], v[12:13], v[12:13]
	v_ldexp_f64 v[10:11], v[10:11], 1
	v_fma_f64 v[22:23], v[20:21], s[6:7], v[16:17]
	v_mul_f64 v[12:13], v[12:13], v[20:21]
	v_fma_f64 v[22:23], v[20:21], v[22:23], s[8:9]
	v_fma_f64 v[22:23], v[20:21], v[22:23], s[10:11]
	;; [unrolled: 1-line block ×5, first 2 shown]
	v_mul_f64 v[12:13], v[12:13], v[22:23]
	v_add_f64 v[20:21], v[24:25], v[12:13]
	v_add_f64 v[22:23], v[20:21], -v[24:25]
	v_add_f64 v[12:13], v[12:13], -v[22:23]
	v_add_f64 v[10:11], v[10:11], v[12:13]
	v_add_f64 v[12:13], v[20:21], v[10:11]
	v_add_f64 v[20:21], v[12:13], -v[20:21]
	v_add_f64 v[10:11], v[10:11], -v[20:21]
	v_cvt_f64_i32_e32 v[20:21], v30
	v_mul_f64 v[22:23], v[20:21], s[18:19]
	v_fma_f64 v[24:25], v[20:21], s[18:19], -v[22:23]
	v_fma_f64 v[20:21], v[20:21], s[20:21], v[24:25]
	v_add_f64 v[24:25], v[22:23], v[20:21]
	v_add_f64 v[22:23], v[24:25], -v[22:23]
	v_add_f64 v[20:21], v[20:21], -v[22:23]
	v_add_f64 v[22:23], v[24:25], v[12:13]
	v_add_f64 v[26:27], v[22:23], -v[24:25]
	v_add_f64 v[28:29], v[22:23], -v[26:27]
	;; [unrolled: 1-line block ×4, first 2 shown]
	v_add_f64 v[12:13], v[12:13], v[24:25]
	v_add_f64 v[24:25], v[20:21], v[10:11]
	v_add_f64 v[26:27], v[24:25], -v[20:21]
	v_add_f64 v[12:13], v[24:25], v[12:13]
	v_add_f64 v[28:29], v[24:25], -v[26:27]
	v_add_f64 v[10:11], v[10:11], -v[26:27]
	;; [unrolled: 1-line block ×3, first 2 shown]
	v_add_f64 v[10:11], v[10:11], v[20:21]
	v_add_f64 v[20:21], v[22:23], v[12:13]
	v_add_f64 v[22:23], v[20:21], -v[22:23]
	v_add_f64 v[12:13], v[12:13], -v[22:23]
	v_add_f64 v[10:11], v[10:11], v[12:13]
	v_frexp_exp_i32_f64_e32 v12, v[4:5]
	v_add_f64 v[10:11], v[20:21], v[10:11]
	v_cndmask_b32_e32 v10, v10, v2, vcc
	v_cndmask_b32_e32 v11, v11, v3, vcc
	v_cmp_ngt_f64_e32 vcc, 0, v[2:3]
	v_cndmask_b32_e32 v11, v18, v11, vcc
	v_cmp_nge_f64_e32 vcc, 0, v[2:3]
	v_cndmask_b32_e32 v10, 0, v10, vcc
	v_cmp_neq_f64_e32 vcc, 0, v[2:3]
	v_frexp_mant_f64_e32 v[2:3], v[4:5]
	v_cndmask_b32_e32 v11, v19, v11, vcc
	v_cmp_gt_f64_e32 vcc, s[4:5], v[2:3]
	v_cndmask_b32_e64 v13, 0, 1, vcc
	v_ldexp_f64 v[2:3], v[2:3], v13
	v_subbrev_co_u32_e32 v30, vcc, 0, v12, vcc
	v_cmp_class_f64_e64 vcc, v[4:5], s24
	v_add_f64 v[20:21], v[2:3], 1.0
	v_add_f64 v[12:13], v[2:3], -1.0
	v_add_f64 v[22:23], v[20:21], -1.0
	v_add_f64 v[2:3], v[2:3], -v[22:23]
	v_rcp_f64_e32 v[22:23], v[20:21]
	v_fma_f64 v[24:25], -v[20:21], v[22:23], 1.0
	v_fma_f64 v[22:23], v[24:25], v[22:23], v[22:23]
	v_fma_f64 v[24:25], -v[20:21], v[22:23], 1.0
	v_fma_f64 v[22:23], v[24:25], v[22:23], v[22:23]
	v_mul_f64 v[24:25], v[12:13], v[22:23]
	v_mul_f64 v[26:27], v[20:21], v[24:25]
	v_fma_f64 v[20:21], v[24:25], v[20:21], -v[26:27]
	v_fma_f64 v[2:3], v[24:25], v[2:3], v[20:21]
	v_add_f64 v[20:21], v[26:27], v[2:3]
	v_add_f64 v[28:29], v[12:13], -v[20:21]
	v_add_f64 v[26:27], v[20:21], -v[26:27]
	;; [unrolled: 1-line block ×5, first 2 shown]
	v_add_f64 v[2:3], v[2:3], v[12:13]
	v_add_f64 v[2:3], v[28:29], v[2:3]
	v_mul_f64 v[2:3], v[22:23], v[2:3]
	v_add_f64 v[12:13], v[24:25], v[2:3]
	v_add_f64 v[20:21], v[12:13], -v[24:25]
	v_ldexp_f64 v[24:25], v[12:13], 1
	v_add_f64 v[2:3], v[2:3], -v[20:21]
	v_mul_f64 v[20:21], v[12:13], v[12:13]
	v_ldexp_f64 v[2:3], v[2:3], 1
	v_fma_f64 v[22:23], v[20:21], s[6:7], v[16:17]
	v_mul_f64 v[12:13], v[12:13], v[20:21]
	v_fma_f64 v[22:23], v[20:21], v[22:23], s[8:9]
	v_fma_f64 v[22:23], v[20:21], v[22:23], s[10:11]
	;; [unrolled: 1-line block ×5, first 2 shown]
	v_mul_f64 v[12:13], v[12:13], v[22:23]
	v_add_f64 v[20:21], v[24:25], v[12:13]
	v_add_f64 v[22:23], v[20:21], -v[24:25]
	v_add_f64 v[12:13], v[12:13], -v[22:23]
	v_add_f64 v[2:3], v[2:3], v[12:13]
	v_add_f64 v[12:13], v[20:21], v[2:3]
	v_add_f64 v[20:21], v[12:13], -v[20:21]
	v_add_f64 v[2:3], v[2:3], -v[20:21]
	v_cvt_f64_i32_e32 v[20:21], v30
	v_mul_f64 v[22:23], v[20:21], s[18:19]
	v_fma_f64 v[24:25], v[20:21], s[18:19], -v[22:23]
	v_fma_f64 v[20:21], v[20:21], s[20:21], v[24:25]
	v_add_f64 v[24:25], v[22:23], v[20:21]
	v_add_f64 v[22:23], v[24:25], -v[22:23]
	v_add_f64 v[20:21], v[20:21], -v[22:23]
	v_add_f64 v[22:23], v[24:25], v[12:13]
	v_add_f64 v[26:27], v[22:23], -v[24:25]
	v_add_f64 v[28:29], v[22:23], -v[26:27]
	;; [unrolled: 1-line block ×4, first 2 shown]
	v_add_f64 v[12:13], v[12:13], v[24:25]
	v_add_f64 v[24:25], v[20:21], v[2:3]
	v_add_f64 v[26:27], v[24:25], -v[20:21]
	v_add_f64 v[12:13], v[24:25], v[12:13]
	v_add_f64 v[28:29], v[24:25], -v[26:27]
	v_add_f64 v[2:3], v[2:3], -v[26:27]
	;; [unrolled: 1-line block ×3, first 2 shown]
	v_add_f64 v[2:3], v[2:3], v[20:21]
	v_add_f64 v[20:21], v[22:23], v[12:13]
	v_add_f64 v[22:23], v[20:21], -v[22:23]
	v_add_f64 v[12:13], v[12:13], -v[22:23]
	v_add_f64 v[2:3], v[2:3], v[12:13]
	v_add_f64 v[2:3], v[20:21], v[2:3]
	v_cndmask_b32_e32 v2, v2, v4, vcc
	v_cndmask_b32_e32 v3, v3, v5, vcc
	v_cmp_ngt_f64_e32 vcc, 0, v[4:5]
	v_cndmask_b32_e32 v3, v18, v3, vcc
	v_cmp_nge_f64_e32 vcc, 0, v[4:5]
	v_cndmask_b32_e32 v12, 0, v2, vcc
	v_cmp_neq_f64_e32 vcc, 0, v[4:5]
	v_cndmask_b32_e32 v13, v19, v3, vcc
	v_add_co_u32_e32 v0, vcc, s22, v0
	v_addc_co_u32_e32 v1, vcc, 0, v1, vcc
	global_store_dwordx4 v[14:15], v[6:9], off offset:-16
	global_store_dwordx4 v[14:15], v[10:13], off
	v_lshlrev_b64 v[2:3], 2, v[0:1]
	v_add_co_u32_e32 v14, vcc, s23, v14
	v_addc_co_u32_e32 v15, vcc, 0, v15, vcc
	v_cmp_le_i64_e32 vcc, s[0:1], v[2:3]
	s_or_b64 s[2:3], vcc, s[2:3]
	s_andn2_b64 exec, exec, s[2:3]
	s_cbranch_execnz .LBB171_24
.LBB171_25:
	s_endpgm
	.section	.rodata,"a",@progbits
	.p2align	6, 0x0
	.amdhsa_kernel _ZN2at6native12_GLOBAL__N_125multi_tensor_apply_kernelINS1_18TensorListMetadataILi1EEENS1_14UnaryOpFunctorIdLi1ELi1ELi0EEEJNS0_3LogIdEEEEEvT_T0_DpT1_
		.amdhsa_group_segment_fixed_size 0
		.amdhsa_private_segment_fixed_size 0
		.amdhsa_kernarg_size 3632
		.amdhsa_user_sgpr_count 6
		.amdhsa_user_sgpr_private_segment_buffer 1
		.amdhsa_user_sgpr_dispatch_ptr 0
		.amdhsa_user_sgpr_queue_ptr 0
		.amdhsa_user_sgpr_kernarg_segment_ptr 1
		.amdhsa_user_sgpr_dispatch_id 0
		.amdhsa_user_sgpr_flat_scratch_init 0
		.amdhsa_user_sgpr_private_segment_size 0
		.amdhsa_uses_dynamic_stack 0
		.amdhsa_system_sgpr_private_segment_wavefront_offset 0
		.amdhsa_system_sgpr_workgroup_id_x 1
		.amdhsa_system_sgpr_workgroup_id_y 0
		.amdhsa_system_sgpr_workgroup_id_z 0
		.amdhsa_system_sgpr_workgroup_info 0
		.amdhsa_system_vgpr_workitem_id 0
		.amdhsa_next_free_vgpr 41
		.amdhsa_next_free_sgpr 52
		.amdhsa_reserve_vcc 1
		.amdhsa_reserve_flat_scratch 0
		.amdhsa_float_round_mode_32 0
		.amdhsa_float_round_mode_16_64 0
		.amdhsa_float_denorm_mode_32 3
		.amdhsa_float_denorm_mode_16_64 3
		.amdhsa_dx10_clamp 1
		.amdhsa_ieee_mode 1
		.amdhsa_fp16_overflow 0
		.amdhsa_exception_fp_ieee_invalid_op 0
		.amdhsa_exception_fp_denorm_src 0
		.amdhsa_exception_fp_ieee_div_zero 0
		.amdhsa_exception_fp_ieee_overflow 0
		.amdhsa_exception_fp_ieee_underflow 0
		.amdhsa_exception_fp_ieee_inexact 0
		.amdhsa_exception_int_div_zero 0
	.end_amdhsa_kernel
	.section	.text._ZN2at6native12_GLOBAL__N_125multi_tensor_apply_kernelINS1_18TensorListMetadataILi1EEENS1_14UnaryOpFunctorIdLi1ELi1ELi0EEEJNS0_3LogIdEEEEEvT_T0_DpT1_,"axG",@progbits,_ZN2at6native12_GLOBAL__N_125multi_tensor_apply_kernelINS1_18TensorListMetadataILi1EEENS1_14UnaryOpFunctorIdLi1ELi1ELi0EEEJNS0_3LogIdEEEEEvT_T0_DpT1_,comdat
.Lfunc_end171:
	.size	_ZN2at6native12_GLOBAL__N_125multi_tensor_apply_kernelINS1_18TensorListMetadataILi1EEENS1_14UnaryOpFunctorIdLi1ELi1ELi0EEEJNS0_3LogIdEEEEEvT_T0_DpT1_, .Lfunc_end171-_ZN2at6native12_GLOBAL__N_125multi_tensor_apply_kernelINS1_18TensorListMetadataILi1EEENS1_14UnaryOpFunctorIdLi1ELi1ELi0EEEJNS0_3LogIdEEEEEvT_T0_DpT1_
                                        ; -- End function
	.set _ZN2at6native12_GLOBAL__N_125multi_tensor_apply_kernelINS1_18TensorListMetadataILi1EEENS1_14UnaryOpFunctorIdLi1ELi1ELi0EEEJNS0_3LogIdEEEEEvT_T0_DpT1_.num_vgpr, 41
	.set _ZN2at6native12_GLOBAL__N_125multi_tensor_apply_kernelINS1_18TensorListMetadataILi1EEENS1_14UnaryOpFunctorIdLi1ELi1ELi0EEEJNS0_3LogIdEEEEEvT_T0_DpT1_.num_agpr, 0
	.set _ZN2at6native12_GLOBAL__N_125multi_tensor_apply_kernelINS1_18TensorListMetadataILi1EEENS1_14UnaryOpFunctorIdLi1ELi1ELi0EEEJNS0_3LogIdEEEEEvT_T0_DpT1_.numbered_sgpr, 52
	.set _ZN2at6native12_GLOBAL__N_125multi_tensor_apply_kernelINS1_18TensorListMetadataILi1EEENS1_14UnaryOpFunctorIdLi1ELi1ELi0EEEJNS0_3LogIdEEEEEvT_T0_DpT1_.num_named_barrier, 0
	.set _ZN2at6native12_GLOBAL__N_125multi_tensor_apply_kernelINS1_18TensorListMetadataILi1EEENS1_14UnaryOpFunctorIdLi1ELi1ELi0EEEJNS0_3LogIdEEEEEvT_T0_DpT1_.private_seg_size, 0
	.set _ZN2at6native12_GLOBAL__N_125multi_tensor_apply_kernelINS1_18TensorListMetadataILi1EEENS1_14UnaryOpFunctorIdLi1ELi1ELi0EEEJNS0_3LogIdEEEEEvT_T0_DpT1_.uses_vcc, 1
	.set _ZN2at6native12_GLOBAL__N_125multi_tensor_apply_kernelINS1_18TensorListMetadataILi1EEENS1_14UnaryOpFunctorIdLi1ELi1ELi0EEEJNS0_3LogIdEEEEEvT_T0_DpT1_.uses_flat_scratch, 0
	.set _ZN2at6native12_GLOBAL__N_125multi_tensor_apply_kernelINS1_18TensorListMetadataILi1EEENS1_14UnaryOpFunctorIdLi1ELi1ELi0EEEJNS0_3LogIdEEEEEvT_T0_DpT1_.has_dyn_sized_stack, 0
	.set _ZN2at6native12_GLOBAL__N_125multi_tensor_apply_kernelINS1_18TensorListMetadataILi1EEENS1_14UnaryOpFunctorIdLi1ELi1ELi0EEEJNS0_3LogIdEEEEEvT_T0_DpT1_.has_recursion, 0
	.set _ZN2at6native12_GLOBAL__N_125multi_tensor_apply_kernelINS1_18TensorListMetadataILi1EEENS1_14UnaryOpFunctorIdLi1ELi1ELi0EEEJNS0_3LogIdEEEEEvT_T0_DpT1_.has_indirect_call, 0
	.section	.AMDGPU.csdata,"",@progbits
; Kernel info:
; codeLenInByte = 6320
; TotalNumSgprs: 56
; NumVgprs: 41
; ScratchSize: 0
; MemoryBound: 0
; FloatMode: 240
; IeeeMode: 1
; LDSByteSize: 0 bytes/workgroup (compile time only)
; SGPRBlocks: 6
; VGPRBlocks: 10
; NumSGPRsForWavesPerEU: 56
; NumVGPRsForWavesPerEU: 41
; Occupancy: 5
; WaveLimiterHint : 0
; COMPUTE_PGM_RSRC2:SCRATCH_EN: 0
; COMPUTE_PGM_RSRC2:USER_SGPR: 6
; COMPUTE_PGM_RSRC2:TRAP_HANDLER: 0
; COMPUTE_PGM_RSRC2:TGID_X_EN: 1
; COMPUTE_PGM_RSRC2:TGID_Y_EN: 0
; COMPUTE_PGM_RSRC2:TGID_Z_EN: 0
; COMPUTE_PGM_RSRC2:TIDIG_COMP_CNT: 0
	.section	.text._ZN2at6native12_GLOBAL__N_125multi_tensor_apply_kernelINS1_18TensorListMetadataILi1EEENS1_14UnaryOpFunctorIfLi1ELi1ELi0EEEJNS0_3LogIfEEEEEvT_T0_DpT1_,"axG",@progbits,_ZN2at6native12_GLOBAL__N_125multi_tensor_apply_kernelINS1_18TensorListMetadataILi1EEENS1_14UnaryOpFunctorIfLi1ELi1ELi0EEEJNS0_3LogIfEEEEEvT_T0_DpT1_,comdat
	.globl	_ZN2at6native12_GLOBAL__N_125multi_tensor_apply_kernelINS1_18TensorListMetadataILi1EEENS1_14UnaryOpFunctorIfLi1ELi1ELi0EEEJNS0_3LogIfEEEEEvT_T0_DpT1_ ; -- Begin function _ZN2at6native12_GLOBAL__N_125multi_tensor_apply_kernelINS1_18TensorListMetadataILi1EEENS1_14UnaryOpFunctorIfLi1ELi1ELi0EEEJNS0_3LogIfEEEEEvT_T0_DpT1_
	.p2align	8
	.type	_ZN2at6native12_GLOBAL__N_125multi_tensor_apply_kernelINS1_18TensorListMetadataILi1EEENS1_14UnaryOpFunctorIfLi1ELi1ELi0EEEJNS0_3LogIfEEEEEvT_T0_DpT1_,@function
_ZN2at6native12_GLOBAL__N_125multi_tensor_apply_kernelINS1_18TensorListMetadataILi1EEENS1_14UnaryOpFunctorIfLi1ELi1ELi0EEEJNS0_3LogIfEEEEEvT_T0_DpT1_: ; @_ZN2at6native12_GLOBAL__N_125multi_tensor_apply_kernelINS1_18TensorListMetadataILi1EEENS1_14UnaryOpFunctorIfLi1ELi1ELi0EEEJNS0_3LogIfEEEEEvT_T0_DpT1_
; %bb.0:
	v_mov_b32_e32 v1, s6
	global_load_ubyte v1, v1, s[4:5] offset:1760
	s_add_u32 s0, s4, s6
	s_mul_hi_u32 s1, s6, 3
	s_mul_i32 s6, s6, 3
	s_addc_u32 s2, s5, 0
	s_add_u32 s0, s0, s6
	s_addc_u32 s1, s2, s1
	s_load_dword s0, s[0:1], 0x820
	s_mov_b32 s7, 0
	s_waitcnt vmcnt(0)
	v_readfirstlane_b32 s1, v1
	s_lshl_b32 s1, s1, 3
	s_load_dwordx2 s[2:3], s[4:5], s1 offset:0x370
	s_load_dwordx2 s[10:11], s[4:5], s1 offset:0x0
	s_waitcnt lgkmcnt(0)
	s_ashr_i32 s1, s0, 31
	s_lshl_b64 s[12:13], s[0:1], 18
	s_lshl_b64 s[0:1], s[0:1], 16
	s_and_b32 s6, s10, 15
	s_sub_u32 s14, s2, s0
	s_subb_u32 s15, s3, s1
	s_and_b32 s0, s2, 3
	s_mov_b32 s1, s7
	s_or_b64 s[0:1], s[6:7], s[0:1]
	s_cmp_eq_u64 s[0:1], 0
	s_cbranch_scc1 .LBB172_21
; %bb.1:
	v_cmp_lt_i64_e64 s[0:1], s[14:15], 1
	s_and_b64 vcc, exec, s[0:1]
	s_cbranch_vccnz .LBB172_20
; %bb.2:
	v_mov_b32_e32 v1, 0x10000
	s_load_dword s2, s[4:5], 0xd3c
	v_mov_b32_e32 v2, 0
	v_cmp_lt_i64_e32 vcc, s[14:15], v[1:2]
	s_mov_b64 s[20:21], 0
	s_and_b64 s[0:1], vcc, exec
	v_cmp_lt_u64_e32 vcc, s[14:15], v[1:2]
	s_cselect_b32 s17, s15, 0
	s_cselect_b32 s16, s14, 0x10000
	s_waitcnt lgkmcnt(0)
	s_and_b32 s2, s2, 0xffff
	s_and_b64 s[0:1], vcc, exec
	s_cselect_b32 s19, s15, 0
	s_cselect_b32 s18, s14, 0x10000
	s_lshl_b32 s3, s2, 1
	s_lshl_b32 s24, s2, 2
	s_add_u32 s6, s10, s12
	v_lshlrev_b32_e32 v1, 2, v0
	s_addc_u32 s7, s11, s13
	v_mov_b32_e32 v2, s7
	v_add_co_u32_e32 v1, vcc, s6, v1
	s_mul_i32 s0, s2, 3
	v_addc_co_u32_e32 v2, vcc, 0, v2, vcc
	v_add_co_u32_e32 v5, vcc, s0, v0
	v_addc_co_u32_e64 v6, s[0:1], 0, 0, vcc
	v_add_co_u32_e32 v7, vcc, s3, v0
	v_addc_co_u32_e64 v8, s[0:1], 0, 0, vcc
	v_add_co_u32_e32 v9, vcc, s2, v0
	v_lshlrev_b32_e32 v3, 2, v9
	v_addc_co_u32_e64 v10, s[0:1], 0, 0, vcc
	v_mov_b32_e32 v4, s7
	v_add_co_u32_e32 v3, vcc, s6, v3
	s_lshl_b32 s25, s2, 4
	s_mul_i32 s26, s2, 12
	s_lshl_b32 s27, s2, 3
	v_addc_co_u32_e32 v4, vcc, 0, v4, vcc
	s_mov_b32 s28, 0x800000
	s_mov_b32 s29, 0x3f317217
	;; [unrolled: 1-line block ×3, first 2 shown]
	v_mov_b32_e32 v11, 0x41b17218
	s_branch .LBB172_4
.LBB172_3:                              ;   in Loop: Header=BB172_4 Depth=1
	s_or_b64 exec, exec, s[0:1]
	s_add_u32 s20, s20, s24
	v_add_co_u32_e32 v1, vcc, s25, v1
	s_waitcnt vmcnt(0)
	v_mov_b32_e32 v12, s16
	s_addc_u32 s21, s21, 0
	v_addc_co_u32_e32 v2, vcc, 0, v2, vcc
	v_mov_b32_e32 v13, s17
	v_cmp_lt_i64_e32 vcc, s[20:21], v[12:13]
	v_add_co_u32_e64 v3, s[0:1], s25, v3
	v_addc_co_u32_e64 v4, s[0:1], 0, v4, s[0:1]
	s_cbranch_vccz .LBB172_20
.LBB172_4:                              ; =>This Inner Loop Header: Depth=1
	v_mov_b32_e32 v13, s21
	v_add_co_u32_e32 v12, vcc, s20, v0
	v_addc_co_u32_e32 v13, vcc, 0, v13, vcc
	v_cmp_gt_u64_e64 s[6:7], s[18:19], v[12:13]
	v_mov_b32_e32 v15, 0
	s_and_saveexec_b64 s[0:1], s[6:7]
	s_cbranch_execz .LBB172_6
; %bb.5:                                ;   in Loop: Header=BB172_4 Depth=1
	global_load_dword v15, v[1:2], off
.LBB172_6:                              ;   in Loop: Header=BB172_4 Depth=1
	s_or_b64 exec, exec, s[0:1]
	v_mov_b32_e32 v13, s21
	v_add_co_u32_e32 v12, vcc, s20, v9
	v_addc_co_u32_e32 v13, vcc, v10, v13, vcc
	v_cmp_gt_u64_e64 s[2:3], s[18:19], v[12:13]
	v_mov_b32_e32 v12, 0
	v_mov_b32_e32 v14, 0
	s_and_saveexec_b64 s[0:1], s[2:3]
	s_cbranch_execz .LBB172_8
; %bb.7:                                ;   in Loop: Header=BB172_4 Depth=1
	global_load_dword v14, v[3:4], off
.LBB172_8:                              ;   in Loop: Header=BB172_4 Depth=1
	s_or_b64 exec, exec, s[0:1]
	v_mov_b32_e32 v13, s21
	v_add_co_u32_e32 v16, vcc, s20, v7
	v_addc_co_u32_e32 v17, vcc, v8, v13, vcc
	v_cmp_gt_u64_e64 s[0:1], s[18:19], v[16:17]
	s_and_saveexec_b64 s[8:9], s[0:1]
	s_cbranch_execz .LBB172_10
; %bb.9:                                ;   in Loop: Header=BB172_4 Depth=1
	v_add_co_u32_e32 v12, vcc, s27, v1
	v_addc_co_u32_e32 v13, vcc, 0, v2, vcc
	global_load_dword v12, v[12:13], off
.LBB172_10:                             ;   in Loop: Header=BB172_4 Depth=1
	s_or_b64 exec, exec, s[8:9]
	v_mov_b32_e32 v13, s21
	v_add_co_u32_e32 v16, vcc, s20, v5
	v_addc_co_u32_e32 v17, vcc, v6, v13, vcc
	v_cmp_gt_u64_e32 vcc, s[18:19], v[16:17]
	v_mov_b32_e32 v13, 0
	s_and_saveexec_b64 s[22:23], vcc
	s_cbranch_execnz .LBB172_15
; %bb.11:                               ;   in Loop: Header=BB172_4 Depth=1
	s_or_b64 exec, exec, s[22:23]
	s_and_saveexec_b64 s[22:23], s[6:7]
	s_cbranch_execnz .LBB172_16
.LBB172_12:                             ;   in Loop: Header=BB172_4 Depth=1
	s_or_b64 exec, exec, s[22:23]
	s_and_saveexec_b64 s[8:9], s[2:3]
	s_cbranch_execnz .LBB172_17
.LBB172_13:                             ;   in Loop: Header=BB172_4 Depth=1
	s_or_b64 exec, exec, s[8:9]
	s_and_saveexec_b64 s[2:3], s[0:1]
	s_cbranch_execnz .LBB172_18
.LBB172_14:                             ;   in Loop: Header=BB172_4 Depth=1
	s_or_b64 exec, exec, s[2:3]
	s_and_saveexec_b64 s[0:1], vcc
	s_cbranch_execz .LBB172_3
	s_branch .LBB172_19
.LBB172_15:                             ;   in Loop: Header=BB172_4 Depth=1
	v_add_co_u32_e64 v16, s[8:9], s26, v1
	v_addc_co_u32_e64 v17, s[8:9], 0, v2, s[8:9]
	global_load_dword v13, v[16:17], off
	s_or_b64 exec, exec, s[22:23]
	s_and_saveexec_b64 s[22:23], s[6:7]
	s_cbranch_execz .LBB172_12
.LBB172_16:                             ;   in Loop: Header=BB172_4 Depth=1
	s_waitcnt vmcnt(0)
	v_cmp_gt_f32_e64 s[6:7], s28, v15
	v_cndmask_b32_e64 v16, 0, 32, s[6:7]
	v_ldexp_f32 v15, v15, v16
	v_log_f32_e32 v15, v15
	v_mul_f32_e32 v16, 0x3f317217, v15
	v_fma_f32 v16, v15, s29, -v16
	v_fmac_f32_e32 v16, 0x3377d1cf, v15
	v_fmac_f32_e32 v16, 0x3f317217, v15
	v_cmp_lt_f32_e64 s[8:9], |v15|, s30
	v_cndmask_b32_e64 v15, v15, v16, s[8:9]
	v_cndmask_b32_e64 v16, 0, v11, s[6:7]
	v_sub_f32_e32 v15, v15, v16
	global_store_dword v[1:2], v15, off
	s_or_b64 exec, exec, s[22:23]
	s_and_saveexec_b64 s[8:9], s[2:3]
	s_cbranch_execz .LBB172_13
.LBB172_17:                             ;   in Loop: Header=BB172_4 Depth=1
	s_waitcnt vmcnt(0)
	v_cmp_gt_f32_e64 s[2:3], s28, v14
	v_cndmask_b32_e64 v15, 0, 32, s[2:3]
	v_ldexp_f32 v14, v14, v15
	v_log_f32_e32 v14, v14
	v_mul_f32_e32 v15, 0x3f317217, v14
	v_fma_f32 v15, v14, s29, -v15
	v_fmac_f32_e32 v15, 0x3377d1cf, v14
	v_fmac_f32_e32 v15, 0x3f317217, v14
	v_cmp_lt_f32_e64 s[6:7], |v14|, s30
	v_cndmask_b32_e64 v14, v14, v15, s[6:7]
	v_cndmask_b32_e64 v15, 0, v11, s[2:3]
	v_sub_f32_e32 v14, v14, v15
	global_store_dword v[3:4], v14, off
	s_or_b64 exec, exec, s[8:9]
	s_and_saveexec_b64 s[2:3], s[0:1]
	s_cbranch_execz .LBB172_14
.LBB172_18:                             ;   in Loop: Header=BB172_4 Depth=1
	s_waitcnt vmcnt(0)
	v_cmp_gt_f32_e64 s[0:1], s28, v12
	v_cndmask_b32_e64 v14, 0, 32, s[0:1]
	v_ldexp_f32 v12, v12, v14
	v_log_f32_e32 v12, v12
	v_cndmask_b32_e64 v14, 0, v11, s[0:1]
	v_mul_f32_e32 v15, 0x3f317217, v12
	v_fma_f32 v15, v12, s29, -v15
	v_fmac_f32_e32 v15, 0x3377d1cf, v12
	v_fmac_f32_e32 v15, 0x3f317217, v12
	v_cmp_lt_f32_e64 s[0:1], |v12|, s30
	v_cndmask_b32_e64 v12, v12, v15, s[0:1]
	v_sub_f32_e32 v12, v12, v14
	v_add_co_u32_e64 v14, s[0:1], s27, v1
	v_addc_co_u32_e64 v15, s[0:1], 0, v2, s[0:1]
	global_store_dword v[14:15], v12, off
	s_or_b64 exec, exec, s[2:3]
	s_and_saveexec_b64 s[0:1], vcc
	s_cbranch_execz .LBB172_3
.LBB172_19:                             ;   in Loop: Header=BB172_4 Depth=1
	s_waitcnt vmcnt(0)
	v_cmp_gt_f32_e32 vcc, s28, v13
	v_cndmask_b32_e64 v12, 0, 32, vcc
	v_ldexp_f32 v12, v13, v12
	v_log_f32_e32 v12, v12
	v_cndmask_b32_e32 v13, 0, v11, vcc
	v_mul_f32_e32 v14, 0x3f317217, v12
	v_fma_f32 v14, v12, s29, -v14
	v_fmac_f32_e32 v14, 0x3377d1cf, v12
	v_fmac_f32_e32 v14, 0x3f317217, v12
	v_cmp_lt_f32_e64 vcc, |v12|, s30
	v_cndmask_b32_e32 v12, v12, v14, vcc
	v_sub_f32_e32 v14, v12, v13
	v_add_co_u32_e32 v12, vcc, s26, v1
	v_addc_co_u32_e32 v13, vcc, 0, v2, vcc
	global_store_dword v[12:13], v14, off
	s_branch .LBB172_3
.LBB172_20:
	s_cbranch_execz .LBB172_22
	s_branch .LBB172_25
.LBB172_21:
.LBB172_22:
	v_mov_b32_e32 v1, 0x10000
	v_mov_b32_e32 v2, 0
	v_cmp_lt_i64_e32 vcc, s[14:15], v[1:2]
	v_mov_b32_e32 v2, 0
	s_and_b64 s[0:1], vcc, exec
	s_cselect_b32 s7, s15, 0
	s_cselect_b32 s6, s14, 0x10000
	v_lshlrev_b32_e32 v1, 2, v0
	v_cmp_gt_i64_e32 vcc, s[6:7], v[1:2]
	s_and_saveexec_b64 s[0:1], vcc
	s_cbranch_execz .LBB172_25
; %bb.23:
	s_load_dword s0, s[4:5], 0xd3c
	v_mov_b32_e32 v1, v2
	v_lshlrev_b32_e32 v2, 4, v0
	s_mov_b64 s[8:9], 0
	v_mov_b32_e32 v4, 0x41b17218
	s_waitcnt lgkmcnt(0)
	s_and_b32 s14, s0, 0xffff
	s_add_u32 s0, s10, s12
	s_addc_u32 s1, s11, s13
	v_mov_b32_e32 v3, s1
	v_add_co_u32_e32 v2, vcc, s0, v2
	v_addc_co_u32_e32 v3, vcc, 0, v3, vcc
	v_add_co_u32_e32 v2, vcc, 8, v2
	v_addc_co_u32_e32 v3, vcc, 0, v3, vcc
	s_lshl_b32 s10, s14, 4
	s_mov_b32 s11, 0x800000
	s_mov_b32 s12, 0x3f317217
	;; [unrolled: 1-line block ×3, first 2 shown]
.LBB172_24:                             ; =>This Inner Loop Header: Depth=1
	global_load_dwordx4 v[5:8], v[2:3], off offset:-8
	v_add_co_u32_e32 v0, vcc, s14, v0
	v_addc_co_u32_e32 v1, vcc, 0, v1, vcc
	v_lshlrev_b64 v[9:10], 2, v[0:1]
	v_cmp_le_i64_e32 vcc, s[6:7], v[9:10]
	s_or_b64 s[8:9], vcc, s[8:9]
	s_waitcnt vmcnt(0)
	v_cmp_gt_f32_e32 vcc, s11, v5
	v_cndmask_b32_e64 v9, 0, 32, vcc
	v_cmp_gt_f32_e64 s[0:1], s11, v6
	v_cndmask_b32_e64 v10, 0, 32, s[0:1]
	v_cmp_gt_f32_e64 s[2:3], s11, v7
	v_ldexp_f32 v5, v5, v9
	v_cndmask_b32_e64 v11, 0, 32, s[2:3]
	v_cmp_gt_f32_e64 s[4:5], s11, v8
	v_ldexp_f32 v6, v6, v10
	v_log_f32_e32 v5, v5
	v_cndmask_b32_e64 v12, 0, 32, s[4:5]
	v_ldexp_f32 v7, v7, v11
	v_log_f32_e32 v6, v6
	v_ldexp_f32 v8, v8, v12
	v_log_f32_e32 v7, v7
	v_log_f32_e32 v8, v8
	v_mul_f32_e32 v13, 0x3f317217, v5
	v_mul_f32_e32 v14, 0x3f317217, v6
	v_fma_f32 v13, v5, s12, -v13
	v_mul_f32_e32 v15, 0x3f317217, v7
	v_fma_f32 v14, v6, s12, -v14
	v_fmac_f32_e32 v13, 0x3377d1cf, v5
	v_cndmask_b32_e32 v9, 0, v4, vcc
	v_mul_f32_e32 v16, 0x3f317217, v8
	v_fma_f32 v15, v7, s12, -v15
	v_fmac_f32_e32 v14, 0x3377d1cf, v6
	v_fmac_f32_e32 v13, 0x3f317217, v5
	v_cmp_lt_f32_e64 vcc, |v5|, s13
	v_fma_f32 v16, v8, s12, -v16
	v_fmac_f32_e32 v15, 0x3377d1cf, v7
	v_fmac_f32_e32 v14, 0x3f317217, v6
	v_cndmask_b32_e32 v5, v5, v13, vcc
	v_cmp_lt_f32_e64 vcc, |v6|, s13
	v_fmac_f32_e32 v16, 0x3377d1cf, v8
	v_fmac_f32_e32 v15, 0x3f317217, v7
	v_cndmask_b32_e32 v6, v6, v14, vcc
	v_cmp_lt_f32_e64 vcc, |v7|, s13
	v_fmac_f32_e32 v16, 0x3f317217, v8
	v_cndmask_b32_e32 v7, v7, v15, vcc
	v_cmp_lt_f32_e64 vcc, |v8|, s13
	v_cndmask_b32_e64 v10, 0, v4, s[0:1]
	v_cndmask_b32_e64 v11, 0, v4, s[2:3]
	;; [unrolled: 1-line block ×3, first 2 shown]
	v_cndmask_b32_e32 v8, v8, v16, vcc
	v_sub_f32_e32 v5, v5, v9
	v_sub_f32_e32 v6, v6, v10
	;; [unrolled: 1-line block ×4, first 2 shown]
	global_store_dwordx4 v[2:3], v[5:8], off offset:-8
	v_add_co_u32_e32 v2, vcc, s10, v2
	v_addc_co_u32_e32 v3, vcc, 0, v3, vcc
	s_andn2_b64 exec, exec, s[8:9]
	s_cbranch_execnz .LBB172_24
.LBB172_25:
	s_endpgm
	.section	.rodata,"a",@progbits
	.p2align	6, 0x0
	.amdhsa_kernel _ZN2at6native12_GLOBAL__N_125multi_tensor_apply_kernelINS1_18TensorListMetadataILi1EEENS1_14UnaryOpFunctorIfLi1ELi1ELi0EEEJNS0_3LogIfEEEEEvT_T0_DpT1_
		.amdhsa_group_segment_fixed_size 0
		.amdhsa_private_segment_fixed_size 0
		.amdhsa_kernarg_size 3632
		.amdhsa_user_sgpr_count 6
		.amdhsa_user_sgpr_private_segment_buffer 1
		.amdhsa_user_sgpr_dispatch_ptr 0
		.amdhsa_user_sgpr_queue_ptr 0
		.amdhsa_user_sgpr_kernarg_segment_ptr 1
		.amdhsa_user_sgpr_dispatch_id 0
		.amdhsa_user_sgpr_flat_scratch_init 0
		.amdhsa_user_sgpr_private_segment_size 0
		.amdhsa_uses_dynamic_stack 0
		.amdhsa_system_sgpr_private_segment_wavefront_offset 0
		.amdhsa_system_sgpr_workgroup_id_x 1
		.amdhsa_system_sgpr_workgroup_id_y 0
		.amdhsa_system_sgpr_workgroup_id_z 0
		.amdhsa_system_sgpr_workgroup_info 0
		.amdhsa_system_vgpr_workitem_id 0
		.amdhsa_next_free_vgpr 18
		.amdhsa_next_free_sgpr 31
		.amdhsa_reserve_vcc 1
		.amdhsa_reserve_flat_scratch 0
		.amdhsa_float_round_mode_32 0
		.amdhsa_float_round_mode_16_64 0
		.amdhsa_float_denorm_mode_32 3
		.amdhsa_float_denorm_mode_16_64 3
		.amdhsa_dx10_clamp 1
		.amdhsa_ieee_mode 1
		.amdhsa_fp16_overflow 0
		.amdhsa_exception_fp_ieee_invalid_op 0
		.amdhsa_exception_fp_denorm_src 0
		.amdhsa_exception_fp_ieee_div_zero 0
		.amdhsa_exception_fp_ieee_overflow 0
		.amdhsa_exception_fp_ieee_underflow 0
		.amdhsa_exception_fp_ieee_inexact 0
		.amdhsa_exception_int_div_zero 0
	.end_amdhsa_kernel
	.section	.text._ZN2at6native12_GLOBAL__N_125multi_tensor_apply_kernelINS1_18TensorListMetadataILi1EEENS1_14UnaryOpFunctorIfLi1ELi1ELi0EEEJNS0_3LogIfEEEEEvT_T0_DpT1_,"axG",@progbits,_ZN2at6native12_GLOBAL__N_125multi_tensor_apply_kernelINS1_18TensorListMetadataILi1EEENS1_14UnaryOpFunctorIfLi1ELi1ELi0EEEJNS0_3LogIfEEEEEvT_T0_DpT1_,comdat
.Lfunc_end172:
	.size	_ZN2at6native12_GLOBAL__N_125multi_tensor_apply_kernelINS1_18TensorListMetadataILi1EEENS1_14UnaryOpFunctorIfLi1ELi1ELi0EEEJNS0_3LogIfEEEEEvT_T0_DpT1_, .Lfunc_end172-_ZN2at6native12_GLOBAL__N_125multi_tensor_apply_kernelINS1_18TensorListMetadataILi1EEENS1_14UnaryOpFunctorIfLi1ELi1ELi0EEEJNS0_3LogIfEEEEEvT_T0_DpT1_
                                        ; -- End function
	.set _ZN2at6native12_GLOBAL__N_125multi_tensor_apply_kernelINS1_18TensorListMetadataILi1EEENS1_14UnaryOpFunctorIfLi1ELi1ELi0EEEJNS0_3LogIfEEEEEvT_T0_DpT1_.num_vgpr, 18
	.set _ZN2at6native12_GLOBAL__N_125multi_tensor_apply_kernelINS1_18TensorListMetadataILi1EEENS1_14UnaryOpFunctorIfLi1ELi1ELi0EEEJNS0_3LogIfEEEEEvT_T0_DpT1_.num_agpr, 0
	.set _ZN2at6native12_GLOBAL__N_125multi_tensor_apply_kernelINS1_18TensorListMetadataILi1EEENS1_14UnaryOpFunctorIfLi1ELi1ELi0EEEJNS0_3LogIfEEEEEvT_T0_DpT1_.numbered_sgpr, 31
	.set _ZN2at6native12_GLOBAL__N_125multi_tensor_apply_kernelINS1_18TensorListMetadataILi1EEENS1_14UnaryOpFunctorIfLi1ELi1ELi0EEEJNS0_3LogIfEEEEEvT_T0_DpT1_.num_named_barrier, 0
	.set _ZN2at6native12_GLOBAL__N_125multi_tensor_apply_kernelINS1_18TensorListMetadataILi1EEENS1_14UnaryOpFunctorIfLi1ELi1ELi0EEEJNS0_3LogIfEEEEEvT_T0_DpT1_.private_seg_size, 0
	.set _ZN2at6native12_GLOBAL__N_125multi_tensor_apply_kernelINS1_18TensorListMetadataILi1EEENS1_14UnaryOpFunctorIfLi1ELi1ELi0EEEJNS0_3LogIfEEEEEvT_T0_DpT1_.uses_vcc, 1
	.set _ZN2at6native12_GLOBAL__N_125multi_tensor_apply_kernelINS1_18TensorListMetadataILi1EEENS1_14UnaryOpFunctorIfLi1ELi1ELi0EEEJNS0_3LogIfEEEEEvT_T0_DpT1_.uses_flat_scratch, 0
	.set _ZN2at6native12_GLOBAL__N_125multi_tensor_apply_kernelINS1_18TensorListMetadataILi1EEENS1_14UnaryOpFunctorIfLi1ELi1ELi0EEEJNS0_3LogIfEEEEEvT_T0_DpT1_.has_dyn_sized_stack, 0
	.set _ZN2at6native12_GLOBAL__N_125multi_tensor_apply_kernelINS1_18TensorListMetadataILi1EEENS1_14UnaryOpFunctorIfLi1ELi1ELi0EEEJNS0_3LogIfEEEEEvT_T0_DpT1_.has_recursion, 0
	.set _ZN2at6native12_GLOBAL__N_125multi_tensor_apply_kernelINS1_18TensorListMetadataILi1EEENS1_14UnaryOpFunctorIfLi1ELi1ELi0EEEJNS0_3LogIfEEEEEvT_T0_DpT1_.has_indirect_call, 0
	.section	.AMDGPU.csdata,"",@progbits
; Kernel info:
; codeLenInByte = 1664
; TotalNumSgprs: 35
; NumVgprs: 18
; ScratchSize: 0
; MemoryBound: 0
; FloatMode: 240
; IeeeMode: 1
; LDSByteSize: 0 bytes/workgroup (compile time only)
; SGPRBlocks: 4
; VGPRBlocks: 4
; NumSGPRsForWavesPerEU: 35
; NumVGPRsForWavesPerEU: 18
; Occupancy: 10
; WaveLimiterHint : 0
; COMPUTE_PGM_RSRC2:SCRATCH_EN: 0
; COMPUTE_PGM_RSRC2:USER_SGPR: 6
; COMPUTE_PGM_RSRC2:TRAP_HANDLER: 0
; COMPUTE_PGM_RSRC2:TGID_X_EN: 1
; COMPUTE_PGM_RSRC2:TGID_Y_EN: 0
; COMPUTE_PGM_RSRC2:TGID_Z_EN: 0
; COMPUTE_PGM_RSRC2:TIDIG_COMP_CNT: 0
	.section	.text._ZN2at6native12_GLOBAL__N_125multi_tensor_apply_kernelINS1_18TensorListMetadataILi1EEENS1_14UnaryOpFunctorIN3c107complexIdEELi1ELi1ELi0EEEJNS0_3LogIS8_EEEEEvT_T0_DpT1_,"axG",@progbits,_ZN2at6native12_GLOBAL__N_125multi_tensor_apply_kernelINS1_18TensorListMetadataILi1EEENS1_14UnaryOpFunctorIN3c107complexIdEELi1ELi1ELi0EEEJNS0_3LogIS8_EEEEEvT_T0_DpT1_,comdat
	.globl	_ZN2at6native12_GLOBAL__N_125multi_tensor_apply_kernelINS1_18TensorListMetadataILi1EEENS1_14UnaryOpFunctorIN3c107complexIdEELi1ELi1ELi0EEEJNS0_3LogIS8_EEEEEvT_T0_DpT1_ ; -- Begin function _ZN2at6native12_GLOBAL__N_125multi_tensor_apply_kernelINS1_18TensorListMetadataILi1EEENS1_14UnaryOpFunctorIN3c107complexIdEELi1ELi1ELi0EEEJNS0_3LogIS8_EEEEEvT_T0_DpT1_
	.p2align	8
	.type	_ZN2at6native12_GLOBAL__N_125multi_tensor_apply_kernelINS1_18TensorListMetadataILi1EEENS1_14UnaryOpFunctorIN3c107complexIdEELi1ELi1ELi0EEEJNS0_3LogIS8_EEEEEvT_T0_DpT1_,@function
_ZN2at6native12_GLOBAL__N_125multi_tensor_apply_kernelINS1_18TensorListMetadataILi1EEENS1_14UnaryOpFunctorIN3c107complexIdEELi1ELi1ELi0EEEJNS0_3LogIS8_EEEEEvT_T0_DpT1_: ; @_ZN2at6native12_GLOBAL__N_125multi_tensor_apply_kernelINS1_18TensorListMetadataILi1EEENS1_14UnaryOpFunctorIN3c107complexIdEELi1ELi1ELi0EEEJNS0_3LogIS8_EEEEEvT_T0_DpT1_
; %bb.0:
	v_mov_b32_e32 v1, s6
	global_load_ubyte v1, v1, s[4:5] offset:1760
	s_add_u32 s0, s4, s6
	s_mul_hi_u32 s1, s6, 3
	s_mul_i32 s6, s6, 3
	s_addc_u32 s2, s5, 0
	s_add_u32 s0, s0, s6
	s_addc_u32 s1, s2, s1
	s_load_dword s0, s[0:1], 0x820
                                        ; implicit-def: $vgpr78 : SGPR spill to VGPR lane
	s_mov_b32 s7, 0
	s_waitcnt vmcnt(0)
	v_readfirstlane_b32 s1, v1
	s_lshl_b32 s1, s1, 3
	s_load_dwordx2 s[2:3], s[4:5], s1 offset:0x0
	v_writelane_b32 v78, s4, 0
	v_writelane_b32 v78, s5, 1
	s_load_dwordx2 s[4:5], s[4:5], s1 offset:0x370
                                        ; kill: killed $sgpr1
	s_waitcnt lgkmcnt(0)
	s_ashr_i32 s1, s0, 31
	s_lshl_b64 s[8:9], s[0:1], 20
	s_add_u32 s33, s2, s8
	s_addc_u32 s56, s3, s9
	s_lshl_b64 s[0:1], s[0:1], 16
	s_and_b32 s6, s33, 63
	s_sub_u32 s2, s4, s0
	s_subb_u32 s3, s5, s1
	s_and_b32 s0, s4, 3
	s_mov_b32 s1, s7
	s_or_b64 s[0:1], s[6:7], s[0:1]
	s_cmp_eq_u64 s[0:1], 0
	s_cbranch_scc1 .LBB173_157
; %bb.1:
	v_writelane_b32 v78, s2, 2
	v_cmp_lt_i64_e64 s[0:1], s[2:3], 1
	v_writelane_b32 v78, s3, 3
	s_and_b64 vcc, exec, s[0:1]
	s_cbranch_vccnz .LBB173_156
; %bb.2:
	v_readlane_b32 s0, v78, 0
	v_readlane_b32 s1, v78, 1
	v_mov_b32_e32 v1, 0x10000
	v_readlane_b32 s4, v78, 2
	s_load_dword s2, s[0:1], 0xd3c
	v_mov_b32_e32 v2, 0
	v_readlane_b32 s5, v78, 3
	v_cmp_lt_i64_e32 vcc, s[4:5], v[1:2]
	s_mov_b32 s88, 0x55555555
	s_and_b64 s[0:1], vcc, exec
	v_cmp_lt_u64_e32 vcc, s[4:5], v[1:2]
	s_cselect_b32 s21, s5, 0
	s_cselect_b32 s20, s4, 0x10000
	s_waitcnt lgkmcnt(0)
	s_and_b32 s57, s2, 0xffff
	s_and_b64 s[0:1], vcc, exec
	s_mov_b32 s34, 0xbf559e2b
	s_mov_b32 s36, 0xd7f4df2e
	;; [unrolled: 1-line block ×24, first 2 shown]
	v_mov_b32_e32 v33, 0
	s_cselect_b32 s23, s5, 0
	s_cselect_b32 s22, s4, 0x10000
	s_mov_b32 s89, 0x3fe55555
	s_mov_b32 s35, 0x3fc3ab76
	;; [unrolled: 1-line block ×24, first 2 shown]
	v_mov_b32_e32 v35, 0x6b47b09a
	v_mov_b32_e32 v36, 0x3fc38538
	;; [unrolled: 1-line block ×11, first 2 shown]
	s_lshl_b32 s58, s57, 1
	s_lshl_b32 s59, s57, 2
	s_brev_b32 s60, -2
	s_movk_i32 s61, 0x204
	s_mov_b64 s[94:95], 0
	s_mov_b32 s30, 0x55555780
	s_brev_b32 s27, 4
	s_mov_b32 s87, 0x400921fb
	s_branch .LBB173_4
.LBB173_3:                              ;   in Loop: Header=BB173_4 Depth=1
	s_or_b64 exec, exec, s[0:1]
	s_add_u32 s94, s94, s59
	v_mov_b32_e32 v1, s20
	s_addc_u32 s95, s95, 0
	v_mov_b32_e32 v2, s21
	v_cmp_ge_i64_e32 vcc, s[94:95], v[1:2]
	s_cbranch_vccnz .LBB173_156
.LBB173_4:                              ; =>This Loop Header: Depth=1
                                        ;     Child Loop BB173_23 Depth 2
                                        ;     Child Loop BB173_57 Depth 2
	;; [unrolled: 1-line block ×4, first 2 shown]
	v_mov_b32_e32 v1, s95
	v_add_co_u32_e32 v9, vcc, s94, v0
	v_addc_co_u32_e32 v10, vcc, 0, v1, vcc
	v_cmp_gt_u64_e64 s[0:1], s[22:23], v[9:10]
	v_mov_b32_e32 v3, 0
	v_lshlrev_b64 v[39:40], 4, v[9:10]
	v_mov_b32_e32 v7, 0
	v_mov_b32_e32 v5, 0
	v_mov_b32_e32 v4, 0
	v_mov_b32_e32 v8, 0
	v_mov_b32_e32 v6, 0
	s_and_saveexec_b64 s[2:3], s[0:1]
	s_cbranch_execz .LBB173_6
; %bb.5:                                ;   in Loop: Header=BB173_4 Depth=1
	v_mov_b32_e32 v2, s56
	v_add_co_u32_e32 v1, vcc, s33, v39
	v_addc_co_u32_e32 v2, vcc, v2, v40, vcc
	global_load_dwordx4 v[5:8], v[1:2], off
.LBB173_6:                              ;   in Loop: Header=BB173_4 Depth=1
	s_or_b64 exec, exec, s[2:3]
	v_add_co_u32_e32 v1, vcc, s57, v9
	v_addc_co_u32_e32 v2, vcc, 0, v10, vcc
	v_cmp_gt_u64_e64 s[2:3], s[22:23], v[1:2]
	v_lshlrev_b64 v[41:42], 4, v[1:2]
	v_mov_b32_e32 v1, 0
	v_mov_b32_e32 v2, 0
	s_and_saveexec_b64 s[4:5], s[2:3]
	s_cbranch_execz .LBB173_8
; %bb.7:                                ;   in Loop: Header=BB173_4 Depth=1
	v_mov_b32_e32 v2, s56
	v_add_co_u32_e32 v1, vcc, s33, v41
	v_addc_co_u32_e32 v2, vcc, v2, v42, vcc
	global_load_dwordx4 v[1:4], v[1:2], off
.LBB173_8:                              ;   in Loop: Header=BB173_4 Depth=1
	s_or_b64 exec, exec, s[4:5]
	v_add_co_u32_e32 v13, vcc, s58, v9
	v_addc_co_u32_e32 v14, vcc, 0, v10, vcc
	v_cmp_gt_u64_e64 s[6:7], s[22:23], v[13:14]
	v_mov_b32_e32 v11, 0
	v_lshlrev_b64 v[43:44], 4, v[13:14]
	v_mov_b32_e32 v15, 0
	v_mov_b32_e32 v13, 0
	;; [unrolled: 1-line block ×5, first 2 shown]
	s_and_saveexec_b64 s[4:5], s[6:7]
	s_cbranch_execz .LBB173_10
; %bb.9:                                ;   in Loop: Header=BB173_4 Depth=1
	v_mov_b32_e32 v14, s56
	v_add_co_u32_e32 v13, vcc, s33, v43
	v_addc_co_u32_e32 v14, vcc, v14, v44, vcc
	global_load_dwordx4 v[13:16], v[13:14], off
.LBB173_10:                             ;   in Loop: Header=BB173_4 Depth=1
	s_or_b64 exec, exec, s[4:5]
	s_mul_i32 s4, s57, 3
	v_add_co_u32_e32 v9, vcc, s4, v9
	v_addc_co_u32_e32 v10, vcc, 0, v10, vcc
	v_cmp_gt_u64_e64 s[8:9], s[22:23], v[9:10]
	v_lshlrev_b64 v[45:46], 4, v[9:10]
	v_mov_b32_e32 v9, 0
	v_mov_b32_e32 v10, 0
	s_and_saveexec_b64 s[4:5], s[8:9]
	s_cbranch_execz .LBB173_12
; %bb.11:                               ;   in Loop: Header=BB173_4 Depth=1
	v_mov_b32_e32 v10, s56
	v_add_co_u32_e32 v9, vcc, s33, v45
	v_addc_co_u32_e32 v10, vcc, v10, v46, vcc
	global_load_dwordx4 v[9:12], v[9:10], off
.LBB173_12:                             ;   in Loop: Header=BB173_4 Depth=1
	s_or_b64 exec, exec, s[4:5]
	s_waitcnt vmcnt(0)
	v_cmp_o_f64_e32 vcc, v[5:6], v[7:8]
                                        ; implicit-def: $vgpr17_vgpr18
	s_and_saveexec_b64 s[4:5], vcc
	s_xor_b64 s[90:91], exec, s[4:5]
	s_cbranch_execz .LBB173_40
; %bb.13:                               ;   in Loop: Header=BB173_4 Depth=1
	v_cmp_lt_f64_e64 s[10:11], |v[5:6]|, |v[7:8]|
	v_and_b32_e32 v19, 0x7fffffff, v6
	v_and_b32_e32 v20, 0x7fffffff, v8
	s_mov_b32 s4, 0x85ebc8a0
	s_mov_b32 s5, 0x7fd1ccf3
	v_mov_b32_e32 v23, v7
                                        ; implicit-def: $vgpr17_vgpr18
	v_cndmask_b32_e64 v22, v20, v19, s[10:11]
	v_cndmask_b32_e64 v21, v7, v5, s[10:11]
	v_cmp_nlt_f64_e32 vcc, s[4:5], v[21:22]
	s_and_saveexec_b64 s[4:5], vcc
	s_xor_b64 s[18:19], exec, s[4:5]
	s_cbranch_execz .LBB173_37
; %bb.14:                               ;   in Loop: Header=BB173_4 Depth=1
	v_cndmask_b32_e64 v24, v19, v20, s[10:11]
	v_cndmask_b32_e64 v23, v5, v23, s[10:11]
	v_cmp_neq_f64_e32 vcc, 1.0, v[23:24]
                                        ; implicit-def: $vgpr17_vgpr18
	s_and_saveexec_b64 s[4:5], vcc
	s_xor_b64 s[4:5], exec, s[4:5]
	s_cbranch_execz .LBB173_30
; %bb.15:                               ;   in Loop: Header=BB173_4 Depth=1
	v_max_f64 v[17:18], v[21:22], v[21:22]
	v_max_f64 v[19:20], v[23:24], v[23:24]
	s_mov_b32 s12, 0x4ad4b81f
	s_mov_b32 s13, 0x358dee7a
	v_min_f64 v[25:26], v[19:20], v[17:18]
	v_max_f64 v[17:18], v[19:20], v[17:18]
	v_cmp_ngt_f64_e32 vcc, s[12:13], v[25:26]
	s_mov_b32 s12, 0xc57e649a
	s_mov_b32 s13, 0x4a511b0e
	v_cmp_nlt_f64_e64 s[12:13], s[12:13], v[17:18]
                                        ; implicit-def: $vgpr17_vgpr18
	s_and_b64 s[12:13], s[12:13], vcc
	s_and_saveexec_b64 s[14:15], s[12:13]
	s_xor_b64 s[24:25], exec, s[14:15]
	s_cbranch_execz .LBB173_27
; %bb.16:                               ;   in Loop: Header=BB173_4 Depth=1
	v_cmp_le_f64_e32 vcc, 1.0, v[23:24]
                                        ; implicit-def: $vgpr17_vgpr18
	s_and_saveexec_b64 s[12:13], vcc
	s_xor_b64 s[48:49], exec, s[12:13]
	s_cbranch_execz .LBB173_18
; %bb.17:                               ;   in Loop: Header=BB173_4 Depth=1
	v_add_f64 v[17:18], v[23:24], -1.0
	v_add_f64 v[19:20], v[23:24], 1.0
	s_mov_b32 s31, s89
	s_mov_b32 s86, s28
	;; [unrolled: 1-line block ×4, first 2 shown]
	v_cmp_class_f64_e64 s[50:51], v[7:8], s61
	v_mul_f64 v[17:18], v[17:18], v[19:20]
	v_fma_f64 v[18:19], v[21:22], v[21:22], v[17:18]
	v_add_f64 v[20:21], v[18:19], 1.0
	v_cmp_nge_f64_e64 s[14:15], -1.0, v[18:19]
	v_cmp_neq_f64_e64 s[16:17], s[16:17], v[18:19]
	v_frexp_mant_f64_e32 v[24:25], v[20:21]
	v_frexp_exp_i32_f64_e32 v17, v[20:21]
	v_add_f64 v[22:23], v[20:21], -1.0
	v_cmp_gt_f64_e32 vcc, s[88:89], v[24:25]
	v_add_f64 v[26:27], v[22:23], -v[20:21]
	v_add_f64 v[22:23], v[18:19], -v[22:23]
	v_subbrev_co_u32_e32 v17, vcc, 0, v17, vcc
	v_sub_u32_e32 v28, 0, v17
	v_ldexp_f64 v[20:21], v[20:21], v28
	v_add_f64 v[24:25], v[26:27], 1.0
	v_add_f64 v[26:27], v[20:21], 1.0
	v_add_f64 v[22:23], v[22:23], v[24:25]
	v_add_f64 v[47:48], v[20:21], -1.0
	v_add_f64 v[24:25], v[26:27], -1.0
	v_ldexp_f64 v[22:23], v[22:23], v28
	v_add_f64 v[49:50], v[47:48], 1.0
	v_add_f64 v[24:25], v[20:21], -v[24:25]
	v_add_f64 v[20:21], v[20:21], -v[49:50]
	v_add_f64 v[28:29], v[22:23], v[24:25]
	v_add_f64 v[49:50], v[22:23], v[20:21]
	v_add_f64 v[24:25], v[26:27], v[28:29]
	v_rcp_f64_e32 v[30:31], v[24:25]
	v_add_f64 v[26:27], v[24:25], -v[26:27]
	v_add_f64 v[28:29], v[28:29], -v[26:27]
	v_fma_f64 v[51:52], -v[24:25], v[30:31], 1.0
	v_fma_f64 v[30:31], v[51:52], v[30:31], v[30:31]
	v_add_f64 v[51:52], v[47:48], v[49:50]
	v_fma_f64 v[20:21], -v[24:25], v[30:31], 1.0
	v_add_f64 v[47:48], v[51:52], -v[47:48]
	v_fma_f64 v[20:21], v[20:21], v[30:31], v[30:31]
	v_add_f64 v[47:48], v[49:50], -v[47:48]
	v_mul_f64 v[22:23], v[51:52], v[20:21]
	v_mul_f64 v[30:31], v[24:25], v[22:23]
	v_fma_f64 v[26:27], v[22:23], v[24:25], -v[30:31]
	v_fma_f64 v[53:54], v[22:23], v[28:29], v[26:27]
	v_add_f64 v[55:56], v[30:31], v[53:54]
	v_add_f64 v[26:27], v[51:52], -v[55:56]
	v_add_f64 v[30:31], v[55:56], -v[30:31]
	;; [unrolled: 1-line block ×5, first 2 shown]
	v_add_f64 v[47:48], v[47:48], v[49:50]
	v_max_f64 v[49:50], |v[5:6]|, |v[5:6]|
	v_add_f64 v[30:31], v[30:31], v[47:48]
	v_max_f64 v[47:48], |v[7:8]|, |v[7:8]|
	v_add_f64 v[51:52], v[26:27], v[30:31]
	v_max_f64 v[53:54], v[49:50], v[47:48]
	v_min_f64 v[47:48], v[49:50], v[47:48]
	v_mul_f64 v[49:50], v[20:21], v[51:52]
	v_add_f64 v[26:27], v[26:27], -v[51:52]
	v_div_scale_f64 v[55:56], s[12:13], v[53:54], v[53:54], v[47:48]
	s_mov_b32 s12, 0xaf56de9b
	s_mov_b32 s13, 0xbf67952d
	v_mul_f64 v[57:58], v[24:25], v[49:50]
	v_add_f64 v[26:27], v[30:31], v[26:27]
	v_fma_f64 v[24:25], v[49:50], v[24:25], -v[57:58]
	v_rcp_f64_e32 v[59:60], v[55:56]
	v_fma_f64 v[24:25], v[49:50], v[28:29], v[24:25]
	v_add_f64 v[28:29], v[57:58], v[24:25]
	v_fma_f64 v[61:62], -v[55:56], v[59:60], 1.0
	v_add_f64 v[70:71], v[51:52], -v[28:29]
	v_add_f64 v[30:31], v[28:29], -v[57:58]
	v_fma_f64 v[59:60], v[59:60], v[61:62], v[59:60]
	v_div_scale_f64 v[61:62], vcc, v[47:48], v[53:54], v[47:48]
	v_add_f64 v[51:52], v[51:52], -v[70:71]
	v_add_f64 v[24:25], v[30:31], -v[24:25]
	v_fma_f64 v[72:73], -v[55:56], v[59:60], 1.0
	v_add_f64 v[30:31], v[22:23], v[49:50]
	v_add_f64 v[28:29], v[51:52], -v[28:29]
	v_fma_f64 v[51:52], v[59:60], v[72:73], v[59:60]
	v_add_f64 v[22:23], v[30:31], -v[22:23]
	v_add_f64 v[26:27], v[26:27], v[28:29]
	v_mul_f64 v[28:29], v[61:62], v[51:52]
	v_add_f64 v[22:23], v[49:50], -v[22:23]
	v_add_f64 v[24:25], v[24:25], v[26:27]
	v_fma_f64 v[26:27], -v[55:56], v[28:29], v[61:62]
	v_add_f64 v[24:25], v[70:71], v[24:25]
	v_div_fmas_f64 v[26:27], v[26:27], v[51:52], v[28:29]
	v_cmp_gt_i32_e32 vcc, 0, v6
	v_mul_f64 v[20:21], v[20:21], v[24:25]
	v_add_f64 v[20:21], v[22:23], v[20:21]
	v_div_fixup_f64 v[22:23], v[26:27], v[53:54], v[47:48]
	v_add_f64 v[24:25], v[30:31], v[20:21]
	v_mul_f64 v[26:27], v[22:23], v[22:23]
	v_mul_f64 v[28:29], v[24:25], v[24:25]
	v_fma_f64 v[47:48], v[26:27], s[54:55], v[37:38]
	v_fma_f64 v[49:50], v[28:29], s[34:35], v[35:36]
	v_mul_f64 v[51:52], v[24:25], v[28:29]
	v_fma_f64 v[47:48], v[26:27], v[47:48], s[52:53]
	v_cmp_class_f64_e64 s[52:53], v[5:6], s61
	v_ashrrev_i32_e32 v5, 31, v6
	v_fma_f64 v[49:50], v[28:29], v[49:50], s[36:37]
	v_fma_f64 v[47:48], v[26:27], v[47:48], s[12:13]
	s_mov_b32 s12, 0xa595c56f
	s_mov_b32 s13, 0x3f7d6d43
	v_fma_f64 v[49:50], v[28:29], v[49:50], s[38:39]
	v_fma_f64 v[47:48], v[26:27], v[47:48], s[12:13]
	s_mov_b32 s12, 0xa57d9582
	s_mov_b32 s13, 0xbf8c6ea4
	;; [unrolled: 4-line block ×4, first 2 shown]
	v_fma_f64 v[28:29], v[28:29], v[49:50], s[30:31]
	v_ldexp_f64 v[49:50], v[24:25], 1
	v_fma_f64 v[47:48], v[26:27], v[47:48], s[12:13]
	v_add_f64 v[24:25], v[24:25], -v[30:31]
	v_cmp_eq_f64_e64 s[12:13], 0, v[7:8]
	v_mul_f64 v[28:29], v[51:52], v[28:29]
	v_cvt_f64_i32_e32 v[51:52], v17
	v_fma_f64 v[47:48], v[26:27], v[47:48], s[62:63]
	v_add_f64 v[20:21], v[20:21], -v[24:25]
	v_cndmask_b32_e32 v17, v68, v69, vcc
	v_mul_f64 v[53:54], v[51:52], s[44:45]
	v_bfi_b32 v17, s60, v17, v8
	v_add_f64 v[30:31], v[49:50], v[28:29]
	v_fma_f64 v[47:48], v[26:27], v[47:48], s[64:65]
	v_ldexp_f64 v[20:21], v[20:21], 1
	v_add_f64 v[24:25], v[30:31], -v[49:50]
	v_fma_f64 v[49:50], v[51:52], s[44:45], -v[53:54]
	v_fma_f64 v[47:48], v[26:27], v[47:48], s[66:67]
	v_add_f64 v[24:25], v[28:29], -v[24:25]
	v_fma_f64 v[28:29], v[26:27], v[47:48], s[68:69]
	v_fma_f64 v[47:48], v[51:52], s[46:47], v[49:50]
	v_add_f64 v[20:21], v[20:21], v[24:25]
	v_fma_f64 v[24:25], v[26:27], v[28:29], s[70:71]
	v_add_f64 v[28:29], v[53:54], v[47:48]
	v_add_f64 v[49:50], v[30:31], v[20:21]
	v_fma_f64 v[24:25], v[26:27], v[24:25], s[72:73]
	v_add_f64 v[53:54], v[28:29], -v[53:54]
	v_add_f64 v[51:52], v[28:29], v[49:50]
	v_add_f64 v[30:31], v[49:50], -v[30:31]
	v_fma_f64 v[24:25], v[26:27], v[24:25], s[74:75]
	v_add_f64 v[47:48], v[47:48], -v[53:54]
	v_add_f64 v[55:56], v[51:52], -v[28:29]
	;; [unrolled: 1-line block ×3, first 2 shown]
	v_fma_f64 v[24:25], v[26:27], v[24:25], s[76:77]
	v_add_f64 v[57:58], v[51:52], -v[55:56]
	v_add_f64 v[30:31], v[49:50], -v[55:56]
	v_fma_f64 v[24:25], v[26:27], v[24:25], s[78:79]
	v_add_f64 v[49:50], v[47:48], v[20:21]
	v_add_f64 v[28:29], v[28:29], -v[57:58]
	v_fma_f64 v[24:25], v[26:27], v[24:25], s[80:81]
	v_add_f64 v[28:29], v[30:31], v[28:29]
	;; [unrolled: 3-line block ×3, first 2 shown]
	v_add_f64 v[49:50], v[49:50], -v[30:31]
	v_fma_f64 v[24:25], v[26:27], v[24:25], s[84:85]
	v_add_f64 v[20:21], v[20:21], -v[30:31]
	v_add_f64 v[53:54], v[51:52], v[28:29]
	v_mul_f64 v[24:25], v[26:27], v[24:25]
	v_add_f64 v[26:27], v[47:48], -v[49:50]
	v_add_f64 v[30:31], v[53:54], -v[51:52]
	v_fma_f64 v[22:23], v[22:23], v[24:25], v[22:23]
	v_add_f64 v[20:21], v[20:21], v[26:27]
	v_add_f64 v[24:25], v[28:29], -v[30:31]
	v_add_f64 v[26:27], -v[22:23], s[28:29]
	v_add_f64 v[20:21], v[20:21], v[24:25]
	v_cndmask_b32_e64 v23, v23, v27, s[10:11]
	v_cndmask_b32_e64 v22, v22, v26, s[10:11]
	v_add_f64 v[24:25], -v[22:23], s[86:87]
	v_and_b32_e32 v27, 0x54442d18, v5
	v_cndmask_b32_e32 v26, v66, v67, vcc
	v_add_f64 v[20:21], v[53:54], v[20:21]
	v_cndmask_b32_e32 v22, v22, v24, vcc
	v_and_b32_e32 v24, 0x400921fb, v5
	v_mul_f64 v[5:6], v[20:21], 0.5
	v_cndmask_b32_e32 v20, v23, v25, vcc
	v_cndmask_b32_e64 v21, v22, v27, s[12:13]
	v_cndmask_b32_e64 v20, v20, v24, s[12:13]
	s_and_b64 vcc, s[50:51], s[52:53]
	s_and_b64 s[12:13], s[14:15], s[16:17]
	v_cndmask_b32_e32 v20, v20, v17, vcc
	s_mov_b32 s52, 0x69efb384
	v_cndmask_b32_e64 v17, 0, v5, s[12:13]
	v_cmp_ngt_f64_e64 s[12:13], -1.0, v[18:19]
	v_cndmask_b32_e64 v6, v63, v6, s[16:17]
	s_mov_b32 s53, 0x3f4b2bb0
                                        ; implicit-def: $vgpr23_vgpr24
	v_cndmask_b32_e64 v5, v64, v6, s[12:13]
	v_cmp_neq_f64_e64 s[12:13], -1.0, v[18:19]
	v_cndmask_b32_e32 v19, v21, v26, vcc
                                        ; implicit-def: $vgpr21_vgpr22
	v_cndmask_b32_e64 v18, v65, v5, s[12:13]
.LBB173_18:                             ;   in Loop: Header=BB173_4 Depth=1
	s_andn2_saveexec_b64 s[48:49], s[48:49]
	s_cbranch_execz .LBB173_26
; %bb.19:                               ;   in Loop: Header=BB173_4 Depth=1
	v_mul_f64 v[17:18], v[21:22], v[21:22]
	s_mov_b32 s12, 0x66666666
	s_mov_b32 s13, 0x3fe66666
	v_fma_f64 v[19:20], v[23:24], v[23:24], v[17:18]
                                        ; implicit-def: $vgpr17_vgpr18
	v_cmp_ge_f64_e32 vcc, s[12:13], v[19:20]
	s_and_saveexec_b64 s[12:13], vcc
	s_xor_b64 s[16:17], exec, s[12:13]
	s_cbranch_execz .LBB173_21
; %bb.20:                               ;   in Loop: Header=BB173_4 Depth=1
	v_frexp_mant_f64_e32 v[17:18], v[19:20]
	v_max_f64 v[27:28], |v[7:8]|, |v[7:8]|
	v_max_f64 v[29:30], |v[5:6]|, |v[5:6]|
	s_mov_b32 s31, s89
	v_frexp_exp_i32_f64_e32 v34, v[19:20]
	s_mov_b32 s86, s28
	v_cmp_class_f64_e64 s[50:51], v[7:8], s61
	v_cmp_gt_f64_e64 s[12:13], s[88:89], v[17:18]
	v_cndmask_b32_e64 v21, 0, 1, s[12:13]
	v_ldexp_f64 v[17:18], v[17:18], v21
	v_add_f64 v[21:22], v[17:18], 1.0
	v_add_f64 v[47:48], v[17:18], -1.0
	v_rcp_f64_e32 v[23:24], v[21:22]
	v_add_f64 v[51:52], v[21:22], -1.0
	v_add_f64 v[17:18], v[17:18], -v[51:52]
	v_fma_f64 v[25:26], -v[21:22], v[23:24], 1.0
	v_fma_f64 v[23:24], v[25:26], v[23:24], v[23:24]
	v_max_f64 v[25:26], v[29:30], v[27:28]
	v_min_f64 v[27:28], v[29:30], v[27:28]
	v_fma_f64 v[29:30], -v[21:22], v[23:24], 1.0
	v_div_scale_f64 v[31:32], s[14:15], v[25:26], v[25:26], v[27:28]
	s_mov_b32 s14, 0xaf56de9b
	s_mov_b32 s15, 0xbf67952d
	v_fma_f64 v[23:24], v[29:30], v[23:24], v[23:24]
	v_mul_f64 v[29:30], v[47:48], v[23:24]
	v_rcp_f64_e32 v[49:50], v[31:32]
	v_mul_f64 v[53:54], v[21:22], v[29:30]
	v_fma_f64 v[21:22], v[29:30], v[21:22], -v[53:54]
	v_fma_f64 v[51:52], -v[31:32], v[49:50], 1.0
	v_fma_f64 v[17:18], v[29:30], v[17:18], v[21:22]
	v_fma_f64 v[21:22], v[49:50], v[51:52], v[49:50]
	v_div_scale_f64 v[51:52], vcc, v[27:28], v[25:26], v[27:28]
	v_add_f64 v[49:50], v[53:54], v[17:18]
	v_fma_f64 v[55:56], -v[31:32], v[21:22], 1.0
	v_add_f64 v[57:58], v[47:48], -v[49:50]
	v_add_f64 v[53:54], v[49:50], -v[53:54]
	v_fma_f64 v[21:22], v[21:22], v[55:56], v[21:22]
	v_add_f64 v[47:48], v[47:48], -v[57:58]
	v_add_f64 v[17:18], v[53:54], -v[17:18]
	v_mul_f64 v[55:56], v[51:52], v[21:22]
	v_add_f64 v[47:48], v[47:48], -v[49:50]
	v_fma_f64 v[31:32], -v[31:32], v[55:56], v[51:52]
	v_add_f64 v[17:18], v[17:18], v[47:48]
	v_div_fmas_f64 v[21:22], v[31:32], v[21:22], v[55:56]
	v_subbrev_co_u32_e64 v34, vcc, 0, v34, s[12:13]
	v_cmp_eq_f64_e64 s[12:13], 0, v[7:8]
	v_cmp_gt_i32_e32 vcc, 0, v6
	v_add_f64 v[17:18], v[57:58], v[17:18]
	v_mul_f64 v[17:18], v[23:24], v[17:18]
	v_div_fixup_f64 v[21:22], v[21:22], v[25:26], v[27:28]
	v_add_f64 v[23:24], v[29:30], v[17:18]
	v_mul_f64 v[25:26], v[21:22], v[21:22]
	v_mul_f64 v[27:28], v[23:24], v[23:24]
	v_fma_f64 v[31:32], v[25:26], s[54:55], v[37:38]
	v_fma_f64 v[47:48], v[27:28], s[34:35], v[35:36]
	v_mul_f64 v[49:50], v[23:24], v[27:28]
	v_fma_f64 v[31:32], v[25:26], v[31:32], s[52:53]
	v_cmp_class_f64_e64 s[52:53], v[5:6], s61
	v_ashrrev_i32_e32 v5, 31, v6
	v_fma_f64 v[47:48], v[27:28], v[47:48], s[36:37]
	v_fma_f64 v[31:32], v[25:26], v[31:32], s[14:15]
	s_mov_b32 s14, 0xa595c56f
	s_mov_b32 s15, 0x3f7d6d43
	v_fma_f64 v[47:48], v[27:28], v[47:48], s[38:39]
	v_fma_f64 v[31:32], v[25:26], v[31:32], s[14:15]
	s_mov_b32 s14, 0xa57d9582
	s_mov_b32 s15, 0xbf8c6ea4
	;; [unrolled: 4-line block ×4, first 2 shown]
	v_fma_f64 v[27:28], v[27:28], v[47:48], s[30:31]
	v_ldexp_f64 v[47:48], v[23:24], 1
	v_fma_f64 v[31:32], v[25:26], v[31:32], s[14:15]
	v_add_f64 v[23:24], v[23:24], -v[29:30]
	v_cmp_neq_f64_e64 s[14:15], 0, v[19:20]
	v_mul_f64 v[27:28], v[49:50], v[27:28]
	v_cvt_f64_i32_e32 v[49:50], v34
	v_fma_f64 v[31:32], v[25:26], v[31:32], s[62:63]
	v_add_f64 v[17:18], v[17:18], -v[23:24]
	v_mul_f64 v[51:52], v[49:50], s[44:45]
	v_add_f64 v[29:30], v[47:48], v[27:28]
	v_fma_f64 v[31:32], v[25:26], v[31:32], s[64:65]
	v_ldexp_f64 v[17:18], v[17:18], 1
	v_add_f64 v[23:24], v[29:30], -v[47:48]
	v_fma_f64 v[47:48], v[49:50], s[44:45], -v[51:52]
	v_fma_f64 v[31:32], v[25:26], v[31:32], s[66:67]
	v_add_f64 v[23:24], v[27:28], -v[23:24]
	v_fma_f64 v[27:28], v[25:26], v[31:32], s[68:69]
	v_fma_f64 v[31:32], v[49:50], s[46:47], v[47:48]
	v_add_f64 v[17:18], v[17:18], v[23:24]
	v_fma_f64 v[23:24], v[25:26], v[27:28], s[70:71]
	v_add_f64 v[27:28], v[51:52], v[31:32]
	v_add_f64 v[47:48], v[29:30], v[17:18]
	v_fma_f64 v[23:24], v[25:26], v[23:24], s[72:73]
	v_add_f64 v[51:52], v[27:28], -v[51:52]
	v_add_f64 v[49:50], v[27:28], v[47:48]
	v_add_f64 v[29:30], v[47:48], -v[29:30]
	v_fma_f64 v[23:24], v[25:26], v[23:24], s[74:75]
	v_add_f64 v[31:32], v[31:32], -v[51:52]
	v_add_f64 v[53:54], v[49:50], -v[27:28]
	;; [unrolled: 1-line block ×3, first 2 shown]
	v_fma_f64 v[23:24], v[25:26], v[23:24], s[76:77]
	v_add_f64 v[55:56], v[49:50], -v[53:54]
	v_add_f64 v[29:30], v[47:48], -v[53:54]
	v_fma_f64 v[23:24], v[25:26], v[23:24], s[78:79]
	v_add_f64 v[47:48], v[31:32], v[17:18]
	v_add_f64 v[27:28], v[27:28], -v[55:56]
	v_fma_f64 v[23:24], v[25:26], v[23:24], s[80:81]
	v_add_f64 v[27:28], v[29:30], v[27:28]
	;; [unrolled: 3-line block ×3, first 2 shown]
	v_add_f64 v[47:48], v[47:48], -v[29:30]
	v_fma_f64 v[23:24], v[25:26], v[23:24], s[84:85]
	v_add_f64 v[17:18], v[17:18], -v[29:30]
	v_add_f64 v[51:52], v[49:50], v[27:28]
	v_mul_f64 v[23:24], v[25:26], v[23:24]
	v_add_f64 v[25:26], v[31:32], -v[47:48]
	v_add_f64 v[29:30], v[51:52], -v[49:50]
	v_fma_f64 v[21:22], v[21:22], v[23:24], v[21:22]
	v_add_f64 v[17:18], v[17:18], v[25:26]
	v_add_f64 v[23:24], v[27:28], -v[29:30]
	v_and_b32_e32 v27, 0x400921fb, v5
	v_add_f64 v[25:26], -v[21:22], s[28:29]
	v_add_f64 v[17:18], v[17:18], v[23:24]
	v_cndmask_b32_e64 v22, v22, v26, s[10:11]
	v_cndmask_b32_e64 v21, v21, v25, s[10:11]
	v_add_f64 v[23:24], -v[21:22], s[86:87]
	v_and_b32_e32 v26, 0x54442d18, v5
	v_cndmask_b32_e32 v25, v66, v67, vcc
	v_add_f64 v[17:18], v[51:52], v[17:18]
	v_cndmask_b32_e32 v21, v21, v23, vcc
	v_cndmask_b32_e32 v23, v68, v69, vcc
	v_cndmask_b32_e64 v19, v21, v26, s[12:13]
	v_mul_f64 v[5:6], v[17:18], 0.5
	v_cndmask_b32_e32 v18, v22, v24, vcc
	v_bfi_b32 v17, s60, v23, v8
	v_cndmask_b32_e64 v18, v18, v27, s[12:13]
	s_and_b64 vcc, s[50:51], s[52:53]
	s_mov_b32 s52, 0x69efb384
	s_mov_b32 s53, 0x3f4b2bb0
	v_cndmask_b32_e32 v20, v18, v17, vcc
	v_cndmask_b32_e64 v18, v65, v6, s[14:15]
	v_cndmask_b32_e64 v17, 0, v5, s[14:15]
	v_cndmask_b32_e32 v19, v19, v25, vcc
                                        ; implicit-def: $vgpr23_vgpr24
                                        ; implicit-def: $vgpr21_vgpr22
.LBB173_21:                             ;   in Loop: Header=BB173_4 Depth=1
	s_andn2_saveexec_b64 s[50:51], s[16:17]
	s_cbranch_execz .LBB173_25
; %bb.22:                               ;   in Loop: Header=BB173_4 Depth=1
	v_and_b32_e32 v34, 0x7ffffff8, v24
	v_and_b32_e32 v20, 0x7ffffff8, v22
	v_mov_b32_e32 v19, v33
	v_add_f64 v[17:18], v[23:24], -v[33:34]
	v_add_f64 v[21:22], v[21:22], -v[19:20]
	v_mov_b32_e32 v25, v33
	v_mov_b32_e32 v29, v33
	v_add_f64 v[31:32], v[33:34], v[33:34]
	v_add_f64 v[47:48], v[19:20], v[19:20]
	v_mul_f64 v[19:20], v[19:20], v[19:20]
	s_mov_b64 s[52:53], 0
	v_and_b32_e32 v26, -8, v18
	v_and_b32_e32 v30, -8, v22
	v_add_f64 v[53:54], v[17:18], -v[25:26]
	v_add_f64 v[55:56], v[21:22], -v[29:30]
	v_add_f64 v[57:58], v[25:26], v[25:26]
	v_add_f64 v[59:60], v[29:30], v[29:30]
	v_mul_f64 v[17:18], v[33:34], v[33:34]
	v_mul_f64 v[23:24], v[31:32], v[25:26]
	;; [unrolled: 1-line block ×11, first 2 shown]
.LBB173_23:                             ;   Parent Loop BB173_4 Depth=1
                                        ; =>  This Inner Loop Header: Depth=2
	v_cmp_nlt_f64_e32 vcc, v[17:18], v[19:20]
	v_cndmask_b32_e32 v56, v18, v20, vcc
	v_cndmask_b32_e32 v55, v17, v19, vcc
	v_cmp_nlt_f64_e64 s[12:13], v[55:56], v[23:24]
	v_cndmask_b32_e32 v18, v20, v18, vcc
	v_cndmask_b32_e32 v17, v19, v17, vcc
	v_cndmask_b32_e64 v58, v56, v24, s[12:13]
	v_cndmask_b32_e64 v57, v55, v23, s[12:13]
	v_cmp_nlt_f64_e64 s[14:15], v[57:58], v[21:22]
	v_cndmask_b32_e64 v20, v24, v56, s[12:13]
	v_cndmask_b32_e64 v19, v23, v55, s[12:13]
	s_and_b64 s[54:55], vcc, s[12:13]
	v_cndmask_b32_e64 v60, v58, v22, s[14:15]
	v_cndmask_b32_e64 v59, v57, v21, s[14:15]
	v_cmp_nlt_f64_e64 s[16:17], v[59:60], v[27:28]
	v_cndmask_b32_e64 v24, v22, v58, s[14:15]
	v_cndmask_b32_e64 v23, v21, v57, s[14:15]
	;; [unrolled: 1-line block ×4, first 2 shown]
	v_cmp_nlt_f64_e32 vcc, v[55:56], v[29:30]
	v_cndmask_b32_e64 v22, v28, v60, s[16:17]
	v_cndmask_b32_e64 v21, v27, v59, s[16:17]
	s_and_b64 s[16:17], s[14:15], s[16:17]
	v_cndmask_b32_e32 v58, v56, v30, vcc
	v_cndmask_b32_e32 v57, v55, v29, vcc
	v_cmp_nlt_f64_e64 s[12:13], v[57:58], v[51:52]
	v_cndmask_b32_e32 v28, v30, v56, vcc
	v_cndmask_b32_e32 v27, v29, v55, vcc
	v_cndmask_b32_e64 v56, v58, v52, s[12:13]
	v_cndmask_b32_e64 v55, v57, v51, s[12:13]
	v_cmp_nlt_f64_e64 s[14:15], v[55:56], v[49:50]
	v_cndmask_b32_e64 v30, v52, v58, s[12:13]
	v_cndmask_b32_e64 v29, v51, v57, s[12:13]
	s_and_b64 s[12:13], vcc, s[12:13]
	v_cndmask_b32_e64 v58, v56, v50, s[14:15]
	v_cndmask_b32_e64 v57, v55, v49, s[14:15]
	v_cmp_nlt_f64_e32 vcc, v[57:58], v[47:48]
	v_cndmask_b32_e64 v52, v50, v56, s[14:15]
	v_cndmask_b32_e64 v51, v49, v55, s[14:15]
	s_and_b64 s[14:15], s[12:13], s[14:15]
	v_cndmask_b32_e32 v56, v58, v48, vcc
	v_cndmask_b32_e32 v55, v57, v47, vcc
	v_cmp_nlt_f64_e64 s[12:13], v[55:56], v[31:32]
	v_cndmask_b32_e32 v50, v48, v58, vcc
	v_cndmask_b32_e32 v49, v47, v57, vcc
	s_and_b64 s[14:15], s[14:15], vcc
	v_cndmask_b32_e64 v58, v56, v32, s[12:13]
	v_cndmask_b32_e64 v57, v55, v31, s[12:13]
	v_cmp_nlt_f64_e32 vcc, v[57:58], v[25:26]
	v_cndmask_b32_e64 v48, v32, v56, s[12:13]
	v_cndmask_b32_e64 v47, v31, v55, s[12:13]
	s_and_b64 s[14:15], s[14:15], s[12:13]
	v_cndmask_b32_e32 v60, v58, v26, vcc
	v_cndmask_b32_e32 v59, v57, v25, vcc
	v_cmp_nlt_f64_e64 s[12:13], v[59:60], v[53:54]
	s_and_b64 s[14:15], s[14:15], vcc
	v_cndmask_b32_e32 v32, v26, v58, vcc
	v_cndmask_b32_e32 v31, v25, v57, vcc
	v_cndmask_b32_e64 v56, v60, v54, s[12:13]
	v_cndmask_b32_e64 v55, v59, v53, s[12:13]
	;; [unrolled: 1-line block ×4, first 2 shown]
	s_and_b64 s[12:13], s[14:15], s[12:13]
	s_and_b64 s[12:13], s[12:13], s[16:17]
	;; [unrolled: 1-line block ×3, first 2 shown]
	s_and_b64 s[12:13], exec, s[12:13]
	v_mov_b32_e32 v53, v55
	s_or_b64 s[52:53], s[12:13], s[52:53]
	v_mov_b32_e32 v54, v56
	s_andn2_b64 exec, exec, s[52:53]
	s_cbranch_execnz .LBB173_23
; %bb.24:                               ;   in Loop: Header=BB173_4 Depth=1
	s_or_b64 exec, exec, s[52:53]
	v_add_f64 v[17:18], v[17:18], -1.0
	s_mov_b32 s31, s89
	s_mov_b32 s86, s28
	;; [unrolled: 1-line block ×4, first 2 shown]
	v_cmp_class_f64_e64 s[52:53], v[7:8], s61
	v_cmp_class_f64_e64 s[54:55], v[5:6], s61
	v_add_f64 v[17:18], v[17:18], v[19:20]
	v_add_f64 v[17:18], v[17:18], v[23:24]
	v_add_f64 v[17:18], v[17:18], v[21:22]
	v_add_f64 v[17:18], v[17:18], v[27:28]
	v_add_f64 v[17:18], v[17:18], v[29:30]
	v_add_f64 v[17:18], v[17:18], v[51:52]
	v_add_f64 v[17:18], v[17:18], v[49:50]
	v_add_f64 v[17:18], v[17:18], v[47:48]
	v_add_f64 v[17:18], v[17:18], v[31:32]
	v_add_f64 v[17:18], v[17:18], v[25:26]
	v_add_f64 v[18:19], v[55:56], v[17:18]
	v_add_f64 v[20:21], v[18:19], 1.0
	v_cmp_nge_f64_e64 s[14:15], -1.0, v[18:19]
	v_cmp_neq_f64_e64 s[16:17], s[16:17], v[18:19]
	v_frexp_mant_f64_e32 v[24:25], v[20:21]
	v_frexp_exp_i32_f64_e32 v17, v[20:21]
	v_add_f64 v[22:23], v[20:21], -1.0
	v_cmp_gt_f64_e32 vcc, s[88:89], v[24:25]
	v_add_f64 v[26:27], v[22:23], -v[20:21]
	v_add_f64 v[22:23], v[18:19], -v[22:23]
	v_subbrev_co_u32_e32 v17, vcc, 0, v17, vcc
	v_sub_u32_e32 v28, 0, v17
	v_ldexp_f64 v[20:21], v[20:21], v28
	v_add_f64 v[24:25], v[26:27], 1.0
	v_add_f64 v[26:27], v[20:21], 1.0
	v_add_f64 v[22:23], v[22:23], v[24:25]
	v_add_f64 v[47:48], v[20:21], -1.0
	v_add_f64 v[24:25], v[26:27], -1.0
	v_ldexp_f64 v[22:23], v[22:23], v28
	v_add_f64 v[49:50], v[47:48], 1.0
	v_add_f64 v[24:25], v[20:21], -v[24:25]
	v_add_f64 v[20:21], v[20:21], -v[49:50]
	v_add_f64 v[28:29], v[22:23], v[24:25]
	v_add_f64 v[49:50], v[22:23], v[20:21]
	;; [unrolled: 1-line block ×3, first 2 shown]
	v_rcp_f64_e32 v[30:31], v[24:25]
	v_add_f64 v[26:27], v[24:25], -v[26:27]
	v_add_f64 v[28:29], v[28:29], -v[26:27]
	v_fma_f64 v[51:52], -v[24:25], v[30:31], 1.0
	v_fma_f64 v[30:31], v[51:52], v[30:31], v[30:31]
	v_add_f64 v[51:52], v[47:48], v[49:50]
	v_fma_f64 v[20:21], -v[24:25], v[30:31], 1.0
	v_add_f64 v[47:48], v[51:52], -v[47:48]
	v_fma_f64 v[20:21], v[20:21], v[30:31], v[30:31]
	v_add_f64 v[47:48], v[49:50], -v[47:48]
	v_mul_f64 v[22:23], v[51:52], v[20:21]
	v_mul_f64 v[30:31], v[24:25], v[22:23]
	v_fma_f64 v[26:27], v[22:23], v[24:25], -v[30:31]
	v_fma_f64 v[53:54], v[22:23], v[28:29], v[26:27]
	v_add_f64 v[55:56], v[30:31], v[53:54]
	v_add_f64 v[26:27], v[51:52], -v[55:56]
	v_add_f64 v[30:31], v[55:56], -v[30:31]
	;; [unrolled: 1-line block ×5, first 2 shown]
	v_add_f64 v[47:48], v[47:48], v[49:50]
	v_max_f64 v[49:50], |v[5:6]|, |v[5:6]|
	v_ashrrev_i32_e32 v5, 31, v6
	v_add_f64 v[30:31], v[30:31], v[47:48]
	v_max_f64 v[47:48], |v[7:8]|, |v[7:8]|
	v_add_f64 v[51:52], v[26:27], v[30:31]
	v_max_f64 v[53:54], v[49:50], v[47:48]
	v_min_f64 v[47:48], v[49:50], v[47:48]
	v_mul_f64 v[49:50], v[20:21], v[51:52]
	v_add_f64 v[26:27], v[26:27], -v[51:52]
	v_div_scale_f64 v[55:56], s[12:13], v[53:54], v[53:54], v[47:48]
	s_mov_b32 s12, 0xb5e68a13
	s_mov_b32 s13, 0x3eeba404
	v_mul_f64 v[57:58], v[24:25], v[49:50]
	v_add_f64 v[26:27], v[30:31], v[26:27]
	v_fma_f64 v[24:25], v[49:50], v[24:25], -v[57:58]
	v_rcp_f64_e32 v[59:60], v[55:56]
	v_fma_f64 v[24:25], v[49:50], v[28:29], v[24:25]
	v_add_f64 v[28:29], v[57:58], v[24:25]
	v_fma_f64 v[61:62], -v[55:56], v[59:60], 1.0
	v_add_f64 v[70:71], v[51:52], -v[28:29]
	v_add_f64 v[30:31], v[28:29], -v[57:58]
	v_fma_f64 v[59:60], v[59:60], v[61:62], v[59:60]
	v_div_scale_f64 v[61:62], vcc, v[47:48], v[53:54], v[47:48]
	v_add_f64 v[51:52], v[51:52], -v[70:71]
	v_add_f64 v[24:25], v[30:31], -v[24:25]
	v_fma_f64 v[72:73], -v[55:56], v[59:60], 1.0
	v_add_f64 v[30:31], v[22:23], v[49:50]
	v_add_f64 v[28:29], v[51:52], -v[28:29]
	v_fma_f64 v[51:52], v[59:60], v[72:73], v[59:60]
	v_add_f64 v[22:23], v[30:31], -v[22:23]
	v_add_f64 v[26:27], v[26:27], v[28:29]
	v_mul_f64 v[28:29], v[61:62], v[51:52]
	v_add_f64 v[22:23], v[49:50], -v[22:23]
	v_add_f64 v[24:25], v[24:25], v[26:27]
	v_fma_f64 v[26:27], -v[55:56], v[28:29], v[61:62]
	v_add_f64 v[24:25], v[70:71], v[24:25]
	v_div_fmas_f64 v[26:27], v[26:27], v[51:52], v[28:29]
	v_cmp_gt_i32_e32 vcc, 0, v6
	v_mul_f64 v[20:21], v[20:21], v[24:25]
	v_add_f64 v[20:21], v[22:23], v[20:21]
	v_div_fixup_f64 v[22:23], v[26:27], v[53:54], v[47:48]
	v_add_f64 v[24:25], v[30:31], v[20:21]
	v_mul_f64 v[26:27], v[22:23], v[22:23]
	v_mul_f64 v[28:29], v[24:25], v[24:25]
	v_fma_f64 v[47:48], v[26:27], s[12:13], v[37:38]
	s_mov_b32 s12, 0x69efb384
	s_mov_b32 s13, 0x3f4b2bb0
	v_fma_f64 v[49:50], v[28:29], s[34:35], v[35:36]
	v_mul_f64 v[51:52], v[24:25], v[28:29]
	v_fma_f64 v[47:48], v[26:27], v[47:48], s[12:13]
	s_mov_b32 s12, 0xaf56de9b
	s_mov_b32 s13, 0xbf67952d
	v_fma_f64 v[49:50], v[28:29], v[49:50], s[36:37]
	v_fma_f64 v[47:48], v[26:27], v[47:48], s[12:13]
	s_mov_b32 s12, 0xa595c56f
	s_mov_b32 s13, 0x3f7d6d43
	v_fma_f64 v[49:50], v[28:29], v[49:50], s[38:39]
	;; [unrolled: 4-line block ×5, first 2 shown]
	v_ldexp_f64 v[49:50], v[24:25], 1
	v_fma_f64 v[47:48], v[26:27], v[47:48], s[12:13]
	v_add_f64 v[24:25], v[24:25], -v[30:31]
	v_cmp_eq_f64_e64 s[12:13], 0, v[7:8]
	v_mul_f64 v[28:29], v[51:52], v[28:29]
	v_cvt_f64_i32_e32 v[51:52], v17
	v_fma_f64 v[47:48], v[26:27], v[47:48], s[62:63]
	v_add_f64 v[20:21], v[20:21], -v[24:25]
	v_cndmask_b32_e32 v17, v68, v69, vcc
	v_mul_f64 v[53:54], v[51:52], s[44:45]
	v_bfi_b32 v17, s60, v17, v8
	v_add_f64 v[30:31], v[49:50], v[28:29]
	v_fma_f64 v[47:48], v[26:27], v[47:48], s[64:65]
	v_ldexp_f64 v[20:21], v[20:21], 1
	v_add_f64 v[24:25], v[30:31], -v[49:50]
	v_fma_f64 v[49:50], v[51:52], s[44:45], -v[53:54]
	v_fma_f64 v[47:48], v[26:27], v[47:48], s[66:67]
	v_add_f64 v[24:25], v[28:29], -v[24:25]
	v_fma_f64 v[28:29], v[26:27], v[47:48], s[68:69]
	v_fma_f64 v[47:48], v[51:52], s[46:47], v[49:50]
	v_add_f64 v[20:21], v[20:21], v[24:25]
	v_fma_f64 v[24:25], v[26:27], v[28:29], s[70:71]
	v_add_f64 v[28:29], v[53:54], v[47:48]
	v_add_f64 v[49:50], v[30:31], v[20:21]
	v_fma_f64 v[24:25], v[26:27], v[24:25], s[72:73]
	v_add_f64 v[53:54], v[28:29], -v[53:54]
	v_add_f64 v[51:52], v[28:29], v[49:50]
	v_add_f64 v[30:31], v[49:50], -v[30:31]
	v_fma_f64 v[24:25], v[26:27], v[24:25], s[74:75]
	v_add_f64 v[47:48], v[47:48], -v[53:54]
	v_add_f64 v[55:56], v[51:52], -v[28:29]
	;; [unrolled: 1-line block ×3, first 2 shown]
	v_fma_f64 v[24:25], v[26:27], v[24:25], s[76:77]
	v_add_f64 v[57:58], v[51:52], -v[55:56]
	v_add_f64 v[30:31], v[49:50], -v[55:56]
	v_fma_f64 v[24:25], v[26:27], v[24:25], s[78:79]
	v_add_f64 v[49:50], v[47:48], v[20:21]
	v_add_f64 v[28:29], v[28:29], -v[57:58]
	v_fma_f64 v[24:25], v[26:27], v[24:25], s[80:81]
	v_add_f64 v[28:29], v[30:31], v[28:29]
	;; [unrolled: 3-line block ×3, first 2 shown]
	v_add_f64 v[49:50], v[49:50], -v[30:31]
	v_fma_f64 v[24:25], v[26:27], v[24:25], s[84:85]
	v_add_f64 v[20:21], v[20:21], -v[30:31]
	v_add_f64 v[53:54], v[51:52], v[28:29]
	v_mul_f64 v[24:25], v[26:27], v[24:25]
	v_add_f64 v[26:27], v[47:48], -v[49:50]
	v_add_f64 v[30:31], v[53:54], -v[51:52]
	v_fma_f64 v[22:23], v[22:23], v[24:25], v[22:23]
	v_add_f64 v[20:21], v[20:21], v[26:27]
	v_add_f64 v[24:25], v[28:29], -v[30:31]
	v_add_f64 v[26:27], -v[22:23], s[28:29]
	v_add_f64 v[20:21], v[20:21], v[24:25]
	v_cndmask_b32_e64 v23, v23, v27, s[10:11]
	v_cndmask_b32_e64 v22, v22, v26, s[10:11]
	v_add_f64 v[24:25], -v[22:23], s[86:87]
	v_and_b32_e32 v27, 0x54442d18, v5
	v_cndmask_b32_e32 v26, v66, v67, vcc
	v_add_f64 v[20:21], v[53:54], v[20:21]
	v_cndmask_b32_e32 v22, v22, v24, vcc
	v_and_b32_e32 v24, 0x400921fb, v5
	v_mul_f64 v[5:6], v[20:21], 0.5
	v_cndmask_b32_e32 v20, v23, v25, vcc
	v_cndmask_b32_e64 v21, v22, v27, s[12:13]
	v_cndmask_b32_e64 v20, v20, v24, s[12:13]
	s_and_b64 vcc, s[52:53], s[54:55]
	s_and_b64 s[12:13], s[14:15], s[16:17]
	v_cndmask_b32_e32 v20, v20, v17, vcc
	s_mov_b32 s52, 0x69efb384
	v_cndmask_b32_e64 v17, 0, v5, s[12:13]
	v_cmp_ngt_f64_e64 s[12:13], -1.0, v[18:19]
	v_cndmask_b32_e64 v6, v63, v6, s[16:17]
	s_mov_b32 s54, 0xb5e68a13
	s_mov_b32 s53, 0x3f4b2bb0
	;; [unrolled: 1-line block ×3, first 2 shown]
	v_cndmask_b32_e64 v5, v64, v6, s[12:13]
	v_cmp_neq_f64_e64 s[12:13], -1.0, v[18:19]
	v_cndmask_b32_e32 v19, v21, v26, vcc
	v_cndmask_b32_e64 v18, v65, v5, s[12:13]
.LBB173_25:                             ;   in Loop: Header=BB173_4 Depth=1
	s_or_b64 exec, exec, s[50:51]
.LBB173_26:                             ;   in Loop: Header=BB173_4 Depth=1
	s_or_b64 exec, exec, s[48:49]
.LBB173_27:                             ;   in Loop: Header=BB173_4 Depth=1
	s_andn2_saveexec_b64 s[16:17], s[24:25]
	s_cbranch_execz .LBB173_29
; %bb.28:                               ;   in Loop: Header=BB173_4 Depth=1
	v_max_f64 v[22:23], |v[7:8]|, |v[7:8]|
	v_max_f64 v[24:25], |v[5:6]|, |v[5:6]|
	v_cmp_class_f64_e64 s[24:25], v[5:6], s61
	v_cmp_class_f64_e64 s[48:49], v[7:8], s61
	s_mov_b32 s31, s89
	s_mov_b32 s86, s28
	v_max_f64 v[20:21], v[24:25], v[22:23]
	v_min_f64 v[22:23], v[24:25], v[22:23]
	v_frexp_exp_i32_f64_e32 v19, v[20:21]
	v_sub_u32_e32 v26, 0, v19
	v_ldexp_f64 v[17:18], |v[7:8]|, v26
	v_ldexp_f64 v[26:27], |v[5:6]|, v26
	v_mul_f64 v[17:18], v[17:18], v[17:18]
	v_fma_f64 v[17:18], v[26:27], v[26:27], v[17:18]
	v_rsq_f64_e32 v[26:27], v[17:18]
	v_cmp_eq_f64_e32 vcc, 0, v[17:18]
	v_mul_f64 v[28:29], v[17:18], v[26:27]
	v_mul_f64 v[26:27], v[26:27], 0.5
	v_fma_f64 v[30:31], -v[26:27], v[28:29], 0.5
	v_fma_f64 v[28:29], v[28:29], v[30:31], v[28:29]
	v_fma_f64 v[26:27], v[26:27], v[30:31], v[26:27]
	v_fma_f64 v[30:31], -v[28:29], v[28:29], v[17:18]
	v_fma_f64 v[26:27], v[30:31], v[26:27], v[28:29]
	v_cndmask_b32_e32 v18, v27, v18, vcc
	v_cndmask_b32_e32 v17, v26, v17, vcc
	v_ldexp_f64 v[17:18], v[17:18], v19
	s_or_b64 vcc, s[48:49], s[24:25]
	v_cndmask_b32_e32 v19, v18, v63, vcc
	v_cndmask_b32_e64 v18, v17, 0, vcc
	v_frexp_mant_f64_e32 v[26:27], v[18:19]
	v_cmp_gt_f64_e64 s[12:13], s[88:89], v[26:27]
	v_cndmask_b32_e64 v5, 0, 1, s[12:13]
	v_ldexp_f64 v[26:27], v[26:27], v5
	v_frexp_exp_i32_f64_e32 v5, v[18:19]
	v_add_f64 v[28:29], v[26:27], 1.0
	v_add_f64 v[49:50], v[26:27], -1.0
	v_rcp_f64_e32 v[30:31], v[28:29]
	v_add_f64 v[53:54], v[28:29], -1.0
	v_add_f64 v[26:27], v[26:27], -v[53:54]
	v_fma_f64 v[47:48], -v[28:29], v[30:31], 1.0
	v_fma_f64 v[24:25], v[47:48], v[30:31], v[30:31]
	v_div_scale_f64 v[30:31], s[14:15], v[20:21], v[20:21], v[22:23]
	s_mov_b32 s14, 0xaf56de9b
	s_mov_b32 s15, 0xbf67952d
	v_fma_f64 v[47:48], -v[28:29], v[24:25], 1.0
	v_fma_f64 v[24:25], v[47:48], v[24:25], v[24:25]
	v_rcp_f64_e32 v[47:48], v[30:31]
	v_mul_f64 v[51:52], v[49:50], v[24:25]
	v_mul_f64 v[55:56], v[28:29], v[51:52]
	v_fma_f64 v[57:58], -v[30:31], v[47:48], 1.0
	v_fma_f64 v[28:29], v[51:52], v[28:29], -v[55:56]
	v_fma_f64 v[47:48], v[47:48], v[57:58], v[47:48]
	v_fma_f64 v[26:27], v[51:52], v[26:27], v[28:29]
	v_div_scale_f64 v[28:29], vcc, v[22:23], v[20:21], v[22:23]
	v_fma_f64 v[53:54], -v[30:31], v[47:48], 1.0
	v_add_f64 v[57:58], v[55:56], v[26:27]
	v_fma_f64 v[47:48], v[47:48], v[53:54], v[47:48]
	v_add_f64 v[53:54], v[49:50], -v[57:58]
	v_add_f64 v[55:56], v[57:58], -v[55:56]
	v_mul_f64 v[59:60], v[28:29], v[47:48]
	v_add_f64 v[49:50], v[49:50], -v[53:54]
	v_add_f64 v[26:27], v[55:56], -v[26:27]
	v_fma_f64 v[28:29], -v[30:31], v[59:60], v[28:29]
	v_add_f64 v[30:31], v[49:50], -v[57:58]
	v_div_fmas_f64 v[28:29], v[28:29], v[47:48], v[59:60]
	v_subbrev_co_u32_e64 v5, vcc, 0, v5, s[12:13]
	v_cmp_eq_f64_e64 s[12:13], 0, v[7:8]
	v_cmp_gt_i32_e32 vcc, 0, v6
	v_add_f64 v[26:27], v[26:27], v[30:31]
	v_add_f64 v[26:27], v[53:54], v[26:27]
	v_div_fixup_f64 v[20:21], v[28:29], v[20:21], v[22:23]
	v_mul_f64 v[22:23], v[24:25], v[26:27]
	v_mul_f64 v[24:25], v[20:21], v[20:21]
	v_add_f64 v[26:27], v[51:52], v[22:23]
	v_fma_f64 v[28:29], v[24:25], s[54:55], v[37:38]
	v_mul_f64 v[30:31], v[26:27], v[26:27]
	v_fma_f64 v[28:29], v[24:25], v[28:29], s[52:53]
	v_fma_f64 v[47:48], v[30:31], s[34:35], v[35:36]
	v_mul_f64 v[49:50], v[26:27], v[30:31]
	v_fma_f64 v[28:29], v[24:25], v[28:29], s[14:15]
	s_mov_b32 s14, 0xa595c56f
	s_mov_b32 s15, 0x3f7d6d43
	v_fma_f64 v[47:48], v[30:31], v[47:48], s[36:37]
	v_fma_f64 v[28:29], v[24:25], v[28:29], s[14:15]
	s_mov_b32 s14, 0xa57d9582
	s_mov_b32 s15, 0xbf8c6ea4
	v_fma_f64 v[47:48], v[30:31], v[47:48], s[38:39]
	;; [unrolled: 4-line block ×4, first 2 shown]
	v_fma_f64 v[28:29], v[24:25], v[28:29], s[14:15]
	v_cmp_class_f64_e64 s[14:15], v[18:19], s61
	v_fma_f64 v[30:31], v[30:31], v[47:48], s[30:31]
	v_ldexp_f64 v[47:48], v[26:27], 1
	v_add_f64 v[26:27], v[26:27], -v[51:52]
	v_fma_f64 v[28:29], v[24:25], v[28:29], s[62:63]
	v_cvt_f64_i32_e32 v[51:52], v5
	v_ashrrev_i32_e32 v5, 31, v6
	v_and_b32_e32 v17, 0x54442d18, v5
	v_mul_f64 v[30:31], v[49:50], v[30:31]
	v_mul_f64 v[53:54], v[51:52], s[44:45]
	v_add_f64 v[22:23], v[22:23], -v[26:27]
	v_fma_f64 v[28:29], v[24:25], v[28:29], s[64:65]
	v_add_f64 v[49:50], v[47:48], v[30:31]
	v_ldexp_f64 v[22:23], v[22:23], 1
	v_fma_f64 v[28:29], v[24:25], v[28:29], s[66:67]
	v_add_f64 v[26:27], v[49:50], -v[47:48]
	v_fma_f64 v[47:48], v[51:52], s[44:45], -v[53:54]
	v_fma_f64 v[28:29], v[24:25], v[28:29], s[68:69]
	v_add_f64 v[26:27], v[30:31], -v[26:27]
	v_fma_f64 v[30:31], v[51:52], s[46:47], v[47:48]
	v_fma_f64 v[28:29], v[24:25], v[28:29], s[70:71]
	v_add_f64 v[22:23], v[22:23], v[26:27]
	v_fma_f64 v[26:27], v[24:25], v[28:29], s[72:73]
	v_add_f64 v[28:29], v[53:54], v[30:31]
	v_add_f64 v[47:48], v[49:50], v[22:23]
	v_fma_f64 v[26:27], v[24:25], v[26:27], s[74:75]
	v_add_f64 v[53:54], v[28:29], -v[53:54]
	v_add_f64 v[51:52], v[28:29], v[47:48]
	v_add_f64 v[49:50], v[47:48], -v[49:50]
	v_fma_f64 v[26:27], v[24:25], v[26:27], s[76:77]
	v_add_f64 v[30:31], v[30:31], -v[53:54]
	v_add_f64 v[55:56], v[51:52], -v[28:29]
	;; [unrolled: 1-line block ×3, first 2 shown]
	v_fma_f64 v[26:27], v[24:25], v[26:27], s[78:79]
	v_add_f64 v[57:58], v[51:52], -v[55:56]
	v_add_f64 v[47:48], v[47:48], -v[55:56]
	v_add_f64 v[49:50], v[30:31], v[22:23]
	v_fma_f64 v[26:27], v[24:25], v[26:27], s[80:81]
	v_add_f64 v[28:29], v[28:29], -v[57:58]
	v_fma_f64 v[26:27], v[24:25], v[26:27], s[82:83]
	v_add_f64 v[28:29], v[47:48], v[28:29]
	v_add_f64 v[47:48], v[49:50], -v[30:31]
	v_fma_f64 v[26:27], v[24:25], v[26:27], s[84:85]
	v_add_f64 v[28:29], v[49:50], v[28:29]
	v_add_f64 v[22:23], v[22:23], -v[47:48]
	v_mul_f64 v[24:25], v[24:25], v[26:27]
	v_add_f64 v[26:27], v[49:50], -v[47:48]
	v_add_f64 v[49:50], v[51:52], v[28:29]
	v_fma_f64 v[20:21], v[20:21], v[24:25], v[20:21]
	v_add_f64 v[24:25], v[30:31], -v[26:27]
	v_add_f64 v[26:27], v[49:50], -v[51:52]
	v_add_f64 v[30:31], -v[20:21], s[28:29]
	v_add_f64 v[22:23], v[22:23], v[24:25]
	v_add_f64 v[24:25], v[28:29], -v[26:27]
	v_cndmask_b32_e64 v21, v21, v31, s[10:11]
	v_cndmask_b32_e64 v20, v20, v30, s[10:11]
	v_add_f64 v[26:27], -v[20:21], s[86:87]
	v_add_f64 v[22:23], v[22:23], v[24:25]
	v_cndmask_b32_e32 v25, v68, v69, vcc
	v_cndmask_b32_e32 v24, v66, v67, vcc
	;; [unrolled: 1-line block ×3, first 2 shown]
	v_and_b32_e32 v26, 0x400921fb, v5
	v_cndmask_b32_e32 v21, v21, v27, vcc
	v_add_f64 v[5:6], v[49:50], v[22:23]
	v_cndmask_b32_e64 v23, v20, v17, s[12:13]
	v_cndmask_b32_e64 v17, v21, v26, s[12:13]
	v_cmp_ngt_f64_e64 s[12:13], 0, v[18:19]
	v_bfi_b32 v22, s60, v25, v8
	s_and_b64 vcc, s[48:49], s[24:25]
	v_cndmask_b32_e32 v20, v17, v22, vcc
	v_cndmask_b32_e64 v6, v6, v19, s[14:15]
	v_cndmask_b32_e64 v5, v5, v18, s[14:15]
	;; [unrolled: 1-line block ×3, first 2 shown]
	v_cmp_nge_f64_e64 s[12:13], 0, v[18:19]
	v_cndmask_b32_e64 v17, 0, v5, s[12:13]
	v_cmp_neq_f64_e64 s[12:13], 0, v[18:19]
	v_cndmask_b32_e32 v19, v23, v24, vcc
	v_cndmask_b32_e64 v18, v65, v6, s[12:13]
.LBB173_29:                             ;   in Loop: Header=BB173_4 Depth=1
	s_or_b64 exec, exec, s[16:17]
                                        ; implicit-def: $vgpr21_vgpr22
.LBB173_30:                             ;   in Loop: Header=BB173_4 Depth=1
	s_andn2_saveexec_b64 s[4:5], s[4:5]
	s_cbranch_execz .LBB173_36
; %bb.31:                               ;   in Loop: Header=BB173_4 Depth=1
	s_mov_b32 s12, 0x6a3f9475
	s_mov_b32 s13, 0x20ca2fe7
	v_cmp_ngt_f64_e32 vcc, s[12:13], v[21:22]
                                        ; implicit-def: $vgpr17_vgpr18
	s_and_saveexec_b64 s[12:13], vcc
	s_xor_b64 s[16:17], exec, s[12:13]
	s_cbranch_execz .LBB173_33
; %bb.32:                               ;   in Loop: Header=BB173_4 Depth=1
	v_mul_f64 v[17:18], v[21:22], v[21:22]
	s_mov_b32 s31, s89
	s_mov_b32 s86, s28
	s_mov_b32 s14, 0
	v_cmp_class_f64_e64 s[24:25], v[7:8], s61
	v_cmp_class_f64_e64 s[48:49], v[5:6], s61
	s_mov_b32 s15, 0x7ff00000
	v_add_f64 v[19:20], v[17:18], 1.0
	v_cmp_neq_f64_e64 s[14:15], s[14:15], v[17:18]
	v_frexp_mant_f64_e32 v[23:24], v[19:20]
	v_frexp_exp_i32_f64_e32 v27, v[19:20]
	v_add_f64 v[21:22], v[19:20], -1.0
	v_cmp_gt_f64_e32 vcc, s[88:89], v[23:24]
	v_add_f64 v[25:26], v[21:22], -v[19:20]
	v_add_f64 v[21:22], v[17:18], -v[21:22]
	v_subbrev_co_u32_e32 v31, vcc, 0, v27, vcc
	v_sub_u32_e32 v27, 0, v31
	v_ldexp_f64 v[19:20], v[19:20], v27
	v_add_f64 v[23:24], v[25:26], 1.0
	v_cvt_f64_i32_e32 v[31:32], v31
	v_add_f64 v[25:26], v[19:20], 1.0
	v_add_f64 v[21:22], v[21:22], v[23:24]
	v_add_f64 v[47:48], v[19:20], -1.0
	v_add_f64 v[23:24], v[25:26], -1.0
	v_ldexp_f64 v[21:22], v[21:22], v27
	v_add_f64 v[49:50], v[47:48], 1.0
	v_add_f64 v[23:24], v[19:20], -v[23:24]
	v_add_f64 v[19:20], v[19:20], -v[49:50]
	v_add_f64 v[27:28], v[21:22], v[23:24]
	v_add_f64 v[49:50], v[21:22], v[19:20]
	;; [unrolled: 1-line block ×3, first 2 shown]
	v_rcp_f64_e32 v[29:30], v[23:24]
	v_add_f64 v[25:26], v[25:26], -v[23:24]
	v_add_f64 v[27:28], v[27:28], v[25:26]
	v_fma_f64 v[51:52], -v[23:24], v[29:30], 1.0
	v_fma_f64 v[29:30], v[51:52], v[29:30], v[29:30]
	v_add_f64 v[51:52], v[47:48], v[49:50]
	v_fma_f64 v[19:20], -v[23:24], v[29:30], 1.0
	v_add_f64 v[47:48], v[47:48], -v[51:52]
	v_fma_f64 v[19:20], v[19:20], v[29:30], v[29:30]
	v_add_f64 v[47:48], v[49:50], v[47:48]
	v_mul_f64 v[21:22], v[51:52], v[19:20]
	v_mul_f64 v[29:30], v[23:24], v[21:22]
	v_fma_f64 v[25:26], v[21:22], v[23:24], -v[29:30]
	v_fma_f64 v[53:54], v[21:22], v[27:28], v[25:26]
	v_add_f64 v[55:56], v[29:30], v[53:54]
	v_add_f64 v[25:26], v[51:52], -v[55:56]
	v_add_f64 v[29:30], v[55:56], -v[29:30]
	v_add_f64 v[51:52], v[51:52], -v[25:26]
	v_add_f64 v[29:30], v[29:30], -v[53:54]
	v_add_f64 v[49:50], v[51:52], -v[55:56]
	v_add_f64 v[47:48], v[47:48], v[49:50]
	v_max_f64 v[49:50], |v[5:6]|, |v[5:6]|
	v_ashrrev_i32_e32 v5, 31, v6
	v_add_f64 v[29:30], v[29:30], v[47:48]
	v_max_f64 v[47:48], |v[7:8]|, |v[7:8]|
	v_add_f64 v[51:52], v[25:26], v[29:30]
	v_max_f64 v[53:54], v[49:50], v[47:48]
	v_min_f64 v[47:48], v[49:50], v[47:48]
	v_mul_f64 v[49:50], v[19:20], v[51:52]
	v_add_f64 v[25:26], v[25:26], -v[51:52]
	v_div_scale_f64 v[55:56], s[12:13], v[53:54], v[53:54], v[47:48]
	s_mov_b32 s12, 0xaf56de9b
	s_mov_b32 s13, 0xbf67952d
	v_mul_f64 v[57:58], v[23:24], v[49:50]
	v_add_f64 v[25:26], v[29:30], v[25:26]
	v_fma_f64 v[23:24], v[49:50], v[23:24], -v[57:58]
	v_rcp_f64_e32 v[59:60], v[55:56]
	v_fma_f64 v[23:24], v[49:50], v[27:28], v[23:24]
	v_add_f64 v[27:28], v[57:58], v[23:24]
	v_fma_f64 v[61:62], -v[55:56], v[59:60], 1.0
	v_add_f64 v[70:71], v[51:52], -v[27:28]
	v_add_f64 v[29:30], v[27:28], -v[57:58]
	v_fma_f64 v[59:60], v[59:60], v[61:62], v[59:60]
	v_div_scale_f64 v[61:62], vcc, v[47:48], v[53:54], v[47:48]
	v_add_f64 v[51:52], v[51:52], -v[70:71]
	v_add_f64 v[23:24], v[29:30], -v[23:24]
	v_fma_f64 v[72:73], -v[55:56], v[59:60], 1.0
	v_add_f64 v[29:30], v[21:22], v[49:50]
	v_add_f64 v[27:28], v[51:52], -v[27:28]
	v_fma_f64 v[51:52], v[59:60], v[72:73], v[59:60]
	v_add_f64 v[21:22], v[29:30], -v[21:22]
	v_add_f64 v[25:26], v[25:26], v[27:28]
	v_mul_f64 v[27:28], v[61:62], v[51:52]
	v_add_f64 v[21:22], v[49:50], -v[21:22]
	v_add_f64 v[23:24], v[23:24], v[25:26]
	v_fma_f64 v[25:26], -v[55:56], v[27:28], v[61:62]
	v_add_f64 v[23:24], v[70:71], v[23:24]
	v_div_fmas_f64 v[25:26], v[25:26], v[51:52], v[27:28]
	v_cmp_gt_i32_e32 vcc, 0, v6
	v_mul_f64 v[19:20], v[19:20], v[23:24]
	v_add_f64 v[19:20], v[21:22], v[19:20]
	v_div_fixup_f64 v[21:22], v[25:26], v[53:54], v[47:48]
	v_add_f64 v[23:24], v[29:30], v[19:20]
	v_mul_f64 v[25:26], v[21:22], v[21:22]
	v_mul_f64 v[27:28], v[23:24], v[23:24]
	v_fma_f64 v[47:48], v[25:26], s[54:55], v[37:38]
	v_fma_f64 v[49:50], v[27:28], s[34:35], v[35:36]
	v_mul_f64 v[51:52], v[23:24], v[27:28]
	v_fma_f64 v[47:48], v[25:26], v[47:48], s[52:53]
	v_fma_f64 v[49:50], v[27:28], v[49:50], s[36:37]
	;; [unrolled: 1-line block ×3, first 2 shown]
	s_mov_b32 s12, 0xa595c56f
	s_mov_b32 s13, 0x3f7d6d43
	v_fma_f64 v[49:50], v[27:28], v[49:50], s[38:39]
	v_fma_f64 v[47:48], v[25:26], v[47:48], s[12:13]
	s_mov_b32 s12, 0xa57d9582
	s_mov_b32 s13, 0xbf8c6ea4
	v_fma_f64 v[49:50], v[27:28], v[49:50], s[40:41]
	v_fma_f64 v[47:48], v[25:26], v[47:48], s[12:13]
	;; [unrolled: 4-line block ×3, first 2 shown]
	s_mov_b32 s12, 0xfc27006a
	s_mov_b32 s13, 0xbf9e9ae6
	v_fma_f64 v[27:28], v[27:28], v[49:50], s[30:31]
	v_ldexp_f64 v[49:50], v[23:24], 1
	v_fma_f64 v[47:48], v[25:26], v[47:48], s[12:13]
	v_add_f64 v[23:24], v[23:24], -v[29:30]
	v_cmp_eq_f64_e64 s[12:13], 0, v[7:8]
	v_mul_f64 v[27:28], v[51:52], v[27:28]
	v_mul_f64 v[51:52], v[31:32], s[44:45]
	v_fma_f64 v[47:48], v[25:26], v[47:48], s[62:63]
	v_add_f64 v[19:20], v[19:20], -v[23:24]
	v_add_f64 v[29:30], v[49:50], v[27:28]
	v_fma_f64 v[47:48], v[25:26], v[47:48], s[64:65]
	v_ldexp_f64 v[19:20], v[19:20], 1
	v_add_f64 v[23:24], v[29:30], -v[49:50]
	v_fma_f64 v[49:50], v[31:32], s[44:45], -v[51:52]
	v_fma_f64 v[47:48], v[25:26], v[47:48], s[66:67]
	v_add_f64 v[23:24], v[27:28], -v[23:24]
	v_fma_f64 v[31:32], v[31:32], s[46:47], v[49:50]
	v_fma_f64 v[27:28], v[25:26], v[47:48], s[68:69]
	v_add_f64 v[19:20], v[19:20], v[23:24]
	v_fma_f64 v[23:24], v[25:26], v[27:28], s[70:71]
	v_add_f64 v[27:28], v[51:52], v[31:32]
	v_add_f64 v[47:48], v[29:30], v[19:20]
	v_fma_f64 v[23:24], v[25:26], v[23:24], s[72:73]
	v_add_f64 v[51:52], v[27:28], -v[51:52]
	v_add_f64 v[49:50], v[27:28], v[47:48]
	v_add_f64 v[29:30], v[47:48], -v[29:30]
	v_fma_f64 v[23:24], v[25:26], v[23:24], s[74:75]
	v_add_f64 v[31:32], v[31:32], -v[51:52]
	v_add_f64 v[53:54], v[49:50], -v[27:28]
	;; [unrolled: 1-line block ×3, first 2 shown]
	v_fma_f64 v[23:24], v[25:26], v[23:24], s[76:77]
	v_add_f64 v[55:56], v[49:50], -v[53:54]
	v_add_f64 v[29:30], v[47:48], -v[53:54]
	v_fma_f64 v[23:24], v[25:26], v[23:24], s[78:79]
	v_add_f64 v[47:48], v[31:32], v[19:20]
	v_add_f64 v[27:28], v[27:28], -v[55:56]
	v_fma_f64 v[23:24], v[25:26], v[23:24], s[80:81]
	v_add_f64 v[27:28], v[29:30], v[27:28]
	v_add_f64 v[29:30], v[47:48], -v[31:32]
	v_fma_f64 v[23:24], v[25:26], v[23:24], s[82:83]
	v_add_f64 v[27:28], v[47:48], v[27:28]
	v_add_f64 v[47:48], v[47:48], -v[29:30]
	v_fma_f64 v[23:24], v[25:26], v[23:24], s[84:85]
	v_add_f64 v[19:20], v[19:20], -v[29:30]
	v_add_f64 v[51:52], v[49:50], v[27:28]
	v_mul_f64 v[23:24], v[25:26], v[23:24]
	v_add_f64 v[25:26], v[31:32], -v[47:48]
	v_add_f64 v[29:30], v[51:52], -v[49:50]
	v_fma_f64 v[21:22], v[21:22], v[23:24], v[21:22]
	v_add_f64 v[19:20], v[19:20], v[25:26]
	v_add_f64 v[23:24], v[27:28], -v[29:30]
	v_and_b32_e32 v27, 0x400921fb, v5
	v_add_f64 v[25:26], -v[21:22], s[28:29]
	v_add_f64 v[19:20], v[19:20], v[23:24]
	v_cndmask_b32_e64 v22, v22, v26, s[10:11]
	v_cndmask_b32_e64 v21, v21, v25, s[10:11]
	v_add_f64 v[23:24], -v[21:22], s[86:87]
	v_and_b32_e32 v26, 0x54442d18, v5
	v_cndmask_b32_e32 v25, v66, v67, vcc
	v_add_f64 v[19:20], v[51:52], v[19:20]
	v_cndmask_b32_e32 v21, v21, v23, vcc
	v_cndmask_b32_e32 v23, v68, v69, vcc
	v_cndmask_b32_e32 v18, v22, v24, vcc
	v_bfi_b32 v17, s60, v23, v8
	v_mul_f64 v[5:6], v[19:20], 0.5
	v_cndmask_b32_e64 v19, v21, v26, s[12:13]
	v_cndmask_b32_e64 v18, v18, v27, s[12:13]
	s_and_b64 vcc, s[24:25], s[48:49]
	v_cndmask_b32_e32 v20, v18, v17, vcc
	v_cndmask_b32_e32 v19, v19, v25, vcc
                                        ; implicit-def: $vgpr21_vgpr22
	v_cndmask_b32_e64 v18, v63, v6, s[14:15]
	v_cndmask_b32_e64 v17, 0, v5, s[14:15]
.LBB173_33:                             ;   in Loop: Header=BB173_4 Depth=1
	s_andn2_saveexec_b64 s[14:15], s[16:17]
	s_cbranch_execz .LBB173_35
; %bb.34:                               ;   in Loop: Header=BB173_4 Depth=1
	v_max_f64 v[17:18], |v[7:8]|, |v[7:8]|
	v_max_f64 v[19:20], |v[5:6]|, |v[5:6]|
	s_mov_b32 s86, s28
	v_cmp_class_f64_e64 s[16:17], v[7:8], s61
	v_cmp_class_f64_e64 s[24:25], v[5:6], s61
	v_max_f64 v[23:24], v[19:20], v[17:18]
	v_min_f64 v[17:18], v[19:20], v[17:18]
	v_div_scale_f64 v[19:20], s[12:13], v[23:24], v[23:24], v[17:18]
	s_mov_b32 s12, 0xaf56de9b
	s_mov_b32 s13, 0xbf67952d
	v_rcp_f64_e32 v[25:26], v[19:20]
	v_fma_f64 v[27:28], -v[19:20], v[25:26], 1.0
	v_fma_f64 v[25:26], v[25:26], v[27:28], v[25:26]
	v_div_scale_f64 v[27:28], vcc, v[17:18], v[23:24], v[17:18]
	v_fma_f64 v[29:30], -v[19:20], v[25:26], 1.0
	v_fma_f64 v[25:26], v[25:26], v[29:30], v[25:26]
	v_mul_f64 v[29:30], v[27:28], v[25:26]
	v_fma_f64 v[19:20], -v[19:20], v[29:30], v[27:28]
	v_div_fmas_f64 v[19:20], v[19:20], v[25:26], v[29:30]
	v_ashrrev_i32_e32 v25, 31, v6
	v_cmp_gt_i32_e32 vcc, 0, v6
	v_and_b32_e32 v27, 0x54442d18, v25
	v_cndmask_b32_e32 v5, v68, v69, vcc
	v_and_b32_e32 v6, 0x400921fb, v25
	v_cndmask_b32_e32 v26, v66, v67, vcc
	v_bfi_b32 v5, s60, v5, v8
	v_div_fixup_f64 v[17:18], v[19:20], v[23:24], v[17:18]
	v_mul_f64 v[19:20], v[17:18], v[17:18]
	v_fma_f64 v[23:24], v[19:20], s[54:55], v[37:38]
	v_fma_f64 v[23:24], v[19:20], v[23:24], s[52:53]
	;; [unrolled: 1-line block ×3, first 2 shown]
	s_mov_b32 s12, 0xa595c56f
	s_mov_b32 s13, 0x3f7d6d43
	v_fma_f64 v[23:24], v[19:20], v[23:24], s[12:13]
	s_mov_b32 s12, 0xa57d9582
	s_mov_b32 s13, 0xbf8c6ea4
	v_fma_f64 v[23:24], v[19:20], v[23:24], s[12:13]
	s_mov_b32 s12, 0x5f08b19f
	s_mov_b32 s13, 0x3f967e29
	v_fma_f64 v[23:24], v[19:20], v[23:24], s[12:13]
	s_mov_b32 s12, 0xfc27006a
	s_mov_b32 s13, 0xbf9e9ae6
	v_fma_f64 v[23:24], v[19:20], v[23:24], s[12:13]
	v_cmp_eq_f64_e64 s[12:13], 0, v[7:8]
	v_fma_f64 v[23:24], v[19:20], v[23:24], s[62:63]
	v_fma_f64 v[23:24], v[19:20], v[23:24], s[64:65]
	;; [unrolled: 1-line block ×12, first 2 shown]
	v_mul_f64 v[19:20], v[19:20], v[23:24]
	v_fma_f64 v[17:18], v[17:18], v[19:20], v[17:18]
	v_add_f64 v[19:20], -v[17:18], s[28:29]
	v_cndmask_b32_e64 v20, v18, v20, s[10:11]
	v_cndmask_b32_e64 v19, v17, v19, s[10:11]
	v_mul_f64 v[17:18], v[21:22], 0.5
	v_add_f64 v[23:24], -v[19:20], s[86:87]
	v_mul_f64 v[17:18], v[21:22], v[17:18]
	v_cndmask_b32_e32 v19, v19, v23, vcc
	v_cndmask_b32_e32 v20, v20, v24, vcc
	v_cndmask_b32_e64 v19, v19, v27, s[12:13]
	v_cndmask_b32_e64 v6, v20, v6, s[12:13]
	s_and_b64 vcc, s[16:17], s[24:25]
	v_cndmask_b32_e32 v20, v6, v5, vcc
	v_cndmask_b32_e32 v19, v19, v26, vcc
.LBB173_35:                             ;   in Loop: Header=BB173_4 Depth=1
	s_or_b64 exec, exec, s[14:15]
.LBB173_36:                             ;   in Loop: Header=BB173_4 Depth=1
	s_or_b64 exec, exec, s[4:5]
.LBB173_37:                             ;   in Loop: Header=BB173_4 Depth=1
	s_andn2_saveexec_b64 s[4:5], s[18:19]
	s_cbranch_execz .LBB173_39
; %bb.38:                               ;   in Loop: Header=BB173_4 Depth=1
	v_div_scale_f64 v[17:18], s[12:13], s[92:93], s[92:93], v[5:6]
	v_div_scale_f64 v[19:20], s[12:13], s[92:93], s[92:93], v[7:8]
	;; [unrolled: 1-line block ×3, first 2 shown]
	s_mov_b32 s31, s89
	s_mov_b32 s86, s28
	v_cmp_class_f64_e64 s[16:17], v[5:6], s61
	v_rcp_f64_e32 v[21:22], v[17:18]
	v_rcp_f64_e32 v[23:24], v[19:20]
	v_fma_f64 v[25:26], -v[17:18], v[21:22], 1.0
	v_fma_f64 v[27:28], -v[19:20], v[23:24], 1.0
	v_fma_f64 v[21:22], v[21:22], v[25:26], v[21:22]
	v_div_scale_f64 v[25:26], vcc, v[5:6], s[92:93], v[5:6]
	v_fma_f64 v[23:24], v[23:24], v[27:28], v[23:24]
	v_fma_f64 v[27:28], -v[17:18], v[21:22], 1.0
	v_fma_f64 v[31:32], -v[19:20], v[23:24], 1.0
	v_fma_f64 v[21:22], v[21:22], v[27:28], v[21:22]
	v_fma_f64 v[23:24], v[23:24], v[31:32], v[23:24]
	v_mul_f64 v[27:28], v[25:26], v[21:22]
	v_mul_f64 v[31:32], v[29:30], v[23:24]
	v_fma_f64 v[17:18], -v[17:18], v[27:28], v[25:26]
	v_fma_f64 v[19:20], -v[19:20], v[31:32], v[29:30]
	v_div_fmas_f64 v[17:18], v[17:18], v[21:22], v[27:28]
	s_mov_b64 vcc, s[12:13]
	v_div_fmas_f64 v[19:20], v[19:20], v[23:24], v[31:32]
	v_max_f64 v[30:31], |v[5:6]|, |v[5:6]|
	v_div_fixup_f64 v[17:18], v[17:18], s[92:93], v[5:6]
	v_ashrrev_i32_e32 v5, 31, v6
	v_div_fixup_f64 v[19:20], v[19:20], s[92:93], v[7:8]
	v_cmp_class_f64_e64 s[12:13], v[17:18], s61
	v_max_f64 v[21:22], |v[17:18]|, |v[19:20]|
	v_cmp_class_f64_e64 s[14:15], v[19:20], s61
	v_frexp_exp_i32_f64_e32 v29, v[21:22]
	v_sub_u32_e32 v23, 0, v29
	v_ldexp_f64 v[21:22], |v[19:20]|, v23
	v_ldexp_f64 v[23:24], |v[17:18]|, v23
	v_mul_f64 v[21:22], v[21:22], v[21:22]
	v_fma_f64 v[21:22], v[23:24], v[23:24], v[21:22]
	v_rsq_f64_e32 v[23:24], v[21:22]
	v_cmp_eq_f64_e32 vcc, 0, v[21:22]
	v_mul_f64 v[25:26], v[21:22], v[23:24]
	v_mul_f64 v[23:24], v[23:24], 0.5
	v_fma_f64 v[27:28], -v[23:24], v[25:26], 0.5
	v_fma_f64 v[25:26], v[25:26], v[27:28], v[25:26]
	v_fma_f64 v[23:24], v[23:24], v[27:28], v[23:24]
	v_fma_f64 v[27:28], -v[25:26], v[25:26], v[21:22]
	v_fma_f64 v[23:24], v[27:28], v[23:24], v[25:26]
	v_cndmask_b32_e32 v22, v24, v22, vcc
	v_cndmask_b32_e32 v21, v23, v21, vcc
	v_ldexp_f64 v[21:22], v[21:22], v29
	v_cmp_o_f64_e32 vcc, v[17:18], v[19:20]
	v_max_f64 v[28:29], |v[7:8]|, |v[7:8]|
	v_cndmask_b32_e32 v17, 0, v21, vcc
	v_cndmask_b32_e32 v18, v64, v22, vcc
	s_or_b64 vcc, s[14:15], s[12:13]
	v_cndmask_b32_e32 v19, v18, v63, vcc
	v_cndmask_b32_e64 v18, v17, 0, vcc
	v_frexp_mant_f64_e32 v[20:21], v[18:19]
	v_cmp_gt_f64_e64 s[12:13], s[88:89], v[20:21]
	v_cndmask_b32_e64 v17, 0, 1, s[12:13]
	v_ldexp_f64 v[20:21], v[20:21], v17
	v_frexp_exp_i32_f64_e32 v17, v[18:19]
	v_add_f64 v[22:23], v[20:21], 1.0
	v_add_f64 v[49:50], v[20:21], -1.0
	v_rcp_f64_e32 v[24:25], v[22:23]
	v_add_f64 v[53:54], v[22:23], -1.0
	v_add_f64 v[20:21], v[20:21], -v[53:54]
	v_fma_f64 v[26:27], -v[22:23], v[24:25], 1.0
	v_fma_f64 v[24:25], v[26:27], v[24:25], v[24:25]
	v_max_f64 v[26:27], v[30:31], v[28:29]
	v_min_f64 v[28:29], v[30:31], v[28:29]
	v_fma_f64 v[30:31], -v[22:23], v[24:25], 1.0
	v_div_scale_f64 v[47:48], s[14:15], v[26:27], v[26:27], v[28:29]
	s_mov_b32 s14, 0xaf56de9b
	s_mov_b32 s15, 0xbf67952d
	v_fma_f64 v[24:25], v[30:31], v[24:25], v[24:25]
	v_mul_f64 v[30:31], v[49:50], v[24:25]
	v_rcp_f64_e32 v[51:52], v[47:48]
	v_mul_f64 v[55:56], v[22:23], v[30:31]
	v_fma_f64 v[22:23], v[30:31], v[22:23], -v[55:56]
	v_fma_f64 v[53:54], -v[47:48], v[51:52], 1.0
	v_fma_f64 v[20:21], v[30:31], v[20:21], v[22:23]
	v_fma_f64 v[22:23], v[51:52], v[53:54], v[51:52]
	v_div_scale_f64 v[53:54], vcc, v[28:29], v[26:27], v[28:29]
	v_add_f64 v[51:52], v[55:56], v[20:21]
	v_fma_f64 v[57:58], -v[47:48], v[22:23], 1.0
	v_add_f64 v[59:60], v[49:50], -v[51:52]
	v_add_f64 v[55:56], v[51:52], -v[55:56]
	v_fma_f64 v[22:23], v[22:23], v[57:58], v[22:23]
	v_add_f64 v[49:50], v[49:50], -v[59:60]
	v_add_f64 v[20:21], v[55:56], -v[20:21]
	v_mul_f64 v[57:58], v[53:54], v[22:23]
	v_add_f64 v[49:50], v[49:50], -v[51:52]
	v_fma_f64 v[47:48], -v[47:48], v[57:58], v[53:54]
	v_add_f64 v[20:21], v[20:21], v[49:50]
	v_div_fmas_f64 v[22:23], v[47:48], v[22:23], v[57:58]
	v_subbrev_co_u32_e64 v17, vcc, 0, v17, s[12:13]
	v_cmp_gt_i32_e32 vcc, 0, v6
	v_cmp_eq_f64_e64 s[12:13], 0, v[7:8]
	v_add_f64 v[20:21], v[59:60], v[20:21]
	v_mul_f64 v[20:21], v[24:25], v[20:21]
	v_div_fixup_f64 v[22:23], v[22:23], v[26:27], v[28:29]
	v_add_f64 v[24:25], v[30:31], v[20:21]
	v_mul_f64 v[26:27], v[22:23], v[22:23]
	v_mul_f64 v[28:29], v[24:25], v[24:25]
	v_fma_f64 v[47:48], v[26:27], s[54:55], v[37:38]
	v_fma_f64 v[49:50], v[28:29], s[34:35], v[35:36]
	v_mul_f64 v[51:52], v[24:25], v[28:29]
	v_fma_f64 v[47:48], v[26:27], v[47:48], s[52:53]
	v_fma_f64 v[49:50], v[28:29], v[49:50], s[36:37]
	;; [unrolled: 1-line block ×3, first 2 shown]
	s_mov_b32 s14, 0xa595c56f
	s_mov_b32 s15, 0x3f7d6d43
	v_fma_f64 v[49:50], v[28:29], v[49:50], s[38:39]
	v_fma_f64 v[47:48], v[26:27], v[47:48], s[14:15]
	s_mov_b32 s14, 0xa57d9582
	s_mov_b32 s15, 0xbf8c6ea4
	v_fma_f64 v[49:50], v[28:29], v[49:50], s[40:41]
	v_fma_f64 v[47:48], v[26:27], v[47:48], s[14:15]
	;; [unrolled: 4-line block ×3, first 2 shown]
	s_mov_b32 s14, 0xfc27006a
	s_mov_b32 s15, 0xbf9e9ae6
	v_fma_f64 v[28:29], v[28:29], v[49:50], s[30:31]
	v_ldexp_f64 v[49:50], v[24:25], 1
	v_fma_f64 v[47:48], v[26:27], v[47:48], s[14:15]
	v_add_f64 v[24:25], v[24:25], -v[30:31]
	v_cmp_class_f64_e64 s[14:15], v[7:8], s61
	v_mul_f64 v[28:29], v[51:52], v[28:29]
	v_cvt_f64_i32_e32 v[51:52], v17
	v_fma_f64 v[47:48], v[26:27], v[47:48], s[62:63]
	v_add_f64 v[20:21], v[20:21], -v[24:25]
	v_cndmask_b32_e32 v17, v68, v69, vcc
	v_mul_f64 v[53:54], v[51:52], s[44:45]
	v_bfi_b32 v17, s60, v17, v8
	v_add_f64 v[30:31], v[49:50], v[28:29]
	v_fma_f64 v[47:48], v[26:27], v[47:48], s[64:65]
	v_ldexp_f64 v[20:21], v[20:21], 1
	v_add_f64 v[24:25], v[30:31], -v[49:50]
	v_fma_f64 v[49:50], v[51:52], s[44:45], -v[53:54]
	v_fma_f64 v[47:48], v[26:27], v[47:48], s[66:67]
	v_add_f64 v[24:25], v[28:29], -v[24:25]
	v_fma_f64 v[28:29], v[26:27], v[47:48], s[68:69]
	v_fma_f64 v[47:48], v[51:52], s[46:47], v[49:50]
	v_add_f64 v[20:21], v[20:21], v[24:25]
	v_fma_f64 v[24:25], v[26:27], v[28:29], s[70:71]
	v_add_f64 v[28:29], v[53:54], v[47:48]
	v_add_f64 v[49:50], v[30:31], v[20:21]
	v_fma_f64 v[24:25], v[26:27], v[24:25], s[72:73]
	v_add_f64 v[53:54], v[28:29], -v[53:54]
	v_add_f64 v[51:52], v[28:29], v[49:50]
	v_add_f64 v[30:31], v[49:50], -v[30:31]
	v_fma_f64 v[24:25], v[26:27], v[24:25], s[74:75]
	v_add_f64 v[47:48], v[47:48], -v[53:54]
	v_add_f64 v[55:56], v[51:52], -v[28:29]
	;; [unrolled: 1-line block ×3, first 2 shown]
	v_fma_f64 v[24:25], v[26:27], v[24:25], s[76:77]
	v_add_f64 v[57:58], v[51:52], -v[55:56]
	v_add_f64 v[30:31], v[49:50], -v[55:56]
	v_fma_f64 v[24:25], v[26:27], v[24:25], s[78:79]
	v_add_f64 v[49:50], v[47:48], v[20:21]
	v_add_f64 v[28:29], v[28:29], -v[57:58]
	v_fma_f64 v[24:25], v[26:27], v[24:25], s[80:81]
	v_add_f64 v[28:29], v[30:31], v[28:29]
	;; [unrolled: 3-line block ×3, first 2 shown]
	v_add_f64 v[49:50], v[49:50], -v[30:31]
	v_fma_f64 v[24:25], v[26:27], v[24:25], s[84:85]
	v_add_f64 v[20:21], v[20:21], -v[30:31]
	v_add_f64 v[53:54], v[51:52], v[28:29]
	v_mul_f64 v[24:25], v[26:27], v[24:25]
	v_add_f64 v[26:27], v[47:48], -v[49:50]
	v_add_f64 v[30:31], v[53:54], -v[51:52]
	v_fma_f64 v[22:23], v[22:23], v[24:25], v[22:23]
	v_add_f64 v[20:21], v[20:21], v[26:27]
	v_add_f64 v[24:25], v[28:29], -v[30:31]
	v_add_f64 v[26:27], -v[22:23], s[28:29]
	v_add_f64 v[20:21], v[20:21], v[24:25]
	v_cndmask_b32_e64 v23, v23, v27, s[10:11]
	v_cndmask_b32_e64 v22, v22, v26, s[10:11]
	v_add_f64 v[24:25], -v[22:23], s[86:87]
	v_cmp_class_f64_e64 s[10:11], v[18:19], s61
	v_and_b32_e32 v27, 0x54442d18, v5
	v_cndmask_b32_e32 v26, v66, v67, vcc
	v_add_f64 v[20:21], v[53:54], v[20:21]
	v_cndmask_b32_e32 v22, v22, v24, vcc
	v_and_b32_e32 v24, 0x400921fb, v5
	v_cndmask_b32_e64 v6, v21, v19, s[10:11]
	v_cndmask_b32_e64 v5, v20, v18, s[10:11]
	v_add_f64 v[5:6], v[5:6], 1.0
	v_cmp_ngt_f64_e64 s[10:11], 0, v[18:19]
	v_cndmask_b32_e32 v20, v23, v25, vcc
	v_cndmask_b32_e64 v20, v20, v24, s[12:13]
	s_and_b64 vcc, s[14:15], s[16:17]
	v_cndmask_b32_e32 v20, v20, v17, vcc
	v_cndmask_b32_e64 v21, v22, v27, s[12:13]
	v_cndmask_b32_e64 v6, v64, v6, s[10:11]
	v_cmp_nge_f64_e64 s[10:11], 0, v[18:19]
	v_cndmask_b32_e64 v17, 0, v5, s[10:11]
	v_cmp_neq_f64_e64 s[10:11], 0, v[18:19]
	v_cndmask_b32_e32 v19, v21, v26, vcc
	v_cndmask_b32_e64 v18, v65, v6, s[10:11]
.LBB173_39:                             ;   in Loop: Header=BB173_4 Depth=1
	s_or_b64 exec, exec, s[4:5]
.LBB173_40:                             ;   in Loop: Header=BB173_4 Depth=1
	s_andn2_saveexec_b64 s[4:5], s[90:91]
	s_cbranch_execz .LBB173_46
; %bb.41:                               ;   in Loop: Header=BB173_4 Depth=1
	v_cmp_nlt_f64_e64 s[10:11], |v[5:6]|, s[26:27]
	v_cmp_nlt_f64_e64 s[12:13], |v[7:8]|, s[26:27]
                                        ; implicit-def: $vgpr21_vgpr22
	s_or_b64 s[10:11], s[12:13], s[10:11]
	s_and_saveexec_b64 s[12:13], s[10:11]
	s_xor_b64 s[10:11], exec, s[12:13]
	s_cbranch_execz .LBB173_43
; %bb.42:                               ;   in Loop: Header=BB173_4 Depth=1
	v_mul_f64 v[5:6], v[5:6], v[5:6]
	v_fma_f64 v[21:22], v[7:8], v[7:8], v[5:6]
.LBB173_43:                             ;   in Loop: Header=BB173_4 Depth=1
	s_andn2_saveexec_b64 s[10:11], s[10:11]
	s_cbranch_execz .LBB173_45
; %bb.44:                               ;   in Loop: Header=BB173_4 Depth=1
	v_mul_f64 v[5:6], v[5:6], 4.0
	v_mul_f64 v[17:18], v[7:8], 4.0
	v_mul_f64 v[5:6], v[5:6], v[5:6]
	v_fma_f64 v[5:6], v[17:18], v[17:18], v[5:6]
	v_ldexp_f64 v[21:22], v[5:6], -4
.LBB173_45:                             ;   in Loop: Header=BB173_4 Depth=1
	s_or_b64 exec, exec, s[10:11]
	v_frexp_mant_f64_e32 v[5:6], v[21:22]
	s_mov_b32 s31, s89
	v_cmp_gt_f64_e32 vcc, s[88:89], v[5:6]
	v_cndmask_b32_e64 v7, 0, 1, vcc
	v_ldexp_f64 v[5:6], v[5:6], v7
	v_frexp_exp_i32_f64_e32 v7, v[21:22]
	v_add_f64 v[17:18], v[5:6], 1.0
	v_add_f64 v[25:26], v[5:6], -1.0
	v_subbrev_co_u32_e32 v7, vcc, 0, v7, vcc
	v_cmp_class_f64_e64 vcc, v[21:22], s61
	v_rcp_f64_e32 v[19:20], v[17:18]
	v_add_f64 v[27:28], v[17:18], -1.0
	v_add_f64 v[5:6], v[5:6], -v[27:28]
	v_fma_f64 v[23:24], -v[17:18], v[19:20], 1.0
	v_fma_f64 v[19:20], v[23:24], v[19:20], v[19:20]
	v_fma_f64 v[23:24], -v[17:18], v[19:20], 1.0
	v_fma_f64 v[19:20], v[23:24], v[19:20], v[19:20]
	v_mul_f64 v[23:24], v[25:26], v[19:20]
	v_mul_f64 v[29:30], v[17:18], v[23:24]
	v_fma_f64 v[17:18], v[23:24], v[17:18], -v[29:30]
	v_fma_f64 v[5:6], v[23:24], v[5:6], v[17:18]
	v_add_f64 v[17:18], v[29:30], v[5:6]
	v_add_f64 v[27:28], v[25:26], -v[17:18]
	v_add_f64 v[29:30], v[17:18], -v[29:30]
	;; [unrolled: 1-line block ×5, first 2 shown]
	v_add_f64 v[5:6], v[5:6], v[17:18]
	v_add_f64 v[5:6], v[27:28], v[5:6]
	v_mul_f64 v[5:6], v[19:20], v[5:6]
	v_add_f64 v[17:18], v[23:24], v[5:6]
	v_mul_f64 v[19:20], v[17:18], v[17:18]
	v_fma_f64 v[25:26], v[19:20], s[34:35], v[35:36]
	v_mul_f64 v[27:28], v[17:18], v[19:20]
	v_fma_f64 v[25:26], v[19:20], v[25:26], s[36:37]
	v_fma_f64 v[25:26], v[19:20], v[25:26], s[38:39]
	v_fma_f64 v[25:26], v[19:20], v[25:26], s[40:41]
	v_fma_f64 v[25:26], v[19:20], v[25:26], s[42:43]
	v_fma_f64 v[19:20], v[19:20], v[25:26], s[30:31]
	v_ldexp_f64 v[25:26], v[17:18], 1
	v_add_f64 v[17:18], v[17:18], -v[23:24]
	v_mul_f64 v[19:20], v[27:28], v[19:20]
	v_cvt_f64_i32_e32 v[27:28], v7
	v_add_f64 v[5:6], v[5:6], -v[17:18]
	v_mul_f64 v[29:30], v[27:28], s[44:45]
	v_add_f64 v[23:24], v[25:26], v[19:20]
	v_ldexp_f64 v[5:6], v[5:6], 1
	v_add_f64 v[17:18], v[23:24], -v[25:26]
	v_fma_f64 v[25:26], v[27:28], s[44:45], -v[29:30]
	v_add_f64 v[17:18], v[19:20], -v[17:18]
	v_fma_f64 v[19:20], v[27:28], s[46:47], v[25:26]
	v_add_f64 v[5:6], v[5:6], v[17:18]
	v_add_f64 v[17:18], v[29:30], v[19:20]
	;; [unrolled: 1-line block ×3, first 2 shown]
	v_add_f64 v[29:30], v[17:18], -v[29:30]
	v_add_f64 v[27:28], v[17:18], v[25:26]
	v_add_f64 v[23:24], v[25:26], -v[23:24]
	v_add_f64 v[19:20], v[19:20], -v[29:30]
	;; [unrolled: 1-line block ×6, first 2 shown]
	v_add_f64 v[25:26], v[19:20], v[5:6]
	v_add_f64 v[17:18], v[17:18], -v[47:48]
	v_add_f64 v[17:18], v[23:24], v[17:18]
	v_add_f64 v[23:24], v[25:26], -v[19:20]
	;; [unrolled: 2-line block ×3, first 2 shown]
	v_add_f64 v[5:6], v[5:6], -v[23:24]
	v_add_f64 v[29:30], v[27:28], v[17:18]
	v_add_f64 v[19:20], v[19:20], -v[25:26]
	v_add_f64 v[23:24], v[29:30], -v[27:28]
	v_add_f64 v[5:6], v[5:6], v[19:20]
	v_mov_b32_e32 v19, 0
	v_mov_b32_e32 v20, 0x7ff80000
	v_add_f64 v[17:18], v[17:18], -v[23:24]
	v_add_f64 v[5:6], v[5:6], v[17:18]
	v_add_f64 v[5:6], v[29:30], v[5:6]
	v_cndmask_b32_e32 v5, v5, v21, vcc
	v_cndmask_b32_e32 v6, v6, v22, vcc
	v_cmp_ngt_f64_e32 vcc, 0, v[21:22]
	v_cndmask_b32_e32 v6, v64, v6, vcc
	v_cmp_nge_f64_e32 vcc, 0, v[21:22]
	v_cndmask_b32_e32 v17, 0, v5, vcc
	v_cmp_neq_f64_e32 vcc, 0, v[21:22]
	v_cndmask_b32_e32 v18, v65, v6, vcc
.LBB173_46:                             ;   in Loop: Header=BB173_4 Depth=1
	s_or_b64 exec, exec, s[4:5]
	v_cmp_o_f64_e32 vcc, v[1:2], v[3:4]
                                        ; implicit-def: $vgpr21_vgpr22
	s_and_saveexec_b64 s[4:5], vcc
	s_xor_b64 s[18:19], exec, s[4:5]
	s_cbranch_execz .LBB173_74
; %bb.47:                               ;   in Loop: Header=BB173_4 Depth=1
	v_cmp_lt_f64_e64 s[10:11], |v[1:2]|, |v[3:4]|
	v_and_b32_e32 v5, 0x7fffffff, v2
	v_and_b32_e32 v6, 0x7fffffff, v4
	s_mov_b32 s4, 0x85ebc8a0
	s_mov_b32 s5, 0x7fd1ccf3
	v_mov_b32_e32 v7, v3
                                        ; implicit-def: $vgpr21_vgpr22
	v_cndmask_b32_e64 v26, v6, v5, s[10:11]
	v_cndmask_b32_e64 v25, v3, v1, s[10:11]
	v_cmp_nlt_f64_e32 vcc, s[4:5], v[25:26]
	s_and_saveexec_b64 s[4:5], vcc
	s_xor_b64 s[90:91], exec, s[4:5]
	s_cbranch_execz .LBB173_71
; %bb.48:                               ;   in Loop: Header=BB173_4 Depth=1
	v_cndmask_b32_e64 v28, v5, v6, s[10:11]
	v_cndmask_b32_e64 v27, v1, v7, s[10:11]
	v_cmp_neq_f64_e32 vcc, 1.0, v[27:28]
                                        ; implicit-def: $vgpr21_vgpr22
	s_and_saveexec_b64 s[4:5], vcc
	s_xor_b64 s[4:5], exec, s[4:5]
	s_cbranch_execz .LBB173_64
; %bb.49:                               ;   in Loop: Header=BB173_4 Depth=1
	v_max_f64 v[5:6], v[25:26], v[25:26]
	v_max_f64 v[21:22], v[27:28], v[27:28]
	s_mov_b32 s12, 0x4ad4b81f
	s_mov_b32 s13, 0x358dee7a
	v_min_f64 v[23:24], v[21:22], v[5:6]
	v_max_f64 v[5:6], v[21:22], v[5:6]
	v_cmp_ngt_f64_e32 vcc, s[12:13], v[23:24]
	s_mov_b32 s12, 0xc57e649a
	s_mov_b32 s13, 0x4a511b0e
	v_cmp_nlt_f64_e64 s[12:13], s[12:13], v[5:6]
                                        ; implicit-def: $vgpr21_vgpr22
	s_and_b64 s[12:13], s[12:13], vcc
	s_and_saveexec_b64 s[14:15], s[12:13]
	s_xor_b64 s[24:25], exec, s[14:15]
	s_cbranch_execz .LBB173_61
; %bb.50:                               ;   in Loop: Header=BB173_4 Depth=1
	v_cmp_le_f64_e32 vcc, 1.0, v[27:28]
                                        ; implicit-def: $vgpr21_vgpr22
	s_and_saveexec_b64 s[12:13], vcc
	s_xor_b64 s[48:49], exec, s[12:13]
	s_cbranch_execz .LBB173_52
; %bb.51:                               ;   in Loop: Header=BB173_4 Depth=1
	v_add_f64 v[5:6], v[27:28], -1.0
	v_add_f64 v[21:22], v[27:28], 1.0
	s_mov_b32 s31, s89
	s_mov_b32 s86, s28
	;; [unrolled: 1-line block ×4, first 2 shown]
	v_cmp_class_f64_e64 s[50:51], v[3:4], s61
	v_mul_f64 v[5:6], v[5:6], v[21:22]
	v_fma_f64 v[5:6], v[25:26], v[25:26], v[5:6]
	v_add_f64 v[21:22], v[5:6], 1.0
	v_cmp_nge_f64_e64 s[14:15], -1.0, v[5:6]
	v_cmp_neq_f64_e64 s[16:17], s[16:17], v[5:6]
	v_frexp_mant_f64_e32 v[25:26], v[21:22]
	v_frexp_exp_i32_f64_e32 v7, v[21:22]
	v_add_f64 v[23:24], v[21:22], -1.0
	v_cmp_gt_f64_e32 vcc, s[88:89], v[25:26]
	v_add_f64 v[27:28], v[23:24], -v[21:22]
	v_add_f64 v[23:24], v[5:6], -v[23:24]
	v_subbrev_co_u32_e32 v7, vcc, 0, v7, vcc
	v_sub_u32_e32 v29, 0, v7
	v_ldexp_f64 v[21:22], v[21:22], v29
	v_add_f64 v[25:26], v[27:28], 1.0
	v_add_f64 v[27:28], v[21:22], 1.0
	v_add_f64 v[23:24], v[23:24], v[25:26]
	v_add_f64 v[47:48], v[21:22], -1.0
	v_add_f64 v[25:26], v[27:28], -1.0
	v_ldexp_f64 v[23:24], v[23:24], v29
	v_add_f64 v[49:50], v[47:48], 1.0
	v_add_f64 v[25:26], v[21:22], -v[25:26]
	v_add_f64 v[21:22], v[21:22], -v[49:50]
	v_add_f64 v[29:30], v[23:24], v[25:26]
	v_add_f64 v[49:50], v[23:24], v[21:22]
	v_add_f64 v[25:26], v[27:28], v[29:30]
	v_rcp_f64_e32 v[31:32], v[25:26]
	v_add_f64 v[27:28], v[25:26], -v[27:28]
	v_add_f64 v[29:30], v[29:30], -v[27:28]
	v_fma_f64 v[51:52], -v[25:26], v[31:32], 1.0
	v_fma_f64 v[31:32], v[51:52], v[31:32], v[31:32]
	v_add_f64 v[51:52], v[47:48], v[49:50]
	v_fma_f64 v[21:22], -v[25:26], v[31:32], 1.0
	v_add_f64 v[47:48], v[51:52], -v[47:48]
	v_fma_f64 v[21:22], v[21:22], v[31:32], v[31:32]
	v_add_f64 v[47:48], v[49:50], -v[47:48]
	v_mul_f64 v[23:24], v[51:52], v[21:22]
	v_mul_f64 v[31:32], v[25:26], v[23:24]
	v_fma_f64 v[27:28], v[23:24], v[25:26], -v[31:32]
	v_fma_f64 v[53:54], v[23:24], v[29:30], v[27:28]
	v_add_f64 v[55:56], v[31:32], v[53:54]
	v_add_f64 v[27:28], v[51:52], -v[55:56]
	v_add_f64 v[31:32], v[55:56], -v[31:32]
	;; [unrolled: 1-line block ×5, first 2 shown]
	v_add_f64 v[47:48], v[47:48], v[49:50]
	v_max_f64 v[49:50], |v[1:2]|, |v[1:2]|
	v_add_f64 v[31:32], v[31:32], v[47:48]
	v_max_f64 v[47:48], |v[3:4]|, |v[3:4]|
	v_add_f64 v[51:52], v[27:28], v[31:32]
	v_max_f64 v[53:54], v[49:50], v[47:48]
	v_min_f64 v[47:48], v[49:50], v[47:48]
	v_mul_f64 v[49:50], v[21:22], v[51:52]
	v_add_f64 v[27:28], v[27:28], -v[51:52]
	v_div_scale_f64 v[55:56], s[12:13], v[53:54], v[53:54], v[47:48]
	s_mov_b32 s12, 0xaf56de9b
	s_mov_b32 s13, 0xbf67952d
	v_mul_f64 v[57:58], v[25:26], v[49:50]
	v_add_f64 v[27:28], v[31:32], v[27:28]
	v_fma_f64 v[25:26], v[49:50], v[25:26], -v[57:58]
	v_rcp_f64_e32 v[59:60], v[55:56]
	v_fma_f64 v[25:26], v[49:50], v[29:30], v[25:26]
	v_add_f64 v[29:30], v[57:58], v[25:26]
	v_fma_f64 v[61:62], -v[55:56], v[59:60], 1.0
	v_add_f64 v[70:71], v[51:52], -v[29:30]
	v_add_f64 v[31:32], v[29:30], -v[57:58]
	v_fma_f64 v[59:60], v[59:60], v[61:62], v[59:60]
	v_div_scale_f64 v[61:62], vcc, v[47:48], v[53:54], v[47:48]
	v_add_f64 v[51:52], v[51:52], -v[70:71]
	v_add_f64 v[25:26], v[31:32], -v[25:26]
	v_fma_f64 v[72:73], -v[55:56], v[59:60], 1.0
	v_add_f64 v[31:32], v[23:24], v[49:50]
	v_add_f64 v[29:30], v[51:52], -v[29:30]
	v_fma_f64 v[51:52], v[59:60], v[72:73], v[59:60]
	v_add_f64 v[23:24], v[31:32], -v[23:24]
	v_add_f64 v[27:28], v[27:28], v[29:30]
	v_mul_f64 v[29:30], v[61:62], v[51:52]
	v_add_f64 v[23:24], v[49:50], -v[23:24]
	v_add_f64 v[25:26], v[25:26], v[27:28]
	v_fma_f64 v[27:28], -v[55:56], v[29:30], v[61:62]
	v_add_f64 v[25:26], v[70:71], v[25:26]
	v_div_fmas_f64 v[27:28], v[27:28], v[51:52], v[29:30]
	v_cmp_gt_i32_e32 vcc, 0, v2
	v_mul_f64 v[21:22], v[21:22], v[25:26]
	v_add_f64 v[21:22], v[23:24], v[21:22]
	v_div_fixup_f64 v[23:24], v[27:28], v[53:54], v[47:48]
	v_add_f64 v[25:26], v[31:32], v[21:22]
	v_mul_f64 v[27:28], v[23:24], v[23:24]
	v_mul_f64 v[29:30], v[25:26], v[25:26]
	v_fma_f64 v[47:48], v[27:28], s[54:55], v[37:38]
	v_fma_f64 v[49:50], v[29:30], s[34:35], v[35:36]
	v_mul_f64 v[51:52], v[25:26], v[29:30]
	v_fma_f64 v[47:48], v[27:28], v[47:48], s[52:53]
	v_cmp_class_f64_e64 s[52:53], v[1:2], s61
	v_ashrrev_i32_e32 v1, 31, v2
	v_fma_f64 v[49:50], v[29:30], v[49:50], s[36:37]
	v_fma_f64 v[47:48], v[27:28], v[47:48], s[12:13]
	s_mov_b32 s12, 0xa595c56f
	s_mov_b32 s13, 0x3f7d6d43
	v_fma_f64 v[49:50], v[29:30], v[49:50], s[38:39]
	v_fma_f64 v[47:48], v[27:28], v[47:48], s[12:13]
	s_mov_b32 s12, 0xa57d9582
	s_mov_b32 s13, 0xbf8c6ea4
	;; [unrolled: 4-line block ×4, first 2 shown]
	v_fma_f64 v[29:30], v[29:30], v[49:50], s[30:31]
	v_ldexp_f64 v[49:50], v[25:26], 1
	v_fma_f64 v[47:48], v[27:28], v[47:48], s[12:13]
	v_add_f64 v[25:26], v[25:26], -v[31:32]
	v_cmp_eq_f64_e64 s[12:13], 0, v[3:4]
	v_mul_f64 v[29:30], v[51:52], v[29:30]
	v_cvt_f64_i32_e32 v[51:52], v7
	v_fma_f64 v[47:48], v[27:28], v[47:48], s[62:63]
	v_add_f64 v[21:22], v[21:22], -v[25:26]
	v_cndmask_b32_e32 v7, v66, v67, vcc
	v_mul_f64 v[53:54], v[51:52], s[44:45]
	v_add_f64 v[31:32], v[49:50], v[29:30]
	v_fma_f64 v[47:48], v[27:28], v[47:48], s[64:65]
	v_ldexp_f64 v[21:22], v[21:22], 1
	v_add_f64 v[25:26], v[31:32], -v[49:50]
	v_fma_f64 v[49:50], v[51:52], s[44:45], -v[53:54]
	v_fma_f64 v[47:48], v[27:28], v[47:48], s[66:67]
	v_add_f64 v[25:26], v[29:30], -v[25:26]
	v_fma_f64 v[29:30], v[27:28], v[47:48], s[68:69]
	v_fma_f64 v[47:48], v[51:52], s[46:47], v[49:50]
	v_add_f64 v[21:22], v[21:22], v[25:26]
	v_fma_f64 v[25:26], v[27:28], v[29:30], s[70:71]
	v_add_f64 v[29:30], v[53:54], v[47:48]
	v_add_f64 v[49:50], v[31:32], v[21:22]
	v_fma_f64 v[25:26], v[27:28], v[25:26], s[72:73]
	v_add_f64 v[53:54], v[29:30], -v[53:54]
	v_add_f64 v[51:52], v[29:30], v[49:50]
	v_add_f64 v[31:32], v[49:50], -v[31:32]
	v_fma_f64 v[25:26], v[27:28], v[25:26], s[74:75]
	v_add_f64 v[47:48], v[47:48], -v[53:54]
	v_add_f64 v[55:56], v[51:52], -v[29:30]
	v_add_f64 v[21:22], v[21:22], -v[31:32]
	v_fma_f64 v[25:26], v[27:28], v[25:26], s[76:77]
	v_add_f64 v[57:58], v[51:52], -v[55:56]
	v_add_f64 v[31:32], v[49:50], -v[55:56]
	v_fma_f64 v[25:26], v[27:28], v[25:26], s[78:79]
	v_add_f64 v[49:50], v[47:48], v[21:22]
	v_add_f64 v[29:30], v[29:30], -v[57:58]
	v_fma_f64 v[25:26], v[27:28], v[25:26], s[80:81]
	v_add_f64 v[29:30], v[31:32], v[29:30]
	;; [unrolled: 3-line block ×3, first 2 shown]
	v_add_f64 v[49:50], v[49:50], -v[31:32]
	v_fma_f64 v[25:26], v[27:28], v[25:26], s[84:85]
	v_add_f64 v[21:22], v[21:22], -v[31:32]
	v_add_f64 v[53:54], v[51:52], v[29:30]
	v_mul_f64 v[25:26], v[27:28], v[25:26]
	v_add_f64 v[27:28], v[47:48], -v[49:50]
	v_add_f64 v[31:32], v[53:54], -v[51:52]
	v_fma_f64 v[23:24], v[23:24], v[25:26], v[23:24]
	v_add_f64 v[21:22], v[21:22], v[27:28]
	v_add_f64 v[25:26], v[29:30], -v[31:32]
	v_add_f64 v[27:28], -v[23:24], s[28:29]
	v_add_f64 v[21:22], v[21:22], v[25:26]
	v_cndmask_b32_e64 v24, v24, v28, s[10:11]
	v_cndmask_b32_e64 v23, v23, v27, s[10:11]
	v_add_f64 v[25:26], -v[23:24], s[86:87]
	v_and_b32_e32 v28, 0x54442d18, v1
	v_cndmask_b32_e32 v27, v68, v69, vcc
	v_add_f64 v[21:22], v[53:54], v[21:22]
	v_cndmask_b32_e32 v23, v23, v25, vcc
	v_and_b32_e32 v25, 0x400921fb, v1
	v_cndmask_b32_e64 v23, v23, v28, s[12:13]
	v_mul_f64 v[1:2], v[21:22], 0.5
	v_cndmask_b32_e32 v22, v24, v26, vcc
	v_bfi_b32 v21, s60, v27, v4
	v_cndmask_b32_e64 v22, v22, v25, s[12:13]
	s_and_b64 vcc, s[50:51], s[52:53]
	s_and_b64 s[12:13], s[14:15], s[16:17]
	v_cndmask_b32_e32 v24, v22, v21, vcc
	s_mov_b32 s52, 0x69efb384
	v_cndmask_b32_e64 v21, 0, v1, s[12:13]
	v_cmp_ngt_f64_e64 s[12:13], -1.0, v[5:6]
	v_cndmask_b32_e64 v2, v63, v2, s[16:17]
	s_mov_b32 s53, 0x3f4b2bb0
	v_cndmask_b32_e32 v23, v23, v7, vcc
                                        ; implicit-def: $vgpr25_vgpr26
                                        ; implicit-def: $vgpr27_vgpr28
	v_cndmask_b32_e64 v1, v64, v2, s[12:13]
	v_cmp_neq_f64_e64 s[12:13], -1.0, v[5:6]
	v_cndmask_b32_e64 v22, v65, v1, s[12:13]
.LBB173_52:                             ;   in Loop: Header=BB173_4 Depth=1
	s_andn2_saveexec_b64 s[48:49], s[48:49]
	s_cbranch_execz .LBB173_60
; %bb.53:                               ;   in Loop: Header=BB173_4 Depth=1
	v_mul_f64 v[5:6], v[25:26], v[25:26]
	s_mov_b32 s12, 0x66666666
	s_mov_b32 s13, 0x3fe66666
                                        ; implicit-def: $vgpr21_vgpr22
	v_fma_f64 v[5:6], v[27:28], v[27:28], v[5:6]
	v_cmp_ge_f64_e32 vcc, s[12:13], v[5:6]
	s_and_saveexec_b64 s[12:13], vcc
	s_xor_b64 s[16:17], exec, s[12:13]
	s_cbranch_execz .LBB173_55
; %bb.54:                               ;   in Loop: Header=BB173_4 Depth=1
	v_frexp_mant_f64_e32 v[21:22], v[5:6]
	v_max_f64 v[29:30], |v[3:4]|, |v[3:4]|
	v_max_f64 v[31:32], |v[1:2]|, |v[1:2]|
	s_mov_b32 s31, s89
	s_mov_b32 s86, s28
	v_cmp_class_f64_e64 s[50:51], v[3:4], s61
	v_cmp_gt_f64_e64 s[12:13], s[88:89], v[21:22]
	v_cndmask_b32_e64 v7, 0, 1, s[12:13]
	v_ldexp_f64 v[21:22], v[21:22], v7
	v_frexp_exp_i32_f64_e32 v7, v[5:6]
	v_add_f64 v[23:24], v[21:22], 1.0
	v_add_f64 v[49:50], v[21:22], -1.0
	v_rcp_f64_e32 v[25:26], v[23:24]
	v_add_f64 v[53:54], v[23:24], -1.0
	v_add_f64 v[21:22], v[21:22], -v[53:54]
	v_fma_f64 v[27:28], -v[23:24], v[25:26], 1.0
	v_fma_f64 v[25:26], v[27:28], v[25:26], v[25:26]
	v_max_f64 v[27:28], v[31:32], v[29:30]
	v_min_f64 v[29:30], v[31:32], v[29:30]
	v_fma_f64 v[31:32], -v[23:24], v[25:26], 1.0
	v_div_scale_f64 v[47:48], s[14:15], v[27:28], v[27:28], v[29:30]
	s_mov_b32 s14, 0xaf56de9b
	s_mov_b32 s15, 0xbf67952d
	v_fma_f64 v[25:26], v[31:32], v[25:26], v[25:26]
	v_mul_f64 v[31:32], v[49:50], v[25:26]
	v_rcp_f64_e32 v[51:52], v[47:48]
	v_mul_f64 v[55:56], v[23:24], v[31:32]
	v_fma_f64 v[23:24], v[31:32], v[23:24], -v[55:56]
	v_fma_f64 v[53:54], -v[47:48], v[51:52], 1.0
	v_fma_f64 v[21:22], v[31:32], v[21:22], v[23:24]
	v_fma_f64 v[23:24], v[51:52], v[53:54], v[51:52]
	v_div_scale_f64 v[53:54], vcc, v[29:30], v[27:28], v[29:30]
	v_add_f64 v[51:52], v[55:56], v[21:22]
	v_fma_f64 v[57:58], -v[47:48], v[23:24], 1.0
	v_add_f64 v[59:60], v[49:50], -v[51:52]
	v_add_f64 v[55:56], v[51:52], -v[55:56]
	v_fma_f64 v[23:24], v[23:24], v[57:58], v[23:24]
	v_add_f64 v[49:50], v[49:50], -v[59:60]
	v_add_f64 v[21:22], v[55:56], -v[21:22]
	v_mul_f64 v[57:58], v[53:54], v[23:24]
	v_add_f64 v[49:50], v[49:50], -v[51:52]
	v_fma_f64 v[47:48], -v[47:48], v[57:58], v[53:54]
	v_add_f64 v[21:22], v[21:22], v[49:50]
	v_div_fmas_f64 v[23:24], v[47:48], v[23:24], v[57:58]
	v_subbrev_co_u32_e64 v7, vcc, 0, v7, s[12:13]
	v_cmp_eq_f64_e64 s[12:13], 0, v[3:4]
	v_cmp_gt_i32_e32 vcc, 0, v2
	v_add_f64 v[21:22], v[59:60], v[21:22]
	v_mul_f64 v[21:22], v[25:26], v[21:22]
	v_div_fixup_f64 v[23:24], v[23:24], v[27:28], v[29:30]
	v_add_f64 v[25:26], v[31:32], v[21:22]
	v_mul_f64 v[27:28], v[23:24], v[23:24]
	v_mul_f64 v[29:30], v[25:26], v[25:26]
	v_fma_f64 v[47:48], v[27:28], s[54:55], v[37:38]
	v_fma_f64 v[49:50], v[29:30], s[34:35], v[35:36]
	v_mul_f64 v[51:52], v[25:26], v[29:30]
	v_fma_f64 v[47:48], v[27:28], v[47:48], s[52:53]
	v_cmp_class_f64_e64 s[52:53], v[1:2], s61
	v_ashrrev_i32_e32 v1, 31, v2
	v_fma_f64 v[49:50], v[29:30], v[49:50], s[36:37]
	v_fma_f64 v[47:48], v[27:28], v[47:48], s[14:15]
	s_mov_b32 s14, 0xa595c56f
	s_mov_b32 s15, 0x3f7d6d43
	v_fma_f64 v[49:50], v[29:30], v[49:50], s[38:39]
	v_fma_f64 v[47:48], v[27:28], v[47:48], s[14:15]
	s_mov_b32 s14, 0xa57d9582
	s_mov_b32 s15, 0xbf8c6ea4
	v_fma_f64 v[49:50], v[29:30], v[49:50], s[40:41]
	v_fma_f64 v[47:48], v[27:28], v[47:48], s[14:15]
	s_mov_b32 s14, 0x5f08b19f
	s_mov_b32 s15, 0x3f967e29
	v_fma_f64 v[49:50], v[29:30], v[49:50], s[42:43]
	v_fma_f64 v[47:48], v[27:28], v[47:48], s[14:15]
	s_mov_b32 s14, 0xfc27006a
	s_mov_b32 s15, 0xbf9e9ae6
	v_fma_f64 v[29:30], v[29:30], v[49:50], s[30:31]
	v_ldexp_f64 v[49:50], v[25:26], 1
	v_fma_f64 v[47:48], v[27:28], v[47:48], s[14:15]
	v_add_f64 v[25:26], v[25:26], -v[31:32]
	v_cmp_neq_f64_e64 s[14:15], 0, v[5:6]
	v_mul_f64 v[29:30], v[51:52], v[29:30]
	v_cvt_f64_i32_e32 v[51:52], v7
	v_fma_f64 v[47:48], v[27:28], v[47:48], s[62:63]
	v_add_f64 v[21:22], v[21:22], -v[25:26]
	v_cndmask_b32_e32 v7, v66, v67, vcc
	v_mul_f64 v[53:54], v[51:52], s[44:45]
	v_add_f64 v[31:32], v[49:50], v[29:30]
	v_fma_f64 v[47:48], v[27:28], v[47:48], s[64:65]
	v_ldexp_f64 v[21:22], v[21:22], 1
	v_add_f64 v[25:26], v[31:32], -v[49:50]
	v_fma_f64 v[49:50], v[51:52], s[44:45], -v[53:54]
	v_fma_f64 v[47:48], v[27:28], v[47:48], s[66:67]
	v_add_f64 v[25:26], v[29:30], -v[25:26]
	v_fma_f64 v[29:30], v[27:28], v[47:48], s[68:69]
	v_fma_f64 v[47:48], v[51:52], s[46:47], v[49:50]
	v_add_f64 v[21:22], v[21:22], v[25:26]
	v_fma_f64 v[25:26], v[27:28], v[29:30], s[70:71]
	v_add_f64 v[29:30], v[53:54], v[47:48]
	v_add_f64 v[49:50], v[31:32], v[21:22]
	v_fma_f64 v[25:26], v[27:28], v[25:26], s[72:73]
	v_add_f64 v[53:54], v[29:30], -v[53:54]
	v_add_f64 v[51:52], v[29:30], v[49:50]
	v_add_f64 v[31:32], v[49:50], -v[31:32]
	v_fma_f64 v[25:26], v[27:28], v[25:26], s[74:75]
	v_add_f64 v[47:48], v[47:48], -v[53:54]
	v_add_f64 v[55:56], v[51:52], -v[29:30]
	;; [unrolled: 1-line block ×3, first 2 shown]
	v_fma_f64 v[25:26], v[27:28], v[25:26], s[76:77]
	v_add_f64 v[57:58], v[51:52], -v[55:56]
	v_add_f64 v[31:32], v[49:50], -v[55:56]
	v_fma_f64 v[25:26], v[27:28], v[25:26], s[78:79]
	v_add_f64 v[49:50], v[47:48], v[21:22]
	v_add_f64 v[29:30], v[29:30], -v[57:58]
	v_fma_f64 v[25:26], v[27:28], v[25:26], s[80:81]
	v_add_f64 v[29:30], v[31:32], v[29:30]
	;; [unrolled: 3-line block ×3, first 2 shown]
	v_add_f64 v[49:50], v[49:50], -v[31:32]
	v_fma_f64 v[25:26], v[27:28], v[25:26], s[84:85]
	v_add_f64 v[21:22], v[21:22], -v[31:32]
	v_add_f64 v[53:54], v[51:52], v[29:30]
	v_mul_f64 v[25:26], v[27:28], v[25:26]
	v_add_f64 v[27:28], v[47:48], -v[49:50]
	v_add_f64 v[31:32], v[53:54], -v[51:52]
	v_fma_f64 v[23:24], v[23:24], v[25:26], v[23:24]
	v_add_f64 v[21:22], v[21:22], v[27:28]
	v_add_f64 v[25:26], v[29:30], -v[31:32]
	v_add_f64 v[27:28], -v[23:24], s[28:29]
	v_add_f64 v[21:22], v[21:22], v[25:26]
	v_cndmask_b32_e64 v24, v24, v28, s[10:11]
	v_cndmask_b32_e64 v23, v23, v27, s[10:11]
	v_add_f64 v[25:26], -v[23:24], s[86:87]
	v_and_b32_e32 v27, 0x54442d18, v1
	v_and_b32_e32 v28, 0x400921fb, v1
	v_add_f64 v[21:22], v[53:54], v[21:22]
	v_cndmask_b32_e32 v23, v23, v25, vcc
	v_cndmask_b32_e32 v25, v68, v69, vcc
	;; [unrolled: 1-line block ×3, first 2 shown]
	v_bfi_b32 v5, s60, v25, v4
	v_mul_f64 v[1:2], v[21:22], 0.5
	v_cndmask_b32_e64 v23, v23, v27, s[12:13]
	v_cndmask_b32_e64 v6, v6, v28, s[12:13]
	s_and_b64 vcc, s[50:51], s[52:53]
	s_mov_b32 s52, 0x69efb384
	s_mov_b32 s53, 0x3f4b2bb0
	v_cndmask_b32_e32 v24, v6, v5, vcc
	v_cndmask_b32_e32 v23, v23, v7, vcc
	v_cndmask_b32_e64 v22, v65, v2, s[14:15]
	v_cndmask_b32_e64 v21, 0, v1, s[14:15]
                                        ; implicit-def: $vgpr27_vgpr28
                                        ; implicit-def: $vgpr25_vgpr26
.LBB173_55:                             ;   in Loop: Header=BB173_4 Depth=1
	s_andn2_saveexec_b64 s[50:51], s[16:17]
	s_cbranch_execz .LBB173_59
; %bb.56:                               ;   in Loop: Header=BB173_4 Depth=1
	v_and_b32_e32 v34, 0x7ffffff8, v28
	v_and_b32_e32 v22, 0x7ffffff8, v26
	v_mov_b32_e32 v21, v33
	v_add_f64 v[5:6], v[27:28], -v[33:34]
	v_add_f64 v[23:24], v[25:26], -v[21:22]
	v_mov_b32_e32 v27, v33
	v_mov_b32_e32 v49, v33
	v_add_f64 v[31:32], v[33:34], v[33:34]
	v_add_f64 v[47:48], v[21:22], v[21:22]
	v_mul_f64 v[21:22], v[21:22], v[21:22]
	s_mov_b64 s[52:53], 0
	v_and_b32_e32 v28, -8, v6
	v_and_b32_e32 v50, -8, v24
	v_add_f64 v[55:56], v[5:6], -v[27:28]
	v_add_f64 v[57:58], v[23:24], -v[49:50]
	v_add_f64 v[59:60], v[27:28], v[27:28]
	v_add_f64 v[61:62], v[49:50], v[49:50]
	v_mul_f64 v[5:6], v[33:34], v[33:34]
	v_mul_f64 v[25:26], v[31:32], v[27:28]
	;; [unrolled: 1-line block ×11, first 2 shown]
.LBB173_57:                             ;   Parent Loop BB173_4 Depth=1
                                        ; =>  This Inner Loop Header: Depth=2
	v_cmp_nlt_f64_e32 vcc, v[5:6], v[21:22]
	v_cndmask_b32_e32 v58, v6, v22, vcc
	v_cndmask_b32_e32 v57, v5, v21, vcc
	v_cmp_nlt_f64_e64 s[12:13], v[57:58], v[25:26]
	v_cndmask_b32_e32 v6, v22, v6, vcc
	v_cndmask_b32_e32 v5, v21, v5, vcc
	v_cndmask_b32_e64 v60, v58, v26, s[12:13]
	v_cndmask_b32_e64 v59, v57, v25, s[12:13]
	v_cmp_nlt_f64_e64 s[14:15], v[59:60], v[23:24]
	v_cndmask_b32_e64 v22, v26, v58, s[12:13]
	v_cndmask_b32_e64 v21, v25, v57, s[12:13]
	s_and_b64 s[54:55], vcc, s[12:13]
	v_cndmask_b32_e64 v62, v60, v24, s[14:15]
	v_cndmask_b32_e64 v61, v59, v23, s[14:15]
	v_cmp_nlt_f64_e64 s[16:17], v[61:62], v[29:30]
	v_cndmask_b32_e64 v26, v24, v60, s[14:15]
	v_cndmask_b32_e64 v25, v23, v59, s[14:15]
	;; [unrolled: 1-line block ×4, first 2 shown]
	v_cmp_nlt_f64_e32 vcc, v[57:58], v[49:50]
	v_cndmask_b32_e64 v24, v30, v62, s[16:17]
	v_cndmask_b32_e64 v23, v29, v61, s[16:17]
	s_and_b64 s[16:17], s[14:15], s[16:17]
	v_cndmask_b32_e32 v60, v58, v50, vcc
	v_cndmask_b32_e32 v59, v57, v49, vcc
	v_cmp_nlt_f64_e64 s[12:13], v[59:60], v[53:54]
	v_cndmask_b32_e32 v30, v50, v58, vcc
	v_cndmask_b32_e32 v29, v49, v57, vcc
	v_cndmask_b32_e64 v58, v60, v54, s[12:13]
	v_cndmask_b32_e64 v57, v59, v53, s[12:13]
	v_cmp_nlt_f64_e64 s[14:15], v[57:58], v[51:52]
	v_cndmask_b32_e64 v50, v54, v60, s[12:13]
	v_cndmask_b32_e64 v49, v53, v59, s[12:13]
	s_and_b64 s[12:13], vcc, s[12:13]
	v_cndmask_b32_e64 v60, v58, v52, s[14:15]
	v_cndmask_b32_e64 v59, v57, v51, s[14:15]
	v_cmp_nlt_f64_e32 vcc, v[59:60], v[47:48]
	v_cndmask_b32_e64 v54, v52, v58, s[14:15]
	v_cndmask_b32_e64 v53, v51, v57, s[14:15]
	s_and_b64 s[14:15], s[12:13], s[14:15]
	v_cndmask_b32_e32 v58, v60, v48, vcc
	v_cndmask_b32_e32 v57, v59, v47, vcc
	v_cmp_nlt_f64_e64 s[12:13], v[57:58], v[31:32]
	v_cndmask_b32_e32 v52, v48, v60, vcc
	v_cndmask_b32_e32 v51, v47, v59, vcc
	s_and_b64 s[14:15], s[14:15], vcc
	v_cndmask_b32_e64 v60, v58, v32, s[12:13]
	v_cndmask_b32_e64 v59, v57, v31, s[12:13]
	v_cmp_nlt_f64_e32 vcc, v[59:60], v[27:28]
	v_cndmask_b32_e64 v48, v32, v58, s[12:13]
	v_cndmask_b32_e64 v47, v31, v57, s[12:13]
	s_and_b64 s[14:15], s[14:15], s[12:13]
	v_cndmask_b32_e32 v62, v60, v28, vcc
	v_cndmask_b32_e32 v61, v59, v27, vcc
	v_cmp_nlt_f64_e64 s[12:13], v[61:62], v[55:56]
	s_and_b64 s[14:15], s[14:15], vcc
	v_cndmask_b32_e32 v32, v28, v60, vcc
	v_cndmask_b32_e32 v31, v27, v59, vcc
	v_cndmask_b32_e64 v58, v62, v56, s[12:13]
	v_cndmask_b32_e64 v57, v61, v55, s[12:13]
	;; [unrolled: 1-line block ×4, first 2 shown]
	s_and_b64 s[12:13], s[14:15], s[12:13]
	s_and_b64 s[12:13], s[12:13], s[16:17]
	;; [unrolled: 1-line block ×3, first 2 shown]
	s_and_b64 s[12:13], exec, s[12:13]
	v_mov_b32_e32 v55, v57
	s_or_b64 s[52:53], s[12:13], s[52:53]
	v_mov_b32_e32 v56, v58
	s_andn2_b64 exec, exec, s[52:53]
	s_cbranch_execnz .LBB173_57
; %bb.58:                               ;   in Loop: Header=BB173_4 Depth=1
	s_or_b64 exec, exec, s[52:53]
	v_add_f64 v[5:6], v[5:6], -1.0
	s_mov_b32 s31, s89
	s_mov_b32 s86, s28
	;; [unrolled: 1-line block ×4, first 2 shown]
	v_cmp_class_f64_e64 s[52:53], v[3:4], s61
	v_cmp_class_f64_e64 s[54:55], v[1:2], s61
	v_add_f64 v[5:6], v[5:6], v[21:22]
	v_add_f64 v[5:6], v[5:6], v[25:26]
	;; [unrolled: 1-line block ×11, first 2 shown]
	v_add_f64 v[21:22], v[5:6], 1.0
	v_cmp_nge_f64_e64 s[14:15], -1.0, v[5:6]
	v_cmp_neq_f64_e64 s[16:17], s[16:17], v[5:6]
	v_frexp_mant_f64_e32 v[25:26], v[21:22]
	v_frexp_exp_i32_f64_e32 v7, v[21:22]
	v_add_f64 v[23:24], v[21:22], -1.0
	v_cmp_gt_f64_e32 vcc, s[88:89], v[25:26]
	v_add_f64 v[27:28], v[23:24], -v[21:22]
	v_add_f64 v[23:24], v[5:6], -v[23:24]
	v_subbrev_co_u32_e32 v7, vcc, 0, v7, vcc
	v_sub_u32_e32 v29, 0, v7
	v_ldexp_f64 v[21:22], v[21:22], v29
	v_add_f64 v[25:26], v[27:28], 1.0
	v_add_f64 v[27:28], v[21:22], 1.0
	v_add_f64 v[23:24], v[23:24], v[25:26]
	v_add_f64 v[47:48], v[21:22], -1.0
	v_add_f64 v[25:26], v[27:28], -1.0
	v_ldexp_f64 v[23:24], v[23:24], v29
	v_add_f64 v[49:50], v[47:48], 1.0
	v_add_f64 v[25:26], v[21:22], -v[25:26]
	v_add_f64 v[21:22], v[21:22], -v[49:50]
	v_add_f64 v[25:26], v[23:24], v[25:26]
	v_add_f64 v[21:22], v[23:24], v[21:22]
	v_add_f64 v[29:30], v[27:28], v[25:26]
	v_add_f64 v[49:50], v[47:48], v[21:22]
	v_rcp_f64_e32 v[31:32], v[29:30]
	v_add_f64 v[27:28], v[29:30], -v[27:28]
	v_add_f64 v[47:48], v[49:50], -v[47:48]
	;; [unrolled: 1-line block ×4, first 2 shown]
	v_fma_f64 v[51:52], -v[29:30], v[31:32], 1.0
	v_fma_f64 v[31:32], v[51:52], v[31:32], v[31:32]
	v_fma_f64 v[23:24], -v[29:30], v[31:32], 1.0
	v_fma_f64 v[23:24], v[23:24], v[31:32], v[31:32]
	v_mul_f64 v[31:32], v[49:50], v[23:24]
	v_mul_f64 v[51:52], v[29:30], v[31:32]
	v_fma_f64 v[27:28], v[31:32], v[29:30], -v[51:52]
	v_fma_f64 v[27:28], v[31:32], v[25:26], v[27:28]
	v_add_f64 v[53:54], v[51:52], v[27:28]
	v_add_f64 v[55:56], v[49:50], -v[53:54]
	v_add_f64 v[47:48], v[53:54], -v[51:52]
	;; [unrolled: 1-line block ×4, first 2 shown]
	v_max_f64 v[47:48], |v[1:2]|, |v[1:2]|
	v_ashrrev_i32_e32 v1, 31, v2
	v_add_f64 v[49:50], v[49:50], -v[53:54]
	v_add_f64 v[21:22], v[21:22], v[49:50]
	v_add_f64 v[21:22], v[27:28], v[21:22]
	v_max_f64 v[27:28], |v[3:4]|, |v[3:4]|
	v_add_f64 v[49:50], v[55:56], v[21:22]
	v_max_f64 v[51:52], v[47:48], v[27:28]
	v_min_f64 v[27:28], v[47:48], v[27:28]
	v_mul_f64 v[47:48], v[23:24], v[49:50]
	v_add_f64 v[55:56], v[55:56], -v[49:50]
	v_div_scale_f64 v[53:54], s[12:13], v[51:52], v[51:52], v[27:28]
	s_mov_b32 s12, 0xb5e68a13
	s_mov_b32 s13, 0x3eeba404
	v_mul_f64 v[57:58], v[29:30], v[47:48]
	v_add_f64 v[21:22], v[21:22], v[55:56]
	v_fma_f64 v[29:30], v[47:48], v[29:30], -v[57:58]
	v_rcp_f64_e32 v[59:60], v[53:54]
	v_fma_f64 v[25:26], v[47:48], v[25:26], v[29:30]
	v_add_f64 v[29:30], v[57:58], v[25:26]
	v_fma_f64 v[61:62], -v[53:54], v[59:60], 1.0
	v_add_f64 v[70:71], v[49:50], -v[29:30]
	v_add_f64 v[55:56], v[29:30], -v[57:58]
	v_fma_f64 v[59:60], v[59:60], v[61:62], v[59:60]
	v_div_scale_f64 v[61:62], vcc, v[27:28], v[51:52], v[27:28]
	v_add_f64 v[49:50], v[49:50], -v[70:71]
	v_add_f64 v[25:26], v[55:56], -v[25:26]
	v_fma_f64 v[72:73], -v[53:54], v[59:60], 1.0
	v_add_f64 v[55:56], v[31:32], v[47:48]
	v_add_f64 v[29:30], v[49:50], -v[29:30]
	v_fma_f64 v[49:50], v[59:60], v[72:73], v[59:60]
	v_add_f64 v[31:32], v[55:56], -v[31:32]
	v_add_f64 v[21:22], v[21:22], v[29:30]
	v_mul_f64 v[29:30], v[61:62], v[49:50]
	v_add_f64 v[21:22], v[25:26], v[21:22]
	v_fma_f64 v[25:26], -v[53:54], v[29:30], v[61:62]
	v_add_f64 v[21:22], v[70:71], v[21:22]
	v_div_fmas_f64 v[25:26], v[25:26], v[49:50], v[29:30]
	v_add_f64 v[29:30], v[47:48], -v[31:32]
	v_cmp_gt_i32_e32 vcc, 0, v2
	v_mul_f64 v[21:22], v[23:24], v[21:22]
	v_add_f64 v[21:22], v[29:30], v[21:22]
	v_div_fixup_f64 v[23:24], v[25:26], v[51:52], v[27:28]
	v_cvt_f64_i32_e32 v[51:52], v7
	v_cndmask_b32_e32 v7, v66, v67, vcc
	v_mul_f64 v[53:54], v[51:52], s[44:45]
	v_add_f64 v[25:26], v[55:56], v[21:22]
	v_mul_f64 v[27:28], v[23:24], v[23:24]
	v_mul_f64 v[29:30], v[25:26], v[25:26]
	v_fma_f64 v[31:32], v[27:28], s[12:13], v[37:38]
	s_mov_b32 s12, 0x69efb384
	s_mov_b32 s13, 0x3f4b2bb0
	v_fma_f64 v[47:48], v[29:30], s[34:35], v[35:36]
	v_mul_f64 v[49:50], v[25:26], v[29:30]
	v_fma_f64 v[31:32], v[27:28], v[31:32], s[12:13]
	s_mov_b32 s12, 0xaf56de9b
	s_mov_b32 s13, 0xbf67952d
	v_fma_f64 v[47:48], v[29:30], v[47:48], s[36:37]
	v_fma_f64 v[31:32], v[27:28], v[31:32], s[12:13]
	s_mov_b32 s12, 0xa595c56f
	s_mov_b32 s13, 0x3f7d6d43
	v_fma_f64 v[47:48], v[29:30], v[47:48], s[38:39]
	;; [unrolled: 4-line block ×5, first 2 shown]
	v_ldexp_f64 v[47:48], v[25:26], 1
	v_fma_f64 v[31:32], v[27:28], v[31:32], s[12:13]
	v_add_f64 v[25:26], v[25:26], -v[55:56]
	v_cmp_eq_f64_e64 s[12:13], 0, v[3:4]
	v_mul_f64 v[29:30], v[49:50], v[29:30]
	v_fma_f64 v[31:32], v[27:28], v[31:32], s[62:63]
	v_add_f64 v[21:22], v[21:22], -v[25:26]
	v_add_f64 v[49:50], v[47:48], v[29:30]
	v_fma_f64 v[31:32], v[27:28], v[31:32], s[64:65]
	v_ldexp_f64 v[21:22], v[21:22], 1
	v_add_f64 v[25:26], v[49:50], -v[47:48]
	v_fma_f64 v[47:48], v[51:52], s[44:45], -v[53:54]
	v_fma_f64 v[31:32], v[27:28], v[31:32], s[66:67]
	v_add_f64 v[25:26], v[29:30], -v[25:26]
	v_fma_f64 v[29:30], v[27:28], v[31:32], s[68:69]
	v_fma_f64 v[31:32], v[51:52], s[46:47], v[47:48]
	v_add_f64 v[21:22], v[21:22], v[25:26]
	v_fma_f64 v[25:26], v[27:28], v[29:30], s[70:71]
	v_add_f64 v[29:30], v[53:54], v[31:32]
	v_add_f64 v[47:48], v[49:50], v[21:22]
	v_fma_f64 v[25:26], v[27:28], v[25:26], s[72:73]
	v_add_f64 v[53:54], v[29:30], -v[53:54]
	v_add_f64 v[51:52], v[29:30], v[47:48]
	v_add_f64 v[49:50], v[47:48], -v[49:50]
	v_fma_f64 v[25:26], v[27:28], v[25:26], s[74:75]
	v_add_f64 v[31:32], v[31:32], -v[53:54]
	v_add_f64 v[55:56], v[51:52], -v[29:30]
	;; [unrolled: 1-line block ×3, first 2 shown]
	v_fma_f64 v[25:26], v[27:28], v[25:26], s[76:77]
	v_add_f64 v[57:58], v[51:52], -v[55:56]
	v_add_f64 v[47:48], v[47:48], -v[55:56]
	v_fma_f64 v[25:26], v[27:28], v[25:26], s[78:79]
	v_add_f64 v[49:50], v[31:32], v[21:22]
	v_add_f64 v[29:30], v[29:30], -v[57:58]
	v_fma_f64 v[25:26], v[27:28], v[25:26], s[80:81]
	v_add_f64 v[29:30], v[47:48], v[29:30]
	;; [unrolled: 3-line block ×3, first 2 shown]
	v_add_f64 v[49:50], v[49:50], -v[47:48]
	v_fma_f64 v[25:26], v[27:28], v[25:26], s[84:85]
	v_add_f64 v[21:22], v[21:22], -v[47:48]
	v_add_f64 v[53:54], v[51:52], v[29:30]
	v_mul_f64 v[25:26], v[27:28], v[25:26]
	v_add_f64 v[27:28], v[31:32], -v[49:50]
	v_add_f64 v[31:32], v[53:54], -v[51:52]
	v_fma_f64 v[23:24], v[23:24], v[25:26], v[23:24]
	v_add_f64 v[21:22], v[21:22], v[27:28]
	v_add_f64 v[25:26], v[29:30], -v[31:32]
	v_add_f64 v[27:28], -v[23:24], s[28:29]
	v_add_f64 v[21:22], v[21:22], v[25:26]
	v_cndmask_b32_e64 v24, v24, v28, s[10:11]
	v_cndmask_b32_e64 v23, v23, v27, s[10:11]
	v_add_f64 v[25:26], -v[23:24], s[86:87]
	v_and_b32_e32 v28, 0x54442d18, v1
	v_cndmask_b32_e32 v27, v68, v69, vcc
	v_add_f64 v[21:22], v[53:54], v[21:22]
	v_cndmask_b32_e32 v23, v23, v25, vcc
	v_and_b32_e32 v25, 0x400921fb, v1
	v_cndmask_b32_e64 v23, v23, v28, s[12:13]
	v_mul_f64 v[1:2], v[21:22], 0.5
	v_cndmask_b32_e32 v22, v24, v26, vcc
	v_bfi_b32 v21, s60, v27, v4
	v_cndmask_b32_e64 v22, v22, v25, s[12:13]
	s_and_b64 vcc, s[52:53], s[54:55]
	s_and_b64 s[12:13], s[14:15], s[16:17]
	v_cndmask_b32_e32 v24, v22, v21, vcc
	s_mov_b32 s52, 0x69efb384
	v_cndmask_b32_e64 v21, 0, v1, s[12:13]
	v_cmp_ngt_f64_e64 s[12:13], -1.0, v[5:6]
	v_cndmask_b32_e64 v2, v63, v2, s[16:17]
	s_mov_b32 s54, 0xb5e68a13
	s_mov_b32 s53, 0x3f4b2bb0
	;; [unrolled: 1-line block ×3, first 2 shown]
	v_cndmask_b32_e32 v23, v23, v7, vcc
	v_cndmask_b32_e64 v1, v64, v2, s[12:13]
	v_cmp_neq_f64_e64 s[12:13], -1.0, v[5:6]
	v_cndmask_b32_e64 v22, v65, v1, s[12:13]
.LBB173_59:                             ;   in Loop: Header=BB173_4 Depth=1
	s_or_b64 exec, exec, s[50:51]
.LBB173_60:                             ;   in Loop: Header=BB173_4 Depth=1
	s_or_b64 exec, exec, s[48:49]
.LBB173_61:                             ;   in Loop: Header=BB173_4 Depth=1
	s_andn2_saveexec_b64 s[16:17], s[24:25]
	s_cbranch_execz .LBB173_63
; %bb.62:                               ;   in Loop: Header=BB173_4 Depth=1
	v_max_f64 v[21:22], |v[3:4]|, |v[3:4]|
	v_max_f64 v[23:24], |v[1:2]|, |v[1:2]|
	v_cmp_class_f64_e64 s[24:25], v[1:2], s61
	v_cmp_class_f64_e64 s[48:49], v[3:4], s61
	s_mov_b32 s31, s89
	s_mov_b32 s86, s28
	v_max_f64 v[25:26], v[23:24], v[21:22]
	v_min_f64 v[21:22], v[23:24], v[21:22]
	v_frexp_exp_i32_f64_e32 v7, v[25:26]
	v_sub_u32_e32 v27, 0, v7
	v_ldexp_f64 v[5:6], |v[3:4]|, v27
	v_ldexp_f64 v[27:28], |v[1:2]|, v27
	v_mul_f64 v[5:6], v[5:6], v[5:6]
	v_fma_f64 v[5:6], v[27:28], v[27:28], v[5:6]
	v_rsq_f64_e32 v[27:28], v[5:6]
	v_cmp_eq_f64_e32 vcc, 0, v[5:6]
	v_mul_f64 v[29:30], v[5:6], v[27:28]
	v_mul_f64 v[27:28], v[27:28], 0.5
	v_fma_f64 v[31:32], -v[27:28], v[29:30], 0.5
	v_fma_f64 v[29:30], v[29:30], v[31:32], v[29:30]
	v_fma_f64 v[27:28], v[27:28], v[31:32], v[27:28]
	v_fma_f64 v[31:32], -v[29:30], v[29:30], v[5:6]
	v_fma_f64 v[27:28], v[31:32], v[27:28], v[29:30]
	v_cndmask_b32_e32 v6, v28, v6, vcc
	v_cndmask_b32_e32 v5, v27, v5, vcc
	v_ldexp_f64 v[5:6], v[5:6], v7
	s_or_b64 vcc, s[48:49], s[24:25]
	v_cndmask_b32_e32 v6, v6, v63, vcc
	v_cndmask_b32_e64 v5, v5, 0, vcc
	v_frexp_mant_f64_e32 v[27:28], v[5:6]
	v_cmp_gt_f64_e64 s[12:13], s[88:89], v[27:28]
	v_cndmask_b32_e64 v1, 0, 1, s[12:13]
	v_ldexp_f64 v[27:28], v[27:28], v1
	v_frexp_exp_i32_f64_e32 v1, v[5:6]
	v_add_f64 v[29:30], v[27:28], 1.0
	v_add_f64 v[49:50], v[27:28], -1.0
	v_rcp_f64_e32 v[31:32], v[29:30]
	v_add_f64 v[53:54], v[29:30], -1.0
	v_add_f64 v[27:28], v[27:28], -v[53:54]
	v_fma_f64 v[47:48], -v[29:30], v[31:32], 1.0
	v_fma_f64 v[23:24], v[47:48], v[31:32], v[31:32]
	v_div_scale_f64 v[31:32], s[14:15], v[25:26], v[25:26], v[21:22]
	s_mov_b32 s14, 0xaf56de9b
	s_mov_b32 s15, 0xbf67952d
	v_fma_f64 v[47:48], -v[29:30], v[23:24], 1.0
	v_fma_f64 v[23:24], v[47:48], v[23:24], v[23:24]
	v_rcp_f64_e32 v[47:48], v[31:32]
	v_mul_f64 v[51:52], v[49:50], v[23:24]
	v_mul_f64 v[55:56], v[29:30], v[51:52]
	v_fma_f64 v[57:58], -v[31:32], v[47:48], 1.0
	v_fma_f64 v[29:30], v[51:52], v[29:30], -v[55:56]
	v_fma_f64 v[47:48], v[47:48], v[57:58], v[47:48]
	v_fma_f64 v[27:28], v[51:52], v[27:28], v[29:30]
	v_div_scale_f64 v[29:30], vcc, v[21:22], v[25:26], v[21:22]
	v_fma_f64 v[53:54], -v[31:32], v[47:48], 1.0
	v_add_f64 v[57:58], v[55:56], v[27:28]
	v_fma_f64 v[47:48], v[47:48], v[53:54], v[47:48]
	v_add_f64 v[53:54], v[49:50], -v[57:58]
	v_add_f64 v[55:56], v[57:58], -v[55:56]
	v_mul_f64 v[59:60], v[29:30], v[47:48]
	v_add_f64 v[49:50], v[49:50], -v[53:54]
	v_add_f64 v[27:28], v[55:56], -v[27:28]
	v_fma_f64 v[29:30], -v[31:32], v[59:60], v[29:30]
	v_add_f64 v[31:32], v[49:50], -v[57:58]
	v_div_fmas_f64 v[29:30], v[29:30], v[47:48], v[59:60]
	v_subbrev_co_u32_e64 v1, vcc, 0, v1, s[12:13]
	v_cmp_eq_f64_e64 s[12:13], 0, v[3:4]
	v_cmp_gt_i32_e32 vcc, 0, v2
	v_add_f64 v[27:28], v[27:28], v[31:32]
	v_cndmask_b32_e32 v7, v66, v67, vcc
	v_add_f64 v[27:28], v[53:54], v[27:28]
	v_div_fixup_f64 v[21:22], v[29:30], v[25:26], v[21:22]
	v_mul_f64 v[23:24], v[23:24], v[27:28]
	v_mul_f64 v[25:26], v[21:22], v[21:22]
	v_add_f64 v[27:28], v[51:52], v[23:24]
	v_fma_f64 v[29:30], v[25:26], s[54:55], v[37:38]
	v_mul_f64 v[31:32], v[27:28], v[27:28]
	v_fma_f64 v[29:30], v[25:26], v[29:30], s[52:53]
	v_fma_f64 v[47:48], v[31:32], s[34:35], v[35:36]
	v_mul_f64 v[49:50], v[27:28], v[31:32]
	v_fma_f64 v[29:30], v[25:26], v[29:30], s[14:15]
	s_mov_b32 s14, 0xa595c56f
	s_mov_b32 s15, 0x3f7d6d43
	v_fma_f64 v[47:48], v[31:32], v[47:48], s[36:37]
	v_fma_f64 v[29:30], v[25:26], v[29:30], s[14:15]
	s_mov_b32 s14, 0xa57d9582
	s_mov_b32 s15, 0xbf8c6ea4
	v_fma_f64 v[47:48], v[31:32], v[47:48], s[38:39]
	;; [unrolled: 4-line block ×4, first 2 shown]
	v_fma_f64 v[29:30], v[25:26], v[29:30], s[14:15]
	v_cmp_class_f64_e64 s[14:15], v[5:6], s61
	v_fma_f64 v[31:32], v[31:32], v[47:48], s[30:31]
	v_ldexp_f64 v[47:48], v[27:28], 1
	v_add_f64 v[27:28], v[27:28], -v[51:52]
	v_fma_f64 v[29:30], v[25:26], v[29:30], s[62:63]
	v_cvt_f64_i32_e32 v[51:52], v1
	v_ashrrev_i32_e32 v1, 31, v2
	v_mul_f64 v[31:32], v[49:50], v[31:32]
	v_mul_f64 v[53:54], v[51:52], s[44:45]
	v_add_f64 v[23:24], v[23:24], -v[27:28]
	v_fma_f64 v[29:30], v[25:26], v[29:30], s[64:65]
	v_add_f64 v[49:50], v[47:48], v[31:32]
	v_ldexp_f64 v[23:24], v[23:24], 1
	v_fma_f64 v[29:30], v[25:26], v[29:30], s[66:67]
	v_add_f64 v[27:28], v[49:50], -v[47:48]
	v_fma_f64 v[47:48], v[51:52], s[44:45], -v[53:54]
	v_fma_f64 v[29:30], v[25:26], v[29:30], s[68:69]
	v_add_f64 v[27:28], v[31:32], -v[27:28]
	v_fma_f64 v[31:32], v[51:52], s[46:47], v[47:48]
	v_fma_f64 v[29:30], v[25:26], v[29:30], s[70:71]
	v_add_f64 v[23:24], v[23:24], v[27:28]
	v_fma_f64 v[27:28], v[25:26], v[29:30], s[72:73]
	v_add_f64 v[29:30], v[53:54], v[31:32]
	v_add_f64 v[47:48], v[49:50], v[23:24]
	v_fma_f64 v[27:28], v[25:26], v[27:28], s[74:75]
	v_add_f64 v[53:54], v[29:30], -v[53:54]
	v_add_f64 v[51:52], v[29:30], v[47:48]
	v_add_f64 v[49:50], v[47:48], -v[49:50]
	v_fma_f64 v[27:28], v[25:26], v[27:28], s[76:77]
	v_add_f64 v[31:32], v[31:32], -v[53:54]
	v_add_f64 v[55:56], v[51:52], -v[29:30]
	;; [unrolled: 1-line block ×3, first 2 shown]
	v_fma_f64 v[27:28], v[25:26], v[27:28], s[78:79]
	v_add_f64 v[57:58], v[51:52], -v[55:56]
	v_add_f64 v[47:48], v[47:48], -v[55:56]
	v_add_f64 v[49:50], v[31:32], v[23:24]
	v_fma_f64 v[27:28], v[25:26], v[27:28], s[80:81]
	v_add_f64 v[29:30], v[29:30], -v[57:58]
	v_fma_f64 v[27:28], v[25:26], v[27:28], s[82:83]
	v_add_f64 v[29:30], v[47:48], v[29:30]
	v_add_f64 v[47:48], v[49:50], -v[31:32]
	v_fma_f64 v[27:28], v[25:26], v[27:28], s[84:85]
	v_add_f64 v[29:30], v[49:50], v[29:30]
	v_add_f64 v[23:24], v[23:24], -v[47:48]
	v_mul_f64 v[25:26], v[25:26], v[27:28]
	v_add_f64 v[27:28], v[49:50], -v[47:48]
	v_add_f64 v[49:50], v[51:52], v[29:30]
	v_fma_f64 v[21:22], v[21:22], v[25:26], v[21:22]
	v_add_f64 v[25:26], v[31:32], -v[27:28]
	v_add_f64 v[27:28], v[49:50], -v[51:52]
	v_add_f64 v[31:32], -v[21:22], s[28:29]
	v_add_f64 v[23:24], v[23:24], v[25:26]
	v_add_f64 v[25:26], v[29:30], -v[27:28]
	v_cndmask_b32_e64 v22, v22, v32, s[10:11]
	v_cndmask_b32_e64 v21, v21, v31, s[10:11]
	v_add_f64 v[27:28], -v[21:22], s[86:87]
	v_add_f64 v[23:24], v[23:24], v[25:26]
	v_and_b32_e32 v25, 0x54442d18, v1
	v_cndmask_b32_e32 v26, v68, v69, vcc
	v_cndmask_b32_e32 v21, v21, v27, vcc
	v_and_b32_e32 v27, 0x400921fb, v1
	v_cndmask_b32_e32 v22, v22, v28, vcc
	v_add_f64 v[1:2], v[49:50], v[23:24]
	v_cndmask_b32_e64 v25, v21, v25, s[12:13]
	v_cndmask_b32_e64 v21, v22, v27, s[12:13]
	v_cmp_ngt_f64_e64 s[12:13], 0, v[5:6]
	v_bfi_b32 v23, s60, v26, v4
	s_and_b64 vcc, s[48:49], s[24:25]
	v_cndmask_b32_e32 v24, v21, v23, vcc
	v_cndmask_b32_e32 v23, v25, v7, vcc
	v_cndmask_b32_e64 v2, v2, v6, s[14:15]
	v_cndmask_b32_e64 v1, v1, v5, s[14:15]
	;; [unrolled: 1-line block ×3, first 2 shown]
	v_cmp_nge_f64_e64 s[12:13], 0, v[5:6]
	v_cndmask_b32_e64 v21, 0, v1, s[12:13]
	v_cmp_neq_f64_e64 s[12:13], 0, v[5:6]
	v_cndmask_b32_e64 v22, v65, v2, s[12:13]
.LBB173_63:                             ;   in Loop: Header=BB173_4 Depth=1
	s_or_b64 exec, exec, s[16:17]
                                        ; implicit-def: $vgpr25_vgpr26
.LBB173_64:                             ;   in Loop: Header=BB173_4 Depth=1
	s_andn2_saveexec_b64 s[4:5], s[4:5]
	s_cbranch_execz .LBB173_70
; %bb.65:                               ;   in Loop: Header=BB173_4 Depth=1
	s_mov_b32 s12, 0x6a3f9475
	s_mov_b32 s13, 0x20ca2fe7
	v_cmp_ngt_f64_e32 vcc, s[12:13], v[25:26]
                                        ; implicit-def: $vgpr21_vgpr22
	s_and_saveexec_b64 s[12:13], vcc
	s_xor_b64 s[16:17], exec, s[12:13]
	s_cbranch_execz .LBB173_67
; %bb.66:                               ;   in Loop: Header=BB173_4 Depth=1
	v_mul_f64 v[5:6], v[25:26], v[25:26]
	s_mov_b32 s31, s89
	s_mov_b32 s86, s28
	s_mov_b32 s14, 0
	v_cmp_class_f64_e64 s[24:25], v[3:4], s61
	v_cmp_class_f64_e64 s[48:49], v[1:2], s61
	s_mov_b32 s15, 0x7ff00000
	v_add_f64 v[21:22], v[5:6], 1.0
	v_cmp_neq_f64_e64 s[14:15], s[14:15], v[5:6]
	v_frexp_mant_f64_e32 v[25:26], v[21:22]
	v_frexp_exp_i32_f64_e32 v7, v[21:22]
	v_add_f64 v[23:24], v[21:22], -1.0
	v_cmp_gt_f64_e32 vcc, s[88:89], v[25:26]
	v_add_f64 v[27:28], v[23:24], -v[21:22]
	v_add_f64 v[23:24], v[5:6], -v[23:24]
	v_subbrev_co_u32_e32 v7, vcc, 0, v7, vcc
	v_sub_u32_e32 v29, 0, v7
	v_ldexp_f64 v[21:22], v[21:22], v29
	v_add_f64 v[25:26], v[27:28], 1.0
	v_add_f64 v[27:28], v[21:22], 1.0
	v_add_f64 v[23:24], v[23:24], v[25:26]
	v_add_f64 v[47:48], v[21:22], -1.0
	v_add_f64 v[25:26], v[27:28], -1.0
	v_ldexp_f64 v[23:24], v[23:24], v29
	v_add_f64 v[49:50], v[47:48], 1.0
	v_add_f64 v[25:26], v[21:22], -v[25:26]
	v_add_f64 v[21:22], v[21:22], -v[49:50]
	v_add_f64 v[25:26], v[23:24], v[25:26]
	v_add_f64 v[21:22], v[23:24], v[21:22]
	;; [unrolled: 1-line block ×4, first 2 shown]
	v_rcp_f64_e32 v[31:32], v[29:30]
	v_add_f64 v[27:28], v[27:28], -v[29:30]
	v_add_f64 v[47:48], v[47:48], -v[49:50]
	v_add_f64 v[25:26], v[25:26], v[27:28]
	v_add_f64 v[21:22], v[21:22], v[47:48]
	v_fma_f64 v[51:52], -v[29:30], v[31:32], 1.0
	v_fma_f64 v[31:32], v[51:52], v[31:32], v[31:32]
	v_fma_f64 v[23:24], -v[29:30], v[31:32], 1.0
	v_fma_f64 v[23:24], v[23:24], v[31:32], v[31:32]
	v_mul_f64 v[31:32], v[49:50], v[23:24]
	v_mul_f64 v[51:52], v[29:30], v[31:32]
	v_fma_f64 v[27:28], v[31:32], v[29:30], -v[51:52]
	v_fma_f64 v[27:28], v[31:32], v[25:26], v[27:28]
	v_add_f64 v[53:54], v[51:52], v[27:28]
	v_add_f64 v[55:56], v[49:50], -v[53:54]
	v_add_f64 v[47:48], v[53:54], -v[51:52]
	;; [unrolled: 1-line block ×4, first 2 shown]
	v_max_f64 v[47:48], |v[1:2]|, |v[1:2]|
	v_ashrrev_i32_e32 v1, 31, v2
	v_add_f64 v[49:50], v[49:50], -v[53:54]
	v_add_f64 v[21:22], v[21:22], v[49:50]
	v_add_f64 v[21:22], v[27:28], v[21:22]
	v_max_f64 v[27:28], |v[3:4]|, |v[3:4]|
	v_add_f64 v[49:50], v[55:56], v[21:22]
	v_max_f64 v[51:52], v[47:48], v[27:28]
	v_min_f64 v[27:28], v[47:48], v[27:28]
	v_mul_f64 v[47:48], v[23:24], v[49:50]
	v_add_f64 v[55:56], v[55:56], -v[49:50]
	v_div_scale_f64 v[53:54], s[12:13], v[51:52], v[51:52], v[27:28]
	s_mov_b32 s12, 0xaf56de9b
	s_mov_b32 s13, 0xbf67952d
	v_mul_f64 v[57:58], v[29:30], v[47:48]
	v_add_f64 v[21:22], v[21:22], v[55:56]
	v_fma_f64 v[29:30], v[47:48], v[29:30], -v[57:58]
	v_rcp_f64_e32 v[59:60], v[53:54]
	v_fma_f64 v[25:26], v[47:48], v[25:26], v[29:30]
	v_add_f64 v[29:30], v[57:58], v[25:26]
	v_fma_f64 v[61:62], -v[53:54], v[59:60], 1.0
	v_add_f64 v[70:71], v[49:50], -v[29:30]
	v_add_f64 v[55:56], v[29:30], -v[57:58]
	v_fma_f64 v[59:60], v[59:60], v[61:62], v[59:60]
	v_div_scale_f64 v[61:62], vcc, v[27:28], v[51:52], v[27:28]
	v_add_f64 v[49:50], v[49:50], -v[70:71]
	v_add_f64 v[25:26], v[55:56], -v[25:26]
	v_fma_f64 v[72:73], -v[53:54], v[59:60], 1.0
	v_add_f64 v[55:56], v[31:32], v[47:48]
	v_add_f64 v[29:30], v[49:50], -v[29:30]
	v_fma_f64 v[49:50], v[59:60], v[72:73], v[59:60]
	v_add_f64 v[31:32], v[55:56], -v[31:32]
	v_add_f64 v[21:22], v[21:22], v[29:30]
	v_mul_f64 v[29:30], v[61:62], v[49:50]
	v_add_f64 v[21:22], v[25:26], v[21:22]
	v_fma_f64 v[25:26], -v[53:54], v[29:30], v[61:62]
	v_add_f64 v[21:22], v[70:71], v[21:22]
	v_div_fmas_f64 v[25:26], v[25:26], v[49:50], v[29:30]
	v_add_f64 v[29:30], v[47:48], -v[31:32]
	v_cmp_gt_i32_e32 vcc, 0, v2
	v_mul_f64 v[21:22], v[23:24], v[21:22]
	v_add_f64 v[21:22], v[29:30], v[21:22]
	v_div_fixup_f64 v[23:24], v[25:26], v[51:52], v[27:28]
	v_cvt_f64_i32_e32 v[51:52], v7
	v_cndmask_b32_e32 v7, v66, v67, vcc
	v_mul_f64 v[53:54], v[51:52], s[44:45]
	v_add_f64 v[25:26], v[55:56], v[21:22]
	v_mul_f64 v[27:28], v[23:24], v[23:24]
	v_mul_f64 v[29:30], v[25:26], v[25:26]
	v_fma_f64 v[31:32], v[27:28], s[54:55], v[37:38]
	v_fma_f64 v[47:48], v[29:30], s[34:35], v[35:36]
	v_mul_f64 v[49:50], v[25:26], v[29:30]
	v_fma_f64 v[31:32], v[27:28], v[31:32], s[52:53]
	v_fma_f64 v[47:48], v[29:30], v[47:48], s[36:37]
	;; [unrolled: 1-line block ×3, first 2 shown]
	s_mov_b32 s12, 0xa595c56f
	s_mov_b32 s13, 0x3f7d6d43
	v_fma_f64 v[47:48], v[29:30], v[47:48], s[38:39]
	v_fma_f64 v[31:32], v[27:28], v[31:32], s[12:13]
	s_mov_b32 s12, 0xa57d9582
	s_mov_b32 s13, 0xbf8c6ea4
	v_fma_f64 v[47:48], v[29:30], v[47:48], s[40:41]
	v_fma_f64 v[31:32], v[27:28], v[31:32], s[12:13]
	;; [unrolled: 4-line block ×3, first 2 shown]
	s_mov_b32 s12, 0xfc27006a
	s_mov_b32 s13, 0xbf9e9ae6
	v_fma_f64 v[29:30], v[29:30], v[47:48], s[30:31]
	v_ldexp_f64 v[47:48], v[25:26], 1
	v_fma_f64 v[31:32], v[27:28], v[31:32], s[12:13]
	v_add_f64 v[25:26], v[25:26], -v[55:56]
	v_cmp_eq_f64_e64 s[12:13], 0, v[3:4]
	v_mul_f64 v[29:30], v[49:50], v[29:30]
	v_fma_f64 v[31:32], v[27:28], v[31:32], s[62:63]
	v_add_f64 v[21:22], v[21:22], -v[25:26]
	v_add_f64 v[49:50], v[47:48], v[29:30]
	v_fma_f64 v[31:32], v[27:28], v[31:32], s[64:65]
	v_ldexp_f64 v[21:22], v[21:22], 1
	v_add_f64 v[25:26], v[49:50], -v[47:48]
	v_fma_f64 v[47:48], v[51:52], s[44:45], -v[53:54]
	v_fma_f64 v[31:32], v[27:28], v[31:32], s[66:67]
	v_add_f64 v[25:26], v[29:30], -v[25:26]
	v_fma_f64 v[29:30], v[27:28], v[31:32], s[68:69]
	v_fma_f64 v[31:32], v[51:52], s[46:47], v[47:48]
	v_add_f64 v[21:22], v[21:22], v[25:26]
	v_fma_f64 v[25:26], v[27:28], v[29:30], s[70:71]
	v_add_f64 v[29:30], v[53:54], v[31:32]
	v_add_f64 v[47:48], v[49:50], v[21:22]
	v_fma_f64 v[25:26], v[27:28], v[25:26], s[72:73]
	v_add_f64 v[53:54], v[29:30], -v[53:54]
	v_add_f64 v[51:52], v[29:30], v[47:48]
	v_add_f64 v[49:50], v[47:48], -v[49:50]
	v_fma_f64 v[25:26], v[27:28], v[25:26], s[74:75]
	v_add_f64 v[31:32], v[31:32], -v[53:54]
	v_add_f64 v[55:56], v[51:52], -v[29:30]
	;; [unrolled: 1-line block ×3, first 2 shown]
	v_fma_f64 v[25:26], v[27:28], v[25:26], s[76:77]
	v_add_f64 v[57:58], v[51:52], -v[55:56]
	v_add_f64 v[47:48], v[47:48], -v[55:56]
	v_fma_f64 v[25:26], v[27:28], v[25:26], s[78:79]
	v_add_f64 v[49:50], v[31:32], v[21:22]
	v_add_f64 v[29:30], v[29:30], -v[57:58]
	v_fma_f64 v[25:26], v[27:28], v[25:26], s[80:81]
	v_add_f64 v[29:30], v[47:48], v[29:30]
	;; [unrolled: 3-line block ×3, first 2 shown]
	v_add_f64 v[49:50], v[49:50], -v[47:48]
	v_fma_f64 v[25:26], v[27:28], v[25:26], s[84:85]
	v_add_f64 v[21:22], v[21:22], -v[47:48]
	v_add_f64 v[53:54], v[51:52], v[29:30]
	v_mul_f64 v[25:26], v[27:28], v[25:26]
	v_add_f64 v[27:28], v[31:32], -v[49:50]
	v_add_f64 v[31:32], v[53:54], -v[51:52]
	v_fma_f64 v[23:24], v[23:24], v[25:26], v[23:24]
	v_add_f64 v[21:22], v[21:22], v[27:28]
	v_add_f64 v[25:26], v[29:30], -v[31:32]
	v_add_f64 v[27:28], -v[23:24], s[28:29]
	v_add_f64 v[21:22], v[21:22], v[25:26]
	v_cndmask_b32_e64 v24, v24, v28, s[10:11]
	v_cndmask_b32_e64 v23, v23, v27, s[10:11]
	v_add_f64 v[25:26], -v[23:24], s[86:87]
	v_and_b32_e32 v27, 0x54442d18, v1
	v_and_b32_e32 v28, 0x400921fb, v1
	v_add_f64 v[21:22], v[53:54], v[21:22]
	v_cndmask_b32_e32 v23, v23, v25, vcc
	v_cndmask_b32_e32 v25, v68, v69, vcc
	;; [unrolled: 1-line block ×3, first 2 shown]
	v_bfi_b32 v5, s60, v25, v4
	v_mul_f64 v[1:2], v[21:22], 0.5
	v_cndmask_b32_e64 v23, v23, v27, s[12:13]
	v_cndmask_b32_e64 v6, v6, v28, s[12:13]
	s_and_b64 vcc, s[24:25], s[48:49]
	v_cndmask_b32_e32 v24, v6, v5, vcc
	v_cndmask_b32_e32 v23, v23, v7, vcc
                                        ; implicit-def: $vgpr25_vgpr26
	v_cndmask_b32_e64 v22, v63, v2, s[14:15]
	v_cndmask_b32_e64 v21, 0, v1, s[14:15]
.LBB173_67:                             ;   in Loop: Header=BB173_4 Depth=1
	s_andn2_saveexec_b64 s[14:15], s[16:17]
	s_cbranch_execz .LBB173_69
; %bb.68:                               ;   in Loop: Header=BB173_4 Depth=1
	v_max_f64 v[5:6], |v[3:4]|, |v[3:4]|
	v_max_f64 v[21:22], |v[1:2]|, |v[1:2]|
	s_mov_b32 s86, s28
	v_cmp_class_f64_e64 s[16:17], v[3:4], s61
	v_cmp_class_f64_e64 s[24:25], v[1:2], s61
	v_ashrrev_i32_e32 v7, 31, v2
	v_max_f64 v[23:24], v[21:22], v[5:6]
	v_min_f64 v[5:6], v[21:22], v[5:6]
	v_div_scale_f64 v[21:22], s[12:13], v[23:24], v[23:24], v[5:6]
	s_mov_b32 s12, 0xaf56de9b
	s_mov_b32 s13, 0xbf67952d
	v_rcp_f64_e32 v[27:28], v[21:22]
	v_fma_f64 v[29:30], -v[21:22], v[27:28], 1.0
	v_fma_f64 v[27:28], v[27:28], v[29:30], v[27:28]
	v_div_scale_f64 v[29:30], vcc, v[5:6], v[23:24], v[5:6]
	v_fma_f64 v[31:32], -v[21:22], v[27:28], 1.0
	v_fma_f64 v[27:28], v[27:28], v[31:32], v[27:28]
	v_mul_f64 v[31:32], v[29:30], v[27:28]
	v_fma_f64 v[21:22], -v[21:22], v[31:32], v[29:30]
	v_div_fmas_f64 v[21:22], v[21:22], v[27:28], v[31:32]
	v_mul_f64 v[27:28], v[25:26], 0.5
	v_cmp_gt_i32_e32 vcc, 0, v2
	v_cndmask_b32_e32 v1, v68, v69, vcc
	v_and_b32_e32 v2, 0x400921fb, v7
	v_cndmask_b32_e32 v29, v66, v67, vcc
	v_bfi_b32 v1, s60, v1, v4
	v_div_fixup_f64 v[5:6], v[21:22], v[23:24], v[5:6]
	v_mul_f64 v[21:22], v[5:6], v[5:6]
	v_fma_f64 v[23:24], v[21:22], s[54:55], v[37:38]
	v_fma_f64 v[23:24], v[21:22], v[23:24], s[52:53]
	;; [unrolled: 1-line block ×3, first 2 shown]
	s_mov_b32 s12, 0xa595c56f
	s_mov_b32 s13, 0x3f7d6d43
	v_fma_f64 v[23:24], v[21:22], v[23:24], s[12:13]
	s_mov_b32 s12, 0xa57d9582
	s_mov_b32 s13, 0xbf8c6ea4
	v_fma_f64 v[23:24], v[21:22], v[23:24], s[12:13]
	;; [unrolled: 3-line block ×4, first 2 shown]
	v_cmp_eq_f64_e64 s[12:13], 0, v[3:4]
	v_fma_f64 v[23:24], v[21:22], v[23:24], s[62:63]
	v_fma_f64 v[23:24], v[21:22], v[23:24], s[64:65]
	;; [unrolled: 1-line block ×12, first 2 shown]
	v_mul_f64 v[21:22], v[21:22], v[23:24]
	v_and_b32_e32 v24, 0x54442d18, v7
	v_fma_f64 v[5:6], v[5:6], v[21:22], v[5:6]
	v_add_f64 v[21:22], -v[5:6], s[28:29]
	v_cndmask_b32_e64 v6, v6, v22, s[10:11]
	v_cndmask_b32_e64 v5, v5, v21, s[10:11]
	v_add_f64 v[22:23], -v[5:6], s[86:87]
	v_cndmask_b32_e32 v5, v5, v22, vcc
	v_mul_f64 v[21:22], v[25:26], v[27:28]
	v_cndmask_b32_e32 v6, v6, v23, vcc
	v_cndmask_b32_e64 v5, v5, v24, s[12:13]
	v_cndmask_b32_e64 v2, v6, v2, s[12:13]
	s_and_b64 vcc, s[16:17], s[24:25]
	v_cndmask_b32_e32 v24, v2, v1, vcc
	v_cndmask_b32_e32 v23, v5, v29, vcc
.LBB173_69:                             ;   in Loop: Header=BB173_4 Depth=1
	s_or_b64 exec, exec, s[14:15]
.LBB173_70:                             ;   in Loop: Header=BB173_4 Depth=1
	s_or_b64 exec, exec, s[4:5]
.LBB173_71:                             ;   in Loop: Header=BB173_4 Depth=1
	s_andn2_saveexec_b64 s[4:5], s[90:91]
	s_cbranch_execz .LBB173_73
; %bb.72:                               ;   in Loop: Header=BB173_4 Depth=1
	v_div_scale_f64 v[5:6], s[12:13], s[92:93], s[92:93], v[1:2]
	v_div_scale_f64 v[21:22], s[12:13], s[92:93], s[92:93], v[3:4]
	;; [unrolled: 1-line block ×3, first 2 shown]
	s_mov_b32 s31, s89
	s_mov_b32 s86, s28
	v_cmp_class_f64_e64 s[16:17], v[1:2], s61
	v_rcp_f64_e32 v[23:24], v[5:6]
	v_rcp_f64_e32 v[25:26], v[21:22]
	v_fma_f64 v[27:28], -v[5:6], v[23:24], 1.0
	v_fma_f64 v[29:30], -v[21:22], v[25:26], 1.0
	v_fma_f64 v[23:24], v[23:24], v[27:28], v[23:24]
	v_div_scale_f64 v[27:28], vcc, v[1:2], s[92:93], v[1:2]
	v_fma_f64 v[25:26], v[25:26], v[29:30], v[25:26]
	v_fma_f64 v[29:30], -v[5:6], v[23:24], 1.0
	v_fma_f64 v[47:48], -v[21:22], v[25:26], 1.0
	v_fma_f64 v[23:24], v[23:24], v[29:30], v[23:24]
	v_fma_f64 v[25:26], v[25:26], v[47:48], v[25:26]
	v_mul_f64 v[29:30], v[27:28], v[23:24]
	v_mul_f64 v[47:48], v[31:32], v[25:26]
	v_fma_f64 v[5:6], -v[5:6], v[29:30], v[27:28]
	v_fma_f64 v[21:22], -v[21:22], v[47:48], v[31:32]
	v_max_f64 v[31:32], |v[1:2]|, |v[1:2]|
	v_div_fmas_f64 v[5:6], v[5:6], v[23:24], v[29:30]
	s_mov_b64 vcc, s[12:13]
	v_div_fmas_f64 v[21:22], v[21:22], v[25:26], v[47:48]
	v_div_fixup_f64 v[5:6], v[5:6], s[92:93], v[1:2]
	v_ashrrev_i32_e32 v1, 31, v2
	v_div_fixup_f64 v[21:22], v[21:22], s[92:93], v[3:4]
	v_cmp_class_f64_e64 s[12:13], v[5:6], s61
	v_max_f64 v[23:24], |v[5:6]|, |v[21:22]|
	v_cmp_class_f64_e64 s[14:15], v[21:22], s61
	v_frexp_exp_i32_f64_e32 v7, v[23:24]
	v_sub_u32_e32 v25, 0, v7
	v_ldexp_f64 v[23:24], |v[21:22]|, v25
	v_ldexp_f64 v[25:26], |v[5:6]|, v25
	v_mul_f64 v[23:24], v[23:24], v[23:24]
	v_fma_f64 v[23:24], v[25:26], v[25:26], v[23:24]
	v_rsq_f64_e32 v[25:26], v[23:24]
	v_cmp_eq_f64_e32 vcc, 0, v[23:24]
	v_mul_f64 v[27:28], v[23:24], v[25:26]
	v_mul_f64 v[25:26], v[25:26], 0.5
	v_fma_f64 v[29:30], -v[25:26], v[27:28], 0.5
	v_fma_f64 v[27:28], v[27:28], v[29:30], v[27:28]
	v_fma_f64 v[25:26], v[25:26], v[29:30], v[25:26]
	v_fma_f64 v[29:30], -v[27:28], v[27:28], v[23:24]
	v_fma_f64 v[25:26], v[29:30], v[25:26], v[27:28]
	v_max_f64 v[29:30], |v[3:4]|, |v[3:4]|
	v_cndmask_b32_e32 v24, v26, v24, vcc
	v_cndmask_b32_e32 v23, v25, v23, vcc
	v_ldexp_f64 v[23:24], v[23:24], v7
	v_cmp_o_f64_e32 vcc, v[5:6], v[21:22]
	v_cndmask_b32_e32 v5, 0, v23, vcc
	v_cndmask_b32_e32 v6, v64, v24, vcc
	s_or_b64 vcc, s[14:15], s[12:13]
	v_cndmask_b32_e32 v6, v6, v63, vcc
	v_cndmask_b32_e64 v5, v5, 0, vcc
	v_frexp_mant_f64_e32 v[21:22], v[5:6]
	v_cmp_gt_f64_e64 s[12:13], s[88:89], v[21:22]
	v_cndmask_b32_e64 v7, 0, 1, s[12:13]
	v_ldexp_f64 v[21:22], v[21:22], v7
	v_frexp_exp_i32_f64_e32 v7, v[5:6]
	v_add_f64 v[23:24], v[21:22], 1.0
	v_add_f64 v[49:50], v[21:22], -1.0
	v_rcp_f64_e32 v[25:26], v[23:24]
	v_add_f64 v[53:54], v[23:24], -1.0
	v_add_f64 v[21:22], v[21:22], -v[53:54]
	v_fma_f64 v[27:28], -v[23:24], v[25:26], 1.0
	v_fma_f64 v[25:26], v[27:28], v[25:26], v[25:26]
	v_max_f64 v[27:28], v[31:32], v[29:30]
	v_min_f64 v[29:30], v[31:32], v[29:30]
	v_fma_f64 v[31:32], -v[23:24], v[25:26], 1.0
	v_div_scale_f64 v[47:48], s[14:15], v[27:28], v[27:28], v[29:30]
	s_mov_b32 s14, 0xaf56de9b
	s_mov_b32 s15, 0xbf67952d
	v_fma_f64 v[25:26], v[31:32], v[25:26], v[25:26]
	v_mul_f64 v[31:32], v[49:50], v[25:26]
	v_rcp_f64_e32 v[51:52], v[47:48]
	v_mul_f64 v[55:56], v[23:24], v[31:32]
	v_fma_f64 v[23:24], v[31:32], v[23:24], -v[55:56]
	v_fma_f64 v[53:54], -v[47:48], v[51:52], 1.0
	v_fma_f64 v[21:22], v[31:32], v[21:22], v[23:24]
	v_fma_f64 v[23:24], v[51:52], v[53:54], v[51:52]
	v_div_scale_f64 v[53:54], vcc, v[29:30], v[27:28], v[29:30]
	v_add_f64 v[51:52], v[55:56], v[21:22]
	v_fma_f64 v[57:58], -v[47:48], v[23:24], 1.0
	v_add_f64 v[59:60], v[49:50], -v[51:52]
	v_add_f64 v[55:56], v[51:52], -v[55:56]
	v_fma_f64 v[23:24], v[23:24], v[57:58], v[23:24]
	v_add_f64 v[49:50], v[49:50], -v[59:60]
	v_add_f64 v[21:22], v[55:56], -v[21:22]
	v_mul_f64 v[57:58], v[53:54], v[23:24]
	v_add_f64 v[49:50], v[49:50], -v[51:52]
	v_fma_f64 v[47:48], -v[47:48], v[57:58], v[53:54]
	v_add_f64 v[21:22], v[21:22], v[49:50]
	v_div_fmas_f64 v[23:24], v[47:48], v[23:24], v[57:58]
	v_subbrev_co_u32_e64 v7, vcc, 0, v7, s[12:13]
	v_cmp_class_f64_e64 vcc, v[5:6], s61
	v_cmp_eq_f64_e64 s[12:13], 0, v[3:4]
	v_add_f64 v[21:22], v[59:60], v[21:22]
	v_mul_f64 v[21:22], v[25:26], v[21:22]
	v_div_fixup_f64 v[23:24], v[23:24], v[27:28], v[29:30]
	v_add_f64 v[25:26], v[31:32], v[21:22]
	v_mul_f64 v[27:28], v[23:24], v[23:24]
	v_mul_f64 v[29:30], v[25:26], v[25:26]
	v_fma_f64 v[47:48], v[27:28], s[54:55], v[37:38]
	v_fma_f64 v[49:50], v[29:30], s[34:35], v[35:36]
	v_mul_f64 v[51:52], v[25:26], v[29:30]
	v_fma_f64 v[47:48], v[27:28], v[47:48], s[52:53]
	v_fma_f64 v[49:50], v[29:30], v[49:50], s[36:37]
	;; [unrolled: 1-line block ×3, first 2 shown]
	s_mov_b32 s14, 0xa595c56f
	s_mov_b32 s15, 0x3f7d6d43
	v_fma_f64 v[49:50], v[29:30], v[49:50], s[38:39]
	v_fma_f64 v[47:48], v[27:28], v[47:48], s[14:15]
	s_mov_b32 s14, 0xa57d9582
	s_mov_b32 s15, 0xbf8c6ea4
	v_fma_f64 v[49:50], v[29:30], v[49:50], s[40:41]
	v_fma_f64 v[47:48], v[27:28], v[47:48], s[14:15]
	;; [unrolled: 4-line block ×3, first 2 shown]
	s_mov_b32 s14, 0xfc27006a
	s_mov_b32 s15, 0xbf9e9ae6
	v_fma_f64 v[29:30], v[29:30], v[49:50], s[30:31]
	v_ldexp_f64 v[49:50], v[25:26], 1
	v_fma_f64 v[47:48], v[27:28], v[47:48], s[14:15]
	v_add_f64 v[25:26], v[25:26], -v[31:32]
	v_cmp_class_f64_e64 s[14:15], v[3:4], s61
	v_mul_f64 v[29:30], v[51:52], v[29:30]
	v_cvt_f64_i32_e32 v[51:52], v7
	v_fma_f64 v[47:48], v[27:28], v[47:48], s[62:63]
	v_add_f64 v[21:22], v[21:22], -v[25:26]
	v_mul_f64 v[53:54], v[51:52], s[44:45]
	v_add_f64 v[31:32], v[49:50], v[29:30]
	v_fma_f64 v[47:48], v[27:28], v[47:48], s[64:65]
	v_ldexp_f64 v[21:22], v[21:22], 1
	v_add_f64 v[25:26], v[31:32], -v[49:50]
	v_fma_f64 v[49:50], v[51:52], s[44:45], -v[53:54]
	v_fma_f64 v[47:48], v[27:28], v[47:48], s[66:67]
	v_add_f64 v[25:26], v[29:30], -v[25:26]
	v_fma_f64 v[29:30], v[27:28], v[47:48], s[68:69]
	v_fma_f64 v[47:48], v[51:52], s[46:47], v[49:50]
	v_add_f64 v[21:22], v[21:22], v[25:26]
	v_fma_f64 v[25:26], v[27:28], v[29:30], s[70:71]
	v_add_f64 v[29:30], v[53:54], v[47:48]
	v_add_f64 v[49:50], v[31:32], v[21:22]
	v_fma_f64 v[25:26], v[27:28], v[25:26], s[72:73]
	v_add_f64 v[53:54], v[29:30], -v[53:54]
	v_add_f64 v[51:52], v[29:30], v[49:50]
	v_add_f64 v[31:32], v[49:50], -v[31:32]
	v_fma_f64 v[25:26], v[27:28], v[25:26], s[74:75]
	v_add_f64 v[47:48], v[47:48], -v[53:54]
	v_add_f64 v[55:56], v[51:52], -v[29:30]
	;; [unrolled: 1-line block ×3, first 2 shown]
	v_fma_f64 v[25:26], v[27:28], v[25:26], s[76:77]
	v_add_f64 v[57:58], v[51:52], -v[55:56]
	v_add_f64 v[31:32], v[49:50], -v[55:56]
	v_fma_f64 v[25:26], v[27:28], v[25:26], s[78:79]
	v_add_f64 v[49:50], v[47:48], v[21:22]
	v_add_f64 v[29:30], v[29:30], -v[57:58]
	v_fma_f64 v[25:26], v[27:28], v[25:26], s[80:81]
	v_add_f64 v[29:30], v[31:32], v[29:30]
	;; [unrolled: 3-line block ×3, first 2 shown]
	v_add_f64 v[49:50], v[49:50], -v[31:32]
	v_fma_f64 v[25:26], v[27:28], v[25:26], s[84:85]
	v_add_f64 v[21:22], v[21:22], -v[31:32]
	v_add_f64 v[53:54], v[51:52], v[29:30]
	v_mul_f64 v[25:26], v[27:28], v[25:26]
	v_add_f64 v[27:28], v[47:48], -v[49:50]
	v_add_f64 v[31:32], v[53:54], -v[51:52]
	v_fma_f64 v[23:24], v[23:24], v[25:26], v[23:24]
	v_add_f64 v[21:22], v[21:22], v[27:28]
	v_add_f64 v[25:26], v[29:30], -v[31:32]
	v_add_f64 v[27:28], -v[23:24], s[28:29]
	v_add_f64 v[21:22], v[21:22], v[25:26]
	v_cndmask_b32_e64 v24, v24, v28, s[10:11]
	v_cndmask_b32_e64 v23, v23, v27, s[10:11]
	v_add_f64 v[25:26], -v[23:24], s[86:87]
	v_cmp_gt_i32_e64 s[10:11], 0, v2
	v_and_b32_e32 v28, 0x54442d18, v1
	v_cndmask_b32_e64 v7, v66, v67, s[10:11]
	v_add_f64 v[21:22], v[53:54], v[21:22]
	v_cndmask_b32_e64 v27, v68, v69, s[10:11]
	v_cndmask_b32_e64 v23, v23, v25, s[10:11]
	v_and_b32_e32 v25, 0x400921fb, v1
	v_cndmask_b32_e64 v23, v23, v28, s[12:13]
	v_cndmask_b32_e32 v2, v22, v6, vcc
	v_cndmask_b32_e32 v1, v21, v5, vcc
	v_add_f64 v[1:2], v[1:2], 1.0
	v_cndmask_b32_e64 v22, v24, v26, s[10:11]
	v_cmp_ngt_f64_e64 s[10:11], 0, v[5:6]
	v_bfi_b32 v21, s60, v27, v4
	v_cndmask_b32_e64 v22, v22, v25, s[12:13]
	s_and_b64 vcc, s[14:15], s[16:17]
	v_cndmask_b32_e32 v24, v22, v21, vcc
	v_cndmask_b32_e32 v23, v23, v7, vcc
	v_cndmask_b32_e64 v2, v64, v2, s[10:11]
	v_cmp_nge_f64_e64 s[10:11], 0, v[5:6]
	v_cndmask_b32_e64 v21, 0, v1, s[10:11]
	v_cmp_neq_f64_e64 s[10:11], 0, v[5:6]
	v_cndmask_b32_e64 v22, v65, v2, s[10:11]
.LBB173_73:                             ;   in Loop: Header=BB173_4 Depth=1
	s_or_b64 exec, exec, s[4:5]
.LBB173_74:                             ;   in Loop: Header=BB173_4 Depth=1
	s_andn2_saveexec_b64 s[4:5], s[18:19]
	s_cbranch_execz .LBB173_80
; %bb.75:                               ;   in Loop: Header=BB173_4 Depth=1
	v_cmp_nlt_f64_e64 s[10:11], |v[1:2]|, s[26:27]
	v_cmp_nlt_f64_e64 s[12:13], |v[3:4]|, s[26:27]
                                        ; implicit-def: $vgpr5_vgpr6
	s_or_b64 s[10:11], s[12:13], s[10:11]
	s_and_saveexec_b64 s[12:13], s[10:11]
	s_xor_b64 s[10:11], exec, s[12:13]
	s_cbranch_execz .LBB173_77
; %bb.76:                               ;   in Loop: Header=BB173_4 Depth=1
	v_mul_f64 v[1:2], v[1:2], v[1:2]
	v_fma_f64 v[5:6], v[3:4], v[3:4], v[1:2]
.LBB173_77:                             ;   in Loop: Header=BB173_4 Depth=1
	s_andn2_saveexec_b64 s[10:11], s[10:11]
	s_cbranch_execz .LBB173_79
; %bb.78:                               ;   in Loop: Header=BB173_4 Depth=1
	v_mul_f64 v[1:2], v[1:2], 4.0
	v_mul_f64 v[5:6], v[3:4], 4.0
	v_mul_f64 v[1:2], v[1:2], v[1:2]
	v_fma_f64 v[1:2], v[5:6], v[5:6], v[1:2]
	v_ldexp_f64 v[5:6], v[1:2], -4
.LBB173_79:                             ;   in Loop: Header=BB173_4 Depth=1
	s_or_b64 exec, exec, s[10:11]
	v_frexp_mant_f64_e32 v[1:2], v[5:6]
	s_mov_b32 s31, s89
	v_cmp_gt_f64_e32 vcc, s[88:89], v[1:2]
	v_cndmask_b32_e64 v3, 0, 1, vcc
	v_ldexp_f64 v[1:2], v[1:2], v3
	v_frexp_exp_i32_f64_e32 v3, v[5:6]
	v_add_f64 v[21:22], v[1:2], 1.0
	v_add_f64 v[27:28], v[1:2], -1.0
	v_subbrev_co_u32_e32 v3, vcc, 0, v3, vcc
	v_cmp_class_f64_e64 vcc, v[5:6], s61
	v_rcp_f64_e32 v[23:24], v[21:22]
	v_add_f64 v[29:30], v[21:22], -1.0
	v_add_f64 v[1:2], v[1:2], -v[29:30]
	v_fma_f64 v[25:26], -v[21:22], v[23:24], 1.0
	v_fma_f64 v[23:24], v[25:26], v[23:24], v[23:24]
	v_fma_f64 v[25:26], -v[21:22], v[23:24], 1.0
	v_fma_f64 v[23:24], v[25:26], v[23:24], v[23:24]
	v_mul_f64 v[25:26], v[27:28], v[23:24]
	v_mul_f64 v[31:32], v[21:22], v[25:26]
	v_fma_f64 v[21:22], v[25:26], v[21:22], -v[31:32]
	v_fma_f64 v[1:2], v[25:26], v[1:2], v[21:22]
	v_add_f64 v[21:22], v[31:32], v[1:2]
	v_add_f64 v[29:30], v[27:28], -v[21:22]
	v_add_f64 v[31:32], v[21:22], -v[31:32]
	;; [unrolled: 1-line block ×5, first 2 shown]
	v_add_f64 v[1:2], v[1:2], v[21:22]
	v_add_f64 v[1:2], v[29:30], v[1:2]
	v_mul_f64 v[1:2], v[23:24], v[1:2]
	v_add_f64 v[21:22], v[25:26], v[1:2]
	v_mul_f64 v[23:24], v[21:22], v[21:22]
	v_fma_f64 v[27:28], v[23:24], s[34:35], v[35:36]
	v_mul_f64 v[29:30], v[21:22], v[23:24]
	v_fma_f64 v[27:28], v[23:24], v[27:28], s[36:37]
	v_fma_f64 v[27:28], v[23:24], v[27:28], s[38:39]
	;; [unrolled: 1-line block ×5, first 2 shown]
	v_ldexp_f64 v[27:28], v[21:22], 1
	v_add_f64 v[21:22], v[21:22], -v[25:26]
	v_mul_f64 v[23:24], v[29:30], v[23:24]
	v_cvt_f64_i32_e32 v[29:30], v3
	v_add_f64 v[1:2], v[1:2], -v[21:22]
	v_mul_f64 v[31:32], v[29:30], s[44:45]
	v_add_f64 v[25:26], v[27:28], v[23:24]
	v_ldexp_f64 v[1:2], v[1:2], 1
	v_add_f64 v[21:22], v[25:26], -v[27:28]
	v_fma_f64 v[27:28], v[29:30], s[44:45], -v[31:32]
	v_add_f64 v[21:22], v[23:24], -v[21:22]
	v_fma_f64 v[23:24], v[29:30], s[46:47], v[27:28]
	v_add_f64 v[1:2], v[1:2], v[21:22]
	v_add_f64 v[21:22], v[31:32], v[23:24]
	;; [unrolled: 1-line block ×3, first 2 shown]
	v_add_f64 v[31:32], v[21:22], -v[31:32]
	v_add_f64 v[29:30], v[21:22], v[27:28]
	v_add_f64 v[25:26], v[27:28], -v[25:26]
	v_add_f64 v[23:24], v[23:24], -v[31:32]
	;; [unrolled: 1-line block ×6, first 2 shown]
	v_add_f64 v[27:28], v[23:24], v[1:2]
	v_add_f64 v[21:22], v[21:22], -v[49:50]
	v_add_f64 v[21:22], v[25:26], v[21:22]
	v_add_f64 v[25:26], v[27:28], -v[23:24]
	;; [unrolled: 2-line block ×3, first 2 shown]
	v_add_f64 v[1:2], v[1:2], -v[25:26]
	v_add_f64 v[31:32], v[29:30], v[21:22]
	v_add_f64 v[23:24], v[23:24], -v[27:28]
	v_add_f64 v[25:26], v[31:32], -v[29:30]
	v_add_f64 v[1:2], v[1:2], v[23:24]
	v_mov_b32_e32 v23, 0
	v_mov_b32_e32 v24, 0x7ff80000
	v_add_f64 v[21:22], v[21:22], -v[25:26]
	v_add_f64 v[1:2], v[1:2], v[21:22]
	v_add_f64 v[1:2], v[31:32], v[1:2]
	v_cndmask_b32_e32 v1, v1, v5, vcc
	v_cndmask_b32_e32 v2, v2, v6, vcc
	v_cmp_ngt_f64_e32 vcc, 0, v[5:6]
	v_cndmask_b32_e32 v2, v64, v2, vcc
	v_cmp_nge_f64_e32 vcc, 0, v[5:6]
	v_cndmask_b32_e32 v21, 0, v1, vcc
	v_cmp_neq_f64_e32 vcc, 0, v[5:6]
	v_cndmask_b32_e32 v22, v65, v2, vcc
.LBB173_80:                             ;   in Loop: Header=BB173_4 Depth=1
	s_or_b64 exec, exec, s[4:5]
	v_cmp_o_f64_e32 vcc, v[13:14], v[15:16]
                                        ; implicit-def: $vgpr25_vgpr26
	s_and_saveexec_b64 s[4:5], vcc
	s_xor_b64 s[18:19], exec, s[4:5]
	s_cbranch_execz .LBB173_108
; %bb.81:                               ;   in Loop: Header=BB173_4 Depth=1
	v_cmp_lt_f64_e64 s[10:11], |v[13:14]|, |v[15:16]|
	v_and_b32_e32 v1, 0x7fffffff, v14
	v_and_b32_e32 v2, 0x7fffffff, v16
	s_mov_b32 s4, 0x85ebc8a0
	s_mov_b32 s5, 0x7fd1ccf3
	v_mov_b32_e32 v3, v15
                                        ; implicit-def: $vgpr25_vgpr26
	v_cndmask_b32_e64 v6, v2, v1, s[10:11]
	v_cndmask_b32_e64 v5, v15, v13, s[10:11]
	v_cmp_nlt_f64_e32 vcc, s[4:5], v[5:6]
	s_and_saveexec_b64 s[4:5], vcc
	s_xor_b64 s[4:5], exec, s[4:5]
	s_cbranch_execz .LBB173_105
; %bb.82:                               ;   in Loop: Header=BB173_4 Depth=1
	v_cndmask_b32_e64 v30, v1, v2, s[10:11]
	v_cndmask_b32_e64 v29, v13, v3, s[10:11]
	v_cmp_neq_f64_e32 vcc, 1.0, v[29:30]
                                        ; implicit-def: $vgpr25_vgpr26
	s_and_saveexec_b64 s[12:13], vcc
	s_xor_b64 s[24:25], exec, s[12:13]
	s_cbranch_execz .LBB173_98
; %bb.83:                               ;   in Loop: Header=BB173_4 Depth=1
	v_max_f64 v[1:2], v[5:6], v[5:6]
	v_max_f64 v[25:26], v[29:30], v[29:30]
	s_mov_b32 s12, 0x4ad4b81f
	s_mov_b32 s13, 0x358dee7a
	v_min_f64 v[27:28], v[25:26], v[1:2]
	v_max_f64 v[1:2], v[25:26], v[1:2]
	v_cmp_ngt_f64_e32 vcc, s[12:13], v[27:28]
	s_mov_b32 s12, 0xc57e649a
	s_mov_b32 s13, 0x4a511b0e
	v_cmp_nlt_f64_e64 s[12:13], s[12:13], v[1:2]
                                        ; implicit-def: $vgpr25_vgpr26
	s_and_b64 s[12:13], s[12:13], vcc
	s_and_saveexec_b64 s[14:15], s[12:13]
	s_xor_b64 s[90:91], exec, s[14:15]
	s_cbranch_execz .LBB173_95
; %bb.84:                               ;   in Loop: Header=BB173_4 Depth=1
	v_cmp_le_f64_e32 vcc, 1.0, v[29:30]
                                        ; implicit-def: $vgpr25_vgpr26
	s_and_saveexec_b64 s[12:13], vcc
	s_xor_b64 s[48:49], exec, s[12:13]
	s_cbranch_execz .LBB173_86
; %bb.85:                               ;   in Loop: Header=BB173_4 Depth=1
	v_add_f64 v[1:2], v[29:30], -1.0
	v_add_f64 v[25:26], v[29:30], 1.0
	s_mov_b32 s31, s89
	s_mov_b32 s86, s28
	;; [unrolled: 1-line block ×4, first 2 shown]
	v_cmp_class_f64_e64 s[50:51], v[15:16], s61
	v_mul_f64 v[1:2], v[1:2], v[25:26]
	v_fma_f64 v[1:2], v[5:6], v[5:6], v[1:2]
	v_add_f64 v[5:6], v[1:2], 1.0
	v_cmp_nge_f64_e64 s[14:15], -1.0, v[1:2]
	v_cmp_neq_f64_e64 s[16:17], s[16:17], v[1:2]
	v_frexp_mant_f64_e32 v[27:28], v[5:6]
	v_frexp_exp_i32_f64_e32 v3, v[5:6]
	v_add_f64 v[25:26], v[5:6], -1.0
	v_cmp_gt_f64_e32 vcc, s[88:89], v[27:28]
	v_add_f64 v[29:30], v[25:26], -v[5:6]
	v_add_f64 v[25:26], v[1:2], -v[25:26]
	v_subbrev_co_u32_e32 v3, vcc, 0, v3, vcc
	v_sub_u32_e32 v7, 0, v3
	v_ldexp_f64 v[5:6], v[5:6], v7
	v_add_f64 v[27:28], v[29:30], 1.0
	v_add_f64 v[29:30], v[5:6], 1.0
	v_add_f64 v[25:26], v[25:26], v[27:28]
	v_add_f64 v[49:50], v[5:6], -1.0
	v_add_f64 v[27:28], v[29:30], -1.0
	v_ldexp_f64 v[25:26], v[25:26], v7
	v_add_f64 v[51:52], v[49:50], 1.0
	v_add_f64 v[27:28], v[5:6], -v[27:28]
	v_add_f64 v[5:6], v[5:6], -v[51:52]
	v_add_f64 v[27:28], v[25:26], v[27:28]
	v_add_f64 v[5:6], v[25:26], v[5:6]
	;; [unrolled: 1-line block ×4, first 2 shown]
	v_rcp_f64_e32 v[47:48], v[31:32]
	v_add_f64 v[29:30], v[31:32], -v[29:30]
	v_add_f64 v[49:50], v[51:52], -v[49:50]
	;; [unrolled: 1-line block ×4, first 2 shown]
	v_fma_f64 v[53:54], -v[31:32], v[47:48], 1.0
	v_fma_f64 v[47:48], v[53:54], v[47:48], v[47:48]
	v_fma_f64 v[25:26], -v[31:32], v[47:48], 1.0
	v_fma_f64 v[25:26], v[25:26], v[47:48], v[47:48]
	v_mul_f64 v[47:48], v[51:52], v[25:26]
	v_mul_f64 v[53:54], v[31:32], v[47:48]
	v_fma_f64 v[29:30], v[47:48], v[31:32], -v[53:54]
	v_fma_f64 v[29:30], v[47:48], v[27:28], v[29:30]
	v_add_f64 v[55:56], v[53:54], v[29:30]
	v_add_f64 v[57:58], v[51:52], -v[55:56]
	v_add_f64 v[49:50], v[55:56], -v[53:54]
	;; [unrolled: 1-line block ×4, first 2 shown]
	v_max_f64 v[49:50], |v[13:14]|, |v[13:14]|
	v_add_f64 v[51:52], v[51:52], -v[55:56]
	v_add_f64 v[5:6], v[5:6], v[51:52]
	v_add_f64 v[5:6], v[29:30], v[5:6]
	v_max_f64 v[29:30], |v[15:16]|, |v[15:16]|
	v_add_f64 v[51:52], v[57:58], v[5:6]
	v_max_f64 v[53:54], v[49:50], v[29:30]
	v_min_f64 v[29:30], v[49:50], v[29:30]
	v_mul_f64 v[49:50], v[25:26], v[51:52]
	v_add_f64 v[57:58], v[57:58], -v[51:52]
	v_div_scale_f64 v[55:56], s[12:13], v[53:54], v[53:54], v[29:30]
	s_mov_b32 s12, 0xaf56de9b
	s_mov_b32 s13, 0xbf67952d
	v_mul_f64 v[59:60], v[31:32], v[49:50]
	v_add_f64 v[5:6], v[5:6], v[57:58]
	v_fma_f64 v[31:32], v[49:50], v[31:32], -v[59:60]
	v_rcp_f64_e32 v[61:62], v[55:56]
	v_fma_f64 v[27:28], v[49:50], v[27:28], v[31:32]
	v_add_f64 v[31:32], v[59:60], v[27:28]
	v_fma_f64 v[70:71], -v[55:56], v[61:62], 1.0
	v_add_f64 v[72:73], v[51:52], -v[31:32]
	v_add_f64 v[57:58], v[31:32], -v[59:60]
	v_fma_f64 v[61:62], v[61:62], v[70:71], v[61:62]
	v_div_scale_f64 v[70:71], vcc, v[29:30], v[53:54], v[29:30]
	v_add_f64 v[51:52], v[51:52], -v[72:73]
	v_add_f64 v[27:28], v[57:58], -v[27:28]
	v_fma_f64 v[74:75], -v[55:56], v[61:62], 1.0
	v_add_f64 v[57:58], v[47:48], v[49:50]
	v_add_f64 v[31:32], v[51:52], -v[31:32]
	v_fma_f64 v[51:52], v[61:62], v[74:75], v[61:62]
	v_add_f64 v[47:48], v[57:58], -v[47:48]
	v_add_f64 v[5:6], v[5:6], v[31:32]
	v_mul_f64 v[31:32], v[70:71], v[51:52]
	v_add_f64 v[5:6], v[27:28], v[5:6]
	v_fma_f64 v[27:28], -v[55:56], v[31:32], v[70:71]
	v_add_f64 v[5:6], v[72:73], v[5:6]
	v_div_fmas_f64 v[27:28], v[27:28], v[51:52], v[31:32]
	v_add_f64 v[31:32], v[49:50], -v[47:48]
	v_cmp_gt_i32_e32 vcc, 0, v14
	v_cndmask_b32_e32 v7, v66, v67, vcc
	v_mul_f64 v[5:6], v[25:26], v[5:6]
	v_add_f64 v[5:6], v[31:32], v[5:6]
	v_div_fixup_f64 v[25:26], v[27:28], v[53:54], v[29:30]
	v_cvt_f64_i32_e32 v[53:54], v3
	v_ashrrev_i32_e32 v3, 31, v14
	v_mul_f64 v[55:56], v[53:54], s[44:45]
	v_add_f64 v[27:28], v[57:58], v[5:6]
	v_mul_f64 v[29:30], v[25:26], v[25:26]
	v_mul_f64 v[31:32], v[27:28], v[27:28]
	v_fma_f64 v[47:48], v[29:30], s[54:55], v[37:38]
	v_fma_f64 v[49:50], v[31:32], s[34:35], v[35:36]
	v_mul_f64 v[51:52], v[27:28], v[31:32]
	v_fma_f64 v[47:48], v[29:30], v[47:48], s[52:53]
	v_cmp_class_f64_e64 s[52:53], v[13:14], s61
	v_and_b32_e32 v14, 0x54442d18, v3
	v_and_b32_e32 v3, 0x400921fb, v3
	v_cndmask_b32_e32 v13, v68, v69, vcc
	v_bfi_b32 v13, s60, v13, v16
	v_fma_f64 v[49:50], v[31:32], v[49:50], s[36:37]
	v_fma_f64 v[47:48], v[29:30], v[47:48], s[12:13]
	s_mov_b32 s12, 0xa595c56f
	s_mov_b32 s13, 0x3f7d6d43
	v_fma_f64 v[49:50], v[31:32], v[49:50], s[38:39]
	v_fma_f64 v[47:48], v[29:30], v[47:48], s[12:13]
	s_mov_b32 s12, 0xa57d9582
	s_mov_b32 s13, 0xbf8c6ea4
	;; [unrolled: 4-line block ×4, first 2 shown]
	v_fma_f64 v[31:32], v[31:32], v[49:50], s[30:31]
	v_ldexp_f64 v[49:50], v[27:28], 1
	v_fma_f64 v[47:48], v[29:30], v[47:48], s[12:13]
	v_add_f64 v[27:28], v[27:28], -v[57:58]
	v_cmp_eq_f64_e64 s[12:13], 0, v[15:16]
	v_mul_f64 v[31:32], v[51:52], v[31:32]
	v_fma_f64 v[47:48], v[29:30], v[47:48], s[62:63]
	v_add_f64 v[5:6], v[5:6], -v[27:28]
	v_add_f64 v[51:52], v[49:50], v[31:32]
	v_fma_f64 v[47:48], v[29:30], v[47:48], s[64:65]
	v_ldexp_f64 v[5:6], v[5:6], 1
	v_add_f64 v[27:28], v[51:52], -v[49:50]
	v_fma_f64 v[49:50], v[53:54], s[44:45], -v[55:56]
	v_fma_f64 v[47:48], v[29:30], v[47:48], s[66:67]
	v_add_f64 v[27:28], v[31:32], -v[27:28]
	v_fma_f64 v[31:32], v[29:30], v[47:48], s[68:69]
	v_fma_f64 v[47:48], v[53:54], s[46:47], v[49:50]
	v_add_f64 v[5:6], v[5:6], v[27:28]
	v_fma_f64 v[27:28], v[29:30], v[31:32], s[70:71]
	v_add_f64 v[31:32], v[55:56], v[47:48]
	v_add_f64 v[49:50], v[51:52], v[5:6]
	v_fma_f64 v[27:28], v[29:30], v[27:28], s[72:73]
	v_add_f64 v[55:56], v[31:32], -v[55:56]
	v_add_f64 v[53:54], v[31:32], v[49:50]
	v_add_f64 v[51:52], v[49:50], -v[51:52]
	v_fma_f64 v[27:28], v[29:30], v[27:28], s[74:75]
	v_add_f64 v[47:48], v[47:48], -v[55:56]
	v_add_f64 v[57:58], v[53:54], -v[31:32]
	;; [unrolled: 1-line block ×3, first 2 shown]
	v_fma_f64 v[27:28], v[29:30], v[27:28], s[76:77]
	v_add_f64 v[59:60], v[53:54], -v[57:58]
	v_add_f64 v[49:50], v[49:50], -v[57:58]
	v_fma_f64 v[27:28], v[29:30], v[27:28], s[78:79]
	v_add_f64 v[51:52], v[47:48], v[5:6]
	v_add_f64 v[31:32], v[31:32], -v[59:60]
	v_fma_f64 v[27:28], v[29:30], v[27:28], s[80:81]
	v_add_f64 v[31:32], v[49:50], v[31:32]
	;; [unrolled: 3-line block ×3, first 2 shown]
	v_add_f64 v[51:52], v[51:52], -v[49:50]
	v_fma_f64 v[27:28], v[29:30], v[27:28], s[84:85]
	v_add_f64 v[5:6], v[5:6], -v[49:50]
	v_add_f64 v[55:56], v[53:54], v[31:32]
	v_mul_f64 v[27:28], v[29:30], v[27:28]
	v_add_f64 v[29:30], v[47:48], -v[51:52]
	v_add_f64 v[47:48], v[55:56], -v[53:54]
	v_fma_f64 v[25:26], v[25:26], v[27:28], v[25:26]
	v_add_f64 v[5:6], v[5:6], v[29:30]
	v_add_f64 v[27:28], v[31:32], -v[47:48]
	v_add_f64 v[29:30], -v[25:26], s[28:29]
	v_add_f64 v[5:6], v[5:6], v[27:28]
	v_cndmask_b32_e64 v26, v26, v30, s[10:11]
	v_cndmask_b32_e64 v25, v25, v29, s[10:11]
	v_add_f64 v[27:28], -v[25:26], s[86:87]
                                        ; implicit-def: $vgpr29_vgpr30
	v_add_f64 v[5:6], v[55:56], v[5:6]
	v_cndmask_b32_e32 v25, v25, v27, vcc
	v_cndmask_b32_e32 v26, v26, v28, vcc
	v_cndmask_b32_e64 v14, v25, v14, s[12:13]
	v_cndmask_b32_e64 v3, v26, v3, s[12:13]
	v_mul_f64 v[5:6], v[5:6], 0.5
	s_and_b64 s[12:13], s[14:15], s[16:17]
	s_and_b64 vcc, s[50:51], s[52:53]
	v_cndmask_b32_e32 v28, v3, v13, vcc
	s_mov_b32 s52, 0x69efb384
	s_mov_b32 s53, 0x3f4b2bb0
	v_cndmask_b32_e32 v27, v14, v7, vcc
	v_cndmask_b32_e64 v25, 0, v5, s[12:13]
	v_cmp_ngt_f64_e64 s[12:13], -1.0, v[1:2]
	v_cndmask_b32_e64 v3, v63, v6, s[16:17]
                                        ; implicit-def: $vgpr5_vgpr6
	v_cndmask_b32_e64 v3, v64, v3, s[12:13]
	v_cmp_neq_f64_e64 s[12:13], -1.0, v[1:2]
	v_cndmask_b32_e64 v26, v65, v3, s[12:13]
.LBB173_86:                             ;   in Loop: Header=BB173_4 Depth=1
	s_andn2_saveexec_b64 s[48:49], s[48:49]
	s_cbranch_execz .LBB173_94
; %bb.87:                               ;   in Loop: Header=BB173_4 Depth=1
	v_mul_f64 v[1:2], v[5:6], v[5:6]
	s_mov_b32 s12, 0x66666666
	s_mov_b32 s13, 0x3fe66666
                                        ; implicit-def: $vgpr25_vgpr26
	v_fma_f64 v[1:2], v[29:30], v[29:30], v[1:2]
	v_cmp_ge_f64_e32 vcc, s[12:13], v[1:2]
	s_and_saveexec_b64 s[12:13], vcc
	s_xor_b64 s[16:17], exec, s[12:13]
	s_cbranch_execz .LBB173_89
; %bb.88:                               ;   in Loop: Header=BB173_4 Depth=1
	v_frexp_mant_f64_e32 v[5:6], v[1:2]
	v_max_f64 v[31:32], |v[15:16]|, |v[15:16]|
	v_max_f64 v[47:48], |v[13:14]|, |v[13:14]|
	s_mov_b32 s31, s89
	s_mov_b32 s86, s28
	v_cmp_class_f64_e64 s[50:51], v[15:16], s61
	v_cmp_gt_f64_e64 s[12:13], s[88:89], v[5:6]
	v_cndmask_b32_e64 v3, 0, 1, s[12:13]
	v_ldexp_f64 v[5:6], v[5:6], v3
	v_frexp_exp_i32_f64_e32 v3, v[1:2]
	v_add_f64 v[25:26], v[5:6], 1.0
	v_add_f64 v[51:52], v[5:6], -1.0
	v_rcp_f64_e32 v[27:28], v[25:26]
	v_add_f64 v[55:56], v[25:26], -1.0
	v_add_f64 v[5:6], v[5:6], -v[55:56]
	v_fma_f64 v[29:30], -v[25:26], v[27:28], 1.0
	v_fma_f64 v[27:28], v[29:30], v[27:28], v[27:28]
	v_max_f64 v[29:30], v[47:48], v[31:32]
	v_min_f64 v[31:32], v[47:48], v[31:32]
	v_fma_f64 v[47:48], -v[25:26], v[27:28], 1.0
	v_div_scale_f64 v[49:50], s[14:15], v[29:30], v[29:30], v[31:32]
	s_mov_b32 s14, 0xaf56de9b
	s_mov_b32 s15, 0xbf67952d
	v_fma_f64 v[27:28], v[47:48], v[27:28], v[27:28]
	v_mul_f64 v[47:48], v[51:52], v[27:28]
	v_rcp_f64_e32 v[53:54], v[49:50]
	v_mul_f64 v[57:58], v[25:26], v[47:48]
	v_fma_f64 v[25:26], v[47:48], v[25:26], -v[57:58]
	v_fma_f64 v[55:56], -v[49:50], v[53:54], 1.0
	v_fma_f64 v[5:6], v[47:48], v[5:6], v[25:26]
	v_fma_f64 v[25:26], v[53:54], v[55:56], v[53:54]
	v_div_scale_f64 v[55:56], vcc, v[31:32], v[29:30], v[31:32]
	v_add_f64 v[53:54], v[57:58], v[5:6]
	v_fma_f64 v[59:60], -v[49:50], v[25:26], 1.0
	v_add_f64 v[61:62], v[51:52], -v[53:54]
	v_add_f64 v[57:58], v[53:54], -v[57:58]
	v_fma_f64 v[25:26], v[25:26], v[59:60], v[25:26]
	v_add_f64 v[51:52], v[51:52], -v[61:62]
	v_add_f64 v[5:6], v[57:58], -v[5:6]
	v_mul_f64 v[59:60], v[55:56], v[25:26]
	v_add_f64 v[51:52], v[51:52], -v[53:54]
	v_fma_f64 v[49:50], -v[49:50], v[59:60], v[55:56]
	v_add_f64 v[5:6], v[5:6], v[51:52]
	v_div_fmas_f64 v[25:26], v[49:50], v[25:26], v[59:60]
	v_subbrev_co_u32_e64 v3, vcc, 0, v3, s[12:13]
	v_cmp_eq_f64_e64 s[12:13], 0, v[15:16]
	v_cmp_gt_i32_e32 vcc, 0, v14
	v_cndmask_b32_e32 v7, v66, v67, vcc
	v_add_f64 v[5:6], v[61:62], v[5:6]
	v_mul_f64 v[5:6], v[27:28], v[5:6]
	v_div_fixup_f64 v[25:26], v[25:26], v[29:30], v[31:32]
	v_add_f64 v[27:28], v[47:48], v[5:6]
	v_mul_f64 v[29:30], v[25:26], v[25:26]
	v_mul_f64 v[31:32], v[27:28], v[27:28]
	v_fma_f64 v[49:50], v[29:30], s[54:55], v[37:38]
	v_fma_f64 v[51:52], v[31:32], s[34:35], v[35:36]
	v_mul_f64 v[53:54], v[27:28], v[31:32]
	v_fma_f64 v[49:50], v[29:30], v[49:50], s[52:53]
	v_cmp_class_f64_e64 s[52:53], v[13:14], s61
	v_fma_f64 v[51:52], v[31:32], v[51:52], s[36:37]
	v_fma_f64 v[49:50], v[29:30], v[49:50], s[14:15]
	s_mov_b32 s14, 0xa595c56f
	s_mov_b32 s15, 0x3f7d6d43
	v_fma_f64 v[51:52], v[31:32], v[51:52], s[38:39]
	v_fma_f64 v[49:50], v[29:30], v[49:50], s[14:15]
	s_mov_b32 s14, 0xa57d9582
	s_mov_b32 s15, 0xbf8c6ea4
	;; [unrolled: 4-line block ×4, first 2 shown]
	v_fma_f64 v[31:32], v[31:32], v[51:52], s[30:31]
	v_ldexp_f64 v[51:52], v[27:28], 1
	v_fma_f64 v[49:50], v[29:30], v[49:50], s[14:15]
	v_add_f64 v[27:28], v[27:28], -v[47:48]
	v_cmp_neq_f64_e64 s[14:15], 0, v[1:2]
	v_mul_f64 v[31:32], v[53:54], v[31:32]
	v_cvt_f64_i32_e32 v[53:54], v3
	v_fma_f64 v[49:50], v[29:30], v[49:50], s[62:63]
	v_add_f64 v[5:6], v[5:6], -v[27:28]
	v_ashrrev_i32_e32 v3, 31, v14
	v_mul_f64 v[55:56], v[53:54], s[44:45]
	v_and_b32_e32 v13, 0x54442d18, v3
	v_and_b32_e32 v3, 0x400921fb, v3
	v_add_f64 v[47:48], v[51:52], v[31:32]
	v_fma_f64 v[49:50], v[29:30], v[49:50], s[64:65]
	v_ldexp_f64 v[5:6], v[5:6], 1
	v_add_f64 v[27:28], v[47:48], -v[51:52]
	v_fma_f64 v[51:52], v[53:54], s[44:45], -v[55:56]
	v_fma_f64 v[49:50], v[29:30], v[49:50], s[66:67]
	v_add_f64 v[27:28], v[31:32], -v[27:28]
	v_fma_f64 v[31:32], v[29:30], v[49:50], s[68:69]
	v_fma_f64 v[49:50], v[53:54], s[46:47], v[51:52]
	v_add_f64 v[5:6], v[5:6], v[27:28]
	v_fma_f64 v[27:28], v[29:30], v[31:32], s[70:71]
	v_add_f64 v[31:32], v[55:56], v[49:50]
	v_add_f64 v[51:52], v[47:48], v[5:6]
	v_fma_f64 v[27:28], v[29:30], v[27:28], s[72:73]
	v_add_f64 v[55:56], v[31:32], -v[55:56]
	v_add_f64 v[53:54], v[31:32], v[51:52]
	v_add_f64 v[47:48], v[51:52], -v[47:48]
	v_fma_f64 v[27:28], v[29:30], v[27:28], s[74:75]
	v_add_f64 v[49:50], v[49:50], -v[55:56]
	v_add_f64 v[57:58], v[53:54], -v[31:32]
	;; [unrolled: 1-line block ×3, first 2 shown]
	v_fma_f64 v[27:28], v[29:30], v[27:28], s[76:77]
	v_add_f64 v[59:60], v[53:54], -v[57:58]
	v_add_f64 v[47:48], v[51:52], -v[57:58]
	v_fma_f64 v[27:28], v[29:30], v[27:28], s[78:79]
	v_add_f64 v[51:52], v[49:50], v[5:6]
	v_add_f64 v[31:32], v[31:32], -v[59:60]
	v_fma_f64 v[27:28], v[29:30], v[27:28], s[80:81]
	v_add_f64 v[31:32], v[47:48], v[31:32]
	;; [unrolled: 3-line block ×3, first 2 shown]
	v_add_f64 v[51:52], v[51:52], -v[47:48]
	v_fma_f64 v[27:28], v[29:30], v[27:28], s[84:85]
	v_add_f64 v[5:6], v[5:6], -v[47:48]
	v_add_f64 v[55:56], v[53:54], v[31:32]
	v_mul_f64 v[27:28], v[29:30], v[27:28]
	v_add_f64 v[29:30], v[49:50], -v[51:52]
	v_add_f64 v[47:48], v[55:56], -v[53:54]
	v_fma_f64 v[25:26], v[25:26], v[27:28], v[25:26]
	v_add_f64 v[5:6], v[5:6], v[29:30]
	v_add_f64 v[27:28], v[31:32], -v[47:48]
	v_add_f64 v[29:30], -v[25:26], s[28:29]
	v_add_f64 v[5:6], v[5:6], v[27:28]
	v_cndmask_b32_e64 v26, v26, v30, s[10:11]
	v_cndmask_b32_e64 v25, v25, v29, s[10:11]
	v_add_f64 v[27:28], -v[25:26], s[86:87]
                                        ; implicit-def: $vgpr29_vgpr30
	v_add_f64 v[5:6], v[55:56], v[5:6]
	v_cndmask_b32_e32 v14, v25, v27, vcc
	v_cndmask_b32_e32 v25, v68, v69, vcc
	;; [unrolled: 1-line block ×3, first 2 shown]
	v_bfi_b32 v1, s60, v25, v16
	v_mul_f64 v[5:6], v[5:6], 0.5
	v_cndmask_b32_e64 v13, v14, v13, s[12:13]
	v_cndmask_b32_e64 v2, v2, v3, s[12:13]
	s_and_b64 vcc, s[50:51], s[52:53]
	s_mov_b32 s52, 0x69efb384
	s_mov_b32 s53, 0x3f4b2bb0
	v_cndmask_b32_e32 v28, v2, v1, vcc
	v_cndmask_b32_e32 v27, v13, v7, vcc
	v_cndmask_b32_e64 v26, v65, v6, s[14:15]
	v_cndmask_b32_e64 v25, 0, v5, s[14:15]
                                        ; implicit-def: $vgpr5_vgpr6
.LBB173_89:                             ;   in Loop: Header=BB173_4 Depth=1
	s_andn2_saveexec_b64 s[50:51], s[16:17]
	s_cbranch_execz .LBB173_93
; %bb.90:                               ;   in Loop: Header=BB173_4 Depth=1
	v_and_b32_e32 v34, 0x7ffffff8, v30
	v_and_b32_e32 v26, 0x7ffffff8, v6
	v_mov_b32_e32 v25, v33
	v_add_f64 v[1:2], v[29:30], -v[33:34]
	v_add_f64 v[5:6], v[5:6], -v[25:26]
	v_mov_b32_e32 v29, v33
	v_mov_b32_e32 v51, v33
	v_add_f64 v[47:48], v[33:34], v[33:34]
	v_add_f64 v[49:50], v[25:26], v[25:26]
	s_mov_b64 s[52:53], 0
	v_and_b32_e32 v30, -8, v2
	v_and_b32_e32 v52, -8, v6
	v_add_f64 v[57:58], v[1:2], -v[29:30]
	v_add_f64 v[59:60], v[5:6], -v[51:52]
	v_add_f64 v[61:62], v[29:30], v[29:30]
	v_add_f64 v[70:71], v[51:52], v[51:52]
	v_mul_f64 v[1:2], v[33:34], v[33:34]
	v_mul_f64 v[5:6], v[25:26], v[25:26]
	v_mul_f64 v[27:28], v[47:48], v[29:30]
	v_mul_f64 v[25:26], v[49:50], v[51:52]
	v_mul_f64 v[31:32], v[29:30], v[29:30]
	v_mul_f64 v[51:52], v[51:52], v[51:52]
	v_mul_f64 v[55:56], v[47:48], v[57:58]
	v_mul_f64 v[53:54], v[49:50], v[59:60]
	v_mul_f64 v[49:50], v[61:62], v[57:58]
	v_mul_f64 v[47:48], v[70:71], v[59:60]
	v_mul_f64 v[29:30], v[57:58], v[57:58]
	v_mul_f64 v[57:58], v[59:60], v[59:60]
.LBB173_91:                             ;   Parent Loop BB173_4 Depth=1
                                        ; =>  This Inner Loop Header: Depth=2
	v_cmp_nlt_f64_e32 vcc, v[1:2], v[5:6]
	v_cndmask_b32_e32 v60, v2, v6, vcc
	v_cndmask_b32_e32 v59, v1, v5, vcc
	v_cmp_nlt_f64_e64 s[12:13], v[59:60], v[27:28]
	v_cndmask_b32_e32 v2, v6, v2, vcc
	v_cndmask_b32_e32 v1, v5, v1, vcc
	v_cndmask_b32_e64 v62, v60, v28, s[12:13]
	v_cndmask_b32_e64 v61, v59, v27, s[12:13]
	v_cmp_nlt_f64_e64 s[14:15], v[61:62], v[25:26]
	v_cndmask_b32_e64 v6, v28, v60, s[12:13]
	v_cndmask_b32_e64 v5, v27, v59, s[12:13]
	s_and_b64 s[54:55], vcc, s[12:13]
	v_cndmask_b32_e64 v71, v62, v26, s[14:15]
	v_cndmask_b32_e64 v70, v61, v25, s[14:15]
	v_cmp_nlt_f64_e64 s[16:17], v[70:71], v[31:32]
	v_cndmask_b32_e64 v28, v26, v62, s[14:15]
	v_cndmask_b32_e64 v27, v25, v61, s[14:15]
	;; [unrolled: 1-line block ×4, first 2 shown]
	v_cmp_nlt_f64_e32 vcc, v[59:60], v[51:52]
	v_cndmask_b32_e64 v26, v32, v71, s[16:17]
	v_cndmask_b32_e64 v25, v31, v70, s[16:17]
	s_and_b64 s[16:17], s[14:15], s[16:17]
	v_cndmask_b32_e32 v62, v60, v52, vcc
	v_cndmask_b32_e32 v61, v59, v51, vcc
	v_cmp_nlt_f64_e64 s[12:13], v[61:62], v[55:56]
	v_cndmask_b32_e32 v32, v52, v60, vcc
	v_cndmask_b32_e32 v31, v51, v59, vcc
	v_cndmask_b32_e64 v60, v62, v56, s[12:13]
	v_cndmask_b32_e64 v59, v61, v55, s[12:13]
	v_cmp_nlt_f64_e64 s[14:15], v[59:60], v[53:54]
	v_cndmask_b32_e64 v52, v56, v62, s[12:13]
	v_cndmask_b32_e64 v51, v55, v61, s[12:13]
	s_and_b64 s[12:13], vcc, s[12:13]
	v_cndmask_b32_e64 v62, v60, v54, s[14:15]
	v_cndmask_b32_e64 v61, v59, v53, s[14:15]
	v_cmp_nlt_f64_e32 vcc, v[61:62], v[49:50]
	v_cndmask_b32_e64 v56, v54, v60, s[14:15]
	v_cndmask_b32_e64 v55, v53, v59, s[14:15]
	s_and_b64 s[14:15], s[12:13], s[14:15]
	v_cndmask_b32_e32 v60, v62, v50, vcc
	v_cndmask_b32_e32 v59, v61, v49, vcc
	v_cmp_nlt_f64_e64 s[12:13], v[59:60], v[47:48]
	v_cndmask_b32_e32 v54, v50, v62, vcc
	v_cndmask_b32_e32 v53, v49, v61, vcc
	s_and_b64 s[14:15], s[14:15], vcc
	v_cndmask_b32_e64 v62, v60, v48, s[12:13]
	v_cndmask_b32_e64 v61, v59, v47, s[12:13]
	v_cmp_nlt_f64_e32 vcc, v[61:62], v[29:30]
	v_cndmask_b32_e64 v50, v48, v60, s[12:13]
	v_cndmask_b32_e64 v49, v47, v59, s[12:13]
	s_and_b64 s[14:15], s[14:15], s[12:13]
	v_cndmask_b32_e32 v71, v62, v30, vcc
	v_cndmask_b32_e32 v70, v61, v29, vcc
	v_cmp_nlt_f64_e64 s[12:13], v[70:71], v[57:58]
	s_and_b64 s[14:15], s[14:15], vcc
	v_cndmask_b32_e32 v48, v30, v62, vcc
	v_cndmask_b32_e32 v47, v29, v61, vcc
	v_cndmask_b32_e64 v60, v71, v58, s[12:13]
	v_cndmask_b32_e64 v59, v70, v57, s[12:13]
	;; [unrolled: 1-line block ×4, first 2 shown]
	s_and_b64 s[12:13], s[14:15], s[12:13]
	s_and_b64 s[12:13], s[12:13], s[16:17]
	;; [unrolled: 1-line block ×3, first 2 shown]
	s_and_b64 s[12:13], exec, s[12:13]
	v_mov_b32_e32 v57, v59
	s_or_b64 s[52:53], s[12:13], s[52:53]
	v_mov_b32_e32 v58, v60
	s_andn2_b64 exec, exec, s[52:53]
	s_cbranch_execnz .LBB173_91
; %bb.92:                               ;   in Loop: Header=BB173_4 Depth=1
	s_or_b64 exec, exec, s[52:53]
	v_add_f64 v[1:2], v[1:2], -1.0
	s_mov_b32 s31, s89
	s_mov_b32 s86, s28
	;; [unrolled: 1-line block ×4, first 2 shown]
	v_cmp_class_f64_e64 s[52:53], v[15:16], s61
	v_cmp_class_f64_e64 s[54:55], v[13:14], s61
	v_add_f64 v[1:2], v[1:2], v[5:6]
	v_add_f64 v[1:2], v[1:2], v[27:28]
	;; [unrolled: 1-line block ×11, first 2 shown]
	v_add_f64 v[5:6], v[1:2], 1.0
	v_cmp_nge_f64_e64 s[14:15], -1.0, v[1:2]
	v_cmp_neq_f64_e64 s[16:17], s[16:17], v[1:2]
	v_frexp_mant_f64_e32 v[27:28], v[5:6]
	v_frexp_exp_i32_f64_e32 v3, v[5:6]
	v_add_f64 v[25:26], v[5:6], -1.0
	v_cmp_gt_f64_e32 vcc, s[88:89], v[27:28]
	v_add_f64 v[29:30], v[25:26], -v[5:6]
	v_add_f64 v[25:26], v[1:2], -v[25:26]
	v_subbrev_co_u32_e32 v3, vcc, 0, v3, vcc
	v_sub_u32_e32 v7, 0, v3
	v_ldexp_f64 v[5:6], v[5:6], v7
	v_add_f64 v[27:28], v[29:30], 1.0
	v_add_f64 v[29:30], v[5:6], 1.0
	v_add_f64 v[25:26], v[25:26], v[27:28]
	v_add_f64 v[49:50], v[5:6], -1.0
	v_add_f64 v[27:28], v[29:30], -1.0
	v_ldexp_f64 v[25:26], v[25:26], v7
	v_add_f64 v[51:52], v[49:50], 1.0
	v_add_f64 v[27:28], v[5:6], -v[27:28]
	v_add_f64 v[5:6], v[5:6], -v[51:52]
	v_add_f64 v[27:28], v[25:26], v[27:28]
	v_add_f64 v[5:6], v[25:26], v[5:6]
	;; [unrolled: 1-line block ×4, first 2 shown]
	v_rcp_f64_e32 v[47:48], v[31:32]
	v_add_f64 v[29:30], v[31:32], -v[29:30]
	v_add_f64 v[49:50], v[51:52], -v[49:50]
	;; [unrolled: 1-line block ×4, first 2 shown]
	v_fma_f64 v[53:54], -v[31:32], v[47:48], 1.0
	v_fma_f64 v[47:48], v[53:54], v[47:48], v[47:48]
	v_fma_f64 v[25:26], -v[31:32], v[47:48], 1.0
	v_fma_f64 v[25:26], v[25:26], v[47:48], v[47:48]
	v_mul_f64 v[47:48], v[51:52], v[25:26]
	v_mul_f64 v[53:54], v[31:32], v[47:48]
	v_fma_f64 v[29:30], v[47:48], v[31:32], -v[53:54]
	v_fma_f64 v[29:30], v[47:48], v[27:28], v[29:30]
	v_add_f64 v[55:56], v[53:54], v[29:30]
	v_add_f64 v[57:58], v[51:52], -v[55:56]
	v_add_f64 v[49:50], v[55:56], -v[53:54]
	v_add_f64 v[51:52], v[51:52], -v[57:58]
	v_add_f64 v[29:30], v[49:50], -v[29:30]
	v_max_f64 v[49:50], |v[13:14]|, |v[13:14]|
	v_add_f64 v[51:52], v[51:52], -v[55:56]
	v_add_f64 v[5:6], v[5:6], v[51:52]
	v_add_f64 v[5:6], v[29:30], v[5:6]
	v_max_f64 v[29:30], |v[15:16]|, |v[15:16]|
	v_add_f64 v[51:52], v[57:58], v[5:6]
	v_max_f64 v[53:54], v[49:50], v[29:30]
	v_min_f64 v[29:30], v[49:50], v[29:30]
	v_mul_f64 v[49:50], v[25:26], v[51:52]
	v_add_f64 v[57:58], v[57:58], -v[51:52]
	v_div_scale_f64 v[55:56], s[12:13], v[53:54], v[53:54], v[29:30]
	s_mov_b32 s12, 0xb5e68a13
	s_mov_b32 s13, 0x3eeba404
	v_mul_f64 v[59:60], v[31:32], v[49:50]
	v_add_f64 v[5:6], v[5:6], v[57:58]
	v_fma_f64 v[31:32], v[49:50], v[31:32], -v[59:60]
	v_rcp_f64_e32 v[61:62], v[55:56]
	v_fma_f64 v[27:28], v[49:50], v[27:28], v[31:32]
	v_add_f64 v[31:32], v[59:60], v[27:28]
	v_fma_f64 v[70:71], -v[55:56], v[61:62], 1.0
	v_add_f64 v[72:73], v[51:52], -v[31:32]
	v_add_f64 v[57:58], v[31:32], -v[59:60]
	v_fma_f64 v[61:62], v[61:62], v[70:71], v[61:62]
	v_div_scale_f64 v[70:71], vcc, v[29:30], v[53:54], v[29:30]
	v_add_f64 v[51:52], v[51:52], -v[72:73]
	v_add_f64 v[27:28], v[57:58], -v[27:28]
	v_fma_f64 v[74:75], -v[55:56], v[61:62], 1.0
	v_add_f64 v[57:58], v[47:48], v[49:50]
	v_add_f64 v[31:32], v[51:52], -v[31:32]
	v_fma_f64 v[51:52], v[61:62], v[74:75], v[61:62]
	v_add_f64 v[47:48], v[57:58], -v[47:48]
	v_add_f64 v[5:6], v[5:6], v[31:32]
	v_mul_f64 v[31:32], v[70:71], v[51:52]
	v_add_f64 v[5:6], v[27:28], v[5:6]
	v_fma_f64 v[27:28], -v[55:56], v[31:32], v[70:71]
	v_add_f64 v[5:6], v[72:73], v[5:6]
	v_div_fmas_f64 v[27:28], v[27:28], v[51:52], v[31:32]
	v_add_f64 v[31:32], v[49:50], -v[47:48]
	v_cmp_gt_i32_e32 vcc, 0, v14
	v_cndmask_b32_e32 v13, v68, v69, vcc
	v_cndmask_b32_e32 v7, v66, v67, vcc
	v_bfi_b32 v13, s60, v13, v16
	v_mul_f64 v[5:6], v[25:26], v[5:6]
	v_add_f64 v[5:6], v[31:32], v[5:6]
	v_div_fixup_f64 v[25:26], v[27:28], v[53:54], v[29:30]
	v_cvt_f64_i32_e32 v[53:54], v3
	v_ashrrev_i32_e32 v3, 31, v14
	v_and_b32_e32 v14, 0x54442d18, v3
	v_and_b32_e32 v3, 0x400921fb, v3
	v_mul_f64 v[55:56], v[53:54], s[44:45]
	v_add_f64 v[27:28], v[57:58], v[5:6]
	v_mul_f64 v[29:30], v[25:26], v[25:26]
	v_mul_f64 v[31:32], v[27:28], v[27:28]
	v_fma_f64 v[47:48], v[29:30], s[12:13], v[37:38]
	s_mov_b32 s12, 0x69efb384
	s_mov_b32 s13, 0x3f4b2bb0
	v_fma_f64 v[49:50], v[31:32], s[34:35], v[35:36]
	v_mul_f64 v[51:52], v[27:28], v[31:32]
	v_fma_f64 v[47:48], v[29:30], v[47:48], s[12:13]
	s_mov_b32 s12, 0xaf56de9b
	s_mov_b32 s13, 0xbf67952d
	v_fma_f64 v[49:50], v[31:32], v[49:50], s[36:37]
	v_fma_f64 v[47:48], v[29:30], v[47:48], s[12:13]
	s_mov_b32 s12, 0xa595c56f
	s_mov_b32 s13, 0x3f7d6d43
	v_fma_f64 v[49:50], v[31:32], v[49:50], s[38:39]
	;; [unrolled: 4-line block ×5, first 2 shown]
	v_ldexp_f64 v[49:50], v[27:28], 1
	v_fma_f64 v[47:48], v[29:30], v[47:48], s[12:13]
	v_add_f64 v[27:28], v[27:28], -v[57:58]
	v_cmp_eq_f64_e64 s[12:13], 0, v[15:16]
	v_mul_f64 v[31:32], v[51:52], v[31:32]
	v_fma_f64 v[47:48], v[29:30], v[47:48], s[62:63]
	v_add_f64 v[5:6], v[5:6], -v[27:28]
	v_add_f64 v[51:52], v[49:50], v[31:32]
	v_fma_f64 v[47:48], v[29:30], v[47:48], s[64:65]
	v_ldexp_f64 v[5:6], v[5:6], 1
	v_add_f64 v[27:28], v[51:52], -v[49:50]
	v_fma_f64 v[49:50], v[53:54], s[44:45], -v[55:56]
	v_fma_f64 v[47:48], v[29:30], v[47:48], s[66:67]
	v_add_f64 v[27:28], v[31:32], -v[27:28]
	v_fma_f64 v[31:32], v[29:30], v[47:48], s[68:69]
	v_fma_f64 v[47:48], v[53:54], s[46:47], v[49:50]
	v_add_f64 v[5:6], v[5:6], v[27:28]
	v_fma_f64 v[27:28], v[29:30], v[31:32], s[70:71]
	v_add_f64 v[31:32], v[55:56], v[47:48]
	v_add_f64 v[49:50], v[51:52], v[5:6]
	v_fma_f64 v[27:28], v[29:30], v[27:28], s[72:73]
	v_add_f64 v[55:56], v[31:32], -v[55:56]
	v_add_f64 v[53:54], v[31:32], v[49:50]
	v_add_f64 v[51:52], v[49:50], -v[51:52]
	v_fma_f64 v[27:28], v[29:30], v[27:28], s[74:75]
	v_add_f64 v[47:48], v[47:48], -v[55:56]
	v_add_f64 v[57:58], v[53:54], -v[31:32]
	;; [unrolled: 1-line block ×3, first 2 shown]
	v_fma_f64 v[27:28], v[29:30], v[27:28], s[76:77]
	v_add_f64 v[59:60], v[53:54], -v[57:58]
	v_add_f64 v[49:50], v[49:50], -v[57:58]
	v_fma_f64 v[27:28], v[29:30], v[27:28], s[78:79]
	v_add_f64 v[51:52], v[47:48], v[5:6]
	v_add_f64 v[31:32], v[31:32], -v[59:60]
	v_fma_f64 v[27:28], v[29:30], v[27:28], s[80:81]
	v_add_f64 v[31:32], v[49:50], v[31:32]
	;; [unrolled: 3-line block ×3, first 2 shown]
	v_add_f64 v[51:52], v[51:52], -v[49:50]
	v_fma_f64 v[27:28], v[29:30], v[27:28], s[84:85]
	v_add_f64 v[5:6], v[5:6], -v[49:50]
	v_add_f64 v[55:56], v[53:54], v[31:32]
	v_mul_f64 v[27:28], v[29:30], v[27:28]
	v_add_f64 v[29:30], v[47:48], -v[51:52]
	v_add_f64 v[47:48], v[55:56], -v[53:54]
	v_fma_f64 v[25:26], v[25:26], v[27:28], v[25:26]
	v_add_f64 v[5:6], v[5:6], v[29:30]
	v_add_f64 v[27:28], v[31:32], -v[47:48]
	v_add_f64 v[29:30], -v[25:26], s[28:29]
	v_add_f64 v[5:6], v[5:6], v[27:28]
	v_cndmask_b32_e64 v26, v26, v30, s[10:11]
	v_cndmask_b32_e64 v25, v25, v29, s[10:11]
	v_add_f64 v[27:28], -v[25:26], s[86:87]
	v_add_f64 v[5:6], v[55:56], v[5:6]
	v_cndmask_b32_e32 v25, v25, v27, vcc
	v_cndmask_b32_e32 v26, v26, v28, vcc
	v_cndmask_b32_e64 v14, v25, v14, s[12:13]
	v_cndmask_b32_e64 v3, v26, v3, s[12:13]
	v_mul_f64 v[5:6], v[5:6], 0.5
	s_and_b64 s[12:13], s[14:15], s[16:17]
	s_and_b64 vcc, s[52:53], s[54:55]
	v_cndmask_b32_e32 v28, v3, v13, vcc
	s_mov_b32 s52, 0x69efb384
	s_mov_b32 s54, 0xb5e68a13
	;; [unrolled: 1-line block ×4, first 2 shown]
	v_cndmask_b32_e64 v25, 0, v5, s[12:13]
	v_cmp_ngt_f64_e64 s[12:13], -1.0, v[1:2]
	v_cndmask_b32_e64 v3, v63, v6, s[16:17]
	v_cndmask_b32_e32 v27, v14, v7, vcc
	v_cndmask_b32_e64 v3, v64, v3, s[12:13]
	v_cmp_neq_f64_e64 s[12:13], -1.0, v[1:2]
	v_cndmask_b32_e64 v26, v65, v3, s[12:13]
.LBB173_93:                             ;   in Loop: Header=BB173_4 Depth=1
	s_or_b64 exec, exec, s[50:51]
.LBB173_94:                             ;   in Loop: Header=BB173_4 Depth=1
	s_or_b64 exec, exec, s[48:49]
.LBB173_95:                             ;   in Loop: Header=BB173_4 Depth=1
	s_andn2_saveexec_b64 s[16:17], s[90:91]
	s_cbranch_execz .LBB173_97
; %bb.96:                               ;   in Loop: Header=BB173_4 Depth=1
	v_max_f64 v[5:6], |v[15:16]|, |v[15:16]|
	v_max_f64 v[25:26], |v[13:14]|, |v[13:14]|
	v_cmp_class_f64_e64 s[48:49], v[13:14], s61
	v_cmp_class_f64_e64 s[50:51], v[15:16], s61
	s_mov_b32 s31, s89
	s_mov_b32 s86, s28
	v_max_f64 v[27:28], v[25:26], v[5:6]
	v_min_f64 v[5:6], v[25:26], v[5:6]
	v_frexp_exp_i32_f64_e32 v3, v[27:28]
	v_sub_u32_e32 v7, 0, v3
	v_ldexp_f64 v[1:2], |v[15:16]|, v7
	v_ldexp_f64 v[29:30], |v[13:14]|, v7
	v_mul_f64 v[1:2], v[1:2], v[1:2]
	v_fma_f64 v[1:2], v[29:30], v[29:30], v[1:2]
	v_rsq_f64_e32 v[29:30], v[1:2]
	v_cmp_eq_f64_e32 vcc, 0, v[1:2]
	v_mul_f64 v[31:32], v[1:2], v[29:30]
	v_mul_f64 v[29:30], v[29:30], 0.5
	v_fma_f64 v[47:48], -v[29:30], v[31:32], 0.5
	v_fma_f64 v[31:32], v[31:32], v[47:48], v[31:32]
	v_fma_f64 v[29:30], v[29:30], v[47:48], v[29:30]
	v_fma_f64 v[47:48], -v[31:32], v[31:32], v[1:2]
	v_fma_f64 v[29:30], v[47:48], v[29:30], v[31:32]
	v_cndmask_b32_e32 v2, v30, v2, vcc
	v_cndmask_b32_e32 v1, v29, v1, vcc
	v_ldexp_f64 v[1:2], v[1:2], v3
	s_or_b64 vcc, s[50:51], s[48:49]
	v_cndmask_b32_e32 v2, v2, v63, vcc
	v_cndmask_b32_e64 v1, v1, 0, vcc
	v_frexp_mant_f64_e32 v[29:30], v[1:2]
	v_cmp_gt_f64_e64 s[12:13], s[88:89], v[29:30]
	v_cndmask_b32_e64 v3, 0, 1, s[12:13]
	v_ldexp_f64 v[29:30], v[29:30], v3
	v_frexp_exp_i32_f64_e32 v3, v[1:2]
	v_add_f64 v[31:32], v[29:30], 1.0
	v_add_f64 v[51:52], v[29:30], -1.0
	v_rcp_f64_e32 v[47:48], v[31:32]
	v_add_f64 v[55:56], v[31:32], -1.0
	v_add_f64 v[29:30], v[29:30], -v[55:56]
	v_fma_f64 v[49:50], -v[31:32], v[47:48], 1.0
	v_fma_f64 v[25:26], v[49:50], v[47:48], v[47:48]
	v_div_scale_f64 v[47:48], s[14:15], v[27:28], v[27:28], v[5:6]
	s_mov_b32 s14, 0xaf56de9b
	s_mov_b32 s15, 0xbf67952d
	v_fma_f64 v[49:50], -v[31:32], v[25:26], 1.0
	v_fma_f64 v[25:26], v[49:50], v[25:26], v[25:26]
	v_rcp_f64_e32 v[49:50], v[47:48]
	v_mul_f64 v[53:54], v[51:52], v[25:26]
	v_mul_f64 v[57:58], v[31:32], v[53:54]
	v_fma_f64 v[59:60], -v[47:48], v[49:50], 1.0
	v_fma_f64 v[31:32], v[53:54], v[31:32], -v[57:58]
	v_fma_f64 v[49:50], v[49:50], v[59:60], v[49:50]
	v_fma_f64 v[29:30], v[53:54], v[29:30], v[31:32]
	v_div_scale_f64 v[31:32], vcc, v[5:6], v[27:28], v[5:6]
	v_fma_f64 v[55:56], -v[47:48], v[49:50], 1.0
	v_add_f64 v[59:60], v[57:58], v[29:30]
	v_fma_f64 v[49:50], v[49:50], v[55:56], v[49:50]
	v_add_f64 v[55:56], v[51:52], -v[59:60]
	v_add_f64 v[57:58], v[59:60], -v[57:58]
	v_mul_f64 v[61:62], v[31:32], v[49:50]
	v_add_f64 v[51:52], v[51:52], -v[55:56]
	v_add_f64 v[29:30], v[57:58], -v[29:30]
	v_fma_f64 v[31:32], -v[47:48], v[61:62], v[31:32]
	v_add_f64 v[47:48], v[51:52], -v[59:60]
	v_div_fmas_f64 v[31:32], v[31:32], v[49:50], v[61:62]
	v_subbrev_co_u32_e64 v3, vcc, 0, v3, s[12:13]
	v_cmp_eq_f64_e64 s[12:13], 0, v[15:16]
	v_cmp_gt_i32_e32 vcc, 0, v14
	v_add_f64 v[29:30], v[29:30], v[47:48]
	v_cndmask_b32_e32 v7, v66, v67, vcc
	v_add_f64 v[29:30], v[55:56], v[29:30]
	v_div_fixup_f64 v[5:6], v[31:32], v[27:28], v[5:6]
	v_mul_f64 v[25:26], v[25:26], v[29:30]
	v_mul_f64 v[27:28], v[5:6], v[5:6]
	v_add_f64 v[29:30], v[53:54], v[25:26]
	v_fma_f64 v[31:32], v[27:28], s[54:55], v[37:38]
	v_mul_f64 v[47:48], v[29:30], v[29:30]
	v_fma_f64 v[31:32], v[27:28], v[31:32], s[52:53]
	v_fma_f64 v[49:50], v[47:48], s[34:35], v[35:36]
	v_mul_f64 v[51:52], v[29:30], v[47:48]
	v_fma_f64 v[31:32], v[27:28], v[31:32], s[14:15]
	s_mov_b32 s14, 0xa595c56f
	s_mov_b32 s15, 0x3f7d6d43
	v_fma_f64 v[49:50], v[47:48], v[49:50], s[36:37]
	v_fma_f64 v[31:32], v[27:28], v[31:32], s[14:15]
	s_mov_b32 s14, 0xa57d9582
	s_mov_b32 s15, 0xbf8c6ea4
	v_fma_f64 v[49:50], v[47:48], v[49:50], s[38:39]
	;; [unrolled: 4-line block ×4, first 2 shown]
	v_fma_f64 v[31:32], v[27:28], v[31:32], s[14:15]
	v_cmp_class_f64_e64 s[14:15], v[1:2], s61
	v_fma_f64 v[47:48], v[47:48], v[49:50], s[30:31]
	v_ldexp_f64 v[49:50], v[29:30], 1
	v_add_f64 v[29:30], v[29:30], -v[53:54]
	v_fma_f64 v[31:32], v[27:28], v[31:32], s[62:63]
	v_cvt_f64_i32_e32 v[53:54], v3
	v_ashrrev_i32_e32 v3, 31, v14
	v_mul_f64 v[47:48], v[51:52], v[47:48]
	v_mul_f64 v[55:56], v[53:54], s[44:45]
	v_add_f64 v[25:26], v[25:26], -v[29:30]
	v_fma_f64 v[31:32], v[27:28], v[31:32], s[64:65]
	v_add_f64 v[51:52], v[49:50], v[47:48]
	v_ldexp_f64 v[25:26], v[25:26], 1
	v_fma_f64 v[31:32], v[27:28], v[31:32], s[66:67]
	v_add_f64 v[29:30], v[51:52], -v[49:50]
	v_fma_f64 v[49:50], v[53:54], s[44:45], -v[55:56]
	v_fma_f64 v[31:32], v[27:28], v[31:32], s[68:69]
	v_add_f64 v[29:30], v[47:48], -v[29:30]
	v_fma_f64 v[47:48], v[53:54], s[46:47], v[49:50]
	v_fma_f64 v[31:32], v[27:28], v[31:32], s[70:71]
	v_add_f64 v[25:26], v[25:26], v[29:30]
	v_fma_f64 v[29:30], v[27:28], v[31:32], s[72:73]
	v_add_f64 v[31:32], v[55:56], v[47:48]
	v_add_f64 v[49:50], v[51:52], v[25:26]
	v_fma_f64 v[29:30], v[27:28], v[29:30], s[74:75]
	v_add_f64 v[55:56], v[31:32], -v[55:56]
	v_add_f64 v[53:54], v[31:32], v[49:50]
	v_add_f64 v[51:52], v[49:50], -v[51:52]
	v_fma_f64 v[29:30], v[27:28], v[29:30], s[76:77]
	v_add_f64 v[47:48], v[47:48], -v[55:56]
	v_add_f64 v[57:58], v[53:54], -v[31:32]
	;; [unrolled: 1-line block ×3, first 2 shown]
	v_fma_f64 v[29:30], v[27:28], v[29:30], s[78:79]
	v_add_f64 v[59:60], v[53:54], -v[57:58]
	v_add_f64 v[49:50], v[49:50], -v[57:58]
	v_add_f64 v[51:52], v[47:48], v[25:26]
	v_fma_f64 v[29:30], v[27:28], v[29:30], s[80:81]
	v_add_f64 v[31:32], v[31:32], -v[59:60]
	v_fma_f64 v[29:30], v[27:28], v[29:30], s[82:83]
	v_add_f64 v[31:32], v[49:50], v[31:32]
	v_add_f64 v[49:50], v[51:52], -v[47:48]
	v_fma_f64 v[29:30], v[27:28], v[29:30], s[84:85]
	v_add_f64 v[31:32], v[51:52], v[31:32]
	v_add_f64 v[25:26], v[25:26], -v[49:50]
	v_mul_f64 v[27:28], v[27:28], v[29:30]
	v_add_f64 v[29:30], v[51:52], -v[49:50]
	v_add_f64 v[51:52], v[53:54], v[31:32]
	v_fma_f64 v[5:6], v[5:6], v[27:28], v[5:6]
	v_add_f64 v[27:28], v[47:48], -v[29:30]
	v_add_f64 v[29:30], v[51:52], -v[53:54]
	v_add_f64 v[47:48], -v[5:6], s[28:29]
	v_add_f64 v[25:26], v[25:26], v[27:28]
	v_add_f64 v[27:28], v[31:32], -v[29:30]
	v_cndmask_b32_e64 v6, v6, v48, s[10:11]
	v_cndmask_b32_e64 v5, v5, v47, s[10:11]
	v_add_f64 v[29:30], -v[5:6], s[86:87]
	v_add_f64 v[25:26], v[25:26], v[27:28]
	v_and_b32_e32 v27, 0x54442d18, v3
	v_and_b32_e32 v3, 0x400921fb, v3
	v_cndmask_b32_e32 v28, v68, v69, vcc
	v_cndmask_b32_e32 v5, v5, v29, vcc
	;; [unrolled: 1-line block ×3, first 2 shown]
	v_cndmask_b32_e64 v5, v5, v27, s[12:13]
	v_add_f64 v[13:14], v[51:52], v[25:26]
	v_cndmask_b32_e64 v3, v6, v3, s[12:13]
	v_cmp_ngt_f64_e64 s[12:13], 0, v[1:2]
	v_bfi_b32 v25, s60, v28, v16
	s_and_b64 vcc, s[50:51], s[48:49]
	v_cndmask_b32_e32 v28, v3, v25, vcc
	v_cndmask_b32_e32 v27, v5, v7, vcc
	v_cndmask_b32_e64 v6, v14, v2, s[14:15]
	v_cndmask_b32_e64 v3, v13, v1, s[14:15]
	;; [unrolled: 1-line block ×3, first 2 shown]
	v_cmp_nge_f64_e64 s[12:13], 0, v[1:2]
	v_cndmask_b32_e64 v25, 0, v3, s[12:13]
	v_cmp_neq_f64_e64 s[12:13], 0, v[1:2]
	v_cndmask_b32_e64 v26, v65, v6, s[12:13]
.LBB173_97:                             ;   in Loop: Header=BB173_4 Depth=1
	s_or_b64 exec, exec, s[16:17]
                                        ; implicit-def: $vgpr5_vgpr6
.LBB173_98:                             ;   in Loop: Header=BB173_4 Depth=1
	s_andn2_saveexec_b64 s[16:17], s[24:25]
	s_cbranch_execz .LBB173_104
; %bb.99:                               ;   in Loop: Header=BB173_4 Depth=1
	s_mov_b32 s12, 0x6a3f9475
	s_mov_b32 s13, 0x20ca2fe7
	v_cmp_ngt_f64_e32 vcc, s[12:13], v[5:6]
                                        ; implicit-def: $vgpr25_vgpr26
	s_and_saveexec_b64 s[12:13], vcc
	s_xor_b64 s[24:25], exec, s[12:13]
	s_cbranch_execz .LBB173_101
; %bb.100:                              ;   in Loop: Header=BB173_4 Depth=1
	v_mul_f64 v[1:2], v[5:6], v[5:6]
	s_mov_b32 s31, s89
	s_mov_b32 s86, s28
	;; [unrolled: 1-line block ×3, first 2 shown]
	v_cmp_class_f64_e64 s[48:49], v[15:16], s61
	v_cmp_class_f64_e64 s[50:51], v[13:14], s61
	s_mov_b32 s15, 0x7ff00000
	v_add_f64 v[5:6], v[1:2], 1.0
	v_cmp_neq_f64_e64 s[14:15], s[14:15], v[1:2]
	v_frexp_mant_f64_e32 v[27:28], v[5:6]
	v_frexp_exp_i32_f64_e32 v3, v[5:6]
	v_add_f64 v[25:26], v[5:6], -1.0
	v_cmp_gt_f64_e32 vcc, s[88:89], v[27:28]
	v_add_f64 v[29:30], v[25:26], -v[5:6]
	v_add_f64 v[25:26], v[1:2], -v[25:26]
	v_subbrev_co_u32_e32 v3, vcc, 0, v3, vcc
	v_sub_u32_e32 v7, 0, v3
	v_ldexp_f64 v[5:6], v[5:6], v7
	v_add_f64 v[27:28], v[29:30], 1.0
	v_add_f64 v[29:30], v[5:6], 1.0
	v_add_f64 v[25:26], v[25:26], v[27:28]
	v_add_f64 v[49:50], v[5:6], -1.0
	v_add_f64 v[27:28], v[29:30], -1.0
	v_ldexp_f64 v[25:26], v[25:26], v7
	v_add_f64 v[51:52], v[49:50], 1.0
	v_add_f64 v[27:28], v[5:6], -v[27:28]
	v_add_f64 v[5:6], v[5:6], -v[51:52]
	v_add_f64 v[27:28], v[25:26], v[27:28]
	v_add_f64 v[5:6], v[25:26], v[5:6]
	v_add_f64 v[31:32], v[29:30], v[27:28]
	v_add_f64 v[51:52], v[49:50], v[5:6]
	v_rcp_f64_e32 v[47:48], v[31:32]
	v_add_f64 v[29:30], v[29:30], -v[31:32]
	v_add_f64 v[49:50], v[49:50], -v[51:52]
	v_add_f64 v[27:28], v[27:28], v[29:30]
	v_add_f64 v[5:6], v[5:6], v[49:50]
	v_fma_f64 v[53:54], -v[31:32], v[47:48], 1.0
	v_fma_f64 v[47:48], v[53:54], v[47:48], v[47:48]
	v_fma_f64 v[25:26], -v[31:32], v[47:48], 1.0
	v_fma_f64 v[25:26], v[25:26], v[47:48], v[47:48]
	v_mul_f64 v[47:48], v[51:52], v[25:26]
	v_mul_f64 v[53:54], v[31:32], v[47:48]
	v_fma_f64 v[29:30], v[47:48], v[31:32], -v[53:54]
	v_fma_f64 v[29:30], v[47:48], v[27:28], v[29:30]
	v_add_f64 v[55:56], v[53:54], v[29:30]
	v_add_f64 v[57:58], v[51:52], -v[55:56]
	v_add_f64 v[49:50], v[55:56], -v[53:54]
	;; [unrolled: 1-line block ×4, first 2 shown]
	v_max_f64 v[49:50], |v[13:14]|, |v[13:14]|
	v_add_f64 v[51:52], v[51:52], -v[55:56]
	v_add_f64 v[5:6], v[5:6], v[51:52]
	v_add_f64 v[5:6], v[29:30], v[5:6]
	v_max_f64 v[29:30], |v[15:16]|, |v[15:16]|
	v_add_f64 v[51:52], v[57:58], v[5:6]
	v_max_f64 v[53:54], v[49:50], v[29:30]
	v_min_f64 v[29:30], v[49:50], v[29:30]
	v_mul_f64 v[49:50], v[25:26], v[51:52]
	v_add_f64 v[57:58], v[57:58], -v[51:52]
	v_div_scale_f64 v[55:56], s[12:13], v[53:54], v[53:54], v[29:30]
	s_mov_b32 s12, 0xaf56de9b
	s_mov_b32 s13, 0xbf67952d
	v_mul_f64 v[59:60], v[31:32], v[49:50]
	v_add_f64 v[5:6], v[5:6], v[57:58]
	v_fma_f64 v[31:32], v[49:50], v[31:32], -v[59:60]
	v_rcp_f64_e32 v[61:62], v[55:56]
	v_fma_f64 v[27:28], v[49:50], v[27:28], v[31:32]
	v_add_f64 v[31:32], v[59:60], v[27:28]
	v_fma_f64 v[70:71], -v[55:56], v[61:62], 1.0
	v_add_f64 v[72:73], v[51:52], -v[31:32]
	v_add_f64 v[57:58], v[31:32], -v[59:60]
	v_fma_f64 v[61:62], v[61:62], v[70:71], v[61:62]
	v_div_scale_f64 v[70:71], vcc, v[29:30], v[53:54], v[29:30]
	v_add_f64 v[51:52], v[51:52], -v[72:73]
	v_add_f64 v[27:28], v[57:58], -v[27:28]
	v_fma_f64 v[74:75], -v[55:56], v[61:62], 1.0
	v_add_f64 v[57:58], v[47:48], v[49:50]
	v_add_f64 v[31:32], v[51:52], -v[31:32]
	v_fma_f64 v[51:52], v[61:62], v[74:75], v[61:62]
	v_add_f64 v[47:48], v[57:58], -v[47:48]
	v_add_f64 v[5:6], v[5:6], v[31:32]
	v_mul_f64 v[31:32], v[70:71], v[51:52]
	v_add_f64 v[5:6], v[27:28], v[5:6]
	v_fma_f64 v[27:28], -v[55:56], v[31:32], v[70:71]
	v_add_f64 v[5:6], v[72:73], v[5:6]
	v_div_fmas_f64 v[27:28], v[27:28], v[51:52], v[31:32]
	v_add_f64 v[31:32], v[49:50], -v[47:48]
	v_cmp_gt_i32_e32 vcc, 0, v14
	v_cndmask_b32_e32 v7, v66, v67, vcc
	v_mul_f64 v[5:6], v[25:26], v[5:6]
	v_add_f64 v[5:6], v[31:32], v[5:6]
	v_div_fixup_f64 v[25:26], v[27:28], v[53:54], v[29:30]
	v_cvt_f64_i32_e32 v[53:54], v3
	v_ashrrev_i32_e32 v3, 31, v14
	v_and_b32_e32 v13, 0x54442d18, v3
	v_and_b32_e32 v3, 0x400921fb, v3
	v_mul_f64 v[55:56], v[53:54], s[44:45]
	v_add_f64 v[27:28], v[57:58], v[5:6]
	v_mul_f64 v[29:30], v[25:26], v[25:26]
	v_mul_f64 v[31:32], v[27:28], v[27:28]
	v_fma_f64 v[47:48], v[29:30], s[54:55], v[37:38]
	v_fma_f64 v[49:50], v[31:32], s[34:35], v[35:36]
	v_mul_f64 v[51:52], v[27:28], v[31:32]
	v_fma_f64 v[47:48], v[29:30], v[47:48], s[52:53]
	v_fma_f64 v[49:50], v[31:32], v[49:50], s[36:37]
	;; [unrolled: 1-line block ×3, first 2 shown]
	s_mov_b32 s12, 0xa595c56f
	s_mov_b32 s13, 0x3f7d6d43
	v_fma_f64 v[49:50], v[31:32], v[49:50], s[38:39]
	v_fma_f64 v[47:48], v[29:30], v[47:48], s[12:13]
	s_mov_b32 s12, 0xa57d9582
	s_mov_b32 s13, 0xbf8c6ea4
	v_fma_f64 v[49:50], v[31:32], v[49:50], s[40:41]
	v_fma_f64 v[47:48], v[29:30], v[47:48], s[12:13]
	;; [unrolled: 4-line block ×3, first 2 shown]
	s_mov_b32 s12, 0xfc27006a
	s_mov_b32 s13, 0xbf9e9ae6
	v_fma_f64 v[31:32], v[31:32], v[49:50], s[30:31]
	v_ldexp_f64 v[49:50], v[27:28], 1
	v_fma_f64 v[47:48], v[29:30], v[47:48], s[12:13]
	v_add_f64 v[27:28], v[27:28], -v[57:58]
	v_cmp_eq_f64_e64 s[12:13], 0, v[15:16]
	v_mul_f64 v[31:32], v[51:52], v[31:32]
	v_fma_f64 v[47:48], v[29:30], v[47:48], s[62:63]
	v_add_f64 v[5:6], v[5:6], -v[27:28]
	v_add_f64 v[51:52], v[49:50], v[31:32]
	v_fma_f64 v[47:48], v[29:30], v[47:48], s[64:65]
	v_ldexp_f64 v[5:6], v[5:6], 1
	v_add_f64 v[27:28], v[51:52], -v[49:50]
	v_fma_f64 v[49:50], v[53:54], s[44:45], -v[55:56]
	v_fma_f64 v[47:48], v[29:30], v[47:48], s[66:67]
	v_add_f64 v[27:28], v[31:32], -v[27:28]
	v_fma_f64 v[31:32], v[29:30], v[47:48], s[68:69]
	v_fma_f64 v[47:48], v[53:54], s[46:47], v[49:50]
	v_add_f64 v[5:6], v[5:6], v[27:28]
	v_fma_f64 v[27:28], v[29:30], v[31:32], s[70:71]
	v_add_f64 v[31:32], v[55:56], v[47:48]
	v_add_f64 v[49:50], v[51:52], v[5:6]
	v_fma_f64 v[27:28], v[29:30], v[27:28], s[72:73]
	v_add_f64 v[55:56], v[31:32], -v[55:56]
	v_add_f64 v[53:54], v[31:32], v[49:50]
	v_add_f64 v[51:52], v[49:50], -v[51:52]
	v_fma_f64 v[27:28], v[29:30], v[27:28], s[74:75]
	v_add_f64 v[47:48], v[47:48], -v[55:56]
	v_add_f64 v[57:58], v[53:54], -v[31:32]
	;; [unrolled: 1-line block ×3, first 2 shown]
	v_fma_f64 v[27:28], v[29:30], v[27:28], s[76:77]
	v_add_f64 v[59:60], v[53:54], -v[57:58]
	v_add_f64 v[49:50], v[49:50], -v[57:58]
	v_fma_f64 v[27:28], v[29:30], v[27:28], s[78:79]
	v_add_f64 v[51:52], v[47:48], v[5:6]
	v_add_f64 v[31:32], v[31:32], -v[59:60]
	v_fma_f64 v[27:28], v[29:30], v[27:28], s[80:81]
	v_add_f64 v[31:32], v[49:50], v[31:32]
	;; [unrolled: 3-line block ×3, first 2 shown]
	v_add_f64 v[51:52], v[51:52], -v[49:50]
	v_fma_f64 v[27:28], v[29:30], v[27:28], s[84:85]
	v_add_f64 v[5:6], v[5:6], -v[49:50]
	v_add_f64 v[55:56], v[53:54], v[31:32]
	v_mul_f64 v[27:28], v[29:30], v[27:28]
	v_add_f64 v[29:30], v[47:48], -v[51:52]
	v_add_f64 v[47:48], v[55:56], -v[53:54]
	v_fma_f64 v[25:26], v[25:26], v[27:28], v[25:26]
	v_add_f64 v[5:6], v[5:6], v[29:30]
	v_add_f64 v[27:28], v[31:32], -v[47:48]
	v_add_f64 v[29:30], -v[25:26], s[28:29]
	v_add_f64 v[5:6], v[5:6], v[27:28]
	v_cndmask_b32_e64 v26, v26, v30, s[10:11]
	v_cndmask_b32_e64 v25, v25, v29, s[10:11]
	v_add_f64 v[27:28], -v[25:26], s[86:87]
	v_add_f64 v[5:6], v[55:56], v[5:6]
	v_cndmask_b32_e32 v14, v25, v27, vcc
	v_cndmask_b32_e32 v25, v68, v69, vcc
	;; [unrolled: 1-line block ×3, first 2 shown]
	v_bfi_b32 v1, s60, v25, v16
	v_mul_f64 v[5:6], v[5:6], 0.5
	v_cndmask_b32_e64 v13, v14, v13, s[12:13]
	v_cndmask_b32_e64 v2, v2, v3, s[12:13]
	s_and_b64 vcc, s[48:49], s[50:51]
	v_cndmask_b32_e32 v28, v2, v1, vcc
	v_cndmask_b32_e32 v27, v13, v7, vcc
	v_cndmask_b32_e64 v26, v63, v6, s[14:15]
	v_cndmask_b32_e64 v25, 0, v5, s[14:15]
                                        ; implicit-def: $vgpr5_vgpr6
.LBB173_101:                            ;   in Loop: Header=BB173_4 Depth=1
	s_andn2_saveexec_b64 s[14:15], s[24:25]
	s_cbranch_execz .LBB173_103
; %bb.102:                              ;   in Loop: Header=BB173_4 Depth=1
	v_max_f64 v[1:2], |v[15:16]|, |v[15:16]|
	v_max_f64 v[25:26], |v[13:14]|, |v[13:14]|
	s_mov_b32 s86, s28
	v_cmp_class_f64_e64 s[24:25], v[15:16], s61
	v_cmp_class_f64_e64 s[48:49], v[13:14], s61
	v_ashrrev_i32_e32 v3, 31, v14
	v_max_f64 v[27:28], v[25:26], v[1:2]
	v_min_f64 v[1:2], v[25:26], v[1:2]
	v_div_scale_f64 v[25:26], s[12:13], v[27:28], v[27:28], v[1:2]
	s_mov_b32 s12, 0xaf56de9b
	s_mov_b32 s13, 0xbf67952d
	v_rcp_f64_e32 v[29:30], v[25:26]
	v_fma_f64 v[31:32], -v[25:26], v[29:30], 1.0
	v_fma_f64 v[29:30], v[29:30], v[31:32], v[29:30]
	v_div_scale_f64 v[31:32], vcc, v[1:2], v[27:28], v[1:2]
	v_fma_f64 v[47:48], -v[25:26], v[29:30], 1.0
	v_fma_f64 v[29:30], v[29:30], v[47:48], v[29:30]
	v_mul_f64 v[47:48], v[31:32], v[29:30]
	v_fma_f64 v[25:26], -v[25:26], v[47:48], v[31:32]
	v_div_fmas_f64 v[25:26], v[25:26], v[29:30], v[47:48]
	v_cmp_gt_i32_e32 vcc, 0, v14
	v_and_b32_e32 v30, 0x54442d18, v3
	v_cndmask_b32_e32 v13, v68, v69, vcc
	v_and_b32_e32 v3, 0x400921fb, v3
	v_cndmask_b32_e32 v7, v66, v67, vcc
	v_div_fixup_f64 v[1:2], v[25:26], v[27:28], v[1:2]
	v_mul_f64 v[25:26], v[1:2], v[1:2]
	v_fma_f64 v[27:28], v[25:26], s[54:55], v[37:38]
	v_fma_f64 v[27:28], v[25:26], v[27:28], s[52:53]
	;; [unrolled: 1-line block ×3, first 2 shown]
	s_mov_b32 s12, 0xa595c56f
	s_mov_b32 s13, 0x3f7d6d43
	v_fma_f64 v[27:28], v[25:26], v[27:28], s[12:13]
	s_mov_b32 s12, 0xa57d9582
	s_mov_b32 s13, 0xbf8c6ea4
	v_fma_f64 v[27:28], v[25:26], v[27:28], s[12:13]
	;; [unrolled: 3-line block ×4, first 2 shown]
	v_cmp_eq_f64_e64 s[12:13], 0, v[15:16]
	v_fma_f64 v[27:28], v[25:26], v[27:28], s[62:63]
	v_fma_f64 v[27:28], v[25:26], v[27:28], s[64:65]
	;; [unrolled: 1-line block ×12, first 2 shown]
	v_mul_f64 v[25:26], v[25:26], v[27:28]
	v_mul_f64 v[28:29], v[5:6], 0.5
	v_fma_f64 v[1:2], v[1:2], v[25:26], v[1:2]
	v_add_f64 v[25:26], -v[1:2], s[28:29]
	v_cndmask_b32_e64 v2, v2, v26, s[10:11]
	v_cndmask_b32_e64 v1, v1, v25, s[10:11]
	v_add_f64 v[26:27], -v[1:2], s[86:87]
	v_cndmask_b32_e32 v1, v1, v26, vcc
	v_mul_f64 v[25:26], v[5:6], v[28:29]
	v_cndmask_b32_e32 v2, v2, v27, vcc
	v_bfi_b32 v5, s60, v13, v16
	v_cndmask_b32_e64 v1, v1, v30, s[12:13]
	v_cndmask_b32_e64 v2, v2, v3, s[12:13]
	s_and_b64 vcc, s[24:25], s[48:49]
	v_cndmask_b32_e32 v28, v2, v5, vcc
	v_cndmask_b32_e32 v27, v1, v7, vcc
.LBB173_103:                            ;   in Loop: Header=BB173_4 Depth=1
	s_or_b64 exec, exec, s[14:15]
.LBB173_104:                            ;   in Loop: Header=BB173_4 Depth=1
	s_or_b64 exec, exec, s[16:17]
.LBB173_105:                            ;   in Loop: Header=BB173_4 Depth=1
	s_andn2_saveexec_b64 s[4:5], s[4:5]
	s_cbranch_execz .LBB173_107
; %bb.106:                              ;   in Loop: Header=BB173_4 Depth=1
	v_div_scale_f64 v[1:2], s[12:13], s[92:93], s[92:93], v[13:14]
	v_div_scale_f64 v[5:6], s[12:13], s[92:93], s[92:93], v[15:16]
	;; [unrolled: 1-line block ×3, first 2 shown]
	s_mov_b32 s31, s89
	s_mov_b32 s86, s28
	v_cmp_class_f64_e64 s[16:17], v[13:14], s61
	v_rcp_f64_e32 v[25:26], v[1:2]
	v_rcp_f64_e32 v[27:28], v[5:6]
	v_fma_f64 v[29:30], -v[1:2], v[25:26], 1.0
	v_fma_f64 v[31:32], -v[5:6], v[27:28], 1.0
	v_fma_f64 v[25:26], v[25:26], v[29:30], v[25:26]
	v_div_scale_f64 v[29:30], vcc, v[13:14], s[92:93], v[13:14]
	v_fma_f64 v[27:28], v[27:28], v[31:32], v[27:28]
	v_fma_f64 v[31:32], -v[1:2], v[25:26], 1.0
	v_fma_f64 v[49:50], -v[5:6], v[27:28], 1.0
	v_fma_f64 v[25:26], v[25:26], v[31:32], v[25:26]
	v_fma_f64 v[27:28], v[27:28], v[49:50], v[27:28]
	v_mul_f64 v[31:32], v[29:30], v[25:26]
	v_mul_f64 v[49:50], v[47:48], v[27:28]
	v_fma_f64 v[1:2], -v[1:2], v[31:32], v[29:30]
	v_fma_f64 v[5:6], -v[5:6], v[49:50], v[47:48]
	v_max_f64 v[47:48], |v[13:14]|, |v[13:14]|
	v_div_fmas_f64 v[1:2], v[1:2], v[25:26], v[31:32]
	s_mov_b64 vcc, s[12:13]
	v_div_fmas_f64 v[5:6], v[5:6], v[27:28], v[49:50]
	v_div_fixup_f64 v[1:2], v[1:2], s[92:93], v[13:14]
	v_div_fixup_f64 v[5:6], v[5:6], s[92:93], v[15:16]
	v_cmp_class_f64_e64 s[12:13], v[1:2], s61
	v_max_f64 v[25:26], |v[1:2]|, |v[5:6]|
	v_cmp_class_f64_e64 s[14:15], v[5:6], s61
	v_frexp_exp_i32_f64_e32 v3, v[25:26]
	v_sub_u32_e32 v7, 0, v3
	v_ldexp_f64 v[25:26], |v[5:6]|, v7
	v_ldexp_f64 v[27:28], |v[1:2]|, v7
	v_mul_f64 v[25:26], v[25:26], v[25:26]
	v_fma_f64 v[25:26], v[27:28], v[27:28], v[25:26]
	v_rsq_f64_e32 v[27:28], v[25:26]
	v_cmp_eq_f64_e32 vcc, 0, v[25:26]
	v_mul_f64 v[29:30], v[25:26], v[27:28]
	v_mul_f64 v[27:28], v[27:28], 0.5
	v_fma_f64 v[31:32], -v[27:28], v[29:30], 0.5
	v_fma_f64 v[29:30], v[29:30], v[31:32], v[29:30]
	v_fma_f64 v[27:28], v[27:28], v[31:32], v[27:28]
	v_fma_f64 v[31:32], -v[29:30], v[29:30], v[25:26]
	v_fma_f64 v[27:28], v[31:32], v[27:28], v[29:30]
	v_max_f64 v[31:32], |v[15:16]|, |v[15:16]|
	v_cndmask_b32_e32 v26, v28, v26, vcc
	v_cndmask_b32_e32 v25, v27, v25, vcc
	v_ldexp_f64 v[25:26], v[25:26], v3
	v_cmp_o_f64_e32 vcc, v[1:2], v[5:6]
	v_cndmask_b32_e32 v1, 0, v25, vcc
	v_cndmask_b32_e32 v2, v64, v26, vcc
	s_or_b64 vcc, s[14:15], s[12:13]
	v_cndmask_b32_e32 v2, v2, v63, vcc
	v_cndmask_b32_e64 v1, v1, 0, vcc
	v_frexp_mant_f64_e32 v[5:6], v[1:2]
	v_cmp_gt_f64_e64 s[12:13], s[88:89], v[5:6]
	v_cndmask_b32_e64 v3, 0, 1, s[12:13]
	v_ldexp_f64 v[5:6], v[5:6], v3
	v_frexp_exp_i32_f64_e32 v3, v[1:2]
	v_add_f64 v[25:26], v[5:6], 1.0
	v_add_f64 v[51:52], v[5:6], -1.0
	v_rcp_f64_e32 v[27:28], v[25:26]
	v_add_f64 v[55:56], v[25:26], -1.0
	v_add_f64 v[5:6], v[5:6], -v[55:56]
	v_fma_f64 v[29:30], -v[25:26], v[27:28], 1.0
	v_fma_f64 v[27:28], v[29:30], v[27:28], v[27:28]
	v_max_f64 v[29:30], v[47:48], v[31:32]
	v_min_f64 v[31:32], v[47:48], v[31:32]
	v_fma_f64 v[47:48], -v[25:26], v[27:28], 1.0
	v_div_scale_f64 v[49:50], s[14:15], v[29:30], v[29:30], v[31:32]
	s_mov_b32 s14, 0xaf56de9b
	s_mov_b32 s15, 0xbf67952d
	v_fma_f64 v[27:28], v[47:48], v[27:28], v[27:28]
	v_mul_f64 v[47:48], v[51:52], v[27:28]
	v_rcp_f64_e32 v[53:54], v[49:50]
	v_mul_f64 v[57:58], v[25:26], v[47:48]
	v_fma_f64 v[25:26], v[47:48], v[25:26], -v[57:58]
	v_fma_f64 v[55:56], -v[49:50], v[53:54], 1.0
	v_fma_f64 v[5:6], v[47:48], v[5:6], v[25:26]
	v_fma_f64 v[25:26], v[53:54], v[55:56], v[53:54]
	v_div_scale_f64 v[55:56], vcc, v[31:32], v[29:30], v[31:32]
	v_add_f64 v[53:54], v[57:58], v[5:6]
	v_fma_f64 v[59:60], -v[49:50], v[25:26], 1.0
	v_add_f64 v[61:62], v[51:52], -v[53:54]
	v_add_f64 v[57:58], v[53:54], -v[57:58]
	v_fma_f64 v[25:26], v[25:26], v[59:60], v[25:26]
	v_add_f64 v[51:52], v[51:52], -v[61:62]
	v_add_f64 v[5:6], v[57:58], -v[5:6]
	v_mul_f64 v[59:60], v[55:56], v[25:26]
	v_add_f64 v[51:52], v[51:52], -v[53:54]
	v_fma_f64 v[49:50], -v[49:50], v[59:60], v[55:56]
	v_add_f64 v[5:6], v[5:6], v[51:52]
	v_div_fmas_f64 v[25:26], v[49:50], v[25:26], v[59:60]
	v_subbrev_co_u32_e64 v3, vcc, 0, v3, s[12:13]
	v_cmp_class_f64_e64 vcc, v[1:2], s61
	v_cmp_eq_f64_e64 s[12:13], 0, v[15:16]
	v_add_f64 v[5:6], v[61:62], v[5:6]
	v_mul_f64 v[5:6], v[27:28], v[5:6]
	v_div_fixup_f64 v[25:26], v[25:26], v[29:30], v[31:32]
	v_add_f64 v[27:28], v[47:48], v[5:6]
	v_mul_f64 v[29:30], v[25:26], v[25:26]
	v_mul_f64 v[31:32], v[27:28], v[27:28]
	v_fma_f64 v[49:50], v[29:30], s[54:55], v[37:38]
	v_fma_f64 v[51:52], v[31:32], s[34:35], v[35:36]
	v_mul_f64 v[53:54], v[27:28], v[31:32]
	v_fma_f64 v[49:50], v[29:30], v[49:50], s[52:53]
	v_fma_f64 v[51:52], v[31:32], v[51:52], s[36:37]
	v_fma_f64 v[49:50], v[29:30], v[49:50], s[14:15]
	s_mov_b32 s14, 0xa595c56f
	s_mov_b32 s15, 0x3f7d6d43
	v_fma_f64 v[51:52], v[31:32], v[51:52], s[38:39]
	v_fma_f64 v[49:50], v[29:30], v[49:50], s[14:15]
	s_mov_b32 s14, 0xa57d9582
	s_mov_b32 s15, 0xbf8c6ea4
	v_fma_f64 v[51:52], v[31:32], v[51:52], s[40:41]
	v_fma_f64 v[49:50], v[29:30], v[49:50], s[14:15]
	;; [unrolled: 4-line block ×3, first 2 shown]
	s_mov_b32 s14, 0xfc27006a
	s_mov_b32 s15, 0xbf9e9ae6
	v_fma_f64 v[31:32], v[31:32], v[51:52], s[30:31]
	v_ldexp_f64 v[51:52], v[27:28], 1
	v_fma_f64 v[49:50], v[29:30], v[49:50], s[14:15]
	v_add_f64 v[27:28], v[27:28], -v[47:48]
	v_cmp_class_f64_e64 s[14:15], v[15:16], s61
	v_mul_f64 v[31:32], v[53:54], v[31:32]
	v_cvt_f64_i32_e32 v[53:54], v3
	v_fma_f64 v[49:50], v[29:30], v[49:50], s[62:63]
	v_add_f64 v[5:6], v[5:6], -v[27:28]
	v_ashrrev_i32_e32 v3, 31, v14
	v_mul_f64 v[55:56], v[53:54], s[44:45]
	v_add_f64 v[47:48], v[51:52], v[31:32]
	v_fma_f64 v[49:50], v[29:30], v[49:50], s[64:65]
	v_ldexp_f64 v[5:6], v[5:6], 1
	v_add_f64 v[27:28], v[47:48], -v[51:52]
	v_fma_f64 v[51:52], v[53:54], s[44:45], -v[55:56]
	v_fma_f64 v[49:50], v[29:30], v[49:50], s[66:67]
	v_add_f64 v[27:28], v[31:32], -v[27:28]
	v_fma_f64 v[31:32], v[29:30], v[49:50], s[68:69]
	v_fma_f64 v[49:50], v[53:54], s[46:47], v[51:52]
	v_add_f64 v[5:6], v[5:6], v[27:28]
	v_fma_f64 v[27:28], v[29:30], v[31:32], s[70:71]
	v_add_f64 v[31:32], v[55:56], v[49:50]
	v_add_f64 v[51:52], v[47:48], v[5:6]
	v_fma_f64 v[27:28], v[29:30], v[27:28], s[72:73]
	v_add_f64 v[55:56], v[31:32], -v[55:56]
	v_add_f64 v[53:54], v[31:32], v[51:52]
	v_add_f64 v[47:48], v[51:52], -v[47:48]
	v_fma_f64 v[27:28], v[29:30], v[27:28], s[74:75]
	v_add_f64 v[49:50], v[49:50], -v[55:56]
	v_add_f64 v[57:58], v[53:54], -v[31:32]
	v_add_f64 v[5:6], v[5:6], -v[47:48]
	v_fma_f64 v[27:28], v[29:30], v[27:28], s[76:77]
	v_add_f64 v[59:60], v[53:54], -v[57:58]
	v_add_f64 v[47:48], v[51:52], -v[57:58]
	v_fma_f64 v[27:28], v[29:30], v[27:28], s[78:79]
	v_add_f64 v[51:52], v[49:50], v[5:6]
	v_add_f64 v[31:32], v[31:32], -v[59:60]
	v_fma_f64 v[27:28], v[29:30], v[27:28], s[80:81]
	v_add_f64 v[31:32], v[47:48], v[31:32]
	;; [unrolled: 3-line block ×3, first 2 shown]
	v_add_f64 v[51:52], v[51:52], -v[47:48]
	v_fma_f64 v[27:28], v[29:30], v[27:28], s[84:85]
	v_add_f64 v[5:6], v[5:6], -v[47:48]
	v_add_f64 v[55:56], v[53:54], v[31:32]
	v_mul_f64 v[27:28], v[29:30], v[27:28]
	v_add_f64 v[29:30], v[49:50], -v[51:52]
	v_add_f64 v[47:48], v[55:56], -v[53:54]
	v_fma_f64 v[25:26], v[25:26], v[27:28], v[25:26]
	v_add_f64 v[5:6], v[5:6], v[29:30]
	v_add_f64 v[27:28], v[31:32], -v[47:48]
	v_add_f64 v[29:30], -v[25:26], s[28:29]
	v_add_f64 v[5:6], v[5:6], v[27:28]
	v_cndmask_b32_e64 v26, v26, v30, s[10:11]
	v_cndmask_b32_e64 v25, v25, v29, s[10:11]
	v_add_f64 v[27:28], -v[25:26], s[86:87]
	v_cmp_gt_i32_e64 s[10:11], 0, v14
	v_cndmask_b32_e64 v7, v66, v67, s[10:11]
	v_cndmask_b32_e64 v13, v68, v69, s[10:11]
	v_add_f64 v[5:6], v[55:56], v[5:6]
	v_and_b32_e32 v14, 0x54442d18, v3
	v_and_b32_e32 v3, 0x400921fb, v3
	v_bfi_b32 v13, s60, v13, v16
	v_cndmask_b32_e64 v25, v25, v27, s[10:11]
	v_cndmask_b32_e64 v26, v26, v28, s[10:11]
	v_cmp_ngt_f64_e64 s[10:11], 0, v[1:2]
	v_cndmask_b32_e64 v3, v26, v3, s[12:13]
	v_cndmask_b32_e32 v6, v6, v2, vcc
	v_cndmask_b32_e32 v5, v5, v1, vcc
	v_add_f64 v[5:6], v[5:6], 1.0
	s_and_b64 vcc, s[14:15], s[16:17]
	v_cndmask_b32_e32 v28, v3, v13, vcc
	v_cndmask_b32_e64 v14, v25, v14, s[12:13]
	v_cndmask_b32_e32 v27, v14, v7, vcc
	v_cndmask_b32_e64 v3, v64, v6, s[10:11]
	v_cmp_nge_f64_e64 s[10:11], 0, v[1:2]
	v_cndmask_b32_e64 v25, 0, v5, s[10:11]
	v_cmp_neq_f64_e64 s[10:11], 0, v[1:2]
	v_cndmask_b32_e64 v26, v65, v3, s[10:11]
.LBB173_107:                            ;   in Loop: Header=BB173_4 Depth=1
	s_or_b64 exec, exec, s[4:5]
.LBB173_108:                            ;   in Loop: Header=BB173_4 Depth=1
	s_andn2_saveexec_b64 s[4:5], s[18:19]
	s_cbranch_execz .LBB173_114
; %bb.109:                              ;   in Loop: Header=BB173_4 Depth=1
	v_cmp_nlt_f64_e64 s[10:11], |v[13:14]|, s[26:27]
	v_cmp_nlt_f64_e64 s[12:13], |v[15:16]|, s[26:27]
                                        ; implicit-def: $vgpr1_vgpr2
	s_or_b64 s[10:11], s[12:13], s[10:11]
	s_and_saveexec_b64 s[12:13], s[10:11]
	s_xor_b64 s[10:11], exec, s[12:13]
	s_cbranch_execz .LBB173_111
; %bb.110:                              ;   in Loop: Header=BB173_4 Depth=1
	v_mul_f64 v[1:2], v[13:14], v[13:14]
	v_fma_f64 v[1:2], v[15:16], v[15:16], v[1:2]
.LBB173_111:                            ;   in Loop: Header=BB173_4 Depth=1
	s_andn2_saveexec_b64 s[10:11], s[10:11]
	s_cbranch_execz .LBB173_113
; %bb.112:                              ;   in Loop: Header=BB173_4 Depth=1
	v_mul_f64 v[1:2], v[13:14], 4.0
	v_mul_f64 v[5:6], v[15:16], 4.0
	v_mul_f64 v[1:2], v[1:2], v[1:2]
	v_fma_f64 v[1:2], v[5:6], v[5:6], v[1:2]
	v_ldexp_f64 v[1:2], v[1:2], -4
.LBB173_113:                            ;   in Loop: Header=BB173_4 Depth=1
	s_or_b64 exec, exec, s[10:11]
	v_frexp_mant_f64_e32 v[5:6], v[1:2]
	s_mov_b32 s31, s89
	v_cmp_gt_f64_e32 vcc, s[88:89], v[5:6]
	v_cndmask_b32_e64 v3, 0, 1, vcc
	v_ldexp_f64 v[5:6], v[5:6], v3
	v_frexp_exp_i32_f64_e32 v3, v[1:2]
	v_add_f64 v[13:14], v[5:6], 1.0
	v_add_f64 v[29:30], v[5:6], -1.0
	v_subbrev_co_u32_e32 v3, vcc, 0, v3, vcc
	v_cmp_class_f64_e64 vcc, v[1:2], s61
	v_rcp_f64_e32 v[25:26], v[13:14]
	v_add_f64 v[31:32], v[13:14], -1.0
	v_add_f64 v[5:6], v[5:6], -v[31:32]
	v_fma_f64 v[27:28], -v[13:14], v[25:26], 1.0
	v_fma_f64 v[25:26], v[27:28], v[25:26], v[25:26]
	v_fma_f64 v[27:28], -v[13:14], v[25:26], 1.0
	v_fma_f64 v[25:26], v[27:28], v[25:26], v[25:26]
	v_mul_f64 v[27:28], v[29:30], v[25:26]
	v_mul_f64 v[47:48], v[13:14], v[27:28]
	v_fma_f64 v[13:14], v[27:28], v[13:14], -v[47:48]
	v_fma_f64 v[5:6], v[27:28], v[5:6], v[13:14]
	v_add_f64 v[13:14], v[47:48], v[5:6]
	v_add_f64 v[31:32], v[29:30], -v[13:14]
	v_add_f64 v[47:48], v[13:14], -v[47:48]
	;; [unrolled: 1-line block ×5, first 2 shown]
	v_add_f64 v[5:6], v[5:6], v[13:14]
	v_add_f64 v[5:6], v[31:32], v[5:6]
	v_mul_f64 v[5:6], v[25:26], v[5:6]
	v_add_f64 v[13:14], v[27:28], v[5:6]
	v_mul_f64 v[25:26], v[13:14], v[13:14]
	v_fma_f64 v[29:30], v[25:26], s[34:35], v[35:36]
	v_mul_f64 v[31:32], v[13:14], v[25:26]
	v_fma_f64 v[29:30], v[25:26], v[29:30], s[36:37]
	v_fma_f64 v[29:30], v[25:26], v[29:30], s[38:39]
	;; [unrolled: 1-line block ×5, first 2 shown]
	v_ldexp_f64 v[29:30], v[13:14], 1
	v_add_f64 v[13:14], v[13:14], -v[27:28]
	v_mul_f64 v[25:26], v[31:32], v[25:26]
	v_cvt_f64_i32_e32 v[31:32], v3
	v_add_f64 v[5:6], v[5:6], -v[13:14]
	v_mul_f64 v[47:48], v[31:32], s[44:45]
	v_add_f64 v[27:28], v[29:30], v[25:26]
	v_ldexp_f64 v[5:6], v[5:6], 1
	v_add_f64 v[13:14], v[27:28], -v[29:30]
	v_fma_f64 v[29:30], v[31:32], s[44:45], -v[47:48]
	v_add_f64 v[13:14], v[25:26], -v[13:14]
	v_fma_f64 v[25:26], v[31:32], s[46:47], v[29:30]
	v_add_f64 v[5:6], v[5:6], v[13:14]
	v_add_f64 v[13:14], v[47:48], v[25:26]
	;; [unrolled: 1-line block ×3, first 2 shown]
	v_add_f64 v[47:48], v[13:14], -v[47:48]
	v_add_f64 v[31:32], v[13:14], v[29:30]
	v_add_f64 v[27:28], v[29:30], -v[27:28]
	v_add_f64 v[25:26], v[25:26], -v[47:48]
	v_add_f64 v[49:50], v[31:32], -v[13:14]
	v_add_f64 v[5:6], v[5:6], -v[27:28]
	v_add_f64 v[51:52], v[31:32], -v[49:50]
	v_add_f64 v[27:28], v[29:30], -v[49:50]
	v_add_f64 v[29:30], v[25:26], v[5:6]
	v_add_f64 v[13:14], v[13:14], -v[51:52]
	v_add_f64 v[13:14], v[27:28], v[13:14]
	v_add_f64 v[27:28], v[29:30], -v[25:26]
	;; [unrolled: 2-line block ×3, first 2 shown]
	v_add_f64 v[5:6], v[5:6], -v[27:28]
	v_add_f64 v[47:48], v[31:32], v[13:14]
	v_add_f64 v[25:26], v[25:26], -v[29:30]
	v_add_f64 v[27:28], v[47:48], -v[31:32]
	v_add_f64 v[5:6], v[5:6], v[25:26]
	v_add_f64 v[13:14], v[13:14], -v[27:28]
	v_mov_b32_e32 v27, 0
	v_mov_b32_e32 v28, 0x7ff80000
	v_add_f64 v[5:6], v[5:6], v[13:14]
	v_add_f64 v[5:6], v[47:48], v[5:6]
	v_cndmask_b32_e32 v3, v5, v1, vcc
	v_cndmask_b32_e32 v5, v6, v2, vcc
	v_cmp_ngt_f64_e32 vcc, 0, v[1:2]
	v_cndmask_b32_e32 v5, v64, v5, vcc
	v_cmp_nge_f64_e32 vcc, 0, v[1:2]
	v_cndmask_b32_e32 v25, 0, v3, vcc
	v_cmp_neq_f64_e32 vcc, 0, v[1:2]
	v_cndmask_b32_e32 v26, v65, v5, vcc
.LBB173_114:                            ;   in Loop: Header=BB173_4 Depth=1
	s_or_b64 exec, exec, s[4:5]
	v_cmp_o_f64_e32 vcc, v[9:10], v[11:12]
                                        ; implicit-def: $vgpr29_vgpr30
	s_and_saveexec_b64 s[4:5], vcc
	s_xor_b64 s[18:19], exec, s[4:5]
	s_cbranch_execnz .LBB173_120
; %bb.115:                              ;   in Loop: Header=BB173_4 Depth=1
	s_andn2_saveexec_b64 s[4:5], s[18:19]
	s_cbranch_execnz .LBB173_147
.LBB173_116:                            ;   in Loop: Header=BB173_4 Depth=1
	s_or_b64 exec, exec, s[4:5]
	s_and_saveexec_b64 s[4:5], s[0:1]
	s_xor_b64 s[0:1], exec, s[4:5]
	s_cbranch_execnz .LBB173_152
.LBB173_117:                            ;   in Loop: Header=BB173_4 Depth=1
	s_or_b64 exec, exec, s[0:1]
	s_and_saveexec_b64 s[0:1], s[2:3]
	s_cbranch_execnz .LBB173_153
.LBB173_118:                            ;   in Loop: Header=BB173_4 Depth=1
	s_or_b64 exec, exec, s[0:1]
	s_and_saveexec_b64 s[0:1], s[6:7]
	s_cbranch_execnz .LBB173_154
.LBB173_119:                            ;   in Loop: Header=BB173_4 Depth=1
	s_or_b64 exec, exec, s[0:1]
	s_and_saveexec_b64 s[0:1], s[8:9]
	s_cbranch_execz .LBB173_3
	s_branch .LBB173_155
.LBB173_120:                            ;   in Loop: Header=BB173_4 Depth=1
	v_cmp_lt_f64_e64 s[10:11], |v[9:10]|, |v[11:12]|
	v_and_b32_e32 v1, 0x7fffffff, v10
	v_and_b32_e32 v2, 0x7fffffff, v12
	s_mov_b32 s4, 0x85ebc8a0
	s_mov_b32 s5, 0x7fd1ccf3
	v_mov_b32_e32 v3, v11
                                        ; implicit-def: $vgpr29_vgpr30
	v_cndmask_b32_e64 v6, v2, v1, s[10:11]
	v_cndmask_b32_e64 v5, v11, v9, s[10:11]
	v_cmp_nlt_f64_e32 vcc, s[4:5], v[5:6]
	s_and_saveexec_b64 s[4:5], vcc
	s_xor_b64 s[4:5], exec, s[4:5]
	s_cbranch_execz .LBB173_144
; %bb.121:                              ;   in Loop: Header=BB173_4 Depth=1
	v_cndmask_b32_e64 v14, v1, v2, s[10:11]
	v_cndmask_b32_e64 v13, v9, v3, s[10:11]
	v_cmp_neq_f64_e32 vcc, 1.0, v[13:14]
                                        ; implicit-def: $vgpr29_vgpr30
	s_and_saveexec_b64 s[12:13], vcc
	s_xor_b64 s[24:25], exec, s[12:13]
	s_cbranch_execz .LBB173_137
; %bb.122:                              ;   in Loop: Header=BB173_4 Depth=1
	v_max_f64 v[1:2], v[5:6], v[5:6]
	v_max_f64 v[29:30], v[13:14], v[13:14]
	s_mov_b32 s12, 0x4ad4b81f
	s_mov_b32 s13, 0x358dee7a
	v_min_f64 v[31:32], v[29:30], v[1:2]
	v_max_f64 v[1:2], v[29:30], v[1:2]
	v_cmp_ngt_f64_e32 vcc, s[12:13], v[31:32]
	s_mov_b32 s12, 0xc57e649a
	s_mov_b32 s13, 0x4a511b0e
	v_cmp_nlt_f64_e64 s[12:13], s[12:13], v[1:2]
                                        ; implicit-def: $vgpr29_vgpr30
	s_and_b64 s[12:13], s[12:13], vcc
	s_and_saveexec_b64 s[14:15], s[12:13]
	s_xor_b64 s[90:91], exec, s[14:15]
	s_cbranch_execz .LBB173_134
; %bb.123:                              ;   in Loop: Header=BB173_4 Depth=1
	v_cmp_le_f64_e32 vcc, 1.0, v[13:14]
                                        ; implicit-def: $vgpr29_vgpr30
	s_and_saveexec_b64 s[12:13], vcc
	s_xor_b64 s[48:49], exec, s[12:13]
	s_cbranch_execz .LBB173_125
; %bb.124:                              ;   in Loop: Header=BB173_4 Depth=1
	v_add_f64 v[1:2], v[13:14], -1.0
	v_add_f64 v[13:14], v[13:14], 1.0
	s_mov_b32 s31, s89
	s_mov_b32 s86, s28
	;; [unrolled: 1-line block ×4, first 2 shown]
	v_cmp_class_f64_e64 s[50:51], v[11:12], s61
	v_mul_f64 v[1:2], v[1:2], v[13:14]
	v_fma_f64 v[1:2], v[5:6], v[5:6], v[1:2]
	v_add_f64 v[5:6], v[1:2], 1.0
	v_cmp_nge_f64_e64 s[14:15], -1.0, v[1:2]
	v_cmp_neq_f64_e64 s[16:17], s[16:17], v[1:2]
	v_frexp_mant_f64_e32 v[29:30], v[5:6]
	v_frexp_exp_i32_f64_e32 v3, v[5:6]
	v_add_f64 v[13:14], v[5:6], -1.0
	v_cmp_gt_f64_e32 vcc, s[88:89], v[29:30]
	v_add_f64 v[31:32], v[13:14], -v[5:6]
	v_add_f64 v[13:14], v[1:2], -v[13:14]
	v_subbrev_co_u32_e32 v3, vcc, 0, v3, vcc
	v_sub_u32_e32 v7, 0, v3
	v_ldexp_f64 v[5:6], v[5:6], v7
	v_add_f64 v[29:30], v[31:32], 1.0
	v_add_f64 v[31:32], v[5:6], 1.0
	v_add_f64 v[13:14], v[13:14], v[29:30]
	v_add_f64 v[51:52], v[5:6], -1.0
	v_add_f64 v[29:30], v[31:32], -1.0
	v_ldexp_f64 v[13:14], v[13:14], v7
	v_add_f64 v[53:54], v[51:52], 1.0
	v_add_f64 v[29:30], v[5:6], -v[29:30]
	v_add_f64 v[5:6], v[5:6], -v[53:54]
	v_add_f64 v[29:30], v[13:14], v[29:30]
	v_add_f64 v[5:6], v[13:14], v[5:6]
	;; [unrolled: 1-line block ×4, first 2 shown]
	v_rcp_f64_e32 v[49:50], v[47:48]
	v_add_f64 v[31:32], v[47:48], -v[31:32]
	v_add_f64 v[51:52], v[53:54], -v[51:52]
	;; [unrolled: 1-line block ×4, first 2 shown]
	v_fma_f64 v[55:56], -v[47:48], v[49:50], 1.0
	v_fma_f64 v[49:50], v[55:56], v[49:50], v[49:50]
	v_fma_f64 v[13:14], -v[47:48], v[49:50], 1.0
	v_fma_f64 v[13:14], v[13:14], v[49:50], v[49:50]
	v_mul_f64 v[49:50], v[53:54], v[13:14]
	v_mul_f64 v[55:56], v[47:48], v[49:50]
	v_fma_f64 v[31:32], v[49:50], v[47:48], -v[55:56]
	v_fma_f64 v[31:32], v[49:50], v[29:30], v[31:32]
	v_add_f64 v[57:58], v[55:56], v[31:32]
	v_add_f64 v[59:60], v[53:54], -v[57:58]
	v_add_f64 v[51:52], v[57:58], -v[55:56]
	;; [unrolled: 1-line block ×4, first 2 shown]
	v_max_f64 v[51:52], |v[9:10]|, |v[9:10]|
	v_add_f64 v[53:54], v[53:54], -v[57:58]
	v_add_f64 v[5:6], v[5:6], v[53:54]
	v_add_f64 v[5:6], v[31:32], v[5:6]
	v_max_f64 v[31:32], |v[11:12]|, |v[11:12]|
	v_add_f64 v[53:54], v[59:60], v[5:6]
	v_max_f64 v[55:56], v[51:52], v[31:32]
	v_min_f64 v[31:32], v[51:52], v[31:32]
	v_mul_f64 v[51:52], v[13:14], v[53:54]
	v_add_f64 v[59:60], v[59:60], -v[53:54]
	v_div_scale_f64 v[57:58], s[12:13], v[55:56], v[55:56], v[31:32]
	s_mov_b32 s12, 0xaf56de9b
	s_mov_b32 s13, 0xbf67952d
	v_mul_f64 v[61:62], v[47:48], v[51:52]
	v_add_f64 v[5:6], v[5:6], v[59:60]
	v_fma_f64 v[47:48], v[51:52], v[47:48], -v[61:62]
	v_rcp_f64_e32 v[70:71], v[57:58]
	v_fma_f64 v[29:30], v[51:52], v[29:30], v[47:48]
	v_add_f64 v[47:48], v[61:62], v[29:30]
	v_fma_f64 v[72:73], -v[57:58], v[70:71], 1.0
	v_add_f64 v[74:75], v[53:54], -v[47:48]
	v_add_f64 v[59:60], v[47:48], -v[61:62]
	v_fma_f64 v[70:71], v[70:71], v[72:73], v[70:71]
	v_div_scale_f64 v[72:73], vcc, v[31:32], v[55:56], v[31:32]
	v_add_f64 v[53:54], v[53:54], -v[74:75]
	v_add_f64 v[29:30], v[59:60], -v[29:30]
	v_fma_f64 v[76:77], -v[57:58], v[70:71], 1.0
	v_add_f64 v[59:60], v[49:50], v[51:52]
	v_add_f64 v[47:48], v[53:54], -v[47:48]
	v_fma_f64 v[53:54], v[70:71], v[76:77], v[70:71]
	v_add_f64 v[49:50], v[59:60], -v[49:50]
	v_add_f64 v[5:6], v[5:6], v[47:48]
	v_mul_f64 v[47:48], v[72:73], v[53:54]
	v_add_f64 v[5:6], v[29:30], v[5:6]
	v_fma_f64 v[29:30], -v[57:58], v[47:48], v[72:73]
	v_add_f64 v[5:6], v[74:75], v[5:6]
	v_div_fmas_f64 v[29:30], v[29:30], v[53:54], v[47:48]
	v_add_f64 v[47:48], v[51:52], -v[49:50]
	v_cmp_gt_i32_e32 vcc, 0, v10
	v_cndmask_b32_e32 v7, v66, v67, vcc
	v_mul_f64 v[5:6], v[13:14], v[5:6]
	v_add_f64 v[5:6], v[47:48], v[5:6]
	v_div_fixup_f64 v[13:14], v[29:30], v[55:56], v[31:32]
	v_cvt_f64_i32_e32 v[55:56], v3
	v_ashrrev_i32_e32 v3, 31, v10
	v_mul_f64 v[57:58], v[55:56], s[44:45]
	v_add_f64 v[29:30], v[59:60], v[5:6]
	v_mul_f64 v[31:32], v[13:14], v[13:14]
	v_mul_f64 v[47:48], v[29:30], v[29:30]
	v_fma_f64 v[49:50], v[31:32], s[54:55], v[37:38]
	v_fma_f64 v[51:52], v[47:48], s[34:35], v[35:36]
	v_mul_f64 v[53:54], v[29:30], v[47:48]
	v_fma_f64 v[49:50], v[31:32], v[49:50], s[52:53]
	v_cmp_class_f64_e64 s[52:53], v[9:10], s61
	v_and_b32_e32 v10, 0x54442d18, v3
	v_and_b32_e32 v3, 0x400921fb, v3
	v_cndmask_b32_e32 v9, v68, v69, vcc
	v_bfi_b32 v9, s60, v9, v12
	v_fma_f64 v[51:52], v[47:48], v[51:52], s[36:37]
	v_fma_f64 v[49:50], v[31:32], v[49:50], s[12:13]
	s_mov_b32 s12, 0xa595c56f
	s_mov_b32 s13, 0x3f7d6d43
	v_fma_f64 v[51:52], v[47:48], v[51:52], s[38:39]
	v_fma_f64 v[49:50], v[31:32], v[49:50], s[12:13]
	s_mov_b32 s12, 0xa57d9582
	s_mov_b32 s13, 0xbf8c6ea4
	;; [unrolled: 4-line block ×4, first 2 shown]
	v_fma_f64 v[47:48], v[47:48], v[51:52], s[30:31]
	v_ldexp_f64 v[51:52], v[29:30], 1
	v_fma_f64 v[49:50], v[31:32], v[49:50], s[12:13]
	v_add_f64 v[29:30], v[29:30], -v[59:60]
	v_cmp_eq_f64_e64 s[12:13], 0, v[11:12]
	v_mul_f64 v[47:48], v[53:54], v[47:48]
	v_fma_f64 v[49:50], v[31:32], v[49:50], s[62:63]
	v_add_f64 v[5:6], v[5:6], -v[29:30]
	v_add_f64 v[53:54], v[51:52], v[47:48]
	v_fma_f64 v[49:50], v[31:32], v[49:50], s[64:65]
	v_ldexp_f64 v[5:6], v[5:6], 1
	v_add_f64 v[29:30], v[53:54], -v[51:52]
	v_fma_f64 v[51:52], v[55:56], s[44:45], -v[57:58]
	v_fma_f64 v[49:50], v[31:32], v[49:50], s[66:67]
	v_add_f64 v[29:30], v[47:48], -v[29:30]
	v_fma_f64 v[47:48], v[31:32], v[49:50], s[68:69]
	v_fma_f64 v[49:50], v[55:56], s[46:47], v[51:52]
	v_add_f64 v[5:6], v[5:6], v[29:30]
	v_fma_f64 v[29:30], v[31:32], v[47:48], s[70:71]
	v_add_f64 v[47:48], v[57:58], v[49:50]
	v_add_f64 v[51:52], v[53:54], v[5:6]
	v_fma_f64 v[29:30], v[31:32], v[29:30], s[72:73]
	v_add_f64 v[57:58], v[47:48], -v[57:58]
	v_add_f64 v[55:56], v[47:48], v[51:52]
	v_add_f64 v[53:54], v[51:52], -v[53:54]
	v_fma_f64 v[29:30], v[31:32], v[29:30], s[74:75]
	v_add_f64 v[49:50], v[49:50], -v[57:58]
	v_add_f64 v[59:60], v[55:56], -v[47:48]
	;; [unrolled: 1-line block ×3, first 2 shown]
	v_fma_f64 v[29:30], v[31:32], v[29:30], s[76:77]
	v_add_f64 v[61:62], v[55:56], -v[59:60]
	v_add_f64 v[51:52], v[51:52], -v[59:60]
	v_fma_f64 v[29:30], v[31:32], v[29:30], s[78:79]
	v_add_f64 v[53:54], v[49:50], v[5:6]
	v_add_f64 v[47:48], v[47:48], -v[61:62]
	v_fma_f64 v[29:30], v[31:32], v[29:30], s[80:81]
	v_add_f64 v[47:48], v[51:52], v[47:48]
	;; [unrolled: 3-line block ×3, first 2 shown]
	v_add_f64 v[53:54], v[53:54], -v[51:52]
	v_fma_f64 v[29:30], v[31:32], v[29:30], s[84:85]
	v_add_f64 v[5:6], v[5:6], -v[51:52]
	v_add_f64 v[57:58], v[55:56], v[47:48]
	v_mul_f64 v[29:30], v[31:32], v[29:30]
	v_add_f64 v[31:32], v[49:50], -v[53:54]
	v_add_f64 v[49:50], v[57:58], -v[55:56]
	v_fma_f64 v[13:14], v[13:14], v[29:30], v[13:14]
	v_add_f64 v[5:6], v[5:6], v[31:32]
	v_add_f64 v[29:30], v[47:48], -v[49:50]
	v_add_f64 v[31:32], -v[13:14], s[28:29]
	v_add_f64 v[5:6], v[5:6], v[29:30]
	v_cndmask_b32_e64 v14, v14, v32, s[10:11]
	v_cndmask_b32_e64 v13, v13, v31, s[10:11]
	v_add_f64 v[29:30], -v[13:14], s[86:87]
	v_add_f64 v[5:6], v[57:58], v[5:6]
	v_cndmask_b32_e32 v13, v13, v29, vcc
	v_cndmask_b32_e32 v14, v14, v30, vcc
	v_cndmask_b32_e64 v10, v13, v10, s[12:13]
	v_cndmask_b32_e64 v3, v14, v3, s[12:13]
	v_mul_f64 v[5:6], v[5:6], 0.5
	s_and_b64 s[12:13], s[14:15], s[16:17]
	s_and_b64 vcc, s[50:51], s[52:53]
	v_cndmask_b32_e32 v32, v3, v9, vcc
	s_mov_b32 s52, 0x69efb384
	s_mov_b32 s53, 0x3f4b2bb0
	v_cndmask_b32_e32 v31, v10, v7, vcc
                                        ; implicit-def: $vgpr13_vgpr14
	v_cndmask_b32_e64 v29, 0, v5, s[12:13]
	v_cmp_ngt_f64_e64 s[12:13], -1.0, v[1:2]
	v_cndmask_b32_e64 v3, v63, v6, s[16:17]
                                        ; implicit-def: $vgpr5_vgpr6
	v_cndmask_b32_e64 v3, v64, v3, s[12:13]
	v_cmp_neq_f64_e64 s[12:13], -1.0, v[1:2]
	v_cndmask_b32_e64 v30, v65, v3, s[12:13]
.LBB173_125:                            ;   in Loop: Header=BB173_4 Depth=1
	s_andn2_saveexec_b64 s[48:49], s[48:49]
	s_cbranch_execz .LBB173_133
; %bb.126:                              ;   in Loop: Header=BB173_4 Depth=1
	v_mul_f64 v[1:2], v[5:6], v[5:6]
	s_mov_b32 s12, 0x66666666
	s_mov_b32 s13, 0x3fe66666
                                        ; implicit-def: $vgpr29_vgpr30
	v_fma_f64 v[1:2], v[13:14], v[13:14], v[1:2]
	v_cmp_ge_f64_e32 vcc, s[12:13], v[1:2]
	s_and_saveexec_b64 s[12:13], vcc
	s_xor_b64 s[16:17], exec, s[12:13]
	s_cbranch_execz .LBB173_128
; %bb.127:                              ;   in Loop: Header=BB173_4 Depth=1
	v_frexp_mant_f64_e32 v[5:6], v[1:2]
	v_max_f64 v[47:48], |v[11:12]|, |v[11:12]|
	v_max_f64 v[49:50], |v[9:10]|, |v[9:10]|
	s_mov_b32 s31, s89
	s_mov_b32 s86, s28
	v_cmp_class_f64_e64 s[50:51], v[11:12], s61
	v_cmp_gt_f64_e64 s[12:13], s[88:89], v[5:6]
	v_cndmask_b32_e64 v3, 0, 1, s[12:13]
	v_ldexp_f64 v[5:6], v[5:6], v3
	v_frexp_exp_i32_f64_e32 v3, v[1:2]
	v_add_f64 v[13:14], v[5:6], 1.0
	v_add_f64 v[53:54], v[5:6], -1.0
	v_rcp_f64_e32 v[29:30], v[13:14]
	v_add_f64 v[57:58], v[13:14], -1.0
	v_add_f64 v[5:6], v[5:6], -v[57:58]
	v_fma_f64 v[31:32], -v[13:14], v[29:30], 1.0
	v_fma_f64 v[29:30], v[31:32], v[29:30], v[29:30]
	v_max_f64 v[31:32], v[49:50], v[47:48]
	v_min_f64 v[47:48], v[49:50], v[47:48]
	v_fma_f64 v[49:50], -v[13:14], v[29:30], 1.0
	v_div_scale_f64 v[51:52], s[14:15], v[31:32], v[31:32], v[47:48]
	s_mov_b32 s14, 0xaf56de9b
	s_mov_b32 s15, 0xbf67952d
	v_fma_f64 v[29:30], v[49:50], v[29:30], v[29:30]
	v_mul_f64 v[49:50], v[53:54], v[29:30]
	v_rcp_f64_e32 v[55:56], v[51:52]
	v_mul_f64 v[59:60], v[13:14], v[49:50]
	v_fma_f64 v[13:14], v[49:50], v[13:14], -v[59:60]
	v_fma_f64 v[57:58], -v[51:52], v[55:56], 1.0
	v_fma_f64 v[5:6], v[49:50], v[5:6], v[13:14]
	v_fma_f64 v[13:14], v[55:56], v[57:58], v[55:56]
	v_div_scale_f64 v[57:58], vcc, v[47:48], v[31:32], v[47:48]
	v_add_f64 v[55:56], v[59:60], v[5:6]
	v_fma_f64 v[61:62], -v[51:52], v[13:14], 1.0
	v_add_f64 v[70:71], v[53:54], -v[55:56]
	v_add_f64 v[59:60], v[55:56], -v[59:60]
	v_fma_f64 v[13:14], v[13:14], v[61:62], v[13:14]
	v_add_f64 v[53:54], v[53:54], -v[70:71]
	v_add_f64 v[5:6], v[59:60], -v[5:6]
	v_mul_f64 v[61:62], v[57:58], v[13:14]
	v_add_f64 v[53:54], v[53:54], -v[55:56]
	v_fma_f64 v[51:52], -v[51:52], v[61:62], v[57:58]
	v_add_f64 v[5:6], v[5:6], v[53:54]
	v_div_fmas_f64 v[13:14], v[51:52], v[13:14], v[61:62]
	v_subbrev_co_u32_e64 v3, vcc, 0, v3, s[12:13]
	v_cmp_eq_f64_e64 s[12:13], 0, v[11:12]
	v_cmp_gt_i32_e32 vcc, 0, v10
	v_cndmask_b32_e32 v7, v66, v67, vcc
	v_add_f64 v[5:6], v[70:71], v[5:6]
	v_mul_f64 v[5:6], v[29:30], v[5:6]
	v_div_fixup_f64 v[13:14], v[13:14], v[31:32], v[47:48]
	v_add_f64 v[29:30], v[49:50], v[5:6]
	v_mul_f64 v[31:32], v[13:14], v[13:14]
	v_mul_f64 v[47:48], v[29:30], v[29:30]
	v_fma_f64 v[51:52], v[31:32], s[54:55], v[37:38]
	v_fma_f64 v[53:54], v[47:48], s[34:35], v[35:36]
	v_mul_f64 v[55:56], v[29:30], v[47:48]
	v_fma_f64 v[51:52], v[31:32], v[51:52], s[52:53]
	v_cmp_class_f64_e64 s[52:53], v[9:10], s61
	v_fma_f64 v[53:54], v[47:48], v[53:54], s[36:37]
	v_fma_f64 v[51:52], v[31:32], v[51:52], s[14:15]
	s_mov_b32 s14, 0xa595c56f
	s_mov_b32 s15, 0x3f7d6d43
	v_fma_f64 v[53:54], v[47:48], v[53:54], s[38:39]
	v_fma_f64 v[51:52], v[31:32], v[51:52], s[14:15]
	s_mov_b32 s14, 0xa57d9582
	s_mov_b32 s15, 0xbf8c6ea4
	;; [unrolled: 4-line block ×4, first 2 shown]
	v_fma_f64 v[47:48], v[47:48], v[53:54], s[30:31]
	v_ldexp_f64 v[53:54], v[29:30], 1
	v_fma_f64 v[51:52], v[31:32], v[51:52], s[14:15]
	v_add_f64 v[29:30], v[29:30], -v[49:50]
	v_cmp_neq_f64_e64 s[14:15], 0, v[1:2]
	v_mul_f64 v[47:48], v[55:56], v[47:48]
	v_cvt_f64_i32_e32 v[55:56], v3
	v_fma_f64 v[51:52], v[31:32], v[51:52], s[62:63]
	v_add_f64 v[5:6], v[5:6], -v[29:30]
	v_ashrrev_i32_e32 v3, 31, v10
	v_mul_f64 v[57:58], v[55:56], s[44:45]
	v_and_b32_e32 v9, 0x54442d18, v3
	v_and_b32_e32 v3, 0x400921fb, v3
	v_add_f64 v[49:50], v[53:54], v[47:48]
	v_fma_f64 v[51:52], v[31:32], v[51:52], s[64:65]
	v_ldexp_f64 v[5:6], v[5:6], 1
	v_add_f64 v[29:30], v[49:50], -v[53:54]
	v_fma_f64 v[53:54], v[55:56], s[44:45], -v[57:58]
	v_fma_f64 v[51:52], v[31:32], v[51:52], s[66:67]
	v_add_f64 v[29:30], v[47:48], -v[29:30]
	v_fma_f64 v[47:48], v[31:32], v[51:52], s[68:69]
	v_fma_f64 v[51:52], v[55:56], s[46:47], v[53:54]
	v_add_f64 v[5:6], v[5:6], v[29:30]
	v_fma_f64 v[29:30], v[31:32], v[47:48], s[70:71]
	v_add_f64 v[47:48], v[57:58], v[51:52]
	v_add_f64 v[53:54], v[49:50], v[5:6]
	v_fma_f64 v[29:30], v[31:32], v[29:30], s[72:73]
	v_add_f64 v[57:58], v[47:48], -v[57:58]
	v_add_f64 v[55:56], v[47:48], v[53:54]
	v_add_f64 v[49:50], v[53:54], -v[49:50]
	v_fma_f64 v[29:30], v[31:32], v[29:30], s[74:75]
	v_add_f64 v[51:52], v[51:52], -v[57:58]
	v_add_f64 v[59:60], v[55:56], -v[47:48]
	;; [unrolled: 1-line block ×3, first 2 shown]
	v_fma_f64 v[29:30], v[31:32], v[29:30], s[76:77]
	v_add_f64 v[61:62], v[55:56], -v[59:60]
	v_add_f64 v[49:50], v[53:54], -v[59:60]
	v_fma_f64 v[29:30], v[31:32], v[29:30], s[78:79]
	v_add_f64 v[53:54], v[51:52], v[5:6]
	v_add_f64 v[47:48], v[47:48], -v[61:62]
	v_fma_f64 v[29:30], v[31:32], v[29:30], s[80:81]
	v_add_f64 v[47:48], v[49:50], v[47:48]
	;; [unrolled: 3-line block ×3, first 2 shown]
	v_add_f64 v[53:54], v[53:54], -v[49:50]
	v_fma_f64 v[29:30], v[31:32], v[29:30], s[84:85]
	v_add_f64 v[5:6], v[5:6], -v[49:50]
	v_add_f64 v[57:58], v[55:56], v[47:48]
	v_mul_f64 v[29:30], v[31:32], v[29:30]
	v_add_f64 v[31:32], v[51:52], -v[53:54]
	v_add_f64 v[49:50], v[57:58], -v[55:56]
	v_fma_f64 v[13:14], v[13:14], v[29:30], v[13:14]
	v_add_f64 v[5:6], v[5:6], v[31:32]
	v_add_f64 v[29:30], v[47:48], -v[49:50]
	v_add_f64 v[31:32], -v[13:14], s[28:29]
	v_add_f64 v[5:6], v[5:6], v[29:30]
	v_cndmask_b32_e64 v14, v14, v32, s[10:11]
	v_cndmask_b32_e64 v13, v13, v31, s[10:11]
	v_add_f64 v[29:30], -v[13:14], s[86:87]
	v_add_f64 v[5:6], v[57:58], v[5:6]
	v_cndmask_b32_e32 v10, v13, v29, vcc
	v_cndmask_b32_e32 v13, v68, v69, vcc
	;; [unrolled: 1-line block ×3, first 2 shown]
	v_bfi_b32 v1, s60, v13, v12
	v_mul_f64 v[5:6], v[5:6], 0.5
	v_cndmask_b32_e64 v9, v10, v9, s[12:13]
	v_cndmask_b32_e64 v2, v2, v3, s[12:13]
	s_and_b64 vcc, s[50:51], s[52:53]
	s_mov_b32 s52, 0x69efb384
	s_mov_b32 s53, 0x3f4b2bb0
	v_cndmask_b32_e32 v32, v2, v1, vcc
	v_cndmask_b32_e32 v31, v9, v7, vcc
	v_cndmask_b32_e64 v30, v65, v6, s[14:15]
	v_cndmask_b32_e64 v29, 0, v5, s[14:15]
                                        ; implicit-def: $vgpr13_vgpr14
                                        ; implicit-def: $vgpr5_vgpr6
.LBB173_128:                            ;   in Loop: Header=BB173_4 Depth=1
	s_andn2_saveexec_b64 s[50:51], s[16:17]
	s_cbranch_execz .LBB173_132
; %bb.129:                              ;   in Loop: Header=BB173_4 Depth=1
	v_and_b32_e32 v34, 0x7ffffff8, v14
	v_add_f64 v[1:2], v[13:14], -v[33:34]
	v_and_b32_e32 v14, 0x7ffffff8, v6
	v_mov_b32_e32 v13, v33
	v_add_f64 v[5:6], v[5:6], -v[13:14]
	v_mov_b32_e32 v31, v33
	v_mov_b32_e32 v53, v33
	v_add_f64 v[49:50], v[33:34], v[33:34]
	v_add_f64 v[51:52], v[13:14], v[13:14]
	v_and_b32_e32 v32, -8, v2
	v_add_f64 v[59:60], v[1:2], -v[31:32]
	v_add_f64 v[70:71], v[31:32], v[31:32]
	v_and_b32_e32 v54, -8, v6
	v_add_f64 v[61:62], v[5:6], -v[53:54]
	v_add_f64 v[72:73], v[53:54], v[53:54]
	v_mul_f64 v[1:2], v[33:34], v[33:34]
	v_mul_f64 v[5:6], v[13:14], v[13:14]
	;; [unrolled: 1-line block ×12, first 2 shown]
	s_mov_b64 s[52:53], 0
.LBB173_130:                            ;   Parent Loop BB173_4 Depth=1
                                        ; =>  This Inner Loop Header: Depth=2
	v_cmp_nlt_f64_e32 vcc, v[1:2], v[5:6]
	v_cndmask_b32_e32 v62, v2, v6, vcc
	v_cndmask_b32_e32 v61, v1, v5, vcc
	v_cmp_nlt_f64_e64 s[12:13], v[61:62], v[29:30]
	v_cndmask_b32_e32 v2, v6, v2, vcc
	v_cndmask_b32_e32 v1, v5, v1, vcc
	v_cndmask_b32_e64 v71, v62, v30, s[12:13]
	v_cndmask_b32_e64 v70, v61, v29, s[12:13]
	v_cmp_nlt_f64_e64 s[14:15], v[70:71], v[13:14]
	v_cndmask_b32_e64 v6, v30, v62, s[12:13]
	v_cndmask_b32_e64 v5, v29, v61, s[12:13]
	s_and_b64 s[54:55], vcc, s[12:13]
	v_cndmask_b32_e64 v73, v71, v14, s[14:15]
	v_cndmask_b32_e64 v72, v70, v13, s[14:15]
	v_cmp_nlt_f64_e64 s[16:17], v[72:73], v[47:48]
	v_cndmask_b32_e64 v30, v14, v71, s[14:15]
	v_cndmask_b32_e64 v29, v13, v70, s[14:15]
	;; [unrolled: 1-line block ×4, first 2 shown]
	v_cmp_nlt_f64_e32 vcc, v[61:62], v[53:54]
	v_cndmask_b32_e64 v14, v48, v73, s[16:17]
	v_cndmask_b32_e64 v13, v47, v72, s[16:17]
	s_and_b64 s[16:17], s[14:15], s[16:17]
	v_cndmask_b32_e32 v71, v62, v54, vcc
	v_cndmask_b32_e32 v70, v61, v53, vcc
	v_cmp_nlt_f64_e64 s[12:13], v[70:71], v[57:58]
	v_cndmask_b32_e32 v48, v54, v62, vcc
	v_cndmask_b32_e32 v47, v53, v61, vcc
	v_cndmask_b32_e64 v62, v71, v58, s[12:13]
	v_cndmask_b32_e64 v61, v70, v57, s[12:13]
	v_cmp_nlt_f64_e64 s[14:15], v[61:62], v[55:56]
	v_cndmask_b32_e64 v54, v58, v71, s[12:13]
	v_cndmask_b32_e64 v53, v57, v70, s[12:13]
	s_and_b64 s[12:13], vcc, s[12:13]
	v_cndmask_b32_e64 v71, v62, v56, s[14:15]
	v_cndmask_b32_e64 v70, v61, v55, s[14:15]
	v_cmp_nlt_f64_e32 vcc, v[70:71], v[51:52]
	v_cndmask_b32_e64 v58, v56, v62, s[14:15]
	v_cndmask_b32_e64 v57, v55, v61, s[14:15]
	s_and_b64 s[14:15], s[12:13], s[14:15]
	v_cndmask_b32_e32 v62, v71, v52, vcc
	v_cndmask_b32_e32 v61, v70, v51, vcc
	v_cmp_nlt_f64_e64 s[12:13], v[61:62], v[49:50]
	v_cndmask_b32_e32 v56, v52, v71, vcc
	v_cndmask_b32_e32 v55, v51, v70, vcc
	s_and_b64 s[14:15], s[14:15], vcc
	v_cndmask_b32_e64 v71, v62, v50, s[12:13]
	v_cndmask_b32_e64 v70, v61, v49, s[12:13]
	v_cmp_nlt_f64_e32 vcc, v[70:71], v[31:32]
	v_cndmask_b32_e64 v52, v50, v62, s[12:13]
	v_cndmask_b32_e64 v51, v49, v61, s[12:13]
	s_and_b64 s[14:15], s[14:15], s[12:13]
	v_cndmask_b32_e32 v73, v71, v32, vcc
	v_cndmask_b32_e32 v72, v70, v31, vcc
	v_cmp_nlt_f64_e64 s[12:13], v[72:73], v[59:60]
	s_and_b64 s[14:15], s[14:15], vcc
	v_cndmask_b32_e32 v50, v32, v71, vcc
	v_cndmask_b32_e32 v49, v31, v70, vcc
	v_cndmask_b32_e64 v62, v73, v60, s[12:13]
	v_cndmask_b32_e64 v61, v72, v59, s[12:13]
	v_cndmask_b32_e64 v32, v60, v73, s[12:13]
	v_cndmask_b32_e64 v31, v59, v72, s[12:13]
	s_and_b64 s[12:13], s[14:15], s[12:13]
	s_and_b64 s[12:13], s[12:13], s[16:17]
	;; [unrolled: 1-line block ×3, first 2 shown]
	s_and_b64 s[12:13], exec, s[12:13]
	v_mov_b32_e32 v59, v61
	s_or_b64 s[52:53], s[12:13], s[52:53]
	v_mov_b32_e32 v60, v62
	s_andn2_b64 exec, exec, s[52:53]
	s_cbranch_execnz .LBB173_130
; %bb.131:                              ;   in Loop: Header=BB173_4 Depth=1
	s_or_b64 exec, exec, s[52:53]
	v_add_f64 v[1:2], v[1:2], -1.0
	s_mov_b32 s31, s89
	s_mov_b32 s86, s28
	s_mov_b32 s16, 0
	s_mov_b32 s17, 0x7ff00000
	v_cmp_class_f64_e64 s[52:53], v[11:12], s61
	v_cmp_class_f64_e64 s[54:55], v[9:10], s61
	v_add_f64 v[1:2], v[1:2], v[5:6]
	v_add_f64 v[1:2], v[1:2], v[29:30]
	;; [unrolled: 1-line block ×11, first 2 shown]
	v_add_f64 v[5:6], v[1:2], 1.0
	v_cmp_nge_f64_e64 s[14:15], -1.0, v[1:2]
	v_cmp_neq_f64_e64 s[16:17], s[16:17], v[1:2]
	v_frexp_mant_f64_e32 v[29:30], v[5:6]
	v_frexp_exp_i32_f64_e32 v3, v[5:6]
	v_add_f64 v[13:14], v[5:6], -1.0
	v_cmp_gt_f64_e32 vcc, s[88:89], v[29:30]
	v_add_f64 v[31:32], v[13:14], -v[5:6]
	v_add_f64 v[13:14], v[1:2], -v[13:14]
	v_subbrev_co_u32_e32 v3, vcc, 0, v3, vcc
	v_sub_u32_e32 v7, 0, v3
	v_ldexp_f64 v[5:6], v[5:6], v7
	v_add_f64 v[29:30], v[31:32], 1.0
	v_add_f64 v[31:32], v[5:6], 1.0
	v_add_f64 v[13:14], v[13:14], v[29:30]
	v_add_f64 v[51:52], v[5:6], -1.0
	v_add_f64 v[29:30], v[31:32], -1.0
	v_ldexp_f64 v[13:14], v[13:14], v7
	v_add_f64 v[53:54], v[51:52], 1.0
	v_add_f64 v[29:30], v[5:6], -v[29:30]
	v_add_f64 v[5:6], v[5:6], -v[53:54]
	v_add_f64 v[29:30], v[13:14], v[29:30]
	v_add_f64 v[5:6], v[13:14], v[5:6]
	;; [unrolled: 1-line block ×4, first 2 shown]
	v_rcp_f64_e32 v[49:50], v[47:48]
	v_add_f64 v[31:32], v[47:48], -v[31:32]
	v_add_f64 v[51:52], v[53:54], -v[51:52]
	;; [unrolled: 1-line block ×4, first 2 shown]
	v_fma_f64 v[55:56], -v[47:48], v[49:50], 1.0
	v_fma_f64 v[49:50], v[55:56], v[49:50], v[49:50]
	v_fma_f64 v[13:14], -v[47:48], v[49:50], 1.0
	v_fma_f64 v[13:14], v[13:14], v[49:50], v[49:50]
	v_mul_f64 v[49:50], v[53:54], v[13:14]
	v_mul_f64 v[55:56], v[47:48], v[49:50]
	v_fma_f64 v[31:32], v[49:50], v[47:48], -v[55:56]
	v_fma_f64 v[31:32], v[49:50], v[29:30], v[31:32]
	v_add_f64 v[57:58], v[55:56], v[31:32]
	v_add_f64 v[59:60], v[53:54], -v[57:58]
	v_add_f64 v[51:52], v[57:58], -v[55:56]
	;; [unrolled: 1-line block ×4, first 2 shown]
	v_max_f64 v[51:52], |v[9:10]|, |v[9:10]|
	v_add_f64 v[53:54], v[53:54], -v[57:58]
	v_add_f64 v[5:6], v[5:6], v[53:54]
	v_add_f64 v[5:6], v[31:32], v[5:6]
	v_max_f64 v[31:32], |v[11:12]|, |v[11:12]|
	v_add_f64 v[53:54], v[59:60], v[5:6]
	v_max_f64 v[55:56], v[51:52], v[31:32]
	v_min_f64 v[31:32], v[51:52], v[31:32]
	v_mul_f64 v[51:52], v[13:14], v[53:54]
	v_add_f64 v[59:60], v[59:60], -v[53:54]
	v_div_scale_f64 v[57:58], s[12:13], v[55:56], v[55:56], v[31:32]
	s_mov_b32 s12, 0xb5e68a13
	s_mov_b32 s13, 0x3eeba404
	v_mul_f64 v[61:62], v[47:48], v[51:52]
	v_add_f64 v[5:6], v[5:6], v[59:60]
	v_fma_f64 v[47:48], v[51:52], v[47:48], -v[61:62]
	v_rcp_f64_e32 v[70:71], v[57:58]
	v_fma_f64 v[29:30], v[51:52], v[29:30], v[47:48]
	v_add_f64 v[47:48], v[61:62], v[29:30]
	v_fma_f64 v[72:73], -v[57:58], v[70:71], 1.0
	v_add_f64 v[74:75], v[53:54], -v[47:48]
	v_add_f64 v[59:60], v[47:48], -v[61:62]
	v_fma_f64 v[70:71], v[70:71], v[72:73], v[70:71]
	v_div_scale_f64 v[72:73], vcc, v[31:32], v[55:56], v[31:32]
	v_add_f64 v[53:54], v[53:54], -v[74:75]
	v_add_f64 v[29:30], v[59:60], -v[29:30]
	v_fma_f64 v[76:77], -v[57:58], v[70:71], 1.0
	v_add_f64 v[59:60], v[49:50], v[51:52]
	v_add_f64 v[47:48], v[53:54], -v[47:48]
	v_fma_f64 v[53:54], v[70:71], v[76:77], v[70:71]
	v_add_f64 v[49:50], v[59:60], -v[49:50]
	v_add_f64 v[5:6], v[5:6], v[47:48]
	v_mul_f64 v[47:48], v[72:73], v[53:54]
	v_add_f64 v[5:6], v[29:30], v[5:6]
	v_fma_f64 v[29:30], -v[57:58], v[47:48], v[72:73]
	v_add_f64 v[5:6], v[74:75], v[5:6]
	v_div_fmas_f64 v[29:30], v[29:30], v[53:54], v[47:48]
	v_add_f64 v[47:48], v[51:52], -v[49:50]
	v_cmp_gt_i32_e32 vcc, 0, v10
	v_cndmask_b32_e32 v9, v68, v69, vcc
	v_cndmask_b32_e32 v7, v66, v67, vcc
	v_bfi_b32 v9, s60, v9, v12
	v_mul_f64 v[5:6], v[13:14], v[5:6]
	v_add_f64 v[5:6], v[47:48], v[5:6]
	v_div_fixup_f64 v[13:14], v[29:30], v[55:56], v[31:32]
	v_cvt_f64_i32_e32 v[55:56], v3
	v_ashrrev_i32_e32 v3, 31, v10
	v_and_b32_e32 v10, 0x54442d18, v3
	v_and_b32_e32 v3, 0x400921fb, v3
	v_mul_f64 v[57:58], v[55:56], s[44:45]
	v_add_f64 v[29:30], v[59:60], v[5:6]
	v_mul_f64 v[31:32], v[13:14], v[13:14]
	v_mul_f64 v[47:48], v[29:30], v[29:30]
	v_fma_f64 v[49:50], v[31:32], s[12:13], v[37:38]
	s_mov_b32 s12, 0x69efb384
	s_mov_b32 s13, 0x3f4b2bb0
	v_fma_f64 v[51:52], v[47:48], s[34:35], v[35:36]
	v_mul_f64 v[53:54], v[29:30], v[47:48]
	v_fma_f64 v[49:50], v[31:32], v[49:50], s[12:13]
	s_mov_b32 s12, 0xaf56de9b
	s_mov_b32 s13, 0xbf67952d
	v_fma_f64 v[51:52], v[47:48], v[51:52], s[36:37]
	v_fma_f64 v[49:50], v[31:32], v[49:50], s[12:13]
	s_mov_b32 s12, 0xa595c56f
	s_mov_b32 s13, 0x3f7d6d43
	v_fma_f64 v[51:52], v[47:48], v[51:52], s[38:39]
	;; [unrolled: 4-line block ×5, first 2 shown]
	v_ldexp_f64 v[51:52], v[29:30], 1
	v_fma_f64 v[49:50], v[31:32], v[49:50], s[12:13]
	v_add_f64 v[29:30], v[29:30], -v[59:60]
	v_cmp_eq_f64_e64 s[12:13], 0, v[11:12]
	v_mul_f64 v[47:48], v[53:54], v[47:48]
	v_fma_f64 v[49:50], v[31:32], v[49:50], s[62:63]
	v_add_f64 v[5:6], v[5:6], -v[29:30]
	v_add_f64 v[53:54], v[51:52], v[47:48]
	v_fma_f64 v[49:50], v[31:32], v[49:50], s[64:65]
	v_ldexp_f64 v[5:6], v[5:6], 1
	v_add_f64 v[29:30], v[53:54], -v[51:52]
	v_fma_f64 v[51:52], v[55:56], s[44:45], -v[57:58]
	v_fma_f64 v[49:50], v[31:32], v[49:50], s[66:67]
	v_add_f64 v[29:30], v[47:48], -v[29:30]
	v_fma_f64 v[47:48], v[31:32], v[49:50], s[68:69]
	v_fma_f64 v[49:50], v[55:56], s[46:47], v[51:52]
	v_add_f64 v[5:6], v[5:6], v[29:30]
	v_fma_f64 v[29:30], v[31:32], v[47:48], s[70:71]
	v_add_f64 v[47:48], v[57:58], v[49:50]
	v_add_f64 v[51:52], v[53:54], v[5:6]
	v_fma_f64 v[29:30], v[31:32], v[29:30], s[72:73]
	v_add_f64 v[57:58], v[47:48], -v[57:58]
	v_add_f64 v[55:56], v[47:48], v[51:52]
	v_add_f64 v[53:54], v[51:52], -v[53:54]
	v_fma_f64 v[29:30], v[31:32], v[29:30], s[74:75]
	v_add_f64 v[49:50], v[49:50], -v[57:58]
	v_add_f64 v[59:60], v[55:56], -v[47:48]
	;; [unrolled: 1-line block ×3, first 2 shown]
	v_fma_f64 v[29:30], v[31:32], v[29:30], s[76:77]
	v_add_f64 v[61:62], v[55:56], -v[59:60]
	v_add_f64 v[51:52], v[51:52], -v[59:60]
	v_fma_f64 v[29:30], v[31:32], v[29:30], s[78:79]
	v_add_f64 v[53:54], v[49:50], v[5:6]
	v_add_f64 v[47:48], v[47:48], -v[61:62]
	v_fma_f64 v[29:30], v[31:32], v[29:30], s[80:81]
	v_add_f64 v[47:48], v[51:52], v[47:48]
	;; [unrolled: 3-line block ×3, first 2 shown]
	v_add_f64 v[53:54], v[53:54], -v[51:52]
	v_fma_f64 v[29:30], v[31:32], v[29:30], s[84:85]
	v_add_f64 v[5:6], v[5:6], -v[51:52]
	v_add_f64 v[57:58], v[55:56], v[47:48]
	v_mul_f64 v[29:30], v[31:32], v[29:30]
	v_add_f64 v[31:32], v[49:50], -v[53:54]
	v_add_f64 v[49:50], v[57:58], -v[55:56]
	v_fma_f64 v[13:14], v[13:14], v[29:30], v[13:14]
	v_add_f64 v[5:6], v[5:6], v[31:32]
	v_add_f64 v[29:30], v[47:48], -v[49:50]
	v_add_f64 v[31:32], -v[13:14], s[28:29]
	v_add_f64 v[5:6], v[5:6], v[29:30]
	v_cndmask_b32_e64 v14, v14, v32, s[10:11]
	v_cndmask_b32_e64 v13, v13, v31, s[10:11]
	v_add_f64 v[29:30], -v[13:14], s[86:87]
	v_add_f64 v[5:6], v[57:58], v[5:6]
	v_cndmask_b32_e32 v13, v13, v29, vcc
	v_cndmask_b32_e32 v14, v14, v30, vcc
	v_cndmask_b32_e64 v10, v13, v10, s[12:13]
	v_cndmask_b32_e64 v3, v14, v3, s[12:13]
	v_mul_f64 v[5:6], v[5:6], 0.5
	s_and_b64 s[12:13], s[14:15], s[16:17]
	s_and_b64 vcc, s[52:53], s[54:55]
	v_cndmask_b32_e32 v32, v3, v9, vcc
	s_mov_b32 s52, 0x69efb384
	s_mov_b32 s54, 0xb5e68a13
	;; [unrolled: 1-line block ×4, first 2 shown]
	v_cndmask_b32_e64 v29, 0, v5, s[12:13]
	v_cmp_ngt_f64_e64 s[12:13], -1.0, v[1:2]
	v_cndmask_b32_e64 v3, v63, v6, s[16:17]
	v_cndmask_b32_e32 v31, v10, v7, vcc
	v_cndmask_b32_e64 v3, v64, v3, s[12:13]
	v_cmp_neq_f64_e64 s[12:13], -1.0, v[1:2]
	v_cndmask_b32_e64 v30, v65, v3, s[12:13]
.LBB173_132:                            ;   in Loop: Header=BB173_4 Depth=1
	s_or_b64 exec, exec, s[50:51]
.LBB173_133:                            ;   in Loop: Header=BB173_4 Depth=1
	s_or_b64 exec, exec, s[48:49]
.LBB173_134:                            ;   in Loop: Header=BB173_4 Depth=1
	s_andn2_saveexec_b64 s[16:17], s[90:91]
	s_cbranch_execz .LBB173_136
; %bb.135:                              ;   in Loop: Header=BB173_4 Depth=1
	v_max_f64 v[5:6], |v[11:12]|, |v[11:12]|
	v_max_f64 v[13:14], |v[9:10]|, |v[9:10]|
	v_cmp_class_f64_e64 s[48:49], v[9:10], s61
	v_cmp_class_f64_e64 s[50:51], v[11:12], s61
	s_mov_b32 s31, s89
	s_mov_b32 s86, s28
	v_max_f64 v[29:30], v[13:14], v[5:6]
	v_min_f64 v[5:6], v[13:14], v[5:6]
	v_frexp_exp_i32_f64_e32 v3, v[29:30]
	v_sub_u32_e32 v7, 0, v3
	v_ldexp_f64 v[1:2], |v[11:12]|, v7
	v_ldexp_f64 v[31:32], |v[9:10]|, v7
	v_mul_f64 v[1:2], v[1:2], v[1:2]
	v_fma_f64 v[1:2], v[31:32], v[31:32], v[1:2]
	v_rsq_f64_e32 v[31:32], v[1:2]
	v_cmp_eq_f64_e32 vcc, 0, v[1:2]
	v_mul_f64 v[47:48], v[1:2], v[31:32]
	v_mul_f64 v[31:32], v[31:32], 0.5
	v_fma_f64 v[49:50], -v[31:32], v[47:48], 0.5
	v_fma_f64 v[47:48], v[47:48], v[49:50], v[47:48]
	v_fma_f64 v[31:32], v[31:32], v[49:50], v[31:32]
	v_fma_f64 v[49:50], -v[47:48], v[47:48], v[1:2]
	v_fma_f64 v[31:32], v[49:50], v[31:32], v[47:48]
	v_cndmask_b32_e32 v2, v32, v2, vcc
	v_cndmask_b32_e32 v1, v31, v1, vcc
	v_ldexp_f64 v[1:2], v[1:2], v3
	s_or_b64 vcc, s[50:51], s[48:49]
	v_cndmask_b32_e32 v2, v2, v63, vcc
	v_cndmask_b32_e64 v1, v1, 0, vcc
	v_frexp_mant_f64_e32 v[31:32], v[1:2]
	v_cmp_gt_f64_e64 s[12:13], s[88:89], v[31:32]
	v_cndmask_b32_e64 v3, 0, 1, s[12:13]
	v_ldexp_f64 v[31:32], v[31:32], v3
	v_frexp_exp_i32_f64_e32 v3, v[1:2]
	v_add_f64 v[47:48], v[31:32], 1.0
	v_add_f64 v[53:54], v[31:32], -1.0
	v_rcp_f64_e32 v[49:50], v[47:48]
	v_add_f64 v[57:58], v[47:48], -1.0
	v_add_f64 v[31:32], v[31:32], -v[57:58]
	v_fma_f64 v[51:52], -v[47:48], v[49:50], 1.0
	v_fma_f64 v[13:14], v[51:52], v[49:50], v[49:50]
	v_div_scale_f64 v[49:50], s[14:15], v[29:30], v[29:30], v[5:6]
	s_mov_b32 s14, 0xaf56de9b
	s_mov_b32 s15, 0xbf67952d
	v_fma_f64 v[51:52], -v[47:48], v[13:14], 1.0
	v_fma_f64 v[13:14], v[51:52], v[13:14], v[13:14]
	v_rcp_f64_e32 v[51:52], v[49:50]
	v_mul_f64 v[55:56], v[53:54], v[13:14]
	v_mul_f64 v[59:60], v[47:48], v[55:56]
	v_fma_f64 v[61:62], -v[49:50], v[51:52], 1.0
	v_fma_f64 v[47:48], v[55:56], v[47:48], -v[59:60]
	v_fma_f64 v[51:52], v[51:52], v[61:62], v[51:52]
	v_fma_f64 v[31:32], v[55:56], v[31:32], v[47:48]
	v_div_scale_f64 v[47:48], vcc, v[5:6], v[29:30], v[5:6]
	v_fma_f64 v[57:58], -v[49:50], v[51:52], 1.0
	v_add_f64 v[61:62], v[59:60], v[31:32]
	v_fma_f64 v[51:52], v[51:52], v[57:58], v[51:52]
	v_add_f64 v[57:58], v[53:54], -v[61:62]
	v_add_f64 v[59:60], v[61:62], -v[59:60]
	v_mul_f64 v[70:71], v[47:48], v[51:52]
	v_add_f64 v[53:54], v[53:54], -v[57:58]
	v_add_f64 v[31:32], v[59:60], -v[31:32]
	v_fma_f64 v[47:48], -v[49:50], v[70:71], v[47:48]
	v_add_f64 v[49:50], v[53:54], -v[61:62]
	v_div_fmas_f64 v[47:48], v[47:48], v[51:52], v[70:71]
	v_subbrev_co_u32_e64 v3, vcc, 0, v3, s[12:13]
	v_cmp_eq_f64_e64 s[12:13], 0, v[11:12]
	v_cmp_gt_i32_e32 vcc, 0, v10
	v_add_f64 v[31:32], v[31:32], v[49:50]
	v_cndmask_b32_e32 v7, v66, v67, vcc
	v_add_f64 v[31:32], v[57:58], v[31:32]
	v_div_fixup_f64 v[5:6], v[47:48], v[29:30], v[5:6]
	v_mul_f64 v[13:14], v[13:14], v[31:32]
	v_mul_f64 v[29:30], v[5:6], v[5:6]
	v_add_f64 v[31:32], v[55:56], v[13:14]
	v_fma_f64 v[47:48], v[29:30], s[54:55], v[37:38]
	v_mul_f64 v[49:50], v[31:32], v[31:32]
	v_fma_f64 v[47:48], v[29:30], v[47:48], s[52:53]
	v_fma_f64 v[51:52], v[49:50], s[34:35], v[35:36]
	v_mul_f64 v[53:54], v[31:32], v[49:50]
	v_fma_f64 v[47:48], v[29:30], v[47:48], s[14:15]
	s_mov_b32 s14, 0xa595c56f
	s_mov_b32 s15, 0x3f7d6d43
	v_fma_f64 v[51:52], v[49:50], v[51:52], s[36:37]
	v_fma_f64 v[47:48], v[29:30], v[47:48], s[14:15]
	s_mov_b32 s14, 0xa57d9582
	s_mov_b32 s15, 0xbf8c6ea4
	v_fma_f64 v[51:52], v[49:50], v[51:52], s[38:39]
	;; [unrolled: 4-line block ×4, first 2 shown]
	v_fma_f64 v[47:48], v[29:30], v[47:48], s[14:15]
	v_cmp_class_f64_e64 s[14:15], v[1:2], s61
	v_fma_f64 v[49:50], v[49:50], v[51:52], s[30:31]
	v_ldexp_f64 v[51:52], v[31:32], 1
	v_add_f64 v[31:32], v[31:32], -v[55:56]
	v_fma_f64 v[47:48], v[29:30], v[47:48], s[62:63]
	v_cvt_f64_i32_e32 v[55:56], v3
	v_ashrrev_i32_e32 v3, 31, v10
	v_and_b32_e32 v15, 0x54442d18, v3
	v_and_b32_e32 v3, 0x400921fb, v3
	v_mul_f64 v[49:50], v[53:54], v[49:50]
	v_mul_f64 v[57:58], v[55:56], s[44:45]
	v_add_f64 v[13:14], v[13:14], -v[31:32]
	v_fma_f64 v[47:48], v[29:30], v[47:48], s[64:65]
	v_add_f64 v[53:54], v[51:52], v[49:50]
	v_ldexp_f64 v[13:14], v[13:14], 1
	v_fma_f64 v[47:48], v[29:30], v[47:48], s[66:67]
	v_add_f64 v[31:32], v[53:54], -v[51:52]
	v_fma_f64 v[51:52], v[55:56], s[44:45], -v[57:58]
	v_fma_f64 v[47:48], v[29:30], v[47:48], s[68:69]
	v_add_f64 v[31:32], v[49:50], -v[31:32]
	v_fma_f64 v[49:50], v[55:56], s[46:47], v[51:52]
	v_fma_f64 v[47:48], v[29:30], v[47:48], s[70:71]
	v_add_f64 v[13:14], v[13:14], v[31:32]
	v_fma_f64 v[31:32], v[29:30], v[47:48], s[72:73]
	v_add_f64 v[47:48], v[57:58], v[49:50]
	v_add_f64 v[51:52], v[53:54], v[13:14]
	v_fma_f64 v[31:32], v[29:30], v[31:32], s[74:75]
	v_add_f64 v[57:58], v[47:48], -v[57:58]
	v_add_f64 v[55:56], v[47:48], v[51:52]
	v_add_f64 v[53:54], v[51:52], -v[53:54]
	v_fma_f64 v[31:32], v[29:30], v[31:32], s[76:77]
	v_add_f64 v[49:50], v[49:50], -v[57:58]
	v_add_f64 v[59:60], v[55:56], -v[47:48]
	v_add_f64 v[13:14], v[13:14], -v[53:54]
	v_fma_f64 v[31:32], v[29:30], v[31:32], s[78:79]
	v_add_f64 v[61:62], v[55:56], -v[59:60]
	v_add_f64 v[51:52], v[51:52], -v[59:60]
	v_add_f64 v[53:54], v[49:50], v[13:14]
	v_fma_f64 v[31:32], v[29:30], v[31:32], s[80:81]
	v_add_f64 v[47:48], v[47:48], -v[61:62]
	v_fma_f64 v[31:32], v[29:30], v[31:32], s[82:83]
	v_add_f64 v[47:48], v[51:52], v[47:48]
	v_add_f64 v[51:52], v[53:54], -v[49:50]
	v_fma_f64 v[31:32], v[29:30], v[31:32], s[84:85]
	v_add_f64 v[47:48], v[53:54], v[47:48]
	v_add_f64 v[13:14], v[13:14], -v[51:52]
	v_mul_f64 v[29:30], v[29:30], v[31:32]
	v_add_f64 v[31:32], v[53:54], -v[51:52]
	v_add_f64 v[53:54], v[55:56], v[47:48]
	v_fma_f64 v[5:6], v[5:6], v[29:30], v[5:6]
	v_add_f64 v[29:30], v[49:50], -v[31:32]
	v_add_f64 v[31:32], v[53:54], -v[55:56]
	v_add_f64 v[49:50], -v[5:6], s[28:29]
	v_add_f64 v[13:14], v[13:14], v[29:30]
	v_add_f64 v[29:30], v[47:48], -v[31:32]
	v_cndmask_b32_e64 v6, v6, v50, s[10:11]
	v_cndmask_b32_e64 v5, v5, v49, s[10:11]
	v_add_f64 v[31:32], -v[5:6], s[86:87]
	v_add_f64 v[13:14], v[13:14], v[29:30]
	v_cndmask_b32_e32 v29, v68, v69, vcc
	v_cndmask_b32_e32 v5, v5, v31, vcc
	;; [unrolled: 1-line block ×3, first 2 shown]
	v_cndmask_b32_e64 v5, v5, v15, s[12:13]
	v_add_f64 v[9:10], v[53:54], v[13:14]
	v_cndmask_b32_e64 v3, v6, v3, s[12:13]
	v_cmp_ngt_f64_e64 s[12:13], 0, v[1:2]
	v_bfi_b32 v13, s60, v29, v12
	s_and_b64 vcc, s[50:51], s[48:49]
	v_cndmask_b32_e32 v32, v3, v13, vcc
	v_cndmask_b32_e32 v31, v5, v7, vcc
	v_cndmask_b32_e64 v6, v10, v2, s[14:15]
	v_cndmask_b32_e64 v3, v9, v1, s[14:15]
	;; [unrolled: 1-line block ×3, first 2 shown]
	v_cmp_nge_f64_e64 s[12:13], 0, v[1:2]
	v_cndmask_b32_e64 v29, 0, v3, s[12:13]
	v_cmp_neq_f64_e64 s[12:13], 0, v[1:2]
	v_cndmask_b32_e64 v30, v65, v6, s[12:13]
.LBB173_136:                            ;   in Loop: Header=BB173_4 Depth=1
	s_or_b64 exec, exec, s[16:17]
                                        ; implicit-def: $vgpr5_vgpr6
.LBB173_137:                            ;   in Loop: Header=BB173_4 Depth=1
	s_andn2_saveexec_b64 s[16:17], s[24:25]
	s_cbranch_execz .LBB173_143
; %bb.138:                              ;   in Loop: Header=BB173_4 Depth=1
	s_mov_b32 s12, 0x6a3f9475
	s_mov_b32 s13, 0x20ca2fe7
	v_cmp_ngt_f64_e32 vcc, s[12:13], v[5:6]
                                        ; implicit-def: $vgpr29_vgpr30
	s_and_saveexec_b64 s[12:13], vcc
	s_xor_b64 s[24:25], exec, s[12:13]
	s_cbranch_execz .LBB173_140
; %bb.139:                              ;   in Loop: Header=BB173_4 Depth=1
	v_mul_f64 v[1:2], v[5:6], v[5:6]
	s_mov_b32 s31, s89
	s_mov_b32 s86, s28
	;; [unrolled: 1-line block ×3, first 2 shown]
	v_cmp_class_f64_e64 s[48:49], v[11:12], s61
	v_cmp_class_f64_e64 s[50:51], v[9:10], s61
	s_mov_b32 s15, 0x7ff00000
	v_add_f64 v[5:6], v[1:2], 1.0
	v_cmp_neq_f64_e64 s[14:15], s[14:15], v[1:2]
	v_frexp_mant_f64_e32 v[29:30], v[5:6]
	v_frexp_exp_i32_f64_e32 v3, v[5:6]
	v_add_f64 v[13:14], v[5:6], -1.0
	v_cmp_gt_f64_e32 vcc, s[88:89], v[29:30]
	v_add_f64 v[31:32], v[13:14], -v[5:6]
	v_add_f64 v[13:14], v[1:2], -v[13:14]
	v_subbrev_co_u32_e32 v3, vcc, 0, v3, vcc
	v_sub_u32_e32 v7, 0, v3
	v_ldexp_f64 v[5:6], v[5:6], v7
	v_add_f64 v[29:30], v[31:32], 1.0
	v_add_f64 v[31:32], v[5:6], 1.0
	v_add_f64 v[13:14], v[13:14], v[29:30]
	v_add_f64 v[51:52], v[5:6], -1.0
	v_add_f64 v[29:30], v[31:32], -1.0
	v_ldexp_f64 v[13:14], v[13:14], v7
	v_add_f64 v[53:54], v[51:52], 1.0
	v_add_f64 v[29:30], v[5:6], -v[29:30]
	v_add_f64 v[5:6], v[5:6], -v[53:54]
	v_add_f64 v[29:30], v[13:14], v[29:30]
	v_add_f64 v[5:6], v[13:14], v[5:6]
	;; [unrolled: 1-line block ×4, first 2 shown]
	v_rcp_f64_e32 v[49:50], v[47:48]
	v_add_f64 v[31:32], v[31:32], -v[47:48]
	v_add_f64 v[51:52], v[51:52], -v[53:54]
	v_add_f64 v[29:30], v[29:30], v[31:32]
	v_add_f64 v[5:6], v[5:6], v[51:52]
	v_fma_f64 v[55:56], -v[47:48], v[49:50], 1.0
	v_fma_f64 v[49:50], v[55:56], v[49:50], v[49:50]
	v_fma_f64 v[13:14], -v[47:48], v[49:50], 1.0
	v_fma_f64 v[13:14], v[13:14], v[49:50], v[49:50]
	v_mul_f64 v[49:50], v[53:54], v[13:14]
	v_mul_f64 v[55:56], v[47:48], v[49:50]
	v_fma_f64 v[31:32], v[49:50], v[47:48], -v[55:56]
	v_fma_f64 v[31:32], v[49:50], v[29:30], v[31:32]
	v_add_f64 v[57:58], v[55:56], v[31:32]
	v_add_f64 v[59:60], v[53:54], -v[57:58]
	v_add_f64 v[51:52], v[57:58], -v[55:56]
	;; [unrolled: 1-line block ×4, first 2 shown]
	v_max_f64 v[51:52], |v[9:10]|, |v[9:10]|
	v_add_f64 v[53:54], v[53:54], -v[57:58]
	v_add_f64 v[5:6], v[5:6], v[53:54]
	v_add_f64 v[5:6], v[31:32], v[5:6]
	v_max_f64 v[31:32], |v[11:12]|, |v[11:12]|
	v_add_f64 v[53:54], v[59:60], v[5:6]
	v_max_f64 v[55:56], v[51:52], v[31:32]
	v_min_f64 v[31:32], v[51:52], v[31:32]
	v_mul_f64 v[51:52], v[13:14], v[53:54]
	v_add_f64 v[59:60], v[59:60], -v[53:54]
	v_div_scale_f64 v[57:58], s[12:13], v[55:56], v[55:56], v[31:32]
	s_mov_b32 s12, 0xaf56de9b
	s_mov_b32 s13, 0xbf67952d
	v_mul_f64 v[61:62], v[47:48], v[51:52]
	v_add_f64 v[5:6], v[5:6], v[59:60]
	v_fma_f64 v[47:48], v[51:52], v[47:48], -v[61:62]
	v_rcp_f64_e32 v[70:71], v[57:58]
	v_fma_f64 v[29:30], v[51:52], v[29:30], v[47:48]
	v_add_f64 v[47:48], v[61:62], v[29:30]
	v_fma_f64 v[72:73], -v[57:58], v[70:71], 1.0
	v_add_f64 v[74:75], v[53:54], -v[47:48]
	v_add_f64 v[59:60], v[47:48], -v[61:62]
	v_fma_f64 v[70:71], v[70:71], v[72:73], v[70:71]
	v_div_scale_f64 v[72:73], vcc, v[31:32], v[55:56], v[31:32]
	v_add_f64 v[53:54], v[53:54], -v[74:75]
	v_add_f64 v[29:30], v[59:60], -v[29:30]
	v_fma_f64 v[76:77], -v[57:58], v[70:71], 1.0
	v_add_f64 v[59:60], v[49:50], v[51:52]
	v_add_f64 v[47:48], v[53:54], -v[47:48]
	v_fma_f64 v[53:54], v[70:71], v[76:77], v[70:71]
	v_add_f64 v[49:50], v[59:60], -v[49:50]
	v_add_f64 v[5:6], v[5:6], v[47:48]
	v_mul_f64 v[47:48], v[72:73], v[53:54]
	v_add_f64 v[5:6], v[29:30], v[5:6]
	v_fma_f64 v[29:30], -v[57:58], v[47:48], v[72:73]
	v_add_f64 v[5:6], v[74:75], v[5:6]
	v_div_fmas_f64 v[29:30], v[29:30], v[53:54], v[47:48]
	v_add_f64 v[47:48], v[51:52], -v[49:50]
	v_cmp_gt_i32_e32 vcc, 0, v10
	v_cndmask_b32_e32 v7, v66, v67, vcc
	v_mul_f64 v[5:6], v[13:14], v[5:6]
	v_add_f64 v[5:6], v[47:48], v[5:6]
	v_div_fixup_f64 v[13:14], v[29:30], v[55:56], v[31:32]
	v_cvt_f64_i32_e32 v[55:56], v3
	v_ashrrev_i32_e32 v3, 31, v10
	v_and_b32_e32 v9, 0x54442d18, v3
	v_and_b32_e32 v3, 0x400921fb, v3
	v_mul_f64 v[57:58], v[55:56], s[44:45]
	v_add_f64 v[29:30], v[59:60], v[5:6]
	v_mul_f64 v[31:32], v[13:14], v[13:14]
	v_mul_f64 v[47:48], v[29:30], v[29:30]
	v_fma_f64 v[49:50], v[31:32], s[54:55], v[37:38]
	v_fma_f64 v[51:52], v[47:48], s[34:35], v[35:36]
	v_mul_f64 v[53:54], v[29:30], v[47:48]
	v_fma_f64 v[49:50], v[31:32], v[49:50], s[52:53]
	v_fma_f64 v[51:52], v[47:48], v[51:52], s[36:37]
	;; [unrolled: 1-line block ×3, first 2 shown]
	s_mov_b32 s12, 0xa595c56f
	s_mov_b32 s13, 0x3f7d6d43
	v_fma_f64 v[51:52], v[47:48], v[51:52], s[38:39]
	v_fma_f64 v[49:50], v[31:32], v[49:50], s[12:13]
	s_mov_b32 s12, 0xa57d9582
	s_mov_b32 s13, 0xbf8c6ea4
	v_fma_f64 v[51:52], v[47:48], v[51:52], s[40:41]
	v_fma_f64 v[49:50], v[31:32], v[49:50], s[12:13]
	s_mov_b32 s12, 0x5f08b19f
	s_mov_b32 s13, 0x3f967e29
	v_fma_f64 v[51:52], v[47:48], v[51:52], s[42:43]
	v_fma_f64 v[49:50], v[31:32], v[49:50], s[12:13]
	s_mov_b32 s12, 0xfc27006a
	s_mov_b32 s13, 0xbf9e9ae6
	v_fma_f64 v[47:48], v[47:48], v[51:52], s[30:31]
	v_ldexp_f64 v[51:52], v[29:30], 1
	v_fma_f64 v[49:50], v[31:32], v[49:50], s[12:13]
	v_add_f64 v[29:30], v[29:30], -v[59:60]
	v_cmp_eq_f64_e64 s[12:13], 0, v[11:12]
	v_mul_f64 v[47:48], v[53:54], v[47:48]
	v_fma_f64 v[49:50], v[31:32], v[49:50], s[62:63]
	v_add_f64 v[5:6], v[5:6], -v[29:30]
	v_add_f64 v[53:54], v[51:52], v[47:48]
	v_fma_f64 v[49:50], v[31:32], v[49:50], s[64:65]
	v_ldexp_f64 v[5:6], v[5:6], 1
	v_add_f64 v[29:30], v[53:54], -v[51:52]
	v_fma_f64 v[51:52], v[55:56], s[44:45], -v[57:58]
	v_fma_f64 v[49:50], v[31:32], v[49:50], s[66:67]
	v_add_f64 v[29:30], v[47:48], -v[29:30]
	v_fma_f64 v[47:48], v[31:32], v[49:50], s[68:69]
	v_fma_f64 v[49:50], v[55:56], s[46:47], v[51:52]
	v_add_f64 v[5:6], v[5:6], v[29:30]
	v_fma_f64 v[29:30], v[31:32], v[47:48], s[70:71]
	v_add_f64 v[47:48], v[57:58], v[49:50]
	v_add_f64 v[51:52], v[53:54], v[5:6]
	v_fma_f64 v[29:30], v[31:32], v[29:30], s[72:73]
	v_add_f64 v[57:58], v[47:48], -v[57:58]
	v_add_f64 v[55:56], v[47:48], v[51:52]
	v_add_f64 v[53:54], v[51:52], -v[53:54]
	v_fma_f64 v[29:30], v[31:32], v[29:30], s[74:75]
	v_add_f64 v[49:50], v[49:50], -v[57:58]
	v_add_f64 v[59:60], v[55:56], -v[47:48]
	;; [unrolled: 1-line block ×3, first 2 shown]
	v_fma_f64 v[29:30], v[31:32], v[29:30], s[76:77]
	v_add_f64 v[61:62], v[55:56], -v[59:60]
	v_add_f64 v[51:52], v[51:52], -v[59:60]
	v_fma_f64 v[29:30], v[31:32], v[29:30], s[78:79]
	v_add_f64 v[53:54], v[49:50], v[5:6]
	v_add_f64 v[47:48], v[47:48], -v[61:62]
	v_fma_f64 v[29:30], v[31:32], v[29:30], s[80:81]
	v_add_f64 v[47:48], v[51:52], v[47:48]
	;; [unrolled: 3-line block ×3, first 2 shown]
	v_add_f64 v[53:54], v[53:54], -v[51:52]
	v_fma_f64 v[29:30], v[31:32], v[29:30], s[84:85]
	v_add_f64 v[5:6], v[5:6], -v[51:52]
	v_add_f64 v[57:58], v[55:56], v[47:48]
	v_mul_f64 v[29:30], v[31:32], v[29:30]
	v_add_f64 v[31:32], v[49:50], -v[53:54]
	v_add_f64 v[49:50], v[57:58], -v[55:56]
	v_fma_f64 v[13:14], v[13:14], v[29:30], v[13:14]
	v_add_f64 v[5:6], v[5:6], v[31:32]
	v_add_f64 v[29:30], v[47:48], -v[49:50]
	v_add_f64 v[31:32], -v[13:14], s[28:29]
	v_add_f64 v[5:6], v[5:6], v[29:30]
	v_cndmask_b32_e64 v14, v14, v32, s[10:11]
	v_cndmask_b32_e64 v13, v13, v31, s[10:11]
	v_add_f64 v[29:30], -v[13:14], s[86:87]
	v_add_f64 v[5:6], v[57:58], v[5:6]
	v_cndmask_b32_e32 v10, v13, v29, vcc
	v_cndmask_b32_e32 v13, v68, v69, vcc
	;; [unrolled: 1-line block ×3, first 2 shown]
	v_bfi_b32 v1, s60, v13, v12
	v_mul_f64 v[5:6], v[5:6], 0.5
	v_cndmask_b32_e64 v9, v10, v9, s[12:13]
	v_cndmask_b32_e64 v2, v2, v3, s[12:13]
	s_and_b64 vcc, s[48:49], s[50:51]
	v_cndmask_b32_e32 v32, v2, v1, vcc
	v_cndmask_b32_e32 v31, v9, v7, vcc
	v_cndmask_b32_e64 v30, v63, v6, s[14:15]
	v_cndmask_b32_e64 v29, 0, v5, s[14:15]
                                        ; implicit-def: $vgpr5_vgpr6
.LBB173_140:                            ;   in Loop: Header=BB173_4 Depth=1
	s_andn2_saveexec_b64 s[14:15], s[24:25]
	s_cbranch_execz .LBB173_142
; %bb.141:                              ;   in Loop: Header=BB173_4 Depth=1
	v_max_f64 v[1:2], |v[11:12]|, |v[11:12]|
	v_max_f64 v[13:14], |v[9:10]|, |v[9:10]|
	s_mov_b32 s86, s28
	v_cmp_class_f64_e64 s[24:25], v[11:12], s61
	v_cmp_class_f64_e64 s[48:49], v[9:10], s61
	v_ashrrev_i32_e32 v3, 31, v10
	v_and_b32_e32 v15, 0x54442d18, v3
	v_and_b32_e32 v3, 0x400921fb, v3
	v_max_f64 v[29:30], v[13:14], v[1:2]
	v_min_f64 v[1:2], v[13:14], v[1:2]
	v_div_scale_f64 v[13:14], s[12:13], v[29:30], v[29:30], v[1:2]
	s_mov_b32 s12, 0xaf56de9b
	s_mov_b32 s13, 0xbf67952d
	v_rcp_f64_e32 v[31:32], v[13:14]
	v_fma_f64 v[47:48], -v[13:14], v[31:32], 1.0
	v_fma_f64 v[31:32], v[31:32], v[47:48], v[31:32]
	v_div_scale_f64 v[47:48], vcc, v[1:2], v[29:30], v[1:2]
	v_fma_f64 v[49:50], -v[13:14], v[31:32], 1.0
	v_fma_f64 v[31:32], v[31:32], v[49:50], v[31:32]
	v_mul_f64 v[49:50], v[47:48], v[31:32]
	v_fma_f64 v[13:14], -v[13:14], v[49:50], v[47:48]
	v_div_fmas_f64 v[13:14], v[13:14], v[31:32], v[49:50]
	v_cmp_gt_i32_e32 vcc, 0, v10
	v_cndmask_b32_e32 v9, v68, v69, vcc
	v_cndmask_b32_e32 v7, v66, v67, vcc
	v_div_fixup_f64 v[1:2], v[13:14], v[29:30], v[1:2]
	v_mul_f64 v[13:14], v[1:2], v[1:2]
	v_fma_f64 v[29:30], v[13:14], s[54:55], v[37:38]
	v_fma_f64 v[29:30], v[13:14], v[29:30], s[52:53]
	v_fma_f64 v[29:30], v[13:14], v[29:30], s[12:13]
	s_mov_b32 s12, 0xa595c56f
	s_mov_b32 s13, 0x3f7d6d43
	v_fma_f64 v[29:30], v[13:14], v[29:30], s[12:13]
	s_mov_b32 s12, 0xa57d9582
	s_mov_b32 s13, 0xbf8c6ea4
	v_fma_f64 v[29:30], v[13:14], v[29:30], s[12:13]
	;; [unrolled: 3-line block ×4, first 2 shown]
	v_cmp_eq_f64_e64 s[12:13], 0, v[11:12]
	v_fma_f64 v[29:30], v[13:14], v[29:30], s[62:63]
	v_fma_f64 v[29:30], v[13:14], v[29:30], s[64:65]
	;; [unrolled: 1-line block ×12, first 2 shown]
	v_mul_f64 v[13:14], v[13:14], v[29:30]
	v_mul_f64 v[29:30], v[5:6], 0.5
	v_fma_f64 v[1:2], v[1:2], v[13:14], v[1:2]
	v_mul_f64 v[29:30], v[5:6], v[29:30]
	v_bfi_b32 v5, s60, v9, v12
	v_add_f64 v[13:14], -v[1:2], s[28:29]
	v_cndmask_b32_e64 v2, v2, v14, s[10:11]
	v_cndmask_b32_e64 v1, v1, v13, s[10:11]
	v_add_f64 v[13:14], -v[1:2], s[86:87]
	v_cndmask_b32_e32 v1, v1, v13, vcc
	v_cndmask_b32_e32 v2, v2, v14, vcc
	v_cndmask_b32_e64 v1, v1, v15, s[12:13]
	v_cndmask_b32_e64 v2, v2, v3, s[12:13]
	s_and_b64 vcc, s[24:25], s[48:49]
	v_cndmask_b32_e32 v32, v2, v5, vcc
	v_cndmask_b32_e32 v31, v1, v7, vcc
.LBB173_142:                            ;   in Loop: Header=BB173_4 Depth=1
	s_or_b64 exec, exec, s[14:15]
.LBB173_143:                            ;   in Loop: Header=BB173_4 Depth=1
	s_or_b64 exec, exec, s[16:17]
.LBB173_144:                            ;   in Loop: Header=BB173_4 Depth=1
	s_andn2_saveexec_b64 s[4:5], s[4:5]
	s_cbranch_execz .LBB173_146
; %bb.145:                              ;   in Loop: Header=BB173_4 Depth=1
	v_div_scale_f64 v[1:2], s[12:13], s[92:93], s[92:93], v[9:10]
	v_div_scale_f64 v[5:6], s[12:13], s[92:93], s[92:93], v[11:12]
	v_div_scale_f64 v[49:50], s[12:13], v[11:12], s[92:93], v[11:12]
	s_mov_b32 s31, s89
	s_mov_b32 s86, s28
	v_cmp_class_f64_e64 s[16:17], v[9:10], s61
	v_rcp_f64_e32 v[13:14], v[1:2]
	v_rcp_f64_e32 v[29:30], v[5:6]
	v_fma_f64 v[31:32], -v[1:2], v[13:14], 1.0
	v_fma_f64 v[47:48], -v[5:6], v[29:30], 1.0
	v_fma_f64 v[13:14], v[13:14], v[31:32], v[13:14]
	v_div_scale_f64 v[31:32], vcc, v[9:10], s[92:93], v[9:10]
	v_fma_f64 v[29:30], v[29:30], v[47:48], v[29:30]
	v_fma_f64 v[47:48], -v[1:2], v[13:14], 1.0
	v_fma_f64 v[51:52], -v[5:6], v[29:30], 1.0
	v_fma_f64 v[13:14], v[13:14], v[47:48], v[13:14]
	v_fma_f64 v[29:30], v[29:30], v[51:52], v[29:30]
	v_mul_f64 v[47:48], v[31:32], v[13:14]
	v_mul_f64 v[51:52], v[49:50], v[29:30]
	v_fma_f64 v[1:2], -v[1:2], v[47:48], v[31:32]
	v_fma_f64 v[5:6], -v[5:6], v[51:52], v[49:50]
	v_max_f64 v[49:50], |v[9:10]|, |v[9:10]|
	v_div_fmas_f64 v[1:2], v[1:2], v[13:14], v[47:48]
	s_mov_b64 vcc, s[12:13]
	v_div_fmas_f64 v[5:6], v[5:6], v[29:30], v[51:52]
	v_div_fixup_f64 v[1:2], v[1:2], s[92:93], v[9:10]
	v_div_fixup_f64 v[5:6], v[5:6], s[92:93], v[11:12]
	v_cmp_class_f64_e64 s[12:13], v[1:2], s61
	v_max_f64 v[13:14], |v[1:2]|, |v[5:6]|
	v_cmp_class_f64_e64 s[14:15], v[5:6], s61
	v_frexp_exp_i32_f64_e32 v3, v[13:14]
	v_sub_u32_e32 v7, 0, v3
	v_ldexp_f64 v[13:14], |v[5:6]|, v7
	v_ldexp_f64 v[29:30], |v[1:2]|, v7
	v_mul_f64 v[13:14], v[13:14], v[13:14]
	v_fma_f64 v[13:14], v[29:30], v[29:30], v[13:14]
	v_rsq_f64_e32 v[29:30], v[13:14]
	v_cmp_eq_f64_e32 vcc, 0, v[13:14]
	v_mul_f64 v[31:32], v[13:14], v[29:30]
	v_mul_f64 v[29:30], v[29:30], 0.5
	v_fma_f64 v[47:48], -v[29:30], v[31:32], 0.5
	v_fma_f64 v[31:32], v[31:32], v[47:48], v[31:32]
	v_fma_f64 v[29:30], v[29:30], v[47:48], v[29:30]
	v_fma_f64 v[47:48], -v[31:32], v[31:32], v[13:14]
	v_fma_f64 v[29:30], v[47:48], v[29:30], v[31:32]
	v_max_f64 v[47:48], |v[11:12]|, |v[11:12]|
	v_cndmask_b32_e32 v14, v30, v14, vcc
	v_cndmask_b32_e32 v13, v29, v13, vcc
	v_ldexp_f64 v[13:14], v[13:14], v3
	v_cmp_o_f64_e32 vcc, v[1:2], v[5:6]
	v_cndmask_b32_e32 v1, 0, v13, vcc
	v_cndmask_b32_e32 v2, v64, v14, vcc
	s_or_b64 vcc, s[14:15], s[12:13]
	v_cndmask_b32_e32 v2, v2, v63, vcc
	v_cndmask_b32_e64 v1, v1, 0, vcc
	v_frexp_mant_f64_e32 v[5:6], v[1:2]
	v_cmp_gt_f64_e64 s[12:13], s[88:89], v[5:6]
	v_cndmask_b32_e64 v3, 0, 1, s[12:13]
	v_ldexp_f64 v[5:6], v[5:6], v3
	v_frexp_exp_i32_f64_e32 v3, v[1:2]
	v_add_f64 v[13:14], v[5:6], 1.0
	v_add_f64 v[53:54], v[5:6], -1.0
	v_rcp_f64_e32 v[29:30], v[13:14]
	v_add_f64 v[57:58], v[13:14], -1.0
	v_add_f64 v[5:6], v[5:6], -v[57:58]
	v_fma_f64 v[31:32], -v[13:14], v[29:30], 1.0
	v_fma_f64 v[29:30], v[31:32], v[29:30], v[29:30]
	v_max_f64 v[31:32], v[49:50], v[47:48]
	v_min_f64 v[47:48], v[49:50], v[47:48]
	v_fma_f64 v[49:50], -v[13:14], v[29:30], 1.0
	v_div_scale_f64 v[51:52], s[14:15], v[31:32], v[31:32], v[47:48]
	s_mov_b32 s14, 0xaf56de9b
	s_mov_b32 s15, 0xbf67952d
	v_fma_f64 v[29:30], v[49:50], v[29:30], v[29:30]
	v_mul_f64 v[49:50], v[53:54], v[29:30]
	v_rcp_f64_e32 v[55:56], v[51:52]
	v_mul_f64 v[59:60], v[13:14], v[49:50]
	v_fma_f64 v[13:14], v[49:50], v[13:14], -v[59:60]
	v_fma_f64 v[57:58], -v[51:52], v[55:56], 1.0
	v_fma_f64 v[5:6], v[49:50], v[5:6], v[13:14]
	v_fma_f64 v[13:14], v[55:56], v[57:58], v[55:56]
	v_div_scale_f64 v[57:58], vcc, v[47:48], v[31:32], v[47:48]
	v_add_f64 v[55:56], v[59:60], v[5:6]
	v_fma_f64 v[61:62], -v[51:52], v[13:14], 1.0
	v_add_f64 v[70:71], v[53:54], -v[55:56]
	v_add_f64 v[59:60], v[55:56], -v[59:60]
	v_fma_f64 v[13:14], v[13:14], v[61:62], v[13:14]
	v_add_f64 v[53:54], v[53:54], -v[70:71]
	v_add_f64 v[5:6], v[59:60], -v[5:6]
	v_mul_f64 v[61:62], v[57:58], v[13:14]
	v_add_f64 v[53:54], v[53:54], -v[55:56]
	v_fma_f64 v[51:52], -v[51:52], v[61:62], v[57:58]
	v_add_f64 v[5:6], v[5:6], v[53:54]
	v_div_fmas_f64 v[13:14], v[51:52], v[13:14], v[61:62]
	v_subbrev_co_u32_e64 v3, vcc, 0, v3, s[12:13]
	v_cmp_class_f64_e64 vcc, v[1:2], s61
	v_cmp_eq_f64_e64 s[12:13], 0, v[11:12]
	v_add_f64 v[5:6], v[70:71], v[5:6]
	v_mul_f64 v[5:6], v[29:30], v[5:6]
	v_div_fixup_f64 v[13:14], v[13:14], v[31:32], v[47:48]
	v_add_f64 v[29:30], v[49:50], v[5:6]
	v_mul_f64 v[31:32], v[13:14], v[13:14]
	v_mul_f64 v[47:48], v[29:30], v[29:30]
	v_fma_f64 v[51:52], v[31:32], s[54:55], v[37:38]
	v_fma_f64 v[53:54], v[47:48], s[34:35], v[35:36]
	v_mul_f64 v[55:56], v[29:30], v[47:48]
	v_fma_f64 v[51:52], v[31:32], v[51:52], s[52:53]
	v_fma_f64 v[53:54], v[47:48], v[53:54], s[36:37]
	;; [unrolled: 1-line block ×3, first 2 shown]
	s_mov_b32 s14, 0xa595c56f
	s_mov_b32 s15, 0x3f7d6d43
	v_fma_f64 v[53:54], v[47:48], v[53:54], s[38:39]
	v_fma_f64 v[51:52], v[31:32], v[51:52], s[14:15]
	s_mov_b32 s14, 0xa57d9582
	s_mov_b32 s15, 0xbf8c6ea4
	v_fma_f64 v[53:54], v[47:48], v[53:54], s[40:41]
	v_fma_f64 v[51:52], v[31:32], v[51:52], s[14:15]
	;; [unrolled: 4-line block ×3, first 2 shown]
	s_mov_b32 s14, 0xfc27006a
	s_mov_b32 s15, 0xbf9e9ae6
	v_fma_f64 v[47:48], v[47:48], v[53:54], s[30:31]
	v_ldexp_f64 v[53:54], v[29:30], 1
	v_fma_f64 v[51:52], v[31:32], v[51:52], s[14:15]
	v_add_f64 v[29:30], v[29:30], -v[49:50]
	v_cmp_class_f64_e64 s[14:15], v[11:12], s61
	v_mul_f64 v[47:48], v[55:56], v[47:48]
	v_cvt_f64_i32_e32 v[55:56], v3
	v_fma_f64 v[51:52], v[31:32], v[51:52], s[62:63]
	v_add_f64 v[5:6], v[5:6], -v[29:30]
	v_ashrrev_i32_e32 v3, 31, v10
	v_mul_f64 v[57:58], v[55:56], s[44:45]
	v_add_f64 v[49:50], v[53:54], v[47:48]
	v_fma_f64 v[51:52], v[31:32], v[51:52], s[64:65]
	v_ldexp_f64 v[5:6], v[5:6], 1
	v_add_f64 v[29:30], v[49:50], -v[53:54]
	v_fma_f64 v[53:54], v[55:56], s[44:45], -v[57:58]
	v_fma_f64 v[51:52], v[31:32], v[51:52], s[66:67]
	v_add_f64 v[29:30], v[47:48], -v[29:30]
	v_fma_f64 v[47:48], v[31:32], v[51:52], s[68:69]
	v_fma_f64 v[51:52], v[55:56], s[46:47], v[53:54]
	v_add_f64 v[5:6], v[5:6], v[29:30]
	v_fma_f64 v[29:30], v[31:32], v[47:48], s[70:71]
	v_add_f64 v[47:48], v[57:58], v[51:52]
	v_add_f64 v[53:54], v[49:50], v[5:6]
	v_fma_f64 v[29:30], v[31:32], v[29:30], s[72:73]
	v_add_f64 v[57:58], v[47:48], -v[57:58]
	v_add_f64 v[55:56], v[47:48], v[53:54]
	v_add_f64 v[49:50], v[53:54], -v[49:50]
	v_fma_f64 v[29:30], v[31:32], v[29:30], s[74:75]
	v_add_f64 v[51:52], v[51:52], -v[57:58]
	v_add_f64 v[59:60], v[55:56], -v[47:48]
	;; [unrolled: 1-line block ×3, first 2 shown]
	v_fma_f64 v[29:30], v[31:32], v[29:30], s[76:77]
	v_add_f64 v[61:62], v[55:56], -v[59:60]
	v_add_f64 v[49:50], v[53:54], -v[59:60]
	v_fma_f64 v[29:30], v[31:32], v[29:30], s[78:79]
	v_add_f64 v[53:54], v[51:52], v[5:6]
	v_add_f64 v[47:48], v[47:48], -v[61:62]
	v_fma_f64 v[29:30], v[31:32], v[29:30], s[80:81]
	v_add_f64 v[47:48], v[49:50], v[47:48]
	;; [unrolled: 3-line block ×3, first 2 shown]
	v_add_f64 v[53:54], v[53:54], -v[49:50]
	v_fma_f64 v[29:30], v[31:32], v[29:30], s[84:85]
	v_add_f64 v[5:6], v[5:6], -v[49:50]
	v_add_f64 v[57:58], v[55:56], v[47:48]
	v_mul_f64 v[29:30], v[31:32], v[29:30]
	v_add_f64 v[31:32], v[51:52], -v[53:54]
	v_add_f64 v[49:50], v[57:58], -v[55:56]
	v_fma_f64 v[13:14], v[13:14], v[29:30], v[13:14]
	v_add_f64 v[5:6], v[5:6], v[31:32]
	v_add_f64 v[29:30], v[47:48], -v[49:50]
	v_add_f64 v[31:32], -v[13:14], s[28:29]
	v_add_f64 v[5:6], v[5:6], v[29:30]
	v_cndmask_b32_e64 v14, v14, v32, s[10:11]
	v_cndmask_b32_e64 v13, v13, v31, s[10:11]
	v_add_f64 v[29:30], -v[13:14], s[86:87]
	v_cmp_gt_i32_e64 s[10:11], 0, v10
	v_cndmask_b32_e64 v7, v66, v67, s[10:11]
	v_cndmask_b32_e64 v9, v68, v69, s[10:11]
	v_add_f64 v[5:6], v[57:58], v[5:6]
	v_and_b32_e32 v10, 0x54442d18, v3
	v_and_b32_e32 v3, 0x400921fb, v3
	v_bfi_b32 v9, s60, v9, v12
	v_cndmask_b32_e64 v13, v13, v29, s[10:11]
	v_cndmask_b32_e64 v14, v14, v30, s[10:11]
	v_cmp_ngt_f64_e64 s[10:11], 0, v[1:2]
	v_cndmask_b32_e64 v3, v14, v3, s[12:13]
	v_cndmask_b32_e32 v6, v6, v2, vcc
	v_cndmask_b32_e32 v5, v5, v1, vcc
	v_add_f64 v[5:6], v[5:6], 1.0
	s_and_b64 vcc, s[14:15], s[16:17]
	v_cndmask_b32_e32 v32, v3, v9, vcc
	v_cndmask_b32_e64 v10, v13, v10, s[12:13]
	v_cndmask_b32_e32 v31, v10, v7, vcc
	v_cndmask_b32_e64 v3, v64, v6, s[10:11]
	v_cmp_nge_f64_e64 s[10:11], 0, v[1:2]
	v_cndmask_b32_e64 v29, 0, v5, s[10:11]
	v_cmp_neq_f64_e64 s[10:11], 0, v[1:2]
	v_cndmask_b32_e64 v30, v65, v3, s[10:11]
.LBB173_146:                            ;   in Loop: Header=BB173_4 Depth=1
	s_or_b64 exec, exec, s[4:5]
	s_andn2_saveexec_b64 s[4:5], s[18:19]
	s_cbranch_execz .LBB173_116
.LBB173_147:                            ;   in Loop: Header=BB173_4 Depth=1
	v_cmp_nlt_f64_e64 s[10:11], |v[9:10]|, s[26:27]
	v_cmp_nlt_f64_e64 s[12:13], |v[11:12]|, s[26:27]
                                        ; implicit-def: $vgpr1_vgpr2
	s_or_b64 s[10:11], s[12:13], s[10:11]
	s_and_saveexec_b64 s[12:13], s[10:11]
	s_xor_b64 s[10:11], exec, s[12:13]
	s_cbranch_execz .LBB173_149
; %bb.148:                              ;   in Loop: Header=BB173_4 Depth=1
	v_mul_f64 v[1:2], v[9:10], v[9:10]
	v_fma_f64 v[1:2], v[11:12], v[11:12], v[1:2]
.LBB173_149:                            ;   in Loop: Header=BB173_4 Depth=1
	s_andn2_saveexec_b64 s[10:11], s[10:11]
	s_cbranch_execz .LBB173_151
; %bb.150:                              ;   in Loop: Header=BB173_4 Depth=1
	v_mul_f64 v[1:2], v[9:10], 4.0
	v_mul_f64 v[5:6], v[11:12], 4.0
	v_mul_f64 v[1:2], v[1:2], v[1:2]
	v_fma_f64 v[1:2], v[5:6], v[5:6], v[1:2]
	v_ldexp_f64 v[1:2], v[1:2], -4
.LBB173_151:                            ;   in Loop: Header=BB173_4 Depth=1
	s_or_b64 exec, exec, s[10:11]
	v_frexp_mant_f64_e32 v[5:6], v[1:2]
	s_mov_b32 s31, s89
	v_cmp_gt_f64_e32 vcc, s[88:89], v[5:6]
	v_cndmask_b32_e64 v3, 0, 1, vcc
	v_ldexp_f64 v[5:6], v[5:6], v3
	v_frexp_exp_i32_f64_e32 v3, v[1:2]
	v_add_f64 v[9:10], v[5:6], 1.0
	v_add_f64 v[31:32], v[5:6], -1.0
	v_subbrev_co_u32_e32 v3, vcc, 0, v3, vcc
	v_cmp_class_f64_e64 vcc, v[1:2], s61
	v_rcp_f64_e32 v[13:14], v[9:10]
	v_add_f64 v[47:48], v[9:10], -1.0
	v_add_f64 v[5:6], v[5:6], -v[47:48]
	v_fma_f64 v[29:30], -v[9:10], v[13:14], 1.0
	v_fma_f64 v[13:14], v[29:30], v[13:14], v[13:14]
	v_fma_f64 v[29:30], -v[9:10], v[13:14], 1.0
	v_fma_f64 v[13:14], v[29:30], v[13:14], v[13:14]
	v_mul_f64 v[29:30], v[31:32], v[13:14]
	v_mul_f64 v[49:50], v[9:10], v[29:30]
	v_fma_f64 v[9:10], v[29:30], v[9:10], -v[49:50]
	v_fma_f64 v[5:6], v[29:30], v[5:6], v[9:10]
	v_add_f64 v[9:10], v[49:50], v[5:6]
	v_add_f64 v[47:48], v[31:32], -v[9:10]
	v_add_f64 v[49:50], v[9:10], -v[49:50]
	;; [unrolled: 1-line block ×5, first 2 shown]
	v_add_f64 v[5:6], v[5:6], v[9:10]
	v_add_f64 v[5:6], v[47:48], v[5:6]
	v_mul_f64 v[5:6], v[13:14], v[5:6]
	v_add_f64 v[9:10], v[29:30], v[5:6]
	v_mul_f64 v[13:14], v[9:10], v[9:10]
	v_fma_f64 v[31:32], v[13:14], s[34:35], v[35:36]
	v_mul_f64 v[47:48], v[9:10], v[13:14]
	v_fma_f64 v[31:32], v[13:14], v[31:32], s[36:37]
	v_fma_f64 v[31:32], v[13:14], v[31:32], s[38:39]
	v_fma_f64 v[31:32], v[13:14], v[31:32], s[40:41]
	v_fma_f64 v[31:32], v[13:14], v[31:32], s[42:43]
	v_fma_f64 v[13:14], v[13:14], v[31:32], s[30:31]
	v_ldexp_f64 v[31:32], v[9:10], 1
	v_add_f64 v[9:10], v[9:10], -v[29:30]
	v_mul_f64 v[13:14], v[47:48], v[13:14]
	v_cvt_f64_i32_e32 v[47:48], v3
	v_add_f64 v[5:6], v[5:6], -v[9:10]
	v_mul_f64 v[49:50], v[47:48], s[44:45]
	v_add_f64 v[29:30], v[31:32], v[13:14]
	v_ldexp_f64 v[5:6], v[5:6], 1
	v_add_f64 v[9:10], v[29:30], -v[31:32]
	v_fma_f64 v[31:32], v[47:48], s[44:45], -v[49:50]
	v_add_f64 v[9:10], v[13:14], -v[9:10]
	v_fma_f64 v[13:14], v[47:48], s[46:47], v[31:32]
	v_add_f64 v[5:6], v[5:6], v[9:10]
	v_add_f64 v[9:10], v[49:50], v[13:14]
	v_add_f64 v[31:32], v[29:30], v[5:6]
	v_add_f64 v[49:50], v[9:10], -v[49:50]
	v_add_f64 v[47:48], v[9:10], v[31:32]
	v_add_f64 v[29:30], v[31:32], -v[29:30]
	v_add_f64 v[13:14], v[13:14], -v[49:50]
	;; [unrolled: 1-line block ×6, first 2 shown]
	v_add_f64 v[31:32], v[13:14], v[5:6]
	v_add_f64 v[9:10], v[9:10], -v[53:54]
	v_add_f64 v[9:10], v[29:30], v[9:10]
	v_add_f64 v[29:30], v[31:32], -v[13:14]
	;; [unrolled: 2-line block ×3, first 2 shown]
	v_add_f64 v[5:6], v[5:6], -v[29:30]
	v_add_f64 v[49:50], v[47:48], v[9:10]
	v_add_f64 v[13:14], v[13:14], -v[31:32]
	v_mov_b32_e32 v31, 0
	v_mov_b32_e32 v32, 0x7ff80000
	v_add_f64 v[29:30], v[49:50], -v[47:48]
	v_add_f64 v[5:6], v[5:6], v[13:14]
	v_add_f64 v[9:10], v[9:10], -v[29:30]
	v_add_f64 v[5:6], v[5:6], v[9:10]
	v_add_f64 v[5:6], v[49:50], v[5:6]
	v_cndmask_b32_e32 v3, v5, v1, vcc
	v_cndmask_b32_e32 v5, v6, v2, vcc
	v_cmp_ngt_f64_e32 vcc, 0, v[1:2]
	v_cndmask_b32_e32 v5, v64, v5, vcc
	v_cmp_nge_f64_e32 vcc, 0, v[1:2]
	v_cndmask_b32_e32 v29, 0, v3, vcc
	v_cmp_neq_f64_e32 vcc, 0, v[1:2]
	v_cndmask_b32_e32 v30, v65, v5, vcc
	s_or_b64 exec, exec, s[4:5]
	s_and_saveexec_b64 s[4:5], s[0:1]
	s_xor_b64 s[0:1], exec, s[4:5]
	s_cbranch_execz .LBB173_117
.LBB173_152:                            ;   in Loop: Header=BB173_4 Depth=1
	v_mov_b32_e32 v2, s56
	v_add_co_u32_e32 v1, vcc, s33, v39
	v_bfi_b32 v20, s60, v20, v8
	v_addc_co_u32_e32 v2, vcc, v2, v40, vcc
	global_store_dwordx4 v[1:2], v[17:20], off
	s_or_b64 exec, exec, s[0:1]
	s_and_saveexec_b64 s[0:1], s[2:3]
	s_cbranch_execz .LBB173_118
.LBB173_153:                            ;   in Loop: Header=BB173_4 Depth=1
	v_mov_b32_e32 v2, s56
	v_add_co_u32_e32 v1, vcc, s33, v41
	v_bfi_b32 v24, s60, v24, v4
	v_addc_co_u32_e32 v2, vcc, v2, v42, vcc
	global_store_dwordx4 v[1:2], v[21:24], off
	s_or_b64 exec, exec, s[0:1]
	s_and_saveexec_b64 s[0:1], s[6:7]
	s_cbranch_execz .LBB173_119
.LBB173_154:                            ;   in Loop: Header=BB173_4 Depth=1
	v_mov_b32_e32 v2, s56
	v_add_co_u32_e32 v1, vcc, s33, v43
	v_bfi_b32 v28, s60, v28, v16
	v_addc_co_u32_e32 v2, vcc, v2, v44, vcc
	global_store_dwordx4 v[1:2], v[25:28], off
	s_or_b64 exec, exec, s[0:1]
	s_and_saveexec_b64 s[0:1], s[8:9]
	s_cbranch_execz .LBB173_3
.LBB173_155:                            ;   in Loop: Header=BB173_4 Depth=1
	v_mov_b32_e32 v2, s56
	v_add_co_u32_e32 v1, vcc, s33, v45
	v_bfi_b32 v32, s60, v32, v12
	v_addc_co_u32_e32 v2, vcc, v2, v46, vcc
	global_store_dwordx4 v[1:2], v[29:32], off
	s_branch .LBB173_3
.LBB173_156:
	v_readlane_b32 s2, v78, 2
	v_readlane_b32 s3, v78, 3
	s_cbranch_execz .LBB173_158
	s_branch .LBB173_297
.LBB173_157:
.LBB173_158:
	v_mov_b32_e32 v1, 0x10000
	v_mov_b32_e32 v2, 0
	v_cmp_lt_i64_e32 vcc, s[2:3], v[1:2]
	v_mov_b32_e32 v34, 0
	s_and_b64 s[0:1], vcc, exec
	s_cselect_b32 s9, s3, 0
	s_cselect_b32 s8, s2, 0x10000
	v_lshlrev_b32_e32 v1, 2, v0
	v_mov_b32_e32 v2, v34
	v_cmp_gt_i64_e32 vcc, s[8:9], v[1:2]
	s_and_saveexec_b64 s[0:1], vcc
	s_cbranch_execz .LBB173_297
; %bb.159:
	v_readlane_b32 s0, v78, 0
	v_readlane_b32 s1, v78, 1
	s_load_dword s0, s[0:1], 0xd3c
	v_mov_b32_e32 v58, s56
	s_mov_b32 s18, 0x55555555
	s_mov_b32 s20, 0xbf559e2b
	;; [unrolled: 1-line block ×31, first 2 shown]
	v_mov_b32_e32 v1, v34
	s_mov_b64 s[10:11], 0
	s_brev_b32 s12, -2
	s_waitcnt lgkmcnt(0)
	s_and_b32 s13, s0, 0xffff
	s_mov_b32 s19, 0x3fe55555
	s_mov_b32 s21, 0x3fc3ab76
	;; [unrolled: 1-line block ×31, first 2 shown]
	v_mov_b32_e32 v36, 0x6b47b09a
	v_mov_b32_e32 v37, 0x3fc38538
	;; [unrolled: 1-line block ×11, first 2 shown]
	s_movk_i32 s40, 0x204
	s_brev_b32 s87, 4
	s_mov_b32 s89, 0x400921fb
	s_branch .LBB173_162
.LBB173_160:                            ;   in Loop: Header=BB173_162 Depth=1
	s_or_b64 exec, exec, s[2:3]
	v_frexp_mant_f64_e32 v[6:7], v[2:3]
	s_mov_b32 s31, s19
	v_cmp_gt_f64_e32 vcc, s[18:19], v[6:7]
	v_cndmask_b32_e64 v4, 0, 1, vcc
	v_ldexp_f64 v[6:7], v[6:7], v4
	v_frexp_exp_i32_f64_e32 v4, v[2:3]
	v_add_f64 v[10:11], v[6:7], 1.0
	v_add_f64 v[32:33], v[6:7], -1.0
	v_subbrev_co_u32_e32 v4, vcc, 0, v4, vcc
	v_cmp_class_f64_e64 vcc, v[2:3], s40
	v_rcp_f64_e32 v[14:15], v[10:11]
	v_add_f64 v[42:43], v[10:11], -1.0
	v_add_f64 v[6:7], v[6:7], -v[42:43]
	v_fma_f64 v[30:31], -v[10:11], v[14:15], 1.0
	v_fma_f64 v[14:15], v[30:31], v[14:15], v[14:15]
	v_fma_f64 v[30:31], -v[10:11], v[14:15], 1.0
	v_fma_f64 v[14:15], v[30:31], v[14:15], v[14:15]
	v_mul_f64 v[30:31], v[32:33], v[14:15]
	v_mul_f64 v[44:45], v[10:11], v[30:31]
	v_fma_f64 v[10:11], v[30:31], v[10:11], -v[44:45]
	v_fma_f64 v[6:7], v[30:31], v[6:7], v[10:11]
	v_add_f64 v[10:11], v[44:45], v[6:7]
	v_add_f64 v[42:43], v[32:33], -v[10:11]
	v_add_f64 v[44:45], v[10:11], -v[44:45]
	;; [unrolled: 1-line block ×5, first 2 shown]
	v_add_f64 v[6:7], v[6:7], v[10:11]
	v_add_f64 v[6:7], v[42:43], v[6:7]
	v_mul_f64 v[6:7], v[14:15], v[6:7]
	v_add_f64 v[10:11], v[30:31], v[6:7]
	v_mul_f64 v[14:15], v[10:11], v[10:11]
	v_fma_f64 v[32:33], v[14:15], s[20:21], v[36:37]
	v_mul_f64 v[42:43], v[10:11], v[14:15]
	v_fma_f64 v[32:33], v[14:15], v[32:33], s[22:23]
	v_fma_f64 v[32:33], v[14:15], v[32:33], s[24:25]
	;; [unrolled: 1-line block ×5, first 2 shown]
	v_ldexp_f64 v[32:33], v[10:11], 1
	v_add_f64 v[10:11], v[10:11], -v[30:31]
	v_mul_f64 v[14:15], v[42:43], v[14:15]
	v_cvt_f64_i32_e32 v[42:43], v4
	v_add_f64 v[6:7], v[6:7], -v[10:11]
	v_mul_f64 v[44:45], v[42:43], s[34:35]
	v_add_f64 v[30:31], v[32:33], v[14:15]
	v_ldexp_f64 v[6:7], v[6:7], 1
	v_add_f64 v[10:11], v[30:31], -v[32:33]
	v_fma_f64 v[32:33], v[42:43], s[34:35], -v[44:45]
	v_add_f64 v[10:11], v[14:15], -v[10:11]
	v_fma_f64 v[14:15], v[42:43], s[36:37], v[32:33]
	v_add_f64 v[6:7], v[6:7], v[10:11]
	v_add_f64 v[10:11], v[44:45], v[14:15]
	;; [unrolled: 1-line block ×3, first 2 shown]
	v_add_f64 v[44:45], v[10:11], -v[44:45]
	v_add_f64 v[42:43], v[10:11], v[32:33]
	v_add_f64 v[30:31], v[32:33], -v[30:31]
	v_add_f64 v[14:15], v[14:15], -v[44:45]
	;; [unrolled: 1-line block ×6, first 2 shown]
	v_add_f64 v[32:33], v[14:15], v[6:7]
	v_add_f64 v[10:11], v[10:11], -v[48:49]
	v_add_f64 v[10:11], v[30:31], v[10:11]
	v_add_f64 v[30:31], v[32:33], -v[14:15]
	;; [unrolled: 2-line block ×3, first 2 shown]
	v_add_f64 v[6:7], v[6:7], -v[30:31]
	v_add_f64 v[44:45], v[42:43], v[10:11]
	v_add_f64 v[14:15], v[14:15], -v[32:33]
	v_mov_b32_e32 v32, 0
	v_mov_b32_e32 v33, 0x7ff80000
	v_add_f64 v[30:31], v[44:45], -v[42:43]
	v_add_f64 v[6:7], v[6:7], v[14:15]
	v_add_f64 v[10:11], v[10:11], -v[30:31]
	v_add_f64 v[6:7], v[6:7], v[10:11]
	v_add_f64 v[6:7], v[44:45], v[6:7]
	v_cndmask_b32_e32 v4, v6, v2, vcc
	v_cndmask_b32_e32 v6, v7, v3, vcc
	v_cmp_ngt_f64_e32 vcc, 0, v[2:3]
	v_cndmask_b32_e32 v6, v60, v6, vcc
	v_cmp_nge_f64_e32 vcc, 0, v[2:3]
	v_cndmask_b32_e32 v30, 0, v4, vcc
	v_cmp_neq_f64_e32 vcc, 0, v[2:3]
	v_cndmask_b32_e32 v31, v61, v6, vcc
.LBB173_161:                            ;   in Loop: Header=BB173_162 Depth=1
	s_or_b64 exec, exec, s[0:1]
	v_add_co_u32_e32 v0, vcc, s13, v0
	v_addc_co_u32_e32 v1, vcc, 0, v1, vcc
	v_lshlrev_b64 v[2:3], 2, v[0:1]
	v_bfi_b32 v29, s12, v29, v17
	v_cmp_le_i64_e32 vcc, s[8:9], v[2:3]
	v_bfi_b32 v25, s12, v25, v13
	v_bfi_b32 v21, s12, v21, v5
	;; [unrolled: 1-line block ×3, first 2 shown]
	s_or_b64 s[10:11], vcc, s[10:11]
	global_store_dwordx4 v[40:41], v[18:21], off
	global_store_dwordx4 v[40:41], v[22:25], off offset:16
	global_store_dwordx4 v[40:41], v[26:29], off offset:32
	;; [unrolled: 1-line block ×3, first 2 shown]
	s_andn2_b64 exec, exec, s[10:11]
	s_cbranch_execz .LBB173_297
.LBB173_162:                            ; =>This Loop Header: Depth=1
                                        ;     Child Loop BB173_173 Depth 2
                                        ;     Child Loop BB173_207 Depth 2
	;; [unrolled: 1-line block ×4, first 2 shown]
	v_lshlrev_b64 v[2:3], 6, v[0:1]
                                        ; implicit-def: $vgpr18_vgpr19
	v_add_co_u32_e32 v40, vcc, s33, v2
	v_addc_co_u32_e32 v41, vcc, v58, v3, vcc
	global_load_dwordx4 v[2:5], v[40:41], off
	global_load_dwordx4 v[10:13], v[40:41], off offset:16
	global_load_dwordx4 v[6:9], v[40:41], off offset:48
	;; [unrolled: 1-line block ×3, first 2 shown]
	s_waitcnt vmcnt(3)
	v_cmp_o_f64_e32 vcc, v[2:3], v[4:5]
	s_and_saveexec_b64 s[0:1], vcc
	s_xor_b64 s[90:91], exec, s[0:1]
	s_cbranch_execz .LBB173_190
; %bb.163:                              ;   in Loop: Header=BB173_162 Depth=1
	v_cmp_lt_f64_e64 s[0:1], |v[2:3]|, |v[4:5]|
	v_and_b32_e32 v20, 0x7fffffff, v3
	v_and_b32_e32 v21, 0x7fffffff, v5
	s_mov_b32 s2, 0x85ebc8a0
	s_mov_b32 s3, 0x7fd1ccf3
	v_mov_b32_e32 v24, v4
                                        ; implicit-def: $vgpr18_vgpr19
	v_cndmask_b32_e64 v23, v21, v20, s[0:1]
	v_cndmask_b32_e64 v22, v4, v2, s[0:1]
	v_cmp_nlt_f64_e32 vcc, s[2:3], v[22:23]
	s_and_saveexec_b64 s[2:3], vcc
	s_xor_b64 s[92:93], exec, s[2:3]
	s_cbranch_execz .LBB173_187
; %bb.164:                              ;   in Loop: Header=BB173_162 Depth=1
	v_cndmask_b32_e64 v25, v20, v21, s[0:1]
	v_cndmask_b32_e64 v24, v2, v24, s[0:1]
	v_cmp_neq_f64_e32 vcc, 1.0, v[24:25]
                                        ; implicit-def: $vgpr18_vgpr19
	s_and_saveexec_b64 s[2:3], vcc
	s_xor_b64 s[94:95], exec, s[2:3]
	s_cbranch_execz .LBB173_180
; %bb.165:                              ;   in Loop: Header=BB173_162 Depth=1
	v_max_f64 v[18:19], v[22:23], v[22:23]
	v_max_f64 v[20:21], v[24:25], v[24:25]
	s_mov_b32 s2, 0x4ad4b81f
	s_mov_b32 s3, 0x358dee7a
	v_min_f64 v[26:27], v[20:21], v[18:19]
	v_max_f64 v[18:19], v[20:21], v[18:19]
	v_cmp_ngt_f64_e32 vcc, s[2:3], v[26:27]
	s_mov_b32 s2, 0xc57e649a
	s_mov_b32 s3, 0x4a511b0e
	v_cmp_nlt_f64_e64 s[2:3], s[2:3], v[18:19]
                                        ; implicit-def: $vgpr18_vgpr19
	s_and_b64 s[2:3], s[2:3], vcc
	s_and_saveexec_b64 s[4:5], s[2:3]
	s_xor_b64 s[80:81], exec, s[4:5]
	s_cbranch_execz .LBB173_177
; %bb.166:                              ;   in Loop: Header=BB173_162 Depth=1
	v_cmp_le_f64_e32 vcc, 1.0, v[24:25]
                                        ; implicit-def: $vgpr18_vgpr19
	s_and_saveexec_b64 s[2:3], vcc
	s_xor_b64 s[14:15], exec, s[2:3]
	s_cbranch_execz .LBB173_168
; %bb.167:                              ;   in Loop: Header=BB173_162 Depth=1
	v_add_f64 v[18:19], v[24:25], -1.0
	v_add_f64 v[20:21], v[24:25], 1.0
	s_mov_b32 s31, s19
	s_mov_b32 s88, s78
	v_cmp_class_f64_e64 s[38:39], v[2:3], s40
	v_mul_f64 v[18:19], v[18:19], v[20:21]
	v_fma_f64 v[19:20], v[22:23], v[22:23], v[18:19]
	v_add_f64 v[21:22], v[19:20], 1.0
	v_cmp_nge_f64_e64 s[4:5], -1.0, v[19:20]
	v_cmp_neq_f64_e64 s[6:7], s[82:83], v[19:20]
	v_frexp_mant_f64_e32 v[25:26], v[21:22]
	v_frexp_exp_i32_f64_e32 v18, v[21:22]
	v_add_f64 v[23:24], v[21:22], -1.0
	v_cmp_gt_f64_e32 vcc, s[18:19], v[25:26]
	v_add_f64 v[27:28], v[23:24], -v[21:22]
	v_add_f64 v[23:24], v[19:20], -v[23:24]
	v_subbrev_co_u32_e32 v18, vcc, 0, v18, vcc
	v_sub_u32_e32 v29, 0, v18
	v_ldexp_f64 v[21:22], v[21:22], v29
	v_add_f64 v[25:26], v[27:28], 1.0
	v_add_f64 v[27:28], v[21:22], 1.0
	v_add_f64 v[23:24], v[23:24], v[25:26]
	v_add_f64 v[42:43], v[21:22], -1.0
	v_add_f64 v[25:26], v[27:28], -1.0
	v_ldexp_f64 v[23:24], v[23:24], v29
	v_add_f64 v[44:45], v[42:43], 1.0
	v_add_f64 v[25:26], v[21:22], -v[25:26]
	v_add_f64 v[21:22], v[21:22], -v[44:45]
	v_add_f64 v[29:30], v[23:24], v[25:26]
	v_add_f64 v[44:45], v[23:24], v[21:22]
	;; [unrolled: 1-line block ×3, first 2 shown]
	v_rcp_f64_e32 v[31:32], v[25:26]
	v_add_f64 v[27:28], v[25:26], -v[27:28]
	v_add_f64 v[29:30], v[29:30], -v[27:28]
	v_fma_f64 v[46:47], -v[25:26], v[31:32], 1.0
	v_fma_f64 v[31:32], v[46:47], v[31:32], v[31:32]
	v_add_f64 v[46:47], v[42:43], v[44:45]
	v_fma_f64 v[21:22], -v[25:26], v[31:32], 1.0
	v_add_f64 v[42:43], v[46:47], -v[42:43]
	v_fma_f64 v[21:22], v[21:22], v[31:32], v[31:32]
	v_add_f64 v[42:43], v[44:45], -v[42:43]
	v_mul_f64 v[23:24], v[46:47], v[21:22]
	v_mul_f64 v[31:32], v[25:26], v[23:24]
	v_fma_f64 v[27:28], v[23:24], v[25:26], -v[31:32]
	v_fma_f64 v[48:49], v[23:24], v[29:30], v[27:28]
	v_add_f64 v[50:51], v[31:32], v[48:49]
	v_add_f64 v[27:28], v[46:47], -v[50:51]
	v_add_f64 v[31:32], v[50:51], -v[31:32]
	;; [unrolled: 1-line block ×5, first 2 shown]
	v_add_f64 v[42:43], v[42:43], v[44:45]
	v_max_f64 v[44:45], |v[2:3]|, |v[2:3]|
	v_ashrrev_i32_e32 v2, 31, v3
	v_add_f64 v[31:32], v[31:32], v[42:43]
	v_max_f64 v[42:43], |v[4:5]|, |v[4:5]|
	v_add_f64 v[46:47], v[27:28], v[31:32]
	v_max_f64 v[48:49], v[44:45], v[42:43]
	v_min_f64 v[42:43], v[44:45], v[42:43]
	v_mul_f64 v[44:45], v[21:22], v[46:47]
	v_add_f64 v[27:28], v[27:28], -v[46:47]
	v_div_scale_f64 v[50:51], s[2:3], v[48:49], v[48:49], v[42:43]
	v_cmp_eq_f64_e64 s[2:3], 0, v[4:5]
	v_mul_f64 v[52:53], v[25:26], v[44:45]
	v_add_f64 v[27:28], v[31:32], v[27:28]
	v_fma_f64 v[25:26], v[44:45], v[25:26], -v[52:53]
	v_rcp_f64_e32 v[54:55], v[50:51]
	v_fma_f64 v[25:26], v[44:45], v[29:30], v[25:26]
	v_add_f64 v[29:30], v[52:53], v[25:26]
	v_fma_f64 v[56:57], -v[50:51], v[54:55], 1.0
	v_add_f64 v[66:67], v[46:47], -v[29:30]
	v_add_f64 v[31:32], v[29:30], -v[52:53]
	v_fma_f64 v[54:55], v[54:55], v[56:57], v[54:55]
	v_div_scale_f64 v[56:57], vcc, v[42:43], v[48:49], v[42:43]
	v_add_f64 v[46:47], v[46:47], -v[66:67]
	v_add_f64 v[25:26], v[31:32], -v[25:26]
	v_fma_f64 v[68:69], -v[50:51], v[54:55], 1.0
	v_add_f64 v[31:32], v[23:24], v[44:45]
	v_add_f64 v[29:30], v[46:47], -v[29:30]
	v_fma_f64 v[46:47], v[54:55], v[68:69], v[54:55]
	v_add_f64 v[23:24], v[31:32], -v[23:24]
	v_add_f64 v[27:28], v[27:28], v[29:30]
	v_mul_f64 v[29:30], v[56:57], v[46:47]
	v_add_f64 v[23:24], v[44:45], -v[23:24]
	v_add_f64 v[25:26], v[25:26], v[27:28]
	v_fma_f64 v[27:28], -v[50:51], v[29:30], v[56:57]
	v_add_f64 v[25:26], v[66:67], v[25:26]
	v_div_fmas_f64 v[27:28], v[27:28], v[46:47], v[29:30]
	v_cmp_gt_i32_e32 vcc, 0, v3
	v_mul_f64 v[21:22], v[21:22], v[25:26]
	v_add_f64 v[21:22], v[23:24], v[21:22]
	v_div_fixup_f64 v[23:24], v[27:28], v[48:49], v[42:43]
	v_add_f64 v[25:26], v[31:32], v[21:22]
	v_mul_f64 v[27:28], v[23:24], v[23:24]
	v_mul_f64 v[29:30], v[25:26], v[25:26]
	v_fma_f64 v[42:43], v[27:28], s[16:17], v[38:39]
	v_cmp_class_f64_e64 s[16:17], v[4:5], s40
	v_fma_f64 v[44:45], v[29:30], s[20:21], v[36:37]
	v_mul_f64 v[46:47], v[25:26], v[29:30]
	v_fma_f64 v[42:43], v[27:28], v[42:43], s[42:43]
	v_fma_f64 v[44:45], v[29:30], v[44:45], s[22:23]
	;; [unrolled: 1-line block ×10, first 2 shown]
	v_ldexp_f64 v[44:45], v[25:26], 1
	v_fma_f64 v[42:43], v[27:28], v[42:43], s[52:53]
	v_add_f64 v[25:26], v[25:26], -v[31:32]
	v_mul_f64 v[29:30], v[46:47], v[29:30]
	v_cvt_f64_i32_e32 v[46:47], v18
	v_fma_f64 v[42:43], v[27:28], v[42:43], s[54:55]
	v_add_f64 v[21:22], v[21:22], -v[25:26]
	v_cndmask_b32_e32 v18, v64, v65, vcc
	v_mul_f64 v[48:49], v[46:47], s[34:35]
	v_bfi_b32 v18, s12, v18, v5
	v_add_f64 v[31:32], v[44:45], v[29:30]
	v_fma_f64 v[42:43], v[27:28], v[42:43], s[56:57]
	v_ldexp_f64 v[21:22], v[21:22], 1
	v_add_f64 v[25:26], v[31:32], -v[44:45]
	v_fma_f64 v[44:45], v[46:47], s[34:35], -v[48:49]
	v_fma_f64 v[42:43], v[27:28], v[42:43], s[58:59]
	v_add_f64 v[25:26], v[29:30], -v[25:26]
	v_fma_f64 v[29:30], v[27:28], v[42:43], s[60:61]
	v_fma_f64 v[42:43], v[46:47], s[36:37], v[44:45]
	v_add_f64 v[21:22], v[21:22], v[25:26]
	v_fma_f64 v[25:26], v[27:28], v[29:30], s[62:63]
	v_add_f64 v[29:30], v[48:49], v[42:43]
	v_add_f64 v[44:45], v[31:32], v[21:22]
	v_fma_f64 v[25:26], v[27:28], v[25:26], s[64:65]
	v_add_f64 v[48:49], v[29:30], -v[48:49]
	v_add_f64 v[46:47], v[29:30], v[44:45]
	v_add_f64 v[31:32], v[44:45], -v[31:32]
	v_fma_f64 v[25:26], v[27:28], v[25:26], s[66:67]
	v_add_f64 v[42:43], v[42:43], -v[48:49]
	v_add_f64 v[50:51], v[46:47], -v[29:30]
	;; [unrolled: 1-line block ×3, first 2 shown]
	v_fma_f64 v[25:26], v[27:28], v[25:26], s[68:69]
	v_add_f64 v[52:53], v[46:47], -v[50:51]
	v_add_f64 v[31:32], v[44:45], -v[50:51]
	v_fma_f64 v[25:26], v[27:28], v[25:26], s[70:71]
	v_add_f64 v[44:45], v[42:43], v[21:22]
	v_add_f64 v[29:30], v[29:30], -v[52:53]
	v_fma_f64 v[25:26], v[27:28], v[25:26], s[72:73]
	v_add_f64 v[29:30], v[31:32], v[29:30]
	;; [unrolled: 3-line block ×3, first 2 shown]
	v_add_f64 v[44:45], v[44:45], -v[31:32]
	v_fma_f64 v[25:26], v[27:28], v[25:26], s[76:77]
	v_add_f64 v[21:22], v[21:22], -v[31:32]
	v_add_f64 v[48:49], v[46:47], v[29:30]
	v_mul_f64 v[25:26], v[27:28], v[25:26]
	v_add_f64 v[27:28], v[42:43], -v[44:45]
	v_add_f64 v[31:32], v[48:49], -v[46:47]
	v_fma_f64 v[23:24], v[23:24], v[25:26], v[23:24]
	v_add_f64 v[21:22], v[21:22], v[27:28]
	v_add_f64 v[25:26], v[29:30], -v[31:32]
	v_add_f64 v[27:28], -v[23:24], s[78:79]
	v_add_f64 v[21:22], v[21:22], v[25:26]
	v_cndmask_b32_e64 v24, v24, v28, s[0:1]
	v_cndmask_b32_e64 v23, v23, v27, s[0:1]
	v_add_f64 v[25:26], -v[23:24], s[88:89]
	v_and_b32_e32 v28, 0x54442d18, v2
	v_cndmask_b32_e32 v27, v62, v63, vcc
	v_add_f64 v[21:22], v[48:49], v[21:22]
	v_cndmask_b32_e32 v23, v23, v25, vcc
	v_and_b32_e32 v25, 0x400921fb, v2
	v_mul_f64 v[2:3], v[21:22], 0.5
	v_cndmask_b32_e32 v21, v24, v26, vcc
	v_cndmask_b32_e64 v22, v23, v28, s[2:3]
	v_cndmask_b32_e64 v21, v21, v25, s[2:3]
	s_and_b64 vcc, s[38:39], s[16:17]
	s_and_b64 s[2:3], s[4:5], s[6:7]
	v_cndmask_b32_e32 v21, v21, v18, vcc
	s_mov_b32 s16, 0xb5e68a13
	v_cndmask_b32_e64 v18, 0, v2, s[2:3]
	v_cmp_ngt_f64_e64 s[2:3], -1.0, v[19:20]
	v_cndmask_b32_e64 v3, v59, v3, s[6:7]
	s_mov_b32 s17, 0x3eeba404
                                        ; implicit-def: $vgpr24_vgpr25
	v_cndmask_b32_e64 v2, v60, v3, s[2:3]
	v_cmp_neq_f64_e64 s[2:3], -1.0, v[19:20]
	v_cndmask_b32_e32 v20, v22, v27, vcc
                                        ; implicit-def: $vgpr22_vgpr23
	v_cndmask_b32_e64 v19, v61, v2, s[2:3]
.LBB173_168:                            ;   in Loop: Header=BB173_162 Depth=1
	s_andn2_saveexec_b64 s[38:39], s[14:15]
	s_cbranch_execz .LBB173_176
; %bb.169:                              ;   in Loop: Header=BB173_162 Depth=1
	v_mul_f64 v[18:19], v[22:23], v[22:23]
	s_mov_b32 s2, 0x66666666
	s_mov_b32 s3, 0x3fe66666
	v_fma_f64 v[20:21], v[24:25], v[24:25], v[18:19]
                                        ; implicit-def: $vgpr18_vgpr19
	v_cmp_ge_f64_e32 vcc, s[2:3], v[20:21]
	s_and_saveexec_b64 s[2:3], vcc
	s_xor_b64 s[6:7], exec, s[2:3]
	s_cbranch_execz .LBB173_171
; %bb.170:                              ;   in Loop: Header=BB173_162 Depth=1
	v_frexp_mant_f64_e32 v[18:19], v[20:21]
	v_max_f64 v[28:29], |v[4:5]|, |v[4:5]|
	v_max_f64 v[30:31], |v[2:3]|, |v[2:3]|
	s_mov_b32 s31, s19
	v_frexp_exp_i32_f64_e32 v35, v[20:21]
	s_mov_b32 s88, s78
	v_cmp_class_f64_e64 s[14:15], v[4:5], s40
	v_cmp_gt_f64_e64 s[2:3], s[18:19], v[18:19]
	v_cndmask_b32_e64 v22, 0, 1, s[2:3]
	v_ldexp_f64 v[18:19], v[18:19], v22
	v_add_f64 v[22:23], v[18:19], 1.0
	v_add_f64 v[42:43], v[18:19], -1.0
	v_rcp_f64_e32 v[24:25], v[22:23]
	v_add_f64 v[46:47], v[22:23], -1.0
	v_add_f64 v[18:19], v[18:19], -v[46:47]
	v_fma_f64 v[26:27], -v[22:23], v[24:25], 1.0
	v_fma_f64 v[24:25], v[26:27], v[24:25], v[24:25]
	v_max_f64 v[26:27], v[30:31], v[28:29]
	v_min_f64 v[28:29], v[30:31], v[28:29]
	v_fma_f64 v[30:31], -v[22:23], v[24:25], 1.0
	v_div_scale_f64 v[32:33], s[4:5], v[26:27], v[26:27], v[28:29]
	v_cmp_neq_f64_e64 s[4:5], 0, v[20:21]
	v_fma_f64 v[24:25], v[30:31], v[24:25], v[24:25]
	v_mul_f64 v[30:31], v[42:43], v[24:25]
	v_rcp_f64_e32 v[44:45], v[32:33]
	v_mul_f64 v[48:49], v[22:23], v[30:31]
	v_fma_f64 v[22:23], v[30:31], v[22:23], -v[48:49]
	v_fma_f64 v[46:47], -v[32:33], v[44:45], 1.0
	v_fma_f64 v[18:19], v[30:31], v[18:19], v[22:23]
	v_fma_f64 v[22:23], v[44:45], v[46:47], v[44:45]
	v_div_scale_f64 v[46:47], vcc, v[28:29], v[26:27], v[28:29]
	v_add_f64 v[44:45], v[48:49], v[18:19]
	v_fma_f64 v[50:51], -v[32:33], v[22:23], 1.0
	v_add_f64 v[52:53], v[42:43], -v[44:45]
	v_add_f64 v[48:49], v[44:45], -v[48:49]
	v_fma_f64 v[22:23], v[22:23], v[50:51], v[22:23]
	v_add_f64 v[42:43], v[42:43], -v[52:53]
	v_add_f64 v[18:19], v[48:49], -v[18:19]
	v_mul_f64 v[50:51], v[46:47], v[22:23]
	v_add_f64 v[42:43], v[42:43], -v[44:45]
	v_fma_f64 v[32:33], -v[32:33], v[50:51], v[46:47]
	v_add_f64 v[18:19], v[18:19], v[42:43]
	v_div_fmas_f64 v[22:23], v[32:33], v[22:23], v[50:51]
	v_subbrev_co_u32_e64 v35, vcc, 0, v35, s[2:3]
	v_cmp_eq_f64_e64 s[2:3], 0, v[4:5]
	v_cmp_gt_i32_e32 vcc, 0, v3
	v_add_f64 v[18:19], v[52:53], v[18:19]
	v_mul_f64 v[18:19], v[24:25], v[18:19]
	v_div_fixup_f64 v[22:23], v[22:23], v[26:27], v[28:29]
	v_add_f64 v[24:25], v[30:31], v[18:19]
	v_mul_f64 v[26:27], v[22:23], v[22:23]
	v_mul_f64 v[28:29], v[24:25], v[24:25]
	v_fma_f64 v[32:33], v[26:27], s[16:17], v[38:39]
	v_cmp_class_f64_e64 s[16:17], v[2:3], s40
	v_ashrrev_i32_e32 v2, 31, v3
	v_fma_f64 v[42:43], v[28:29], s[20:21], v[36:37]
	v_mul_f64 v[44:45], v[24:25], v[28:29]
	v_fma_f64 v[32:33], v[26:27], v[32:33], s[42:43]
	v_fma_f64 v[42:43], v[28:29], v[42:43], s[22:23]
	;; [unrolled: 1-line block ×10, first 2 shown]
	v_ldexp_f64 v[42:43], v[24:25], 1
	v_fma_f64 v[32:33], v[26:27], v[32:33], s[52:53]
	v_add_f64 v[24:25], v[24:25], -v[30:31]
	v_mul_f64 v[28:29], v[44:45], v[28:29]
	v_cvt_f64_i32_e32 v[44:45], v35
	v_fma_f64 v[32:33], v[26:27], v[32:33], s[54:55]
	v_add_f64 v[18:19], v[18:19], -v[24:25]
	v_mul_f64 v[46:47], v[44:45], s[34:35]
	v_add_f64 v[30:31], v[42:43], v[28:29]
	v_fma_f64 v[32:33], v[26:27], v[32:33], s[56:57]
	v_ldexp_f64 v[18:19], v[18:19], 1
	v_add_f64 v[24:25], v[30:31], -v[42:43]
	v_fma_f64 v[42:43], v[44:45], s[34:35], -v[46:47]
	v_fma_f64 v[32:33], v[26:27], v[32:33], s[58:59]
	v_add_f64 v[24:25], v[28:29], -v[24:25]
	v_fma_f64 v[28:29], v[26:27], v[32:33], s[60:61]
	v_fma_f64 v[32:33], v[44:45], s[36:37], v[42:43]
	v_add_f64 v[18:19], v[18:19], v[24:25]
	v_fma_f64 v[24:25], v[26:27], v[28:29], s[62:63]
	v_add_f64 v[28:29], v[46:47], v[32:33]
	v_add_f64 v[42:43], v[30:31], v[18:19]
	v_fma_f64 v[24:25], v[26:27], v[24:25], s[64:65]
	v_add_f64 v[46:47], v[28:29], -v[46:47]
	v_add_f64 v[44:45], v[28:29], v[42:43]
	v_add_f64 v[30:31], v[42:43], -v[30:31]
	v_fma_f64 v[24:25], v[26:27], v[24:25], s[66:67]
	v_add_f64 v[32:33], v[32:33], -v[46:47]
	v_add_f64 v[48:49], v[44:45], -v[28:29]
	;; [unrolled: 1-line block ×3, first 2 shown]
	v_fma_f64 v[24:25], v[26:27], v[24:25], s[68:69]
	v_add_f64 v[50:51], v[44:45], -v[48:49]
	v_add_f64 v[30:31], v[42:43], -v[48:49]
	v_fma_f64 v[24:25], v[26:27], v[24:25], s[70:71]
	v_add_f64 v[42:43], v[32:33], v[18:19]
	v_add_f64 v[28:29], v[28:29], -v[50:51]
	v_fma_f64 v[24:25], v[26:27], v[24:25], s[72:73]
	v_add_f64 v[28:29], v[30:31], v[28:29]
	;; [unrolled: 3-line block ×3, first 2 shown]
	v_add_f64 v[42:43], v[42:43], -v[30:31]
	v_fma_f64 v[24:25], v[26:27], v[24:25], s[76:77]
	v_add_f64 v[18:19], v[18:19], -v[30:31]
	v_add_f64 v[46:47], v[44:45], v[28:29]
	v_mul_f64 v[24:25], v[26:27], v[24:25]
	v_add_f64 v[26:27], v[32:33], -v[42:43]
	v_add_f64 v[30:31], v[46:47], -v[44:45]
	v_fma_f64 v[22:23], v[22:23], v[24:25], v[22:23]
	v_add_f64 v[18:19], v[18:19], v[26:27]
	v_add_f64 v[24:25], v[28:29], -v[30:31]
	v_and_b32_e32 v28, 0x400921fb, v2
	v_add_f64 v[26:27], -v[22:23], s[78:79]
	v_add_f64 v[18:19], v[18:19], v[24:25]
	v_cndmask_b32_e64 v23, v23, v27, s[0:1]
	v_cndmask_b32_e64 v22, v22, v26, s[0:1]
	v_add_f64 v[24:25], -v[22:23], s[88:89]
	v_and_b32_e32 v27, 0x54442d18, v2
	v_cndmask_b32_e32 v26, v62, v63, vcc
	v_add_f64 v[18:19], v[46:47], v[18:19]
	v_cndmask_b32_e32 v22, v22, v24, vcc
	v_cndmask_b32_e32 v24, v64, v65, vcc
	v_cndmask_b32_e64 v20, v22, v27, s[2:3]
	v_mul_f64 v[2:3], v[18:19], 0.5
	v_cndmask_b32_e32 v19, v23, v25, vcc
	v_bfi_b32 v18, s12, v24, v5
	v_cndmask_b32_e64 v19, v19, v28, s[2:3]
	s_and_b64 vcc, s[16:17], s[14:15]
	s_mov_b32 s16, 0xb5e68a13
	s_mov_b32 s17, 0x3eeba404
	v_cndmask_b32_e32 v21, v19, v18, vcc
	v_cndmask_b32_e64 v19, v61, v3, s[4:5]
	v_cndmask_b32_e64 v18, 0, v2, s[4:5]
	v_cndmask_b32_e32 v20, v20, v26, vcc
                                        ; implicit-def: $vgpr24_vgpr25
                                        ; implicit-def: $vgpr22_vgpr23
.LBB173_171:                            ;   in Loop: Header=BB173_162 Depth=1
	s_andn2_saveexec_b64 s[14:15], s[6:7]
	s_cbranch_execz .LBB173_175
; %bb.172:                              ;   in Loop: Header=BB173_162 Depth=1
	v_and_b32_e32 v35, 0x7ffffff8, v25
	v_and_b32_e32 v21, 0x7ffffff8, v23
	v_mov_b32_e32 v20, v34
	v_add_f64 v[18:19], v[24:25], -v[34:35]
	v_add_f64 v[22:23], v[22:23], -v[20:21]
	v_mov_b32_e32 v26, v34
	v_mov_b32_e32 v42, v34
	v_add_f64 v[30:31], v[34:35], v[34:35]
	v_add_f64 v[32:33], v[20:21], v[20:21]
	v_mul_f64 v[20:21], v[20:21], v[20:21]
	s_mov_b64 s[16:17], 0
	v_and_b32_e32 v27, -8, v19
	v_and_b32_e32 v43, -8, v23
	v_add_f64 v[48:49], v[18:19], -v[26:27]
	v_add_f64 v[50:51], v[22:23], -v[42:43]
	v_add_f64 v[52:53], v[26:27], v[26:27]
	v_add_f64 v[54:55], v[42:43], v[42:43]
	v_mul_f64 v[18:19], v[34:35], v[34:35]
	v_mul_f64 v[24:25], v[30:31], v[26:27]
	;; [unrolled: 1-line block ×11, first 2 shown]
.LBB173_173:                            ;   Parent Loop BB173_162 Depth=1
                                        ; =>  This Inner Loop Header: Depth=2
	v_cmp_nlt_f64_e32 vcc, v[18:19], v[20:21]
	v_cndmask_b32_e32 v51, v19, v21, vcc
	v_cndmask_b32_e32 v50, v18, v20, vcc
	v_cmp_nlt_f64_e64 s[2:3], v[50:51], v[24:25]
	v_cndmask_b32_e32 v19, v21, v19, vcc
	v_cndmask_b32_e32 v18, v20, v18, vcc
	v_cndmask_b32_e64 v53, v51, v25, s[2:3]
	v_cndmask_b32_e64 v52, v50, v24, s[2:3]
	v_cmp_nlt_f64_e64 s[4:5], v[52:53], v[22:23]
	v_cndmask_b32_e64 v21, v25, v51, s[2:3]
	v_cndmask_b32_e64 v20, v24, v50, s[2:3]
	s_and_b64 s[82:83], vcc, s[2:3]
	v_cndmask_b32_e64 v55, v53, v23, s[4:5]
	v_cndmask_b32_e64 v54, v52, v22, s[4:5]
	v_cmp_nlt_f64_e64 s[6:7], v[54:55], v[28:29]
	v_cndmask_b32_e64 v25, v23, v53, s[4:5]
	v_cndmask_b32_e64 v24, v22, v52, s[4:5]
	;; [unrolled: 1-line block ×4, first 2 shown]
	v_cmp_nlt_f64_e32 vcc, v[50:51], v[42:43]
	v_cndmask_b32_e64 v23, v29, v55, s[6:7]
	v_cndmask_b32_e64 v22, v28, v54, s[6:7]
	s_and_b64 s[6:7], s[4:5], s[6:7]
	v_cndmask_b32_e32 v53, v51, v43, vcc
	v_cndmask_b32_e32 v52, v50, v42, vcc
	v_cmp_nlt_f64_e64 s[2:3], v[52:53], v[46:47]
	v_cndmask_b32_e32 v29, v43, v51, vcc
	v_cndmask_b32_e32 v28, v42, v50, vcc
	v_cndmask_b32_e64 v51, v53, v47, s[2:3]
	v_cndmask_b32_e64 v50, v52, v46, s[2:3]
	v_cmp_nlt_f64_e64 s[4:5], v[50:51], v[44:45]
	v_cndmask_b32_e64 v43, v47, v53, s[2:3]
	v_cndmask_b32_e64 v42, v46, v52, s[2:3]
	s_and_b64 s[2:3], vcc, s[2:3]
	v_cndmask_b32_e64 v53, v51, v45, s[4:5]
	v_cndmask_b32_e64 v52, v50, v44, s[4:5]
	v_cmp_nlt_f64_e32 vcc, v[52:53], v[32:33]
	v_cndmask_b32_e64 v47, v45, v51, s[4:5]
	v_cndmask_b32_e64 v46, v44, v50, s[4:5]
	s_and_b64 s[4:5], s[2:3], s[4:5]
	v_cndmask_b32_e32 v51, v53, v33, vcc
	v_cndmask_b32_e32 v50, v52, v32, vcc
	v_cmp_nlt_f64_e64 s[2:3], v[50:51], v[30:31]
	v_cndmask_b32_e32 v45, v33, v53, vcc
	v_cndmask_b32_e32 v44, v32, v52, vcc
	s_and_b64 s[4:5], s[4:5], vcc
	v_cndmask_b32_e64 v53, v51, v31, s[2:3]
	v_cndmask_b32_e64 v52, v50, v30, s[2:3]
	v_cmp_nlt_f64_e32 vcc, v[52:53], v[26:27]
	v_cndmask_b32_e64 v33, v31, v51, s[2:3]
	v_cndmask_b32_e64 v32, v30, v50, s[2:3]
	s_and_b64 s[4:5], s[4:5], s[2:3]
	v_cndmask_b32_e32 v55, v53, v27, vcc
	v_cndmask_b32_e32 v54, v52, v26, vcc
	v_cmp_nlt_f64_e64 s[2:3], v[54:55], v[48:49]
	s_and_b64 s[4:5], s[4:5], vcc
	v_cndmask_b32_e32 v31, v27, v53, vcc
	v_cndmask_b32_e32 v30, v26, v52, vcc
	v_cndmask_b32_e64 v51, v55, v49, s[2:3]
	v_cndmask_b32_e64 v50, v54, v48, s[2:3]
	;; [unrolled: 1-line block ×4, first 2 shown]
	s_and_b64 s[2:3], s[4:5], s[2:3]
	s_and_b64 s[2:3], s[2:3], s[6:7]
	;; [unrolled: 1-line block ×3, first 2 shown]
	s_and_b64 s[2:3], exec, s[2:3]
	v_mov_b32_e32 v48, v50
	s_or_b64 s[16:17], s[2:3], s[16:17]
	v_mov_b32_e32 v49, v51
	s_andn2_b64 exec, exec, s[16:17]
	s_cbranch_execnz .LBB173_173
; %bb.174:                              ;   in Loop: Header=BB173_162 Depth=1
	s_or_b64 exec, exec, s[16:17]
	v_add_f64 v[18:19], v[18:19], -1.0
	s_mov_b32 s31, s19
	s_mov_b32 s88, s78
	;; [unrolled: 1-line block ×4, first 2 shown]
	v_cmp_class_f64_e64 s[16:17], v[4:5], s40
	v_cmp_class_f64_e64 s[82:83], v[2:3], s40
	v_add_f64 v[18:19], v[18:19], v[20:21]
	v_add_f64 v[18:19], v[18:19], v[24:25]
	;; [unrolled: 1-line block ×11, first 2 shown]
	v_add_f64 v[21:22], v[19:20], 1.0
	v_cmp_nge_f64_e64 s[4:5], -1.0, v[19:20]
	v_cmp_neq_f64_e64 s[6:7], s[6:7], v[19:20]
	v_frexp_mant_f64_e32 v[25:26], v[21:22]
	v_frexp_exp_i32_f64_e32 v18, v[21:22]
	v_add_f64 v[23:24], v[21:22], -1.0
	v_cmp_gt_f64_e32 vcc, s[18:19], v[25:26]
	v_add_f64 v[27:28], v[23:24], -v[21:22]
	v_add_f64 v[23:24], v[19:20], -v[23:24]
	v_subbrev_co_u32_e32 v18, vcc, 0, v18, vcc
	v_sub_u32_e32 v29, 0, v18
	v_ldexp_f64 v[21:22], v[21:22], v29
	v_add_f64 v[25:26], v[27:28], 1.0
	v_add_f64 v[27:28], v[21:22], 1.0
	v_add_f64 v[23:24], v[23:24], v[25:26]
	v_add_f64 v[42:43], v[21:22], -1.0
	v_add_f64 v[25:26], v[27:28], -1.0
	v_ldexp_f64 v[23:24], v[23:24], v29
	v_add_f64 v[44:45], v[42:43], 1.0
	v_add_f64 v[25:26], v[21:22], -v[25:26]
	v_add_f64 v[21:22], v[21:22], -v[44:45]
	v_add_f64 v[29:30], v[23:24], v[25:26]
	v_add_f64 v[44:45], v[23:24], v[21:22]
	;; [unrolled: 1-line block ×3, first 2 shown]
	v_rcp_f64_e32 v[31:32], v[25:26]
	v_add_f64 v[27:28], v[25:26], -v[27:28]
	v_add_f64 v[29:30], v[29:30], -v[27:28]
	v_fma_f64 v[46:47], -v[25:26], v[31:32], 1.0
	v_fma_f64 v[31:32], v[46:47], v[31:32], v[31:32]
	v_add_f64 v[46:47], v[42:43], v[44:45]
	v_fma_f64 v[21:22], -v[25:26], v[31:32], 1.0
	v_add_f64 v[42:43], v[46:47], -v[42:43]
	v_fma_f64 v[21:22], v[21:22], v[31:32], v[31:32]
	v_add_f64 v[42:43], v[44:45], -v[42:43]
	v_mul_f64 v[23:24], v[46:47], v[21:22]
	v_mul_f64 v[31:32], v[25:26], v[23:24]
	v_fma_f64 v[27:28], v[23:24], v[25:26], -v[31:32]
	v_fma_f64 v[48:49], v[23:24], v[29:30], v[27:28]
	v_add_f64 v[50:51], v[31:32], v[48:49]
	v_add_f64 v[27:28], v[46:47], -v[50:51]
	v_add_f64 v[31:32], v[50:51], -v[31:32]
	;; [unrolled: 1-line block ×5, first 2 shown]
	v_add_f64 v[42:43], v[42:43], v[44:45]
	v_max_f64 v[44:45], |v[2:3]|, |v[2:3]|
	v_ashrrev_i32_e32 v2, 31, v3
	v_add_f64 v[31:32], v[31:32], v[42:43]
	v_max_f64 v[42:43], |v[4:5]|, |v[4:5]|
	v_add_f64 v[46:47], v[27:28], v[31:32]
	v_max_f64 v[48:49], v[44:45], v[42:43]
	v_min_f64 v[42:43], v[44:45], v[42:43]
	v_mul_f64 v[44:45], v[21:22], v[46:47]
	v_add_f64 v[27:28], v[27:28], -v[46:47]
	v_div_scale_f64 v[50:51], s[2:3], v[48:49], v[48:49], v[42:43]
	s_mov_b32 s2, 0xb5e68a13
	s_mov_b32 s3, 0x3eeba404
	v_mul_f64 v[52:53], v[25:26], v[44:45]
	v_add_f64 v[27:28], v[31:32], v[27:28]
	v_fma_f64 v[25:26], v[44:45], v[25:26], -v[52:53]
	v_rcp_f64_e32 v[54:55], v[50:51]
	v_fma_f64 v[25:26], v[44:45], v[29:30], v[25:26]
	v_add_f64 v[29:30], v[52:53], v[25:26]
	v_fma_f64 v[56:57], -v[50:51], v[54:55], 1.0
	v_add_f64 v[66:67], v[46:47], -v[29:30]
	v_add_f64 v[31:32], v[29:30], -v[52:53]
	v_fma_f64 v[54:55], v[54:55], v[56:57], v[54:55]
	v_div_scale_f64 v[56:57], vcc, v[42:43], v[48:49], v[42:43]
	v_add_f64 v[46:47], v[46:47], -v[66:67]
	v_add_f64 v[25:26], v[31:32], -v[25:26]
	v_fma_f64 v[68:69], -v[50:51], v[54:55], 1.0
	v_add_f64 v[31:32], v[23:24], v[44:45]
	v_add_f64 v[29:30], v[46:47], -v[29:30]
	v_fma_f64 v[46:47], v[54:55], v[68:69], v[54:55]
	v_add_f64 v[23:24], v[31:32], -v[23:24]
	v_add_f64 v[27:28], v[27:28], v[29:30]
	v_mul_f64 v[29:30], v[56:57], v[46:47]
	v_add_f64 v[23:24], v[44:45], -v[23:24]
	v_add_f64 v[25:26], v[25:26], v[27:28]
	v_fma_f64 v[27:28], -v[50:51], v[29:30], v[56:57]
	v_add_f64 v[25:26], v[66:67], v[25:26]
	v_div_fmas_f64 v[27:28], v[27:28], v[46:47], v[29:30]
	v_cmp_gt_i32_e32 vcc, 0, v3
	v_mul_f64 v[21:22], v[21:22], v[25:26]
	v_add_f64 v[21:22], v[23:24], v[21:22]
	v_div_fixup_f64 v[23:24], v[27:28], v[48:49], v[42:43]
	v_add_f64 v[25:26], v[31:32], v[21:22]
	v_mul_f64 v[27:28], v[23:24], v[23:24]
	v_mul_f64 v[29:30], v[25:26], v[25:26]
	v_fma_f64 v[42:43], v[27:28], s[2:3], v[38:39]
	v_cmp_eq_f64_e64 s[2:3], 0, v[4:5]
	v_fma_f64 v[44:45], v[29:30], s[20:21], v[36:37]
	v_mul_f64 v[46:47], v[25:26], v[29:30]
	v_fma_f64 v[42:43], v[27:28], v[42:43], s[42:43]
	v_fma_f64 v[44:45], v[29:30], v[44:45], s[22:23]
	;; [unrolled: 1-line block ×10, first 2 shown]
	v_ldexp_f64 v[44:45], v[25:26], 1
	v_fma_f64 v[42:43], v[27:28], v[42:43], s[52:53]
	v_add_f64 v[25:26], v[25:26], -v[31:32]
	v_mul_f64 v[29:30], v[46:47], v[29:30]
	v_cvt_f64_i32_e32 v[46:47], v18
	v_fma_f64 v[42:43], v[27:28], v[42:43], s[54:55]
	v_add_f64 v[21:22], v[21:22], -v[25:26]
	v_cndmask_b32_e32 v18, v64, v65, vcc
	v_mul_f64 v[48:49], v[46:47], s[34:35]
	v_bfi_b32 v18, s12, v18, v5
	v_add_f64 v[31:32], v[44:45], v[29:30]
	v_fma_f64 v[42:43], v[27:28], v[42:43], s[56:57]
	v_ldexp_f64 v[21:22], v[21:22], 1
	v_add_f64 v[25:26], v[31:32], -v[44:45]
	v_fma_f64 v[44:45], v[46:47], s[34:35], -v[48:49]
	v_fma_f64 v[42:43], v[27:28], v[42:43], s[58:59]
	v_add_f64 v[25:26], v[29:30], -v[25:26]
	v_fma_f64 v[29:30], v[27:28], v[42:43], s[60:61]
	v_fma_f64 v[42:43], v[46:47], s[36:37], v[44:45]
	v_add_f64 v[21:22], v[21:22], v[25:26]
	v_fma_f64 v[25:26], v[27:28], v[29:30], s[62:63]
	v_add_f64 v[29:30], v[48:49], v[42:43]
	v_add_f64 v[44:45], v[31:32], v[21:22]
	v_fma_f64 v[25:26], v[27:28], v[25:26], s[64:65]
	v_add_f64 v[48:49], v[29:30], -v[48:49]
	v_add_f64 v[46:47], v[29:30], v[44:45]
	v_add_f64 v[31:32], v[44:45], -v[31:32]
	v_fma_f64 v[25:26], v[27:28], v[25:26], s[66:67]
	v_add_f64 v[42:43], v[42:43], -v[48:49]
	v_add_f64 v[50:51], v[46:47], -v[29:30]
	;; [unrolled: 1-line block ×3, first 2 shown]
	v_fma_f64 v[25:26], v[27:28], v[25:26], s[68:69]
	v_add_f64 v[52:53], v[46:47], -v[50:51]
	v_add_f64 v[31:32], v[44:45], -v[50:51]
	v_fma_f64 v[25:26], v[27:28], v[25:26], s[70:71]
	v_add_f64 v[44:45], v[42:43], v[21:22]
	v_add_f64 v[29:30], v[29:30], -v[52:53]
	v_fma_f64 v[25:26], v[27:28], v[25:26], s[72:73]
	v_add_f64 v[29:30], v[31:32], v[29:30]
	;; [unrolled: 3-line block ×3, first 2 shown]
	v_add_f64 v[44:45], v[44:45], -v[31:32]
	v_fma_f64 v[25:26], v[27:28], v[25:26], s[76:77]
	v_add_f64 v[21:22], v[21:22], -v[31:32]
	v_add_f64 v[48:49], v[46:47], v[29:30]
	v_mul_f64 v[25:26], v[27:28], v[25:26]
	v_add_f64 v[27:28], v[42:43], -v[44:45]
	v_add_f64 v[31:32], v[48:49], -v[46:47]
	v_fma_f64 v[23:24], v[23:24], v[25:26], v[23:24]
	v_add_f64 v[21:22], v[21:22], v[27:28]
	v_add_f64 v[25:26], v[29:30], -v[31:32]
	v_add_f64 v[27:28], -v[23:24], s[78:79]
	v_add_f64 v[21:22], v[21:22], v[25:26]
	v_cndmask_b32_e64 v24, v24, v28, s[0:1]
	v_cndmask_b32_e64 v23, v23, v27, s[0:1]
	v_add_f64 v[25:26], -v[23:24], s[88:89]
	v_and_b32_e32 v28, 0x54442d18, v2
	v_cndmask_b32_e32 v27, v62, v63, vcc
	v_add_f64 v[21:22], v[48:49], v[21:22]
	v_cndmask_b32_e32 v23, v23, v25, vcc
	v_and_b32_e32 v25, 0x400921fb, v2
	v_mul_f64 v[2:3], v[21:22], 0.5
	v_cndmask_b32_e32 v21, v24, v26, vcc
	v_cndmask_b32_e64 v22, v23, v28, s[2:3]
	v_cndmask_b32_e64 v21, v21, v25, s[2:3]
	s_and_b64 vcc, s[82:83], s[16:17]
	s_and_b64 s[2:3], s[4:5], s[6:7]
	v_cndmask_b32_e32 v21, v21, v18, vcc
	s_mov_b32 s16, 0xb5e68a13
	v_cndmask_b32_e64 v18, 0, v2, s[2:3]
	v_cmp_ngt_f64_e64 s[2:3], -1.0, v[19:20]
	v_cndmask_b32_e64 v3, v59, v3, s[6:7]
	s_mov_b32 s82, 0
	s_mov_b32 s17, 0x3eeba404
	;; [unrolled: 1-line block ×3, first 2 shown]
	v_cndmask_b32_e64 v2, v60, v3, s[2:3]
	v_cmp_neq_f64_e64 s[2:3], -1.0, v[19:20]
	v_cndmask_b32_e32 v20, v22, v27, vcc
	v_cndmask_b32_e64 v19, v61, v2, s[2:3]
.LBB173_175:                            ;   in Loop: Header=BB173_162 Depth=1
	s_or_b64 exec, exec, s[14:15]
.LBB173_176:                            ;   in Loop: Header=BB173_162 Depth=1
	s_or_b64 exec, exec, s[38:39]
.LBB173_177:                            ;   in Loop: Header=BB173_162 Depth=1
	s_andn2_saveexec_b64 s[6:7], s[80:81]
	s_cbranch_execz .LBB173_179
; %bb.178:                              ;   in Loop: Header=BB173_162 Depth=1
	v_max_f64 v[21:22], |v[4:5]|, |v[4:5]|
	v_max_f64 v[23:24], |v[2:3]|, |v[2:3]|
	v_cmp_class_f64_e64 s[14:15], v[2:3], s40
	v_cmp_class_f64_e64 s[38:39], v[4:5], s40
	s_mov_b32 s31, s19
	s_mov_b32 s88, s78
	v_max_f64 v[25:26], v[23:24], v[21:22]
	v_min_f64 v[21:22], v[23:24], v[21:22]
	v_frexp_exp_i32_f64_e32 v20, v[25:26]
	v_sub_u32_e32 v27, 0, v20
	v_ldexp_f64 v[18:19], |v[4:5]|, v27
	v_ldexp_f64 v[27:28], |v[2:3]|, v27
	v_mul_f64 v[18:19], v[18:19], v[18:19]
	v_fma_f64 v[18:19], v[27:28], v[27:28], v[18:19]
	v_rsq_f64_e32 v[27:28], v[18:19]
	v_cmp_eq_f64_e32 vcc, 0, v[18:19]
	v_mul_f64 v[29:30], v[18:19], v[27:28]
	v_mul_f64 v[27:28], v[27:28], 0.5
	v_fma_f64 v[31:32], -v[27:28], v[29:30], 0.5
	v_fma_f64 v[29:30], v[29:30], v[31:32], v[29:30]
	v_fma_f64 v[27:28], v[27:28], v[31:32], v[27:28]
	v_fma_f64 v[31:32], -v[29:30], v[29:30], v[18:19]
	v_fma_f64 v[27:28], v[31:32], v[27:28], v[29:30]
	v_cndmask_b32_e32 v19, v28, v19, vcc
	v_cndmask_b32_e32 v18, v27, v18, vcc
	v_ldexp_f64 v[18:19], v[18:19], v20
	s_or_b64 vcc, s[14:15], s[38:39]
	v_cndmask_b32_e32 v20, v19, v59, vcc
	v_cndmask_b32_e64 v19, v18, 0, vcc
	v_frexp_mant_f64_e32 v[27:28], v[19:20]
	v_cmp_gt_f64_e64 s[2:3], s[18:19], v[27:28]
	v_cndmask_b32_e64 v2, 0, 1, s[2:3]
	v_ldexp_f64 v[27:28], v[27:28], v2
	v_frexp_exp_i32_f64_e32 v2, v[19:20]
	v_add_f64 v[29:30], v[27:28], 1.0
	v_add_f64 v[44:45], v[27:28], -1.0
	v_rcp_f64_e32 v[31:32], v[29:30]
	v_add_f64 v[48:49], v[29:30], -1.0
	v_add_f64 v[27:28], v[27:28], -v[48:49]
	v_fma_f64 v[42:43], -v[29:30], v[31:32], 1.0
	v_fma_f64 v[23:24], v[42:43], v[31:32], v[31:32]
	v_div_scale_f64 v[31:32], s[4:5], v[25:26], v[25:26], v[21:22]
	v_cmp_class_f64_e64 s[4:5], v[19:20], s40
	v_fma_f64 v[42:43], -v[29:30], v[23:24], 1.0
	v_fma_f64 v[23:24], v[42:43], v[23:24], v[23:24]
	v_rcp_f64_e32 v[42:43], v[31:32]
	v_mul_f64 v[46:47], v[44:45], v[23:24]
	v_mul_f64 v[50:51], v[29:30], v[46:47]
	v_fma_f64 v[52:53], -v[31:32], v[42:43], 1.0
	v_fma_f64 v[29:30], v[46:47], v[29:30], -v[50:51]
	v_fma_f64 v[42:43], v[42:43], v[52:53], v[42:43]
	v_fma_f64 v[27:28], v[46:47], v[27:28], v[29:30]
	v_div_scale_f64 v[29:30], vcc, v[21:22], v[25:26], v[21:22]
	v_fma_f64 v[48:49], -v[31:32], v[42:43], 1.0
	v_add_f64 v[52:53], v[50:51], v[27:28]
	v_fma_f64 v[42:43], v[42:43], v[48:49], v[42:43]
	v_add_f64 v[48:49], v[44:45], -v[52:53]
	v_add_f64 v[50:51], v[52:53], -v[50:51]
	v_mul_f64 v[54:55], v[29:30], v[42:43]
	v_add_f64 v[44:45], v[44:45], -v[48:49]
	v_add_f64 v[27:28], v[50:51], -v[27:28]
	v_fma_f64 v[29:30], -v[31:32], v[54:55], v[29:30]
	v_add_f64 v[31:32], v[44:45], -v[52:53]
	v_div_fmas_f64 v[29:30], v[29:30], v[42:43], v[54:55]
	v_subbrev_co_u32_e64 v2, vcc, 0, v2, s[2:3]
	v_cmp_eq_f64_e64 s[2:3], 0, v[4:5]
	v_cmp_gt_i32_e32 vcc, 0, v3
	v_add_f64 v[27:28], v[27:28], v[31:32]
	v_add_f64 v[27:28], v[48:49], v[27:28]
	v_div_fixup_f64 v[21:22], v[29:30], v[25:26], v[21:22]
	v_mul_f64 v[23:24], v[23:24], v[27:28]
	v_mul_f64 v[25:26], v[21:22], v[21:22]
	v_add_f64 v[27:28], v[46:47], v[23:24]
	v_fma_f64 v[29:30], v[25:26], s[16:17], v[38:39]
	v_mul_f64 v[31:32], v[27:28], v[27:28]
	v_fma_f64 v[29:30], v[25:26], v[29:30], s[42:43]
	v_fma_f64 v[42:43], v[31:32], s[20:21], v[36:37]
	v_mul_f64 v[44:45], v[27:28], v[31:32]
	v_fma_f64 v[29:30], v[25:26], v[29:30], s[44:45]
	v_fma_f64 v[42:43], v[31:32], v[42:43], s[22:23]
	v_fma_f64 v[29:30], v[25:26], v[29:30], s[46:47]
	v_fma_f64 v[42:43], v[31:32], v[42:43], s[24:25]
	v_fma_f64 v[29:30], v[25:26], v[29:30], s[48:49]
	v_fma_f64 v[42:43], v[31:32], v[42:43], s[26:27]
	v_fma_f64 v[29:30], v[25:26], v[29:30], s[50:51]
	v_fma_f64 v[42:43], v[31:32], v[42:43], s[28:29]
	v_fma_f64 v[29:30], v[25:26], v[29:30], s[52:53]
	v_fma_f64 v[31:32], v[31:32], v[42:43], s[30:31]
	v_ldexp_f64 v[42:43], v[27:28], 1
	v_add_f64 v[27:28], v[27:28], -v[46:47]
	v_fma_f64 v[29:30], v[25:26], v[29:30], s[54:55]
	v_cvt_f64_i32_e32 v[46:47], v2
	v_ashrrev_i32_e32 v2, 31, v3
	v_and_b32_e32 v18, 0x54442d18, v2
	v_mul_f64 v[31:32], v[44:45], v[31:32]
	v_mul_f64 v[48:49], v[46:47], s[34:35]
	v_add_f64 v[23:24], v[23:24], -v[27:28]
	v_fma_f64 v[29:30], v[25:26], v[29:30], s[56:57]
	v_add_f64 v[44:45], v[42:43], v[31:32]
	v_ldexp_f64 v[23:24], v[23:24], 1
	v_fma_f64 v[29:30], v[25:26], v[29:30], s[58:59]
	v_add_f64 v[27:28], v[44:45], -v[42:43]
	v_fma_f64 v[42:43], v[46:47], s[34:35], -v[48:49]
	v_fma_f64 v[29:30], v[25:26], v[29:30], s[60:61]
	v_add_f64 v[27:28], v[31:32], -v[27:28]
	v_fma_f64 v[31:32], v[46:47], s[36:37], v[42:43]
	v_fma_f64 v[29:30], v[25:26], v[29:30], s[62:63]
	v_add_f64 v[23:24], v[23:24], v[27:28]
	v_fma_f64 v[27:28], v[25:26], v[29:30], s[64:65]
	v_add_f64 v[29:30], v[48:49], v[31:32]
	v_add_f64 v[42:43], v[44:45], v[23:24]
	v_fma_f64 v[27:28], v[25:26], v[27:28], s[66:67]
	v_add_f64 v[48:49], v[29:30], -v[48:49]
	v_add_f64 v[46:47], v[29:30], v[42:43]
	v_add_f64 v[44:45], v[42:43], -v[44:45]
	v_fma_f64 v[27:28], v[25:26], v[27:28], s[68:69]
	v_add_f64 v[31:32], v[31:32], -v[48:49]
	v_add_f64 v[50:51], v[46:47], -v[29:30]
	;; [unrolled: 1-line block ×3, first 2 shown]
	v_fma_f64 v[27:28], v[25:26], v[27:28], s[70:71]
	v_add_f64 v[52:53], v[46:47], -v[50:51]
	v_add_f64 v[42:43], v[42:43], -v[50:51]
	v_add_f64 v[44:45], v[31:32], v[23:24]
	v_fma_f64 v[27:28], v[25:26], v[27:28], s[72:73]
	v_add_f64 v[29:30], v[29:30], -v[52:53]
	v_fma_f64 v[27:28], v[25:26], v[27:28], s[74:75]
	v_add_f64 v[29:30], v[42:43], v[29:30]
	v_add_f64 v[42:43], v[44:45], -v[31:32]
	v_fma_f64 v[27:28], v[25:26], v[27:28], s[76:77]
	v_add_f64 v[29:30], v[44:45], v[29:30]
	v_add_f64 v[23:24], v[23:24], -v[42:43]
	v_mul_f64 v[25:26], v[25:26], v[27:28]
	v_add_f64 v[27:28], v[44:45], -v[42:43]
	v_add_f64 v[44:45], v[46:47], v[29:30]
	v_fma_f64 v[21:22], v[21:22], v[25:26], v[21:22]
	v_add_f64 v[25:26], v[31:32], -v[27:28]
	v_add_f64 v[27:28], v[44:45], -v[46:47]
	v_add_f64 v[31:32], -v[21:22], s[78:79]
	v_add_f64 v[23:24], v[23:24], v[25:26]
	v_add_f64 v[25:26], v[29:30], -v[27:28]
	v_cndmask_b32_e64 v22, v22, v32, s[0:1]
	v_cndmask_b32_e64 v21, v21, v31, s[0:1]
	v_add_f64 v[27:28], -v[21:22], s[88:89]
	v_add_f64 v[23:24], v[23:24], v[25:26]
	v_cndmask_b32_e32 v26, v64, v65, vcc
	v_cndmask_b32_e32 v25, v62, v63, vcc
	;; [unrolled: 1-line block ×3, first 2 shown]
	v_and_b32_e32 v27, 0x400921fb, v2
	v_cndmask_b32_e32 v22, v22, v28, vcc
	v_add_f64 v[2:3], v[44:45], v[23:24]
	v_cndmask_b32_e64 v24, v21, v18, s[2:3]
	v_cndmask_b32_e64 v18, v22, v27, s[2:3]
	v_cmp_ngt_f64_e64 s[2:3], 0, v[19:20]
	v_bfi_b32 v23, s12, v26, v5
	s_and_b64 vcc, s[14:15], s[38:39]
	v_cndmask_b32_e32 v21, v18, v23, vcc
	v_cndmask_b32_e64 v3, v3, v20, s[4:5]
	v_cndmask_b32_e64 v2, v2, v19, s[4:5]
	v_cndmask_b32_e64 v3, v60, v3, s[2:3]
	v_cmp_nge_f64_e64 s[2:3], 0, v[19:20]
	v_cndmask_b32_e64 v18, 0, v2, s[2:3]
	v_cmp_neq_f64_e64 s[2:3], 0, v[19:20]
	v_cndmask_b32_e32 v20, v24, v25, vcc
	v_cndmask_b32_e64 v19, v61, v3, s[2:3]
.LBB173_179:                            ;   in Loop: Header=BB173_162 Depth=1
	s_or_b64 exec, exec, s[6:7]
                                        ; implicit-def: $vgpr22_vgpr23
.LBB173_180:                            ;   in Loop: Header=BB173_162 Depth=1
	s_andn2_saveexec_b64 s[6:7], s[94:95]
	s_cbranch_execz .LBB173_186
; %bb.181:                              ;   in Loop: Header=BB173_162 Depth=1
	s_mov_b32 s2, 0x6a3f9475
	s_mov_b32 s3, 0x20ca2fe7
	v_cmp_ngt_f64_e32 vcc, s[2:3], v[22:23]
                                        ; implicit-def: $vgpr18_vgpr19
	s_and_saveexec_b64 s[2:3], vcc
	s_xor_b64 s[14:15], exec, s[2:3]
	s_cbranch_execz .LBB173_183
; %bb.182:                              ;   in Loop: Header=BB173_162 Depth=1
	v_mul_f64 v[18:19], v[22:23], v[22:23]
	s_mov_b32 s31, s19
	s_mov_b32 s88, s78
	v_cmp_class_f64_e64 s[38:39], v[2:3], s40
	v_add_f64 v[20:21], v[18:19], 1.0
	v_cmp_neq_f64_e64 s[4:5], s[82:83], v[18:19]
	v_frexp_mant_f64_e32 v[24:25], v[20:21]
	v_frexp_exp_i32_f64_e32 v28, v[20:21]
	v_add_f64 v[22:23], v[20:21], -1.0
	v_cmp_gt_f64_e32 vcc, s[18:19], v[24:25]
	v_add_f64 v[26:27], v[22:23], -v[20:21]
	v_add_f64 v[22:23], v[18:19], -v[22:23]
	v_subbrev_co_u32_e32 v32, vcc, 0, v28, vcc
	v_sub_u32_e32 v28, 0, v32
	v_ldexp_f64 v[20:21], v[20:21], v28
	v_add_f64 v[24:25], v[26:27], 1.0
	v_cvt_f64_i32_e32 v[32:33], v32
	v_add_f64 v[26:27], v[20:21], 1.0
	v_add_f64 v[22:23], v[22:23], v[24:25]
	v_add_f64 v[42:43], v[20:21], -1.0
	v_add_f64 v[24:25], v[26:27], -1.0
	v_ldexp_f64 v[22:23], v[22:23], v28
	v_add_f64 v[44:45], v[42:43], 1.0
	v_add_f64 v[24:25], v[20:21], -v[24:25]
	v_add_f64 v[20:21], v[20:21], -v[44:45]
	v_add_f64 v[28:29], v[22:23], v[24:25]
	v_add_f64 v[44:45], v[22:23], v[20:21]
	;; [unrolled: 1-line block ×3, first 2 shown]
	v_rcp_f64_e32 v[30:31], v[24:25]
	v_add_f64 v[26:27], v[26:27], -v[24:25]
	v_add_f64 v[28:29], v[28:29], v[26:27]
	v_fma_f64 v[46:47], -v[24:25], v[30:31], 1.0
	v_fma_f64 v[30:31], v[46:47], v[30:31], v[30:31]
	v_add_f64 v[46:47], v[42:43], v[44:45]
	v_fma_f64 v[20:21], -v[24:25], v[30:31], 1.0
	v_add_f64 v[42:43], v[42:43], -v[46:47]
	v_fma_f64 v[20:21], v[20:21], v[30:31], v[30:31]
	v_add_f64 v[42:43], v[44:45], v[42:43]
	v_mul_f64 v[22:23], v[46:47], v[20:21]
	v_mul_f64 v[30:31], v[24:25], v[22:23]
	v_fma_f64 v[26:27], v[22:23], v[24:25], -v[30:31]
	v_fma_f64 v[48:49], v[22:23], v[28:29], v[26:27]
	v_add_f64 v[50:51], v[30:31], v[48:49]
	v_add_f64 v[26:27], v[46:47], -v[50:51]
	v_add_f64 v[30:31], v[50:51], -v[30:31]
	v_add_f64 v[46:47], v[46:47], -v[26:27]
	v_add_f64 v[30:31], v[30:31], -v[48:49]
	v_add_f64 v[44:45], v[46:47], -v[50:51]
	v_add_f64 v[42:43], v[42:43], v[44:45]
	v_max_f64 v[44:45], |v[2:3]|, |v[2:3]|
	v_ashrrev_i32_e32 v2, 31, v3
	v_add_f64 v[30:31], v[30:31], v[42:43]
	v_max_f64 v[42:43], |v[4:5]|, |v[4:5]|
	v_add_f64 v[46:47], v[26:27], v[30:31]
	v_max_f64 v[48:49], v[44:45], v[42:43]
	v_min_f64 v[42:43], v[44:45], v[42:43]
	v_mul_f64 v[44:45], v[20:21], v[46:47]
	v_add_f64 v[26:27], v[26:27], -v[46:47]
	v_div_scale_f64 v[50:51], s[2:3], v[48:49], v[48:49], v[42:43]
	v_cmp_eq_f64_e64 s[2:3], 0, v[4:5]
	v_mul_f64 v[52:53], v[24:25], v[44:45]
	v_add_f64 v[26:27], v[30:31], v[26:27]
	v_fma_f64 v[24:25], v[44:45], v[24:25], -v[52:53]
	v_rcp_f64_e32 v[54:55], v[50:51]
	v_fma_f64 v[24:25], v[44:45], v[28:29], v[24:25]
	v_add_f64 v[28:29], v[52:53], v[24:25]
	v_fma_f64 v[56:57], -v[50:51], v[54:55], 1.0
	v_add_f64 v[66:67], v[46:47], -v[28:29]
	v_add_f64 v[30:31], v[28:29], -v[52:53]
	v_fma_f64 v[54:55], v[54:55], v[56:57], v[54:55]
	v_div_scale_f64 v[56:57], vcc, v[42:43], v[48:49], v[42:43]
	v_add_f64 v[46:47], v[46:47], -v[66:67]
	v_add_f64 v[24:25], v[30:31], -v[24:25]
	v_fma_f64 v[68:69], -v[50:51], v[54:55], 1.0
	v_add_f64 v[30:31], v[22:23], v[44:45]
	v_add_f64 v[28:29], v[46:47], -v[28:29]
	v_fma_f64 v[46:47], v[54:55], v[68:69], v[54:55]
	v_add_f64 v[22:23], v[30:31], -v[22:23]
	v_add_f64 v[26:27], v[26:27], v[28:29]
	v_mul_f64 v[28:29], v[56:57], v[46:47]
	v_add_f64 v[22:23], v[44:45], -v[22:23]
	v_add_f64 v[24:25], v[24:25], v[26:27]
	v_fma_f64 v[26:27], -v[50:51], v[28:29], v[56:57]
	v_add_f64 v[24:25], v[66:67], v[24:25]
	v_div_fmas_f64 v[26:27], v[26:27], v[46:47], v[28:29]
	v_cmp_gt_i32_e32 vcc, 0, v3
	v_mul_f64 v[20:21], v[20:21], v[24:25]
	v_add_f64 v[20:21], v[22:23], v[20:21]
	v_div_fixup_f64 v[22:23], v[26:27], v[48:49], v[42:43]
	v_add_f64 v[24:25], v[30:31], v[20:21]
	v_mul_f64 v[26:27], v[22:23], v[22:23]
	v_mul_f64 v[28:29], v[24:25], v[24:25]
	v_fma_f64 v[42:43], v[26:27], s[16:17], v[38:39]
	v_cmp_class_f64_e64 s[16:17], v[4:5], s40
	v_fma_f64 v[44:45], v[28:29], s[20:21], v[36:37]
	v_mul_f64 v[46:47], v[24:25], v[28:29]
	v_fma_f64 v[42:43], v[26:27], v[42:43], s[42:43]
	v_fma_f64 v[44:45], v[28:29], v[44:45], s[22:23]
	;; [unrolled: 1-line block ×10, first 2 shown]
	v_ldexp_f64 v[44:45], v[24:25], 1
	v_fma_f64 v[42:43], v[26:27], v[42:43], s[52:53]
	v_add_f64 v[24:25], v[24:25], -v[30:31]
	v_mul_f64 v[28:29], v[46:47], v[28:29]
	v_mul_f64 v[46:47], v[32:33], s[34:35]
	v_fma_f64 v[42:43], v[26:27], v[42:43], s[54:55]
	v_add_f64 v[20:21], v[20:21], -v[24:25]
	v_add_f64 v[30:31], v[44:45], v[28:29]
	v_fma_f64 v[42:43], v[26:27], v[42:43], s[56:57]
	v_ldexp_f64 v[20:21], v[20:21], 1
	v_add_f64 v[24:25], v[30:31], -v[44:45]
	v_fma_f64 v[44:45], v[32:33], s[34:35], -v[46:47]
	v_fma_f64 v[42:43], v[26:27], v[42:43], s[58:59]
	v_add_f64 v[24:25], v[28:29], -v[24:25]
	v_fma_f64 v[32:33], v[32:33], s[36:37], v[44:45]
	v_fma_f64 v[28:29], v[26:27], v[42:43], s[60:61]
	v_add_f64 v[20:21], v[20:21], v[24:25]
	v_fma_f64 v[24:25], v[26:27], v[28:29], s[62:63]
	v_add_f64 v[28:29], v[46:47], v[32:33]
	v_add_f64 v[42:43], v[30:31], v[20:21]
	v_fma_f64 v[24:25], v[26:27], v[24:25], s[64:65]
	v_add_f64 v[46:47], v[28:29], -v[46:47]
	v_add_f64 v[44:45], v[28:29], v[42:43]
	v_add_f64 v[30:31], v[42:43], -v[30:31]
	v_fma_f64 v[24:25], v[26:27], v[24:25], s[66:67]
	v_add_f64 v[32:33], v[32:33], -v[46:47]
	v_add_f64 v[48:49], v[44:45], -v[28:29]
	;; [unrolled: 1-line block ×3, first 2 shown]
	v_fma_f64 v[24:25], v[26:27], v[24:25], s[68:69]
	v_add_f64 v[50:51], v[44:45], -v[48:49]
	v_add_f64 v[30:31], v[42:43], -v[48:49]
	v_fma_f64 v[24:25], v[26:27], v[24:25], s[70:71]
	v_add_f64 v[42:43], v[32:33], v[20:21]
	v_add_f64 v[28:29], v[28:29], -v[50:51]
	v_fma_f64 v[24:25], v[26:27], v[24:25], s[72:73]
	v_add_f64 v[28:29], v[30:31], v[28:29]
	;; [unrolled: 3-line block ×3, first 2 shown]
	v_add_f64 v[42:43], v[42:43], -v[30:31]
	v_fma_f64 v[24:25], v[26:27], v[24:25], s[76:77]
	v_add_f64 v[20:21], v[20:21], -v[30:31]
	v_add_f64 v[46:47], v[44:45], v[28:29]
	v_mul_f64 v[24:25], v[26:27], v[24:25]
	v_add_f64 v[26:27], v[32:33], -v[42:43]
	v_add_f64 v[30:31], v[46:47], -v[44:45]
	v_fma_f64 v[22:23], v[22:23], v[24:25], v[22:23]
	v_add_f64 v[20:21], v[20:21], v[26:27]
	v_add_f64 v[24:25], v[28:29], -v[30:31]
	v_and_b32_e32 v28, 0x400921fb, v2
	v_add_f64 v[26:27], -v[22:23], s[78:79]
	v_add_f64 v[20:21], v[20:21], v[24:25]
	v_cndmask_b32_e64 v23, v23, v27, s[0:1]
	v_cndmask_b32_e64 v22, v22, v26, s[0:1]
	v_add_f64 v[24:25], -v[22:23], s[88:89]
	v_and_b32_e32 v27, 0x54442d18, v2
	v_cndmask_b32_e32 v26, v62, v63, vcc
	v_add_f64 v[20:21], v[46:47], v[20:21]
	v_cndmask_b32_e32 v22, v22, v24, vcc
	v_cndmask_b32_e32 v24, v64, v65, vcc
	;; [unrolled: 1-line block ×3, first 2 shown]
	v_bfi_b32 v18, s12, v24, v5
	v_mul_f64 v[2:3], v[20:21], 0.5
	v_cndmask_b32_e64 v20, v22, v27, s[2:3]
	v_cndmask_b32_e64 v19, v19, v28, s[2:3]
	s_and_b64 vcc, s[38:39], s[16:17]
	s_mov_b32 s16, 0xb5e68a13
	s_mov_b32 s17, 0x3eeba404
	v_cndmask_b32_e32 v21, v19, v18, vcc
	v_cndmask_b32_e32 v20, v20, v26, vcc
	v_cndmask_b32_e64 v19, v59, v3, s[4:5]
	v_cndmask_b32_e64 v18, 0, v2, s[4:5]
                                        ; implicit-def: $vgpr22_vgpr23
.LBB173_183:                            ;   in Loop: Header=BB173_162 Depth=1
	s_andn2_saveexec_b64 s[4:5], s[14:15]
	s_cbranch_execz .LBB173_185
; %bb.184:                              ;   in Loop: Header=BB173_162 Depth=1
	v_max_f64 v[18:19], |v[4:5]|, |v[4:5]|
	v_max_f64 v[20:21], |v[2:3]|, |v[2:3]|
	s_mov_b32 s88, s78
	v_cmp_class_f64_e64 s[14:15], v[4:5], s40
	v_max_f64 v[24:25], v[20:21], v[18:19]
	v_min_f64 v[18:19], v[20:21], v[18:19]
	v_div_scale_f64 v[20:21], s[2:3], v[24:25], v[24:25], v[18:19]
	v_cmp_eq_f64_e64 s[2:3], 0, v[4:5]
	v_rcp_f64_e32 v[26:27], v[20:21]
	v_fma_f64 v[28:29], -v[20:21], v[26:27], 1.0
	v_fma_f64 v[26:27], v[26:27], v[28:29], v[26:27]
	v_div_scale_f64 v[28:29], vcc, v[18:19], v[24:25], v[18:19]
	v_fma_f64 v[30:31], -v[20:21], v[26:27], 1.0
	v_fma_f64 v[26:27], v[26:27], v[30:31], v[26:27]
	v_mul_f64 v[30:31], v[28:29], v[26:27]
	v_fma_f64 v[20:21], -v[20:21], v[30:31], v[28:29]
	v_div_fmas_f64 v[20:21], v[20:21], v[26:27], v[30:31]
	v_cmp_gt_i32_e32 vcc, 0, v3
	v_ashrrev_i32_e32 v27, 31, v3
	v_and_b32_e32 v28, 0x54442d18, v27
	v_cndmask_b32_e32 v26, v62, v63, vcc
	v_div_fixup_f64 v[18:19], v[20:21], v[24:25], v[18:19]
	v_mul_f64 v[20:21], v[18:19], v[18:19]
	v_fma_f64 v[24:25], v[20:21], s[16:17], v[38:39]
	v_cmp_class_f64_e64 s[16:17], v[2:3], s40
	v_cndmask_b32_e32 v2, v64, v65, vcc
	v_and_b32_e32 v3, 0x400921fb, v27
	v_bfi_b32 v2, s12, v2, v5
	v_fma_f64 v[24:25], v[20:21], v[24:25], s[42:43]
	v_fma_f64 v[24:25], v[20:21], v[24:25], s[44:45]
	v_fma_f64 v[24:25], v[20:21], v[24:25], s[46:47]
	v_fma_f64 v[24:25], v[20:21], v[24:25], s[48:49]
	v_fma_f64 v[24:25], v[20:21], v[24:25], s[50:51]
	v_fma_f64 v[24:25], v[20:21], v[24:25], s[52:53]
	v_fma_f64 v[24:25], v[20:21], v[24:25], s[54:55]
	v_fma_f64 v[24:25], v[20:21], v[24:25], s[56:57]
	v_fma_f64 v[24:25], v[20:21], v[24:25], s[58:59]
	v_fma_f64 v[24:25], v[20:21], v[24:25], s[60:61]
	v_fma_f64 v[24:25], v[20:21], v[24:25], s[62:63]
	v_fma_f64 v[24:25], v[20:21], v[24:25], s[64:65]
	v_fma_f64 v[24:25], v[20:21], v[24:25], s[66:67]
	v_fma_f64 v[24:25], v[20:21], v[24:25], s[68:69]
	v_fma_f64 v[24:25], v[20:21], v[24:25], s[70:71]
	v_fma_f64 v[24:25], v[20:21], v[24:25], s[72:73]
	v_fma_f64 v[24:25], v[20:21], v[24:25], s[74:75]
	v_fma_f64 v[24:25], v[20:21], v[24:25], s[76:77]
	v_mul_f64 v[20:21], v[20:21], v[24:25]
	v_fma_f64 v[18:19], v[18:19], v[20:21], v[18:19]
	v_add_f64 v[20:21], -v[18:19], s[78:79]
	v_cndmask_b32_e64 v21, v19, v21, s[0:1]
	v_cndmask_b32_e64 v20, v18, v20, s[0:1]
	v_mul_f64 v[18:19], v[22:23], 0.5
	v_add_f64 v[24:25], -v[20:21], s[88:89]
	v_mul_f64 v[18:19], v[22:23], v[18:19]
	v_cndmask_b32_e32 v20, v20, v24, vcc
	v_cndmask_b32_e32 v21, v21, v25, vcc
	v_cndmask_b32_e64 v20, v20, v28, s[2:3]
	v_cndmask_b32_e64 v3, v21, v3, s[2:3]
	s_and_b64 vcc, s[16:17], s[14:15]
	s_mov_b32 s16, 0xb5e68a13
	s_mov_b32 s17, 0x3eeba404
	v_cndmask_b32_e32 v21, v3, v2, vcc
	v_cndmask_b32_e32 v20, v20, v26, vcc
.LBB173_185:                            ;   in Loop: Header=BB173_162 Depth=1
	s_or_b64 exec, exec, s[4:5]
.LBB173_186:                            ;   in Loop: Header=BB173_162 Depth=1
	s_or_b64 exec, exec, s[6:7]
.LBB173_187:                            ;   in Loop: Header=BB173_162 Depth=1
	s_andn2_saveexec_b64 s[4:5], s[92:93]
	s_cbranch_execz .LBB173_189
; %bb.188:                              ;   in Loop: Header=BB173_162 Depth=1
	v_div_scale_f64 v[18:19], s[2:3], s[84:85], s[84:85], v[2:3]
	v_div_scale_f64 v[20:21], s[2:3], s[84:85], s[84:85], v[4:5]
	;; [unrolled: 1-line block ×3, first 2 shown]
	s_mov_b32 s31, s19
	s_mov_b32 s88, s78
	v_cmp_class_f64_e64 s[14:15], v[2:3], s40
	v_rcp_f64_e32 v[22:23], v[18:19]
	v_rcp_f64_e32 v[24:25], v[20:21]
	v_fma_f64 v[26:27], -v[18:19], v[22:23], 1.0
	v_fma_f64 v[28:29], -v[20:21], v[24:25], 1.0
	v_fma_f64 v[22:23], v[22:23], v[26:27], v[22:23]
	v_div_scale_f64 v[26:27], vcc, v[2:3], s[84:85], v[2:3]
	v_fma_f64 v[24:25], v[24:25], v[28:29], v[24:25]
	v_fma_f64 v[28:29], -v[18:19], v[22:23], 1.0
	v_fma_f64 v[32:33], -v[20:21], v[24:25], 1.0
	v_fma_f64 v[22:23], v[22:23], v[28:29], v[22:23]
	v_fma_f64 v[24:25], v[24:25], v[32:33], v[24:25]
	v_mul_f64 v[28:29], v[26:27], v[22:23]
	v_mul_f64 v[32:33], v[30:31], v[24:25]
	v_fma_f64 v[18:19], -v[18:19], v[28:29], v[26:27]
	v_fma_f64 v[20:21], -v[20:21], v[32:33], v[30:31]
	v_div_fmas_f64 v[18:19], v[18:19], v[22:23], v[28:29]
	s_mov_b64 vcc, s[2:3]
	v_div_fmas_f64 v[20:21], v[20:21], v[24:25], v[32:33]
	v_max_f64 v[31:32], |v[2:3]|, |v[2:3]|
	v_div_fixup_f64 v[18:19], v[18:19], s[84:85], v[2:3]
	v_ashrrev_i32_e32 v2, 31, v3
	v_div_fixup_f64 v[20:21], v[20:21], s[84:85], v[4:5]
	v_cmp_class_f64_e64 s[2:3], v[18:19], s40
	v_max_f64 v[22:23], |v[18:19]|, |v[20:21]|
	v_cmp_class_f64_e64 s[6:7], v[20:21], s40
	v_frexp_exp_i32_f64_e32 v30, v[22:23]
	v_sub_u32_e32 v24, 0, v30
	v_ldexp_f64 v[22:23], |v[20:21]|, v24
	v_ldexp_f64 v[24:25], |v[18:19]|, v24
	v_mul_f64 v[22:23], v[22:23], v[22:23]
	v_fma_f64 v[22:23], v[24:25], v[24:25], v[22:23]
	v_rsq_f64_e32 v[24:25], v[22:23]
	v_cmp_eq_f64_e32 vcc, 0, v[22:23]
	v_mul_f64 v[26:27], v[22:23], v[24:25]
	v_mul_f64 v[24:25], v[24:25], 0.5
	v_fma_f64 v[28:29], -v[24:25], v[26:27], 0.5
	v_fma_f64 v[26:27], v[26:27], v[28:29], v[26:27]
	v_fma_f64 v[24:25], v[24:25], v[28:29], v[24:25]
	v_fma_f64 v[28:29], -v[26:27], v[26:27], v[22:23]
	v_fma_f64 v[24:25], v[28:29], v[24:25], v[26:27]
	v_cndmask_b32_e32 v23, v25, v23, vcc
	v_cndmask_b32_e32 v22, v24, v22, vcc
	v_ldexp_f64 v[22:23], v[22:23], v30
	v_cmp_o_f64_e32 vcc, v[18:19], v[20:21]
	v_max_f64 v[29:30], |v[4:5]|, |v[4:5]|
	v_cndmask_b32_e32 v18, 0, v22, vcc
	v_cndmask_b32_e32 v19, v60, v23, vcc
	s_or_b64 vcc, s[2:3], s[6:7]
	v_cndmask_b32_e32 v20, v19, v59, vcc
	v_cndmask_b32_e64 v19, v18, 0, vcc
	v_frexp_mant_f64_e32 v[21:22], v[19:20]
	v_cmp_gt_f64_e64 s[2:3], s[18:19], v[21:22]
	v_cndmask_b32_e64 v18, 0, 1, s[2:3]
	v_ldexp_f64 v[21:22], v[21:22], v18
	v_frexp_exp_i32_f64_e32 v18, v[19:20]
	v_add_f64 v[23:24], v[21:22], 1.0
	v_add_f64 v[44:45], v[21:22], -1.0
	v_rcp_f64_e32 v[25:26], v[23:24]
	v_add_f64 v[48:49], v[23:24], -1.0
	v_add_f64 v[21:22], v[21:22], -v[48:49]
	v_fma_f64 v[27:28], -v[23:24], v[25:26], 1.0
	v_fma_f64 v[25:26], v[27:28], v[25:26], v[25:26]
	v_max_f64 v[27:28], v[31:32], v[29:30]
	v_min_f64 v[29:30], v[31:32], v[29:30]
	v_fma_f64 v[31:32], -v[23:24], v[25:26], 1.0
	v_div_scale_f64 v[42:43], s[6:7], v[27:28], v[27:28], v[29:30]
	v_cmp_class_f64_e64 s[6:7], v[4:5], s40
	v_fma_f64 v[25:26], v[31:32], v[25:26], v[25:26]
	v_mul_f64 v[31:32], v[44:45], v[25:26]
	v_rcp_f64_e32 v[46:47], v[42:43]
	v_mul_f64 v[50:51], v[23:24], v[31:32]
	v_fma_f64 v[23:24], v[31:32], v[23:24], -v[50:51]
	v_fma_f64 v[48:49], -v[42:43], v[46:47], 1.0
	v_fma_f64 v[21:22], v[31:32], v[21:22], v[23:24]
	v_fma_f64 v[23:24], v[46:47], v[48:49], v[46:47]
	v_div_scale_f64 v[48:49], vcc, v[29:30], v[27:28], v[29:30]
	v_add_f64 v[46:47], v[50:51], v[21:22]
	v_fma_f64 v[52:53], -v[42:43], v[23:24], 1.0
	v_add_f64 v[54:55], v[44:45], -v[46:47]
	v_add_f64 v[50:51], v[46:47], -v[50:51]
	v_fma_f64 v[23:24], v[23:24], v[52:53], v[23:24]
	v_add_f64 v[44:45], v[44:45], -v[54:55]
	v_add_f64 v[21:22], v[50:51], -v[21:22]
	v_mul_f64 v[52:53], v[48:49], v[23:24]
	v_add_f64 v[44:45], v[44:45], -v[46:47]
	v_fma_f64 v[42:43], -v[42:43], v[52:53], v[48:49]
	v_add_f64 v[21:22], v[21:22], v[44:45]
	v_div_fmas_f64 v[23:24], v[42:43], v[23:24], v[52:53]
	v_subbrev_co_u32_e64 v18, vcc, 0, v18, s[2:3]
	v_cmp_gt_i32_e32 vcc, 0, v3
	v_cmp_eq_f64_e64 s[2:3], 0, v[4:5]
	v_add_f64 v[21:22], v[54:55], v[21:22]
	v_mul_f64 v[21:22], v[25:26], v[21:22]
	v_div_fixup_f64 v[23:24], v[23:24], v[27:28], v[29:30]
	v_add_f64 v[25:26], v[31:32], v[21:22]
	v_mul_f64 v[27:28], v[23:24], v[23:24]
	v_mul_f64 v[29:30], v[25:26], v[25:26]
	v_fma_f64 v[42:43], v[27:28], s[16:17], v[38:39]
	v_fma_f64 v[44:45], v[29:30], s[20:21], v[36:37]
	v_mul_f64 v[46:47], v[25:26], v[29:30]
	v_fma_f64 v[42:43], v[27:28], v[42:43], s[42:43]
	v_fma_f64 v[44:45], v[29:30], v[44:45], s[22:23]
	v_fma_f64 v[42:43], v[27:28], v[42:43], s[44:45]
	v_fma_f64 v[44:45], v[29:30], v[44:45], s[24:25]
	v_fma_f64 v[42:43], v[27:28], v[42:43], s[46:47]
	v_fma_f64 v[44:45], v[29:30], v[44:45], s[26:27]
	v_fma_f64 v[42:43], v[27:28], v[42:43], s[48:49]
	v_fma_f64 v[44:45], v[29:30], v[44:45], s[28:29]
	v_fma_f64 v[42:43], v[27:28], v[42:43], s[50:51]
	v_fma_f64 v[29:30], v[29:30], v[44:45], s[30:31]
	v_ldexp_f64 v[44:45], v[25:26], 1
	v_fma_f64 v[42:43], v[27:28], v[42:43], s[52:53]
	v_add_f64 v[25:26], v[25:26], -v[31:32]
	v_mul_f64 v[29:30], v[46:47], v[29:30]
	v_cvt_f64_i32_e32 v[46:47], v18
	v_fma_f64 v[42:43], v[27:28], v[42:43], s[54:55]
	v_add_f64 v[21:22], v[21:22], -v[25:26]
	v_cndmask_b32_e32 v18, v64, v65, vcc
	v_mul_f64 v[48:49], v[46:47], s[34:35]
	v_bfi_b32 v18, s12, v18, v5
	v_add_f64 v[31:32], v[44:45], v[29:30]
	v_fma_f64 v[42:43], v[27:28], v[42:43], s[56:57]
	v_ldexp_f64 v[21:22], v[21:22], 1
	v_add_f64 v[25:26], v[31:32], -v[44:45]
	v_fma_f64 v[44:45], v[46:47], s[34:35], -v[48:49]
	v_fma_f64 v[42:43], v[27:28], v[42:43], s[58:59]
	v_add_f64 v[25:26], v[29:30], -v[25:26]
	v_fma_f64 v[29:30], v[27:28], v[42:43], s[60:61]
	v_fma_f64 v[42:43], v[46:47], s[36:37], v[44:45]
	v_add_f64 v[21:22], v[21:22], v[25:26]
	v_fma_f64 v[25:26], v[27:28], v[29:30], s[62:63]
	v_add_f64 v[29:30], v[48:49], v[42:43]
	v_add_f64 v[44:45], v[31:32], v[21:22]
	v_fma_f64 v[25:26], v[27:28], v[25:26], s[64:65]
	v_add_f64 v[48:49], v[29:30], -v[48:49]
	v_add_f64 v[46:47], v[29:30], v[44:45]
	v_add_f64 v[31:32], v[44:45], -v[31:32]
	v_fma_f64 v[25:26], v[27:28], v[25:26], s[66:67]
	v_add_f64 v[42:43], v[42:43], -v[48:49]
	v_add_f64 v[50:51], v[46:47], -v[29:30]
	;; [unrolled: 1-line block ×3, first 2 shown]
	v_fma_f64 v[25:26], v[27:28], v[25:26], s[68:69]
	v_add_f64 v[52:53], v[46:47], -v[50:51]
	v_add_f64 v[31:32], v[44:45], -v[50:51]
	v_fma_f64 v[25:26], v[27:28], v[25:26], s[70:71]
	v_add_f64 v[44:45], v[42:43], v[21:22]
	v_add_f64 v[29:30], v[29:30], -v[52:53]
	v_fma_f64 v[25:26], v[27:28], v[25:26], s[72:73]
	v_add_f64 v[29:30], v[31:32], v[29:30]
	v_add_f64 v[31:32], v[44:45], -v[42:43]
	v_fma_f64 v[25:26], v[27:28], v[25:26], s[74:75]
	v_add_f64 v[29:30], v[44:45], v[29:30]
	v_add_f64 v[44:45], v[44:45], -v[31:32]
	v_fma_f64 v[25:26], v[27:28], v[25:26], s[76:77]
	v_add_f64 v[21:22], v[21:22], -v[31:32]
	v_add_f64 v[48:49], v[46:47], v[29:30]
	v_mul_f64 v[25:26], v[27:28], v[25:26]
	v_add_f64 v[27:28], v[42:43], -v[44:45]
	v_add_f64 v[31:32], v[48:49], -v[46:47]
	v_fma_f64 v[23:24], v[23:24], v[25:26], v[23:24]
	v_add_f64 v[21:22], v[21:22], v[27:28]
	v_add_f64 v[25:26], v[29:30], -v[31:32]
	v_add_f64 v[27:28], -v[23:24], s[78:79]
	v_add_f64 v[21:22], v[21:22], v[25:26]
	v_cndmask_b32_e64 v24, v24, v28, s[0:1]
	v_cndmask_b32_e64 v23, v23, v27, s[0:1]
	v_add_f64 v[25:26], -v[23:24], s[88:89]
	v_cmp_class_f64_e64 s[0:1], v[19:20], s40
	v_and_b32_e32 v28, 0x54442d18, v2
	v_cndmask_b32_e32 v27, v62, v63, vcc
	v_add_f64 v[21:22], v[48:49], v[21:22]
	v_cndmask_b32_e32 v23, v23, v25, vcc
	v_and_b32_e32 v25, 0x400921fb, v2
	v_cndmask_b32_e64 v3, v22, v20, s[0:1]
	v_cndmask_b32_e64 v2, v21, v19, s[0:1]
	v_add_f64 v[2:3], v[2:3], 1.0
	v_cmp_ngt_f64_e64 s[0:1], 0, v[19:20]
	v_cndmask_b32_e32 v21, v24, v26, vcc
	v_cndmask_b32_e64 v21, v21, v25, s[2:3]
	s_and_b64 vcc, s[14:15], s[6:7]
	v_cndmask_b32_e32 v21, v21, v18, vcc
	v_cndmask_b32_e64 v22, v23, v28, s[2:3]
	v_cndmask_b32_e64 v3, v60, v3, s[0:1]
	v_cmp_nge_f64_e64 s[0:1], 0, v[19:20]
	v_cndmask_b32_e64 v18, 0, v2, s[0:1]
	v_cmp_neq_f64_e64 s[0:1], 0, v[19:20]
	v_cndmask_b32_e32 v20, v22, v27, vcc
	v_cndmask_b32_e64 v19, v61, v3, s[0:1]
.LBB173_189:                            ;   in Loop: Header=BB173_162 Depth=1
	s_or_b64 exec, exec, s[4:5]
.LBB173_190:                            ;   in Loop: Header=BB173_162 Depth=1
	s_andn2_saveexec_b64 s[0:1], s[90:91]
	s_cbranch_execz .LBB173_196
; %bb.191:                              ;   in Loop: Header=BB173_162 Depth=1
	v_cmp_nlt_f64_e64 s[2:3], |v[2:3]|, s[86:87]
	v_cmp_nlt_f64_e64 s[4:5], |v[4:5]|, s[86:87]
                                        ; implicit-def: $vgpr22_vgpr23
	s_or_b64 s[2:3], s[2:3], s[4:5]
	s_and_saveexec_b64 s[4:5], s[2:3]
	s_xor_b64 s[2:3], exec, s[4:5]
	s_cbranch_execz .LBB173_193
; %bb.192:                              ;   in Loop: Header=BB173_162 Depth=1
	v_mul_f64 v[18:19], v[4:5], v[4:5]
	v_fma_f64 v[22:23], v[2:3], v[2:3], v[18:19]
.LBB173_193:                            ;   in Loop: Header=BB173_162 Depth=1
	s_andn2_saveexec_b64 s[2:3], s[2:3]
	s_cbranch_execz .LBB173_195
; %bb.194:                              ;   in Loop: Header=BB173_162 Depth=1
	v_mul_f64 v[18:19], v[4:5], 4.0
	v_mul_f64 v[2:3], v[2:3], 4.0
	v_mul_f64 v[18:19], v[18:19], v[18:19]
	v_fma_f64 v[2:3], v[2:3], v[2:3], v[18:19]
	v_ldexp_f64 v[22:23], v[2:3], -4
.LBB173_195:                            ;   in Loop: Header=BB173_162 Depth=1
	s_or_b64 exec, exec, s[2:3]
	v_frexp_mant_f64_e32 v[2:3], v[22:23]
	s_mov_b32 s31, s19
	v_cmp_gt_f64_e32 vcc, s[18:19], v[2:3]
	v_cndmask_b32_e64 v4, 0, 1, vcc
	v_ldexp_f64 v[2:3], v[2:3], v4
	v_frexp_exp_i32_f64_e32 v4, v[22:23]
	v_add_f64 v[18:19], v[2:3], 1.0
	v_add_f64 v[26:27], v[2:3], -1.0
	v_subbrev_co_u32_e32 v4, vcc, 0, v4, vcc
	v_cmp_class_f64_e64 vcc, v[22:23], s40
	v_rcp_f64_e32 v[20:21], v[18:19]
	v_add_f64 v[28:29], v[18:19], -1.0
	v_add_f64 v[2:3], v[2:3], -v[28:29]
	v_fma_f64 v[24:25], -v[18:19], v[20:21], 1.0
	v_fma_f64 v[20:21], v[24:25], v[20:21], v[20:21]
	v_fma_f64 v[24:25], -v[18:19], v[20:21], 1.0
	v_fma_f64 v[20:21], v[24:25], v[20:21], v[20:21]
	v_mul_f64 v[24:25], v[26:27], v[20:21]
	v_mul_f64 v[30:31], v[18:19], v[24:25]
	v_fma_f64 v[18:19], v[24:25], v[18:19], -v[30:31]
	v_fma_f64 v[2:3], v[24:25], v[2:3], v[18:19]
	v_add_f64 v[18:19], v[30:31], v[2:3]
	v_add_f64 v[28:29], v[26:27], -v[18:19]
	v_add_f64 v[30:31], v[18:19], -v[30:31]
	;; [unrolled: 1-line block ×5, first 2 shown]
	v_add_f64 v[2:3], v[2:3], v[18:19]
	v_add_f64 v[2:3], v[28:29], v[2:3]
	v_mul_f64 v[2:3], v[20:21], v[2:3]
	v_add_f64 v[18:19], v[24:25], v[2:3]
	v_mul_f64 v[20:21], v[18:19], v[18:19]
	v_fma_f64 v[26:27], v[20:21], s[20:21], v[36:37]
	v_mul_f64 v[28:29], v[18:19], v[20:21]
	v_fma_f64 v[26:27], v[20:21], v[26:27], s[22:23]
	v_fma_f64 v[26:27], v[20:21], v[26:27], s[24:25]
	;; [unrolled: 1-line block ×5, first 2 shown]
	v_ldexp_f64 v[26:27], v[18:19], 1
	v_add_f64 v[18:19], v[18:19], -v[24:25]
	v_mul_f64 v[20:21], v[28:29], v[20:21]
	v_cvt_f64_i32_e32 v[28:29], v4
	v_add_f64 v[2:3], v[2:3], -v[18:19]
	v_mul_f64 v[30:31], v[28:29], s[34:35]
	v_add_f64 v[24:25], v[26:27], v[20:21]
	v_ldexp_f64 v[2:3], v[2:3], 1
	v_add_f64 v[18:19], v[24:25], -v[26:27]
	v_fma_f64 v[26:27], v[28:29], s[34:35], -v[30:31]
	v_add_f64 v[18:19], v[20:21], -v[18:19]
	v_fma_f64 v[20:21], v[28:29], s[36:37], v[26:27]
	v_add_f64 v[2:3], v[2:3], v[18:19]
	v_add_f64 v[18:19], v[30:31], v[20:21]
	;; [unrolled: 1-line block ×3, first 2 shown]
	v_add_f64 v[30:31], v[18:19], -v[30:31]
	v_add_f64 v[28:29], v[18:19], v[26:27]
	v_add_f64 v[24:25], v[26:27], -v[24:25]
	v_add_f64 v[20:21], v[20:21], -v[30:31]
	;; [unrolled: 1-line block ×6, first 2 shown]
	v_add_f64 v[26:27], v[20:21], v[2:3]
	v_add_f64 v[18:19], v[18:19], -v[42:43]
	v_add_f64 v[18:19], v[24:25], v[18:19]
	v_add_f64 v[24:25], v[26:27], -v[20:21]
	v_add_f64 v[18:19], v[26:27], v[18:19]
	v_add_f64 v[26:27], v[26:27], -v[24:25]
	v_add_f64 v[2:3], v[2:3], -v[24:25]
	v_add_f64 v[30:31], v[28:29], v[18:19]
	v_add_f64 v[20:21], v[20:21], -v[26:27]
	v_add_f64 v[24:25], v[30:31], -v[28:29]
	v_add_f64 v[2:3], v[2:3], v[20:21]
	v_mov_b32_e32 v20, 0
	v_mov_b32_e32 v21, 0x7ff80000
	v_add_f64 v[18:19], v[18:19], -v[24:25]
	v_add_f64 v[2:3], v[2:3], v[18:19]
	v_add_f64 v[2:3], v[30:31], v[2:3]
	v_cndmask_b32_e32 v2, v2, v22, vcc
	v_cndmask_b32_e32 v3, v3, v23, vcc
	v_cmp_ngt_f64_e32 vcc, 0, v[22:23]
	v_cndmask_b32_e32 v3, v60, v3, vcc
	v_cmp_nge_f64_e32 vcc, 0, v[22:23]
	v_cndmask_b32_e32 v18, 0, v2, vcc
	v_cmp_neq_f64_e32 vcc, 0, v[22:23]
	v_cndmask_b32_e32 v19, v61, v3, vcc
.LBB173_196:                            ;   in Loop: Header=BB173_162 Depth=1
	s_or_b64 exec, exec, s[0:1]
	s_waitcnt vmcnt(2)
	v_cmp_o_f64_e32 vcc, v[10:11], v[12:13]
                                        ; implicit-def: $vgpr22_vgpr23
	s_and_saveexec_b64 s[0:1], vcc
	s_xor_b64 s[90:91], exec, s[0:1]
	s_cbranch_execz .LBB173_224
; %bb.197:                              ;   in Loop: Header=BB173_162 Depth=1
	v_cmp_lt_f64_e64 s[0:1], |v[10:11]|, |v[12:13]|
	v_and_b32_e32 v2, 0x7fffffff, v11
	v_and_b32_e32 v3, 0x7fffffff, v13
	s_mov_b32 s2, 0x85ebc8a0
	s_mov_b32 s3, 0x7fd1ccf3
	v_mov_b32_e32 v4, v12
                                        ; implicit-def: $vgpr22_vgpr23
	v_cndmask_b32_e64 v27, v3, v2, s[0:1]
	v_cndmask_b32_e64 v26, v12, v10, s[0:1]
	v_cmp_nlt_f64_e32 vcc, s[2:3], v[26:27]
	s_and_saveexec_b64 s[2:3], vcc
	s_xor_b64 s[92:93], exec, s[2:3]
	s_cbranch_execz .LBB173_221
; %bb.198:                              ;   in Loop: Header=BB173_162 Depth=1
	v_cndmask_b32_e64 v29, v2, v3, s[0:1]
	v_cndmask_b32_e64 v28, v10, v4, s[0:1]
	v_cmp_neq_f64_e32 vcc, 1.0, v[28:29]
                                        ; implicit-def: $vgpr22_vgpr23
	s_and_saveexec_b64 s[2:3], vcc
	s_xor_b64 s[94:95], exec, s[2:3]
	s_cbranch_execz .LBB173_214
; %bb.199:                              ;   in Loop: Header=BB173_162 Depth=1
	v_max_f64 v[2:3], v[26:27], v[26:27]
	v_max_f64 v[22:23], v[28:29], v[28:29]
	s_mov_b32 s2, 0x4ad4b81f
	s_mov_b32 s3, 0x358dee7a
	v_min_f64 v[24:25], v[22:23], v[2:3]
	v_max_f64 v[2:3], v[22:23], v[2:3]
	v_cmp_ngt_f64_e32 vcc, s[2:3], v[24:25]
	s_mov_b32 s2, 0xc57e649a
	s_mov_b32 s3, 0x4a511b0e
	v_cmp_nlt_f64_e64 s[2:3], s[2:3], v[2:3]
                                        ; implicit-def: $vgpr22_vgpr23
	s_and_b64 s[2:3], s[2:3], vcc
	s_and_saveexec_b64 s[4:5], s[2:3]
	s_xor_b64 s[80:81], exec, s[4:5]
	s_cbranch_execz .LBB173_211
; %bb.200:                              ;   in Loop: Header=BB173_162 Depth=1
	v_cmp_le_f64_e32 vcc, 1.0, v[28:29]
                                        ; implicit-def: $vgpr22_vgpr23
	s_and_saveexec_b64 s[2:3], vcc
	s_xor_b64 s[14:15], exec, s[2:3]
	s_cbranch_execz .LBB173_202
; %bb.201:                              ;   in Loop: Header=BB173_162 Depth=1
	v_add_f64 v[2:3], v[28:29], -1.0
	v_add_f64 v[22:23], v[28:29], 1.0
	s_mov_b32 s31, s19
	s_mov_b32 s88, s78
	v_cmp_class_f64_e64 s[38:39], v[10:11], s40
	v_mul_f64 v[2:3], v[2:3], v[22:23]
	v_fma_f64 v[2:3], v[26:27], v[26:27], v[2:3]
	v_add_f64 v[22:23], v[2:3], 1.0
	v_cmp_nge_f64_e64 s[4:5], -1.0, v[2:3]
	v_cmp_neq_f64_e64 s[6:7], s[82:83], v[2:3]
	v_frexp_mant_f64_e32 v[26:27], v[22:23]
	v_frexp_exp_i32_f64_e32 v4, v[22:23]
	v_add_f64 v[24:25], v[22:23], -1.0
	v_cmp_gt_f64_e32 vcc, s[18:19], v[26:27]
	v_add_f64 v[28:29], v[24:25], -v[22:23]
	v_add_f64 v[24:25], v[2:3], -v[24:25]
	v_subbrev_co_u32_e32 v4, vcc, 0, v4, vcc
	v_sub_u32_e32 v30, 0, v4
	v_ldexp_f64 v[22:23], v[22:23], v30
	v_add_f64 v[26:27], v[28:29], 1.0
	v_add_f64 v[28:29], v[22:23], 1.0
	v_add_f64 v[24:25], v[24:25], v[26:27]
	v_add_f64 v[42:43], v[22:23], -1.0
	v_add_f64 v[26:27], v[28:29], -1.0
	v_ldexp_f64 v[24:25], v[24:25], v30
	v_add_f64 v[44:45], v[42:43], 1.0
	v_add_f64 v[26:27], v[22:23], -v[26:27]
	v_add_f64 v[22:23], v[22:23], -v[44:45]
	v_add_f64 v[30:31], v[24:25], v[26:27]
	v_add_f64 v[44:45], v[24:25], v[22:23]
	;; [unrolled: 1-line block ×3, first 2 shown]
	v_rcp_f64_e32 v[32:33], v[26:27]
	v_add_f64 v[28:29], v[26:27], -v[28:29]
	v_add_f64 v[30:31], v[30:31], -v[28:29]
	v_fma_f64 v[46:47], -v[26:27], v[32:33], 1.0
	v_fma_f64 v[32:33], v[46:47], v[32:33], v[32:33]
	v_add_f64 v[46:47], v[42:43], v[44:45]
	v_fma_f64 v[22:23], -v[26:27], v[32:33], 1.0
	v_add_f64 v[42:43], v[46:47], -v[42:43]
	v_fma_f64 v[22:23], v[22:23], v[32:33], v[32:33]
	v_add_f64 v[42:43], v[44:45], -v[42:43]
	v_mul_f64 v[24:25], v[46:47], v[22:23]
	v_mul_f64 v[32:33], v[26:27], v[24:25]
	v_fma_f64 v[28:29], v[24:25], v[26:27], -v[32:33]
	v_fma_f64 v[48:49], v[24:25], v[30:31], v[28:29]
	v_add_f64 v[50:51], v[32:33], v[48:49]
	v_add_f64 v[28:29], v[46:47], -v[50:51]
	v_add_f64 v[32:33], v[50:51], -v[32:33]
	;; [unrolled: 1-line block ×5, first 2 shown]
	v_add_f64 v[42:43], v[42:43], v[44:45]
	v_max_f64 v[44:45], |v[10:11]|, |v[10:11]|
	v_ashrrev_i32_e32 v10, 31, v11
	v_add_f64 v[32:33], v[32:33], v[42:43]
	v_max_f64 v[42:43], |v[12:13]|, |v[12:13]|
	v_add_f64 v[46:47], v[28:29], v[32:33]
	v_max_f64 v[48:49], v[44:45], v[42:43]
	v_min_f64 v[42:43], v[44:45], v[42:43]
	v_mul_f64 v[44:45], v[22:23], v[46:47]
	v_add_f64 v[28:29], v[28:29], -v[46:47]
	v_div_scale_f64 v[50:51], s[2:3], v[48:49], v[48:49], v[42:43]
	v_cmp_eq_f64_e64 s[2:3], 0, v[12:13]
	v_mul_f64 v[52:53], v[26:27], v[44:45]
	v_add_f64 v[28:29], v[32:33], v[28:29]
	v_fma_f64 v[26:27], v[44:45], v[26:27], -v[52:53]
	v_rcp_f64_e32 v[54:55], v[50:51]
	v_fma_f64 v[26:27], v[44:45], v[30:31], v[26:27]
	v_add_f64 v[30:31], v[52:53], v[26:27]
	v_fma_f64 v[56:57], -v[50:51], v[54:55], 1.0
	v_add_f64 v[66:67], v[46:47], -v[30:31]
	v_add_f64 v[32:33], v[30:31], -v[52:53]
	v_fma_f64 v[54:55], v[54:55], v[56:57], v[54:55]
	v_div_scale_f64 v[56:57], vcc, v[42:43], v[48:49], v[42:43]
	v_add_f64 v[46:47], v[46:47], -v[66:67]
	v_add_f64 v[26:27], v[32:33], -v[26:27]
	v_fma_f64 v[68:69], -v[50:51], v[54:55], 1.0
	v_add_f64 v[32:33], v[24:25], v[44:45]
	v_add_f64 v[30:31], v[46:47], -v[30:31]
	v_fma_f64 v[46:47], v[54:55], v[68:69], v[54:55]
	v_add_f64 v[24:25], v[32:33], -v[24:25]
	v_add_f64 v[28:29], v[28:29], v[30:31]
	v_mul_f64 v[30:31], v[56:57], v[46:47]
	v_add_f64 v[24:25], v[44:45], -v[24:25]
	v_add_f64 v[26:27], v[26:27], v[28:29]
	v_fma_f64 v[28:29], -v[50:51], v[30:31], v[56:57]
	v_add_f64 v[26:27], v[66:67], v[26:27]
	v_div_fmas_f64 v[28:29], v[28:29], v[46:47], v[30:31]
	v_cmp_gt_i32_e32 vcc, 0, v11
	v_mul_f64 v[22:23], v[22:23], v[26:27]
	v_add_f64 v[22:23], v[24:25], v[22:23]
	v_div_fixup_f64 v[24:25], v[28:29], v[48:49], v[42:43]
	v_add_f64 v[26:27], v[32:33], v[22:23]
	v_mul_f64 v[28:29], v[24:25], v[24:25]
	v_mul_f64 v[30:31], v[26:27], v[26:27]
	v_fma_f64 v[42:43], v[28:29], s[16:17], v[38:39]
	v_cmp_class_f64_e64 s[16:17], v[12:13], s40
	v_fma_f64 v[44:45], v[30:31], s[20:21], v[36:37]
	v_mul_f64 v[46:47], v[26:27], v[30:31]
	v_fma_f64 v[42:43], v[28:29], v[42:43], s[42:43]
	v_fma_f64 v[44:45], v[30:31], v[44:45], s[22:23]
	;; [unrolled: 1-line block ×10, first 2 shown]
	v_ldexp_f64 v[44:45], v[26:27], 1
	v_fma_f64 v[42:43], v[28:29], v[42:43], s[52:53]
	v_add_f64 v[26:27], v[26:27], -v[32:33]
	v_mul_f64 v[30:31], v[46:47], v[30:31]
	v_cvt_f64_i32_e32 v[46:47], v4
	v_fma_f64 v[42:43], v[28:29], v[42:43], s[54:55]
	v_add_f64 v[22:23], v[22:23], -v[26:27]
	v_cndmask_b32_e32 v4, v62, v63, vcc
	v_mul_f64 v[48:49], v[46:47], s[34:35]
	v_add_f64 v[32:33], v[44:45], v[30:31]
	v_fma_f64 v[42:43], v[28:29], v[42:43], s[56:57]
	v_ldexp_f64 v[22:23], v[22:23], 1
	v_add_f64 v[26:27], v[32:33], -v[44:45]
	v_fma_f64 v[44:45], v[46:47], s[34:35], -v[48:49]
	v_fma_f64 v[42:43], v[28:29], v[42:43], s[58:59]
	v_add_f64 v[26:27], v[30:31], -v[26:27]
	v_fma_f64 v[30:31], v[28:29], v[42:43], s[60:61]
	v_fma_f64 v[42:43], v[46:47], s[36:37], v[44:45]
	v_add_f64 v[22:23], v[22:23], v[26:27]
	v_fma_f64 v[26:27], v[28:29], v[30:31], s[62:63]
	v_add_f64 v[30:31], v[48:49], v[42:43]
	v_add_f64 v[44:45], v[32:33], v[22:23]
	v_fma_f64 v[26:27], v[28:29], v[26:27], s[64:65]
	v_add_f64 v[48:49], v[30:31], -v[48:49]
	v_add_f64 v[46:47], v[30:31], v[44:45]
	v_add_f64 v[32:33], v[44:45], -v[32:33]
	v_fma_f64 v[26:27], v[28:29], v[26:27], s[66:67]
	v_add_f64 v[42:43], v[42:43], -v[48:49]
	v_add_f64 v[50:51], v[46:47], -v[30:31]
	;; [unrolled: 1-line block ×3, first 2 shown]
	v_fma_f64 v[26:27], v[28:29], v[26:27], s[68:69]
	v_add_f64 v[52:53], v[46:47], -v[50:51]
	v_add_f64 v[32:33], v[44:45], -v[50:51]
	v_fma_f64 v[26:27], v[28:29], v[26:27], s[70:71]
	v_add_f64 v[44:45], v[42:43], v[22:23]
	v_add_f64 v[30:31], v[30:31], -v[52:53]
	v_fma_f64 v[26:27], v[28:29], v[26:27], s[72:73]
	v_add_f64 v[30:31], v[32:33], v[30:31]
	;; [unrolled: 3-line block ×3, first 2 shown]
	v_add_f64 v[44:45], v[44:45], -v[32:33]
	v_fma_f64 v[26:27], v[28:29], v[26:27], s[76:77]
	v_add_f64 v[22:23], v[22:23], -v[32:33]
	v_add_f64 v[48:49], v[46:47], v[30:31]
	v_mul_f64 v[26:27], v[28:29], v[26:27]
	v_add_f64 v[28:29], v[42:43], -v[44:45]
	v_add_f64 v[32:33], v[48:49], -v[46:47]
	v_fma_f64 v[24:25], v[24:25], v[26:27], v[24:25]
	v_add_f64 v[22:23], v[22:23], v[28:29]
	v_add_f64 v[26:27], v[30:31], -v[32:33]
	v_add_f64 v[28:29], -v[24:25], s[78:79]
	v_add_f64 v[22:23], v[22:23], v[26:27]
	v_cndmask_b32_e64 v25, v25, v29, s[0:1]
	v_cndmask_b32_e64 v24, v24, v28, s[0:1]
	v_add_f64 v[26:27], -v[24:25], s[88:89]
	v_and_b32_e32 v29, 0x54442d18, v10
	v_cndmask_b32_e32 v28, v64, v65, vcc
	v_add_f64 v[22:23], v[48:49], v[22:23]
	v_cndmask_b32_e32 v24, v24, v26, vcc
	v_and_b32_e32 v26, 0x400921fb, v10
	v_cndmask_b32_e64 v24, v24, v29, s[2:3]
	v_mul_f64 v[10:11], v[22:23], 0.5
	v_cndmask_b32_e32 v23, v25, v27, vcc
	v_bfi_b32 v22, s12, v28, v13
	v_cndmask_b32_e64 v23, v23, v26, s[2:3]
	s_and_b64 vcc, s[38:39], s[16:17]
	s_and_b64 s[2:3], s[4:5], s[6:7]
	v_cndmask_b32_e32 v25, v23, v22, vcc
	s_mov_b32 s16, 0xb5e68a13
	v_cndmask_b32_e64 v22, 0, v10, s[2:3]
	v_cmp_ngt_f64_e64 s[2:3], -1.0, v[2:3]
	v_cndmask_b32_e64 v11, v59, v11, s[6:7]
	s_mov_b32 s17, 0x3eeba404
	v_cndmask_b32_e32 v24, v24, v4, vcc
                                        ; implicit-def: $vgpr26_vgpr27
                                        ; implicit-def: $vgpr28_vgpr29
	v_cndmask_b32_e64 v10, v60, v11, s[2:3]
	v_cmp_neq_f64_e64 s[2:3], -1.0, v[2:3]
	v_cndmask_b32_e64 v23, v61, v10, s[2:3]
.LBB173_202:                            ;   in Loop: Header=BB173_162 Depth=1
	s_andn2_saveexec_b64 s[38:39], s[14:15]
	s_cbranch_execz .LBB173_210
; %bb.203:                              ;   in Loop: Header=BB173_162 Depth=1
	v_mul_f64 v[2:3], v[26:27], v[26:27]
	s_mov_b32 s2, 0x66666666
	s_mov_b32 s3, 0x3fe66666
                                        ; implicit-def: $vgpr22_vgpr23
	v_fma_f64 v[2:3], v[28:29], v[28:29], v[2:3]
	v_cmp_ge_f64_e32 vcc, s[2:3], v[2:3]
	s_and_saveexec_b64 s[2:3], vcc
	s_xor_b64 s[6:7], exec, s[2:3]
	s_cbranch_execz .LBB173_205
; %bb.204:                              ;   in Loop: Header=BB173_162 Depth=1
	v_frexp_mant_f64_e32 v[22:23], v[2:3]
	v_max_f64 v[30:31], |v[12:13]|, |v[12:13]|
	v_max_f64 v[32:33], |v[10:11]|, |v[10:11]|
	s_mov_b32 s31, s19
	s_mov_b32 s88, s78
	v_cmp_class_f64_e64 s[14:15], v[12:13], s40
	v_cmp_gt_f64_e64 s[2:3], s[18:19], v[22:23]
	v_cndmask_b32_e64 v4, 0, 1, s[2:3]
	v_ldexp_f64 v[22:23], v[22:23], v4
	v_frexp_exp_i32_f64_e32 v4, v[2:3]
	v_add_f64 v[24:25], v[22:23], 1.0
	v_add_f64 v[44:45], v[22:23], -1.0
	v_rcp_f64_e32 v[26:27], v[24:25]
	v_add_f64 v[48:49], v[24:25], -1.0
	v_add_f64 v[22:23], v[22:23], -v[48:49]
	v_fma_f64 v[28:29], -v[24:25], v[26:27], 1.0
	v_fma_f64 v[26:27], v[28:29], v[26:27], v[26:27]
	v_max_f64 v[28:29], v[32:33], v[30:31]
	v_min_f64 v[30:31], v[32:33], v[30:31]
	v_fma_f64 v[32:33], -v[24:25], v[26:27], 1.0
	v_div_scale_f64 v[42:43], s[4:5], v[28:29], v[28:29], v[30:31]
	v_cmp_neq_f64_e64 s[4:5], 0, v[2:3]
	v_fma_f64 v[26:27], v[32:33], v[26:27], v[26:27]
	v_mul_f64 v[32:33], v[44:45], v[26:27]
	v_rcp_f64_e32 v[46:47], v[42:43]
	v_mul_f64 v[50:51], v[24:25], v[32:33]
	v_fma_f64 v[24:25], v[32:33], v[24:25], -v[50:51]
	v_fma_f64 v[48:49], -v[42:43], v[46:47], 1.0
	v_fma_f64 v[22:23], v[32:33], v[22:23], v[24:25]
	v_fma_f64 v[24:25], v[46:47], v[48:49], v[46:47]
	v_div_scale_f64 v[48:49], vcc, v[30:31], v[28:29], v[30:31]
	v_add_f64 v[46:47], v[50:51], v[22:23]
	v_fma_f64 v[52:53], -v[42:43], v[24:25], 1.0
	v_add_f64 v[54:55], v[44:45], -v[46:47]
	v_add_f64 v[50:51], v[46:47], -v[50:51]
	v_fma_f64 v[24:25], v[24:25], v[52:53], v[24:25]
	v_add_f64 v[44:45], v[44:45], -v[54:55]
	v_add_f64 v[22:23], v[50:51], -v[22:23]
	v_mul_f64 v[52:53], v[48:49], v[24:25]
	v_add_f64 v[44:45], v[44:45], -v[46:47]
	v_fma_f64 v[42:43], -v[42:43], v[52:53], v[48:49]
	v_add_f64 v[22:23], v[22:23], v[44:45]
	v_div_fmas_f64 v[24:25], v[42:43], v[24:25], v[52:53]
	v_subbrev_co_u32_e64 v4, vcc, 0, v4, s[2:3]
	v_cmp_eq_f64_e64 s[2:3], 0, v[12:13]
	v_cmp_gt_i32_e32 vcc, 0, v11
	v_add_f64 v[22:23], v[54:55], v[22:23]
	v_mul_f64 v[22:23], v[26:27], v[22:23]
	v_div_fixup_f64 v[24:25], v[24:25], v[28:29], v[30:31]
	v_add_f64 v[26:27], v[32:33], v[22:23]
	v_mul_f64 v[28:29], v[24:25], v[24:25]
	v_mul_f64 v[30:31], v[26:27], v[26:27]
	v_fma_f64 v[42:43], v[28:29], s[16:17], v[38:39]
	v_cmp_class_f64_e64 s[16:17], v[10:11], s40
	v_fma_f64 v[44:45], v[30:31], s[20:21], v[36:37]
	v_mul_f64 v[46:47], v[26:27], v[30:31]
	v_fma_f64 v[42:43], v[28:29], v[42:43], s[42:43]
	v_fma_f64 v[44:45], v[30:31], v[44:45], s[22:23]
	;; [unrolled: 1-line block ×10, first 2 shown]
	v_ldexp_f64 v[44:45], v[26:27], 1
	v_fma_f64 v[42:43], v[28:29], v[42:43], s[52:53]
	v_add_f64 v[26:27], v[26:27], -v[32:33]
	v_mul_f64 v[30:31], v[46:47], v[30:31]
	v_cvt_f64_i32_e32 v[46:47], v4
	v_fma_f64 v[42:43], v[28:29], v[42:43], s[54:55]
	v_add_f64 v[22:23], v[22:23], -v[26:27]
	v_ashrrev_i32_e32 v4, 31, v11
	v_mul_f64 v[48:49], v[46:47], s[34:35]
	v_add_f64 v[32:33], v[44:45], v[30:31]
	v_fma_f64 v[42:43], v[28:29], v[42:43], s[56:57]
	v_ldexp_f64 v[22:23], v[22:23], 1
	v_add_f64 v[26:27], v[32:33], -v[44:45]
	v_fma_f64 v[44:45], v[46:47], s[34:35], -v[48:49]
	v_fma_f64 v[42:43], v[28:29], v[42:43], s[58:59]
	v_add_f64 v[26:27], v[30:31], -v[26:27]
	v_fma_f64 v[30:31], v[28:29], v[42:43], s[60:61]
	v_fma_f64 v[42:43], v[46:47], s[36:37], v[44:45]
	v_add_f64 v[22:23], v[22:23], v[26:27]
	v_fma_f64 v[26:27], v[28:29], v[30:31], s[62:63]
	v_add_f64 v[30:31], v[48:49], v[42:43]
	v_add_f64 v[44:45], v[32:33], v[22:23]
	v_fma_f64 v[26:27], v[28:29], v[26:27], s[64:65]
	v_add_f64 v[48:49], v[30:31], -v[48:49]
	v_add_f64 v[46:47], v[30:31], v[44:45]
	v_add_f64 v[32:33], v[44:45], -v[32:33]
	v_fma_f64 v[26:27], v[28:29], v[26:27], s[66:67]
	v_add_f64 v[42:43], v[42:43], -v[48:49]
	v_add_f64 v[50:51], v[46:47], -v[30:31]
	;; [unrolled: 1-line block ×3, first 2 shown]
	v_fma_f64 v[26:27], v[28:29], v[26:27], s[68:69]
	v_add_f64 v[52:53], v[46:47], -v[50:51]
	v_add_f64 v[32:33], v[44:45], -v[50:51]
	v_fma_f64 v[26:27], v[28:29], v[26:27], s[70:71]
	v_add_f64 v[44:45], v[42:43], v[22:23]
	v_add_f64 v[30:31], v[30:31], -v[52:53]
	v_fma_f64 v[26:27], v[28:29], v[26:27], s[72:73]
	v_add_f64 v[30:31], v[32:33], v[30:31]
	;; [unrolled: 3-line block ×3, first 2 shown]
	v_add_f64 v[44:45], v[44:45], -v[32:33]
	v_fma_f64 v[26:27], v[28:29], v[26:27], s[76:77]
	v_add_f64 v[22:23], v[22:23], -v[32:33]
	v_add_f64 v[48:49], v[46:47], v[30:31]
	v_mul_f64 v[26:27], v[28:29], v[26:27]
	v_add_f64 v[28:29], v[42:43], -v[44:45]
	v_add_f64 v[32:33], v[48:49], -v[46:47]
	v_fma_f64 v[24:25], v[24:25], v[26:27], v[24:25]
	v_add_f64 v[22:23], v[22:23], v[28:29]
	v_add_f64 v[26:27], v[30:31], -v[32:33]
	v_add_f64 v[28:29], -v[24:25], s[78:79]
	v_add_f64 v[22:23], v[22:23], v[26:27]
	v_cndmask_b32_e64 v25, v25, v29, s[0:1]
	v_cndmask_b32_e64 v24, v24, v28, s[0:1]
	v_add_f64 v[26:27], -v[24:25], s[88:89]
	v_and_b32_e32 v29, 0x54442d18, v4
	v_and_b32_e32 v4, 0x400921fb, v4
	v_cndmask_b32_e32 v28, v62, v63, vcc
	v_add_f64 v[22:23], v[48:49], v[22:23]
	v_cndmask_b32_e32 v24, v24, v26, vcc
	v_cndmask_b32_e32 v26, v64, v65, vcc
	;; [unrolled: 1-line block ×3, first 2 shown]
	v_bfi_b32 v2, s12, v26, v13
	v_mul_f64 v[10:11], v[22:23], 0.5
	v_cndmask_b32_e64 v24, v24, v29, s[2:3]
	v_cndmask_b32_e64 v3, v3, v4, s[2:3]
	s_and_b64 vcc, s[16:17], s[14:15]
	s_mov_b32 s16, 0xb5e68a13
	s_mov_b32 s17, 0x3eeba404
	v_cndmask_b32_e32 v25, v3, v2, vcc
	v_cndmask_b32_e32 v24, v24, v28, vcc
	v_cndmask_b32_e64 v23, v61, v11, s[4:5]
	v_cndmask_b32_e64 v22, 0, v10, s[4:5]
                                        ; implicit-def: $vgpr28_vgpr29
                                        ; implicit-def: $vgpr26_vgpr27
.LBB173_205:                            ;   in Loop: Header=BB173_162 Depth=1
	s_andn2_saveexec_b64 s[14:15], s[6:7]
	s_cbranch_execz .LBB173_209
; %bb.206:                              ;   in Loop: Header=BB173_162 Depth=1
	v_and_b32_e32 v35, 0x7ffffff8, v29
	v_and_b32_e32 v23, 0x7ffffff8, v27
	v_mov_b32_e32 v22, v34
	v_add_f64 v[2:3], v[28:29], -v[34:35]
	v_add_f64 v[24:25], v[26:27], -v[22:23]
	v_mov_b32_e32 v28, v34
	v_mov_b32_e32 v44, v34
	v_add_f64 v[32:33], v[34:35], v[34:35]
	v_add_f64 v[42:43], v[22:23], v[22:23]
	v_mul_f64 v[22:23], v[22:23], v[22:23]
	s_mov_b64 s[16:17], 0
	v_and_b32_e32 v29, -8, v3
	v_and_b32_e32 v45, -8, v25
	v_add_f64 v[50:51], v[2:3], -v[28:29]
	v_add_f64 v[52:53], v[24:25], -v[44:45]
	v_add_f64 v[54:55], v[28:29], v[28:29]
	v_add_f64 v[56:57], v[44:45], v[44:45]
	v_mul_f64 v[2:3], v[34:35], v[34:35]
	v_mul_f64 v[26:27], v[32:33], v[28:29]
	;; [unrolled: 1-line block ×11, first 2 shown]
.LBB173_207:                            ;   Parent Loop BB173_162 Depth=1
                                        ; =>  This Inner Loop Header: Depth=2
	v_cmp_nlt_f64_e32 vcc, v[2:3], v[22:23]
	v_cndmask_b32_e32 v53, v3, v23, vcc
	v_cndmask_b32_e32 v52, v2, v22, vcc
	v_cmp_nlt_f64_e64 s[2:3], v[52:53], v[26:27]
	v_cndmask_b32_e32 v3, v23, v3, vcc
	v_cndmask_b32_e32 v2, v22, v2, vcc
	v_cndmask_b32_e64 v55, v53, v27, s[2:3]
	v_cndmask_b32_e64 v54, v52, v26, s[2:3]
	v_cmp_nlt_f64_e64 s[4:5], v[54:55], v[24:25]
	v_cndmask_b32_e64 v23, v27, v53, s[2:3]
	v_cndmask_b32_e64 v22, v26, v52, s[2:3]
	s_and_b64 s[82:83], vcc, s[2:3]
	v_cndmask_b32_e64 v57, v55, v25, s[4:5]
	v_cndmask_b32_e64 v56, v54, v24, s[4:5]
	v_cmp_nlt_f64_e64 s[6:7], v[56:57], v[30:31]
	v_cndmask_b32_e64 v27, v25, v55, s[4:5]
	v_cndmask_b32_e64 v26, v24, v54, s[4:5]
	;; [unrolled: 1-line block ×4, first 2 shown]
	v_cmp_nlt_f64_e32 vcc, v[52:53], v[44:45]
	v_cndmask_b32_e64 v25, v31, v57, s[6:7]
	v_cndmask_b32_e64 v24, v30, v56, s[6:7]
	s_and_b64 s[6:7], s[4:5], s[6:7]
	v_cndmask_b32_e32 v55, v53, v45, vcc
	v_cndmask_b32_e32 v54, v52, v44, vcc
	v_cmp_nlt_f64_e64 s[2:3], v[54:55], v[48:49]
	v_cndmask_b32_e32 v31, v45, v53, vcc
	v_cndmask_b32_e32 v30, v44, v52, vcc
	v_cndmask_b32_e64 v53, v55, v49, s[2:3]
	v_cndmask_b32_e64 v52, v54, v48, s[2:3]
	v_cmp_nlt_f64_e64 s[4:5], v[52:53], v[46:47]
	v_cndmask_b32_e64 v45, v49, v55, s[2:3]
	v_cndmask_b32_e64 v44, v48, v54, s[2:3]
	s_and_b64 s[2:3], vcc, s[2:3]
	v_cndmask_b32_e64 v55, v53, v47, s[4:5]
	v_cndmask_b32_e64 v54, v52, v46, s[4:5]
	v_cmp_nlt_f64_e32 vcc, v[54:55], v[42:43]
	v_cndmask_b32_e64 v49, v47, v53, s[4:5]
	v_cndmask_b32_e64 v48, v46, v52, s[4:5]
	s_and_b64 s[4:5], s[2:3], s[4:5]
	v_cndmask_b32_e32 v53, v55, v43, vcc
	v_cndmask_b32_e32 v52, v54, v42, vcc
	v_cmp_nlt_f64_e64 s[2:3], v[52:53], v[32:33]
	v_cndmask_b32_e32 v47, v43, v55, vcc
	v_cndmask_b32_e32 v46, v42, v54, vcc
	s_and_b64 s[4:5], s[4:5], vcc
	v_cndmask_b32_e64 v55, v53, v33, s[2:3]
	v_cndmask_b32_e64 v54, v52, v32, s[2:3]
	v_cmp_nlt_f64_e32 vcc, v[54:55], v[28:29]
	v_cndmask_b32_e64 v43, v33, v53, s[2:3]
	v_cndmask_b32_e64 v42, v32, v52, s[2:3]
	s_and_b64 s[4:5], s[4:5], s[2:3]
	v_cndmask_b32_e32 v57, v55, v29, vcc
	v_cndmask_b32_e32 v56, v54, v28, vcc
	v_cmp_nlt_f64_e64 s[2:3], v[56:57], v[50:51]
	s_and_b64 s[4:5], s[4:5], vcc
	v_cndmask_b32_e32 v33, v29, v55, vcc
	v_cndmask_b32_e32 v32, v28, v54, vcc
	v_cndmask_b32_e64 v53, v57, v51, s[2:3]
	v_cndmask_b32_e64 v52, v56, v50, s[2:3]
	;; [unrolled: 1-line block ×4, first 2 shown]
	s_and_b64 s[2:3], s[4:5], s[2:3]
	s_and_b64 s[2:3], s[2:3], s[6:7]
	;; [unrolled: 1-line block ×3, first 2 shown]
	s_and_b64 s[2:3], exec, s[2:3]
	v_mov_b32_e32 v50, v52
	s_or_b64 s[16:17], s[2:3], s[16:17]
	v_mov_b32_e32 v51, v53
	s_andn2_b64 exec, exec, s[16:17]
	s_cbranch_execnz .LBB173_207
; %bb.208:                              ;   in Loop: Header=BB173_162 Depth=1
	s_or_b64 exec, exec, s[16:17]
	v_add_f64 v[2:3], v[2:3], -1.0
	s_mov_b32 s31, s19
	s_mov_b32 s88, s78
	;; [unrolled: 1-line block ×4, first 2 shown]
	v_cmp_class_f64_e64 s[16:17], v[12:13], s40
	v_cmp_class_f64_e64 s[82:83], v[10:11], s40
	v_add_f64 v[2:3], v[2:3], v[22:23]
	v_add_f64 v[2:3], v[2:3], v[26:27]
	v_add_f64 v[2:3], v[2:3], v[24:25]
	v_add_f64 v[2:3], v[2:3], v[30:31]
	v_add_f64 v[2:3], v[2:3], v[44:45]
	v_add_f64 v[2:3], v[2:3], v[48:49]
	v_add_f64 v[2:3], v[2:3], v[46:47]
	v_add_f64 v[2:3], v[2:3], v[42:43]
	v_add_f64 v[2:3], v[2:3], v[32:33]
	v_add_f64 v[2:3], v[2:3], v[28:29]
	v_add_f64 v[2:3], v[52:53], v[2:3]
	v_add_f64 v[22:23], v[2:3], 1.0
	v_cmp_nge_f64_e64 s[4:5], -1.0, v[2:3]
	v_cmp_neq_f64_e64 s[6:7], s[6:7], v[2:3]
	v_frexp_mant_f64_e32 v[26:27], v[22:23]
	v_frexp_exp_i32_f64_e32 v4, v[22:23]
	v_add_f64 v[24:25], v[22:23], -1.0
	v_cmp_gt_f64_e32 vcc, s[18:19], v[26:27]
	v_add_f64 v[28:29], v[24:25], -v[22:23]
	v_add_f64 v[24:25], v[2:3], -v[24:25]
	v_subbrev_co_u32_e32 v4, vcc, 0, v4, vcc
	v_sub_u32_e32 v30, 0, v4
	v_ldexp_f64 v[22:23], v[22:23], v30
	v_add_f64 v[26:27], v[28:29], 1.0
	v_add_f64 v[28:29], v[22:23], 1.0
	v_add_f64 v[24:25], v[24:25], v[26:27]
	v_add_f64 v[42:43], v[22:23], -1.0
	v_add_f64 v[26:27], v[28:29], -1.0
	v_ldexp_f64 v[24:25], v[24:25], v30
	v_add_f64 v[44:45], v[42:43], 1.0
	v_add_f64 v[26:27], v[22:23], -v[26:27]
	v_add_f64 v[22:23], v[22:23], -v[44:45]
	v_add_f64 v[30:31], v[24:25], v[26:27]
	v_add_f64 v[44:45], v[24:25], v[22:23]
	;; [unrolled: 1-line block ×3, first 2 shown]
	v_rcp_f64_e32 v[32:33], v[26:27]
	v_add_f64 v[28:29], v[26:27], -v[28:29]
	v_add_f64 v[30:31], v[30:31], -v[28:29]
	v_fma_f64 v[46:47], -v[26:27], v[32:33], 1.0
	v_fma_f64 v[32:33], v[46:47], v[32:33], v[32:33]
	v_add_f64 v[46:47], v[42:43], v[44:45]
	v_fma_f64 v[22:23], -v[26:27], v[32:33], 1.0
	v_add_f64 v[42:43], v[46:47], -v[42:43]
	v_fma_f64 v[22:23], v[22:23], v[32:33], v[32:33]
	v_add_f64 v[42:43], v[44:45], -v[42:43]
	v_mul_f64 v[24:25], v[46:47], v[22:23]
	v_mul_f64 v[32:33], v[26:27], v[24:25]
	v_fma_f64 v[28:29], v[24:25], v[26:27], -v[32:33]
	v_fma_f64 v[48:49], v[24:25], v[30:31], v[28:29]
	v_add_f64 v[50:51], v[32:33], v[48:49]
	v_add_f64 v[28:29], v[46:47], -v[50:51]
	v_add_f64 v[32:33], v[50:51], -v[32:33]
	;; [unrolled: 1-line block ×5, first 2 shown]
	v_add_f64 v[42:43], v[42:43], v[44:45]
	v_max_f64 v[44:45], |v[10:11]|, |v[10:11]|
	v_ashrrev_i32_e32 v10, 31, v11
	v_add_f64 v[32:33], v[32:33], v[42:43]
	v_max_f64 v[42:43], |v[12:13]|, |v[12:13]|
	v_add_f64 v[46:47], v[28:29], v[32:33]
	v_max_f64 v[48:49], v[44:45], v[42:43]
	v_min_f64 v[42:43], v[44:45], v[42:43]
	v_mul_f64 v[44:45], v[22:23], v[46:47]
	v_add_f64 v[28:29], v[28:29], -v[46:47]
	v_div_scale_f64 v[50:51], s[2:3], v[48:49], v[48:49], v[42:43]
	s_mov_b32 s2, 0xb5e68a13
	s_mov_b32 s3, 0x3eeba404
	v_mul_f64 v[52:53], v[26:27], v[44:45]
	v_add_f64 v[28:29], v[32:33], v[28:29]
	v_fma_f64 v[26:27], v[44:45], v[26:27], -v[52:53]
	v_rcp_f64_e32 v[54:55], v[50:51]
	v_fma_f64 v[26:27], v[44:45], v[30:31], v[26:27]
	v_add_f64 v[30:31], v[52:53], v[26:27]
	v_fma_f64 v[56:57], -v[50:51], v[54:55], 1.0
	v_add_f64 v[66:67], v[46:47], -v[30:31]
	v_add_f64 v[32:33], v[30:31], -v[52:53]
	v_fma_f64 v[54:55], v[54:55], v[56:57], v[54:55]
	v_div_scale_f64 v[56:57], vcc, v[42:43], v[48:49], v[42:43]
	v_add_f64 v[46:47], v[46:47], -v[66:67]
	v_add_f64 v[26:27], v[32:33], -v[26:27]
	v_fma_f64 v[68:69], -v[50:51], v[54:55], 1.0
	v_add_f64 v[32:33], v[24:25], v[44:45]
	v_add_f64 v[30:31], v[46:47], -v[30:31]
	v_fma_f64 v[46:47], v[54:55], v[68:69], v[54:55]
	v_add_f64 v[24:25], v[32:33], -v[24:25]
	v_add_f64 v[28:29], v[28:29], v[30:31]
	v_mul_f64 v[30:31], v[56:57], v[46:47]
	v_add_f64 v[24:25], v[44:45], -v[24:25]
	v_add_f64 v[26:27], v[26:27], v[28:29]
	v_fma_f64 v[28:29], -v[50:51], v[30:31], v[56:57]
	v_add_f64 v[26:27], v[66:67], v[26:27]
	v_div_fmas_f64 v[28:29], v[28:29], v[46:47], v[30:31]
	v_cmp_gt_i32_e32 vcc, 0, v11
	v_mul_f64 v[22:23], v[22:23], v[26:27]
	v_add_f64 v[22:23], v[24:25], v[22:23]
	v_div_fixup_f64 v[24:25], v[28:29], v[48:49], v[42:43]
	v_add_f64 v[26:27], v[32:33], v[22:23]
	v_mul_f64 v[28:29], v[24:25], v[24:25]
	v_mul_f64 v[30:31], v[26:27], v[26:27]
	v_fma_f64 v[42:43], v[28:29], s[2:3], v[38:39]
	v_cmp_eq_f64_e64 s[2:3], 0, v[12:13]
	v_fma_f64 v[44:45], v[30:31], s[20:21], v[36:37]
	v_mul_f64 v[46:47], v[26:27], v[30:31]
	v_fma_f64 v[42:43], v[28:29], v[42:43], s[42:43]
	v_fma_f64 v[44:45], v[30:31], v[44:45], s[22:23]
	;; [unrolled: 1-line block ×10, first 2 shown]
	v_ldexp_f64 v[44:45], v[26:27], 1
	v_fma_f64 v[42:43], v[28:29], v[42:43], s[52:53]
	v_add_f64 v[26:27], v[26:27], -v[32:33]
	v_mul_f64 v[30:31], v[46:47], v[30:31]
	v_cvt_f64_i32_e32 v[46:47], v4
	v_fma_f64 v[42:43], v[28:29], v[42:43], s[54:55]
	v_add_f64 v[22:23], v[22:23], -v[26:27]
	v_cndmask_b32_e32 v4, v62, v63, vcc
	v_mul_f64 v[48:49], v[46:47], s[34:35]
	v_add_f64 v[32:33], v[44:45], v[30:31]
	v_fma_f64 v[42:43], v[28:29], v[42:43], s[56:57]
	v_ldexp_f64 v[22:23], v[22:23], 1
	v_add_f64 v[26:27], v[32:33], -v[44:45]
	v_fma_f64 v[44:45], v[46:47], s[34:35], -v[48:49]
	v_fma_f64 v[42:43], v[28:29], v[42:43], s[58:59]
	v_add_f64 v[26:27], v[30:31], -v[26:27]
	v_fma_f64 v[30:31], v[28:29], v[42:43], s[60:61]
	v_fma_f64 v[42:43], v[46:47], s[36:37], v[44:45]
	v_add_f64 v[22:23], v[22:23], v[26:27]
	v_fma_f64 v[26:27], v[28:29], v[30:31], s[62:63]
	v_add_f64 v[30:31], v[48:49], v[42:43]
	v_add_f64 v[44:45], v[32:33], v[22:23]
	v_fma_f64 v[26:27], v[28:29], v[26:27], s[64:65]
	v_add_f64 v[48:49], v[30:31], -v[48:49]
	v_add_f64 v[46:47], v[30:31], v[44:45]
	v_add_f64 v[32:33], v[44:45], -v[32:33]
	v_fma_f64 v[26:27], v[28:29], v[26:27], s[66:67]
	v_add_f64 v[42:43], v[42:43], -v[48:49]
	v_add_f64 v[50:51], v[46:47], -v[30:31]
	;; [unrolled: 1-line block ×3, first 2 shown]
	v_fma_f64 v[26:27], v[28:29], v[26:27], s[68:69]
	v_add_f64 v[52:53], v[46:47], -v[50:51]
	v_add_f64 v[32:33], v[44:45], -v[50:51]
	v_fma_f64 v[26:27], v[28:29], v[26:27], s[70:71]
	v_add_f64 v[44:45], v[42:43], v[22:23]
	v_add_f64 v[30:31], v[30:31], -v[52:53]
	v_fma_f64 v[26:27], v[28:29], v[26:27], s[72:73]
	v_add_f64 v[30:31], v[32:33], v[30:31]
	;; [unrolled: 3-line block ×3, first 2 shown]
	v_add_f64 v[44:45], v[44:45], -v[32:33]
	v_fma_f64 v[26:27], v[28:29], v[26:27], s[76:77]
	v_add_f64 v[22:23], v[22:23], -v[32:33]
	v_add_f64 v[48:49], v[46:47], v[30:31]
	v_mul_f64 v[26:27], v[28:29], v[26:27]
	v_add_f64 v[28:29], v[42:43], -v[44:45]
	v_add_f64 v[32:33], v[48:49], -v[46:47]
	v_fma_f64 v[24:25], v[24:25], v[26:27], v[24:25]
	v_add_f64 v[22:23], v[22:23], v[28:29]
	v_add_f64 v[26:27], v[30:31], -v[32:33]
	v_add_f64 v[28:29], -v[24:25], s[78:79]
	v_add_f64 v[22:23], v[22:23], v[26:27]
	v_cndmask_b32_e64 v25, v25, v29, s[0:1]
	v_cndmask_b32_e64 v24, v24, v28, s[0:1]
	v_add_f64 v[26:27], -v[24:25], s[88:89]
	v_and_b32_e32 v29, 0x54442d18, v10
	v_cndmask_b32_e32 v28, v64, v65, vcc
	v_add_f64 v[22:23], v[48:49], v[22:23]
	v_cndmask_b32_e32 v24, v24, v26, vcc
	v_and_b32_e32 v26, 0x400921fb, v10
	v_cndmask_b32_e64 v24, v24, v29, s[2:3]
	v_mul_f64 v[10:11], v[22:23], 0.5
	v_cndmask_b32_e32 v23, v25, v27, vcc
	v_bfi_b32 v22, s12, v28, v13
	v_cndmask_b32_e64 v23, v23, v26, s[2:3]
	s_and_b64 vcc, s[82:83], s[16:17]
	s_and_b64 s[2:3], s[4:5], s[6:7]
	v_cndmask_b32_e32 v25, v23, v22, vcc
	s_mov_b32 s16, 0xb5e68a13
	v_cndmask_b32_e64 v22, 0, v10, s[2:3]
	v_cmp_ngt_f64_e64 s[2:3], -1.0, v[2:3]
	v_cndmask_b32_e64 v11, v59, v11, s[6:7]
	s_mov_b32 s82, 0
	s_mov_b32 s17, 0x3eeba404
	;; [unrolled: 1-line block ×3, first 2 shown]
	v_cndmask_b32_e32 v24, v24, v4, vcc
	v_cndmask_b32_e64 v10, v60, v11, s[2:3]
	v_cmp_neq_f64_e64 s[2:3], -1.0, v[2:3]
	v_cndmask_b32_e64 v23, v61, v10, s[2:3]
.LBB173_209:                            ;   in Loop: Header=BB173_162 Depth=1
	s_or_b64 exec, exec, s[14:15]
.LBB173_210:                            ;   in Loop: Header=BB173_162 Depth=1
	s_or_b64 exec, exec, s[38:39]
.LBB173_211:                            ;   in Loop: Header=BB173_162 Depth=1
	s_andn2_saveexec_b64 s[6:7], s[80:81]
	s_cbranch_execz .LBB173_213
; %bb.212:                              ;   in Loop: Header=BB173_162 Depth=1
	v_max_f64 v[22:23], |v[12:13]|, |v[12:13]|
	v_max_f64 v[24:25], |v[10:11]|, |v[10:11]|
	v_cmp_class_f64_e64 s[14:15], v[10:11], s40
	v_cmp_class_f64_e64 s[38:39], v[12:13], s40
	s_mov_b32 s31, s19
	s_mov_b32 s88, s78
	v_max_f64 v[26:27], v[24:25], v[22:23]
	v_min_f64 v[22:23], v[24:25], v[22:23]
	v_frexp_exp_i32_f64_e32 v4, v[26:27]
	v_sub_u32_e32 v28, 0, v4
	v_ldexp_f64 v[2:3], |v[12:13]|, v28
	v_ldexp_f64 v[28:29], |v[10:11]|, v28
	v_mul_f64 v[2:3], v[2:3], v[2:3]
	v_fma_f64 v[2:3], v[28:29], v[28:29], v[2:3]
	v_rsq_f64_e32 v[28:29], v[2:3]
	v_cmp_eq_f64_e32 vcc, 0, v[2:3]
	v_mul_f64 v[30:31], v[2:3], v[28:29]
	v_mul_f64 v[28:29], v[28:29], 0.5
	v_fma_f64 v[32:33], -v[28:29], v[30:31], 0.5
	v_fma_f64 v[30:31], v[30:31], v[32:33], v[30:31]
	v_fma_f64 v[28:29], v[28:29], v[32:33], v[28:29]
	v_fma_f64 v[32:33], -v[30:31], v[30:31], v[2:3]
	v_fma_f64 v[28:29], v[32:33], v[28:29], v[30:31]
	v_cndmask_b32_e32 v3, v29, v3, vcc
	v_cndmask_b32_e32 v2, v28, v2, vcc
	v_ldexp_f64 v[2:3], v[2:3], v4
	s_or_b64 vcc, s[14:15], s[38:39]
	v_cndmask_b32_e32 v3, v3, v59, vcc
	v_cndmask_b32_e64 v2, v2, 0, vcc
	v_frexp_mant_f64_e32 v[28:29], v[2:3]
	v_cmp_gt_f64_e64 s[2:3], s[18:19], v[28:29]
	v_cndmask_b32_e64 v4, 0, 1, s[2:3]
	v_ldexp_f64 v[28:29], v[28:29], v4
	v_frexp_exp_i32_f64_e32 v4, v[2:3]
	v_add_f64 v[30:31], v[28:29], 1.0
	v_add_f64 v[44:45], v[28:29], -1.0
	v_rcp_f64_e32 v[32:33], v[30:31]
	v_add_f64 v[48:49], v[30:31], -1.0
	v_add_f64 v[28:29], v[28:29], -v[48:49]
	v_fma_f64 v[42:43], -v[30:31], v[32:33], 1.0
	v_fma_f64 v[24:25], v[42:43], v[32:33], v[32:33]
	v_div_scale_f64 v[32:33], s[4:5], v[26:27], v[26:27], v[22:23]
	v_cmp_class_f64_e64 s[4:5], v[2:3], s40
	v_fma_f64 v[42:43], -v[30:31], v[24:25], 1.0
	v_fma_f64 v[24:25], v[42:43], v[24:25], v[24:25]
	v_rcp_f64_e32 v[42:43], v[32:33]
	v_mul_f64 v[46:47], v[44:45], v[24:25]
	v_mul_f64 v[50:51], v[30:31], v[46:47]
	v_fma_f64 v[52:53], -v[32:33], v[42:43], 1.0
	v_fma_f64 v[30:31], v[46:47], v[30:31], -v[50:51]
	v_fma_f64 v[42:43], v[42:43], v[52:53], v[42:43]
	v_fma_f64 v[28:29], v[46:47], v[28:29], v[30:31]
	v_div_scale_f64 v[30:31], vcc, v[22:23], v[26:27], v[22:23]
	v_fma_f64 v[48:49], -v[32:33], v[42:43], 1.0
	v_add_f64 v[52:53], v[50:51], v[28:29]
	v_fma_f64 v[42:43], v[42:43], v[48:49], v[42:43]
	v_add_f64 v[48:49], v[44:45], -v[52:53]
	v_add_f64 v[50:51], v[52:53], -v[50:51]
	v_mul_f64 v[54:55], v[30:31], v[42:43]
	v_add_f64 v[44:45], v[44:45], -v[48:49]
	v_add_f64 v[28:29], v[50:51], -v[28:29]
	v_fma_f64 v[30:31], -v[32:33], v[54:55], v[30:31]
	v_add_f64 v[32:33], v[44:45], -v[52:53]
	v_div_fmas_f64 v[30:31], v[30:31], v[42:43], v[54:55]
	v_subbrev_co_u32_e64 v4, vcc, 0, v4, s[2:3]
	v_cmp_eq_f64_e64 s[2:3], 0, v[12:13]
	v_cmp_gt_i32_e32 vcc, 0, v11
	v_add_f64 v[28:29], v[28:29], v[32:33]
	v_add_f64 v[28:29], v[48:49], v[28:29]
	v_div_fixup_f64 v[22:23], v[30:31], v[26:27], v[22:23]
	v_mul_f64 v[24:25], v[24:25], v[28:29]
	v_mul_f64 v[26:27], v[22:23], v[22:23]
	v_add_f64 v[28:29], v[46:47], v[24:25]
	v_fma_f64 v[30:31], v[26:27], s[16:17], v[38:39]
	v_mul_f64 v[32:33], v[28:29], v[28:29]
	v_fma_f64 v[30:31], v[26:27], v[30:31], s[42:43]
	v_fma_f64 v[42:43], v[32:33], s[20:21], v[36:37]
	v_mul_f64 v[44:45], v[28:29], v[32:33]
	v_fma_f64 v[30:31], v[26:27], v[30:31], s[44:45]
	v_fma_f64 v[42:43], v[32:33], v[42:43], s[22:23]
	;; [unrolled: 1-line block ×10, first 2 shown]
	v_ldexp_f64 v[42:43], v[28:29], 1
	v_add_f64 v[28:29], v[28:29], -v[46:47]
	v_fma_f64 v[30:31], v[26:27], v[30:31], s[54:55]
	v_cvt_f64_i32_e32 v[46:47], v4
	v_ashrrev_i32_e32 v4, 31, v11
	v_mul_f64 v[32:33], v[44:45], v[32:33]
	v_mul_f64 v[48:49], v[46:47], s[34:35]
	v_add_f64 v[24:25], v[24:25], -v[28:29]
	v_fma_f64 v[30:31], v[26:27], v[30:31], s[56:57]
	v_add_f64 v[44:45], v[42:43], v[32:33]
	v_ldexp_f64 v[24:25], v[24:25], 1
	v_fma_f64 v[30:31], v[26:27], v[30:31], s[58:59]
	v_add_f64 v[28:29], v[44:45], -v[42:43]
	v_fma_f64 v[42:43], v[46:47], s[34:35], -v[48:49]
	v_fma_f64 v[30:31], v[26:27], v[30:31], s[60:61]
	v_add_f64 v[28:29], v[32:33], -v[28:29]
	v_fma_f64 v[32:33], v[46:47], s[36:37], v[42:43]
	v_fma_f64 v[30:31], v[26:27], v[30:31], s[62:63]
	v_add_f64 v[24:25], v[24:25], v[28:29]
	v_fma_f64 v[28:29], v[26:27], v[30:31], s[64:65]
	v_add_f64 v[30:31], v[48:49], v[32:33]
	v_add_f64 v[42:43], v[44:45], v[24:25]
	v_fma_f64 v[28:29], v[26:27], v[28:29], s[66:67]
	v_add_f64 v[48:49], v[30:31], -v[48:49]
	v_add_f64 v[46:47], v[30:31], v[42:43]
	v_add_f64 v[44:45], v[42:43], -v[44:45]
	v_fma_f64 v[28:29], v[26:27], v[28:29], s[68:69]
	v_add_f64 v[32:33], v[32:33], -v[48:49]
	v_add_f64 v[50:51], v[46:47], -v[30:31]
	;; [unrolled: 1-line block ×3, first 2 shown]
	v_fma_f64 v[28:29], v[26:27], v[28:29], s[70:71]
	v_add_f64 v[52:53], v[46:47], -v[50:51]
	v_add_f64 v[42:43], v[42:43], -v[50:51]
	v_add_f64 v[44:45], v[32:33], v[24:25]
	v_fma_f64 v[28:29], v[26:27], v[28:29], s[72:73]
	v_add_f64 v[30:31], v[30:31], -v[52:53]
	v_fma_f64 v[28:29], v[26:27], v[28:29], s[74:75]
	v_add_f64 v[30:31], v[42:43], v[30:31]
	v_add_f64 v[42:43], v[44:45], -v[32:33]
	v_fma_f64 v[28:29], v[26:27], v[28:29], s[76:77]
	v_add_f64 v[30:31], v[44:45], v[30:31]
	v_add_f64 v[24:25], v[24:25], -v[42:43]
	v_mul_f64 v[26:27], v[26:27], v[28:29]
	v_add_f64 v[28:29], v[44:45], -v[42:43]
	v_add_f64 v[44:45], v[46:47], v[30:31]
	v_fma_f64 v[22:23], v[22:23], v[26:27], v[22:23]
	v_add_f64 v[26:27], v[32:33], -v[28:29]
	v_add_f64 v[28:29], v[44:45], -v[46:47]
	v_add_f64 v[32:33], -v[22:23], s[78:79]
	v_add_f64 v[24:25], v[24:25], v[26:27]
	v_add_f64 v[26:27], v[30:31], -v[28:29]
	v_cndmask_b32_e64 v23, v23, v33, s[0:1]
	v_cndmask_b32_e64 v22, v22, v32, s[0:1]
	v_add_f64 v[28:29], -v[22:23], s[88:89]
	v_add_f64 v[24:25], v[24:25], v[26:27]
	v_and_b32_e32 v27, 0x54442d18, v4
	v_and_b32_e32 v4, 0x400921fb, v4
	v_cndmask_b32_e32 v26, v62, v63, vcc
	v_cndmask_b32_e32 v22, v22, v28, vcc
	;; [unrolled: 1-line block ×3, first 2 shown]
	v_cndmask_b32_e64 v27, v22, v27, s[2:3]
	v_add_f64 v[10:11], v[44:45], v[24:25]
	v_cndmask_b32_e64 v4, v23, v4, s[2:3]
	v_cmp_ngt_f64_e64 s[2:3], 0, v[2:3]
	v_cndmask_b32_e32 v28, v64, v65, vcc
	v_bfi_b32 v24, s12, v28, v13
	s_and_b64 vcc, s[14:15], s[38:39]
	v_cndmask_b32_e32 v25, v4, v24, vcc
	v_cndmask_b32_e32 v24, v27, v26, vcc
	v_cndmask_b32_e64 v4, v10, v2, s[4:5]
	v_cndmask_b32_e64 v10, v11, v3, s[4:5]
	;; [unrolled: 1-line block ×3, first 2 shown]
	v_cmp_nge_f64_e64 s[2:3], 0, v[2:3]
	v_cndmask_b32_e64 v22, 0, v4, s[2:3]
	v_cmp_neq_f64_e64 s[2:3], 0, v[2:3]
	v_cndmask_b32_e64 v23, v61, v10, s[2:3]
.LBB173_213:                            ;   in Loop: Header=BB173_162 Depth=1
	s_or_b64 exec, exec, s[6:7]
                                        ; implicit-def: $vgpr26_vgpr27
.LBB173_214:                            ;   in Loop: Header=BB173_162 Depth=1
	s_andn2_saveexec_b64 s[6:7], s[94:95]
	s_cbranch_execz .LBB173_220
; %bb.215:                              ;   in Loop: Header=BB173_162 Depth=1
	s_mov_b32 s2, 0x6a3f9475
	s_mov_b32 s3, 0x20ca2fe7
	v_cmp_ngt_f64_e32 vcc, s[2:3], v[26:27]
                                        ; implicit-def: $vgpr22_vgpr23
	s_and_saveexec_b64 s[2:3], vcc
	s_xor_b64 s[14:15], exec, s[2:3]
	s_cbranch_execz .LBB173_217
; %bb.216:                              ;   in Loop: Header=BB173_162 Depth=1
	v_mul_f64 v[2:3], v[26:27], v[26:27]
	s_mov_b32 s31, s19
	s_mov_b32 s88, s78
	v_cmp_class_f64_e64 s[38:39], v[10:11], s40
	v_add_f64 v[22:23], v[2:3], 1.0
	v_cmp_neq_f64_e64 s[4:5], s[82:83], v[2:3]
	v_frexp_mant_f64_e32 v[26:27], v[22:23]
	v_frexp_exp_i32_f64_e32 v4, v[22:23]
	v_add_f64 v[24:25], v[22:23], -1.0
	v_cmp_gt_f64_e32 vcc, s[18:19], v[26:27]
	v_add_f64 v[28:29], v[24:25], -v[22:23]
	v_add_f64 v[24:25], v[2:3], -v[24:25]
	v_subbrev_co_u32_e32 v4, vcc, 0, v4, vcc
	v_sub_u32_e32 v30, 0, v4
	v_ldexp_f64 v[22:23], v[22:23], v30
	v_add_f64 v[26:27], v[28:29], 1.0
	v_add_f64 v[28:29], v[22:23], 1.0
	v_add_f64 v[24:25], v[24:25], v[26:27]
	v_add_f64 v[42:43], v[22:23], -1.0
	v_add_f64 v[26:27], v[28:29], -1.0
	v_ldexp_f64 v[24:25], v[24:25], v30
	v_add_f64 v[44:45], v[42:43], 1.0
	v_add_f64 v[26:27], v[22:23], -v[26:27]
	v_add_f64 v[22:23], v[22:23], -v[44:45]
	v_add_f64 v[30:31], v[24:25], v[26:27]
	v_add_f64 v[44:45], v[24:25], v[22:23]
	;; [unrolled: 1-line block ×3, first 2 shown]
	v_rcp_f64_e32 v[32:33], v[26:27]
	v_add_f64 v[28:29], v[28:29], -v[26:27]
	v_add_f64 v[30:31], v[30:31], v[28:29]
	v_fma_f64 v[46:47], -v[26:27], v[32:33], 1.0
	v_fma_f64 v[32:33], v[46:47], v[32:33], v[32:33]
	v_add_f64 v[46:47], v[42:43], v[44:45]
	v_fma_f64 v[22:23], -v[26:27], v[32:33], 1.0
	v_add_f64 v[42:43], v[42:43], -v[46:47]
	v_fma_f64 v[22:23], v[22:23], v[32:33], v[32:33]
	v_add_f64 v[42:43], v[44:45], v[42:43]
	v_mul_f64 v[24:25], v[46:47], v[22:23]
	v_mul_f64 v[32:33], v[26:27], v[24:25]
	v_fma_f64 v[28:29], v[24:25], v[26:27], -v[32:33]
	v_fma_f64 v[48:49], v[24:25], v[30:31], v[28:29]
	v_add_f64 v[50:51], v[32:33], v[48:49]
	v_add_f64 v[28:29], v[46:47], -v[50:51]
	v_add_f64 v[32:33], v[50:51], -v[32:33]
	v_add_f64 v[46:47], v[46:47], -v[28:29]
	v_add_f64 v[32:33], v[32:33], -v[48:49]
	v_add_f64 v[44:45], v[46:47], -v[50:51]
	v_add_f64 v[42:43], v[42:43], v[44:45]
	v_max_f64 v[44:45], |v[10:11]|, |v[10:11]|
	v_ashrrev_i32_e32 v10, 31, v11
	v_add_f64 v[32:33], v[32:33], v[42:43]
	v_max_f64 v[42:43], |v[12:13]|, |v[12:13]|
	v_add_f64 v[46:47], v[28:29], v[32:33]
	v_max_f64 v[48:49], v[44:45], v[42:43]
	v_min_f64 v[42:43], v[44:45], v[42:43]
	v_mul_f64 v[44:45], v[22:23], v[46:47]
	v_add_f64 v[28:29], v[28:29], -v[46:47]
	v_div_scale_f64 v[50:51], s[2:3], v[48:49], v[48:49], v[42:43]
	v_cmp_eq_f64_e64 s[2:3], 0, v[12:13]
	v_mul_f64 v[52:53], v[26:27], v[44:45]
	v_add_f64 v[28:29], v[32:33], v[28:29]
	v_fma_f64 v[26:27], v[44:45], v[26:27], -v[52:53]
	v_rcp_f64_e32 v[54:55], v[50:51]
	v_fma_f64 v[26:27], v[44:45], v[30:31], v[26:27]
	v_add_f64 v[30:31], v[52:53], v[26:27]
	v_fma_f64 v[56:57], -v[50:51], v[54:55], 1.0
	v_add_f64 v[66:67], v[46:47], -v[30:31]
	v_add_f64 v[32:33], v[30:31], -v[52:53]
	v_fma_f64 v[54:55], v[54:55], v[56:57], v[54:55]
	v_div_scale_f64 v[56:57], vcc, v[42:43], v[48:49], v[42:43]
	v_add_f64 v[46:47], v[46:47], -v[66:67]
	v_add_f64 v[26:27], v[32:33], -v[26:27]
	v_fma_f64 v[68:69], -v[50:51], v[54:55], 1.0
	v_add_f64 v[32:33], v[24:25], v[44:45]
	v_add_f64 v[30:31], v[46:47], -v[30:31]
	v_fma_f64 v[46:47], v[54:55], v[68:69], v[54:55]
	v_add_f64 v[24:25], v[32:33], -v[24:25]
	v_add_f64 v[28:29], v[28:29], v[30:31]
	v_mul_f64 v[30:31], v[56:57], v[46:47]
	v_add_f64 v[24:25], v[44:45], -v[24:25]
	v_add_f64 v[26:27], v[26:27], v[28:29]
	v_fma_f64 v[28:29], -v[50:51], v[30:31], v[56:57]
	v_add_f64 v[26:27], v[66:67], v[26:27]
	v_div_fmas_f64 v[28:29], v[28:29], v[46:47], v[30:31]
	v_cmp_gt_i32_e32 vcc, 0, v11
	v_mul_f64 v[22:23], v[22:23], v[26:27]
	v_add_f64 v[22:23], v[24:25], v[22:23]
	v_div_fixup_f64 v[24:25], v[28:29], v[48:49], v[42:43]
	v_add_f64 v[26:27], v[32:33], v[22:23]
	v_mul_f64 v[28:29], v[24:25], v[24:25]
	v_mul_f64 v[30:31], v[26:27], v[26:27]
	v_fma_f64 v[42:43], v[28:29], s[16:17], v[38:39]
	v_cmp_class_f64_e64 s[16:17], v[12:13], s40
	v_fma_f64 v[44:45], v[30:31], s[20:21], v[36:37]
	v_mul_f64 v[46:47], v[26:27], v[30:31]
	v_fma_f64 v[42:43], v[28:29], v[42:43], s[42:43]
	v_fma_f64 v[44:45], v[30:31], v[44:45], s[22:23]
	;; [unrolled: 1-line block ×10, first 2 shown]
	v_ldexp_f64 v[44:45], v[26:27], 1
	v_fma_f64 v[42:43], v[28:29], v[42:43], s[52:53]
	v_add_f64 v[26:27], v[26:27], -v[32:33]
	v_mul_f64 v[30:31], v[46:47], v[30:31]
	v_cvt_f64_i32_e32 v[46:47], v4
	v_fma_f64 v[42:43], v[28:29], v[42:43], s[54:55]
	v_add_f64 v[22:23], v[22:23], -v[26:27]
	v_cndmask_b32_e32 v4, v62, v63, vcc
	v_mul_f64 v[48:49], v[46:47], s[34:35]
	v_add_f64 v[32:33], v[44:45], v[30:31]
	v_fma_f64 v[42:43], v[28:29], v[42:43], s[56:57]
	v_ldexp_f64 v[22:23], v[22:23], 1
	v_add_f64 v[26:27], v[32:33], -v[44:45]
	v_fma_f64 v[44:45], v[46:47], s[34:35], -v[48:49]
	v_fma_f64 v[42:43], v[28:29], v[42:43], s[58:59]
	v_add_f64 v[26:27], v[30:31], -v[26:27]
	v_fma_f64 v[30:31], v[28:29], v[42:43], s[60:61]
	v_fma_f64 v[42:43], v[46:47], s[36:37], v[44:45]
	v_add_f64 v[22:23], v[22:23], v[26:27]
	v_fma_f64 v[26:27], v[28:29], v[30:31], s[62:63]
	v_add_f64 v[30:31], v[48:49], v[42:43]
	v_add_f64 v[44:45], v[32:33], v[22:23]
	v_fma_f64 v[26:27], v[28:29], v[26:27], s[64:65]
	v_add_f64 v[48:49], v[30:31], -v[48:49]
	v_add_f64 v[46:47], v[30:31], v[44:45]
	v_add_f64 v[32:33], v[44:45], -v[32:33]
	v_fma_f64 v[26:27], v[28:29], v[26:27], s[66:67]
	v_add_f64 v[42:43], v[42:43], -v[48:49]
	v_add_f64 v[50:51], v[46:47], -v[30:31]
	;; [unrolled: 1-line block ×3, first 2 shown]
	v_fma_f64 v[26:27], v[28:29], v[26:27], s[68:69]
	v_add_f64 v[52:53], v[46:47], -v[50:51]
	v_add_f64 v[32:33], v[44:45], -v[50:51]
	v_fma_f64 v[26:27], v[28:29], v[26:27], s[70:71]
	v_add_f64 v[44:45], v[42:43], v[22:23]
	v_add_f64 v[30:31], v[30:31], -v[52:53]
	v_fma_f64 v[26:27], v[28:29], v[26:27], s[72:73]
	v_add_f64 v[30:31], v[32:33], v[30:31]
	v_add_f64 v[32:33], v[44:45], -v[42:43]
	v_fma_f64 v[26:27], v[28:29], v[26:27], s[74:75]
	v_add_f64 v[30:31], v[44:45], v[30:31]
	v_add_f64 v[44:45], v[44:45], -v[32:33]
	v_fma_f64 v[26:27], v[28:29], v[26:27], s[76:77]
	v_add_f64 v[22:23], v[22:23], -v[32:33]
	v_add_f64 v[48:49], v[46:47], v[30:31]
	v_mul_f64 v[26:27], v[28:29], v[26:27]
	v_add_f64 v[28:29], v[42:43], -v[44:45]
	v_add_f64 v[32:33], v[48:49], -v[46:47]
	v_fma_f64 v[24:25], v[24:25], v[26:27], v[24:25]
	v_add_f64 v[22:23], v[22:23], v[28:29]
	v_add_f64 v[26:27], v[30:31], -v[32:33]
	v_add_f64 v[28:29], -v[24:25], s[78:79]
	v_add_f64 v[22:23], v[22:23], v[26:27]
	v_cndmask_b32_e64 v25, v25, v29, s[0:1]
	v_cndmask_b32_e64 v24, v24, v28, s[0:1]
	v_add_f64 v[26:27], -v[24:25], s[88:89]
	v_and_b32_e32 v28, 0x54442d18, v10
	v_and_b32_e32 v29, 0x400921fb, v10
	v_add_f64 v[22:23], v[48:49], v[22:23]
	v_cndmask_b32_e32 v24, v24, v26, vcc
	v_cndmask_b32_e32 v26, v64, v65, vcc
	v_cndmask_b32_e32 v3, v25, v27, vcc
	v_bfi_b32 v2, s12, v26, v13
	v_mul_f64 v[10:11], v[22:23], 0.5
	v_cndmask_b32_e64 v24, v24, v28, s[2:3]
	v_cndmask_b32_e64 v3, v3, v29, s[2:3]
	s_and_b64 vcc, s[38:39], s[16:17]
	s_mov_b32 s16, 0xb5e68a13
	s_mov_b32 s17, 0x3eeba404
	v_cndmask_b32_e32 v25, v3, v2, vcc
	v_cndmask_b32_e32 v24, v24, v4, vcc
	v_cndmask_b32_e64 v23, v59, v11, s[4:5]
	v_cndmask_b32_e64 v22, 0, v10, s[4:5]
                                        ; implicit-def: $vgpr26_vgpr27
.LBB173_217:                            ;   in Loop: Header=BB173_162 Depth=1
	s_andn2_saveexec_b64 s[4:5], s[14:15]
	s_cbranch_execz .LBB173_219
; %bb.218:                              ;   in Loop: Header=BB173_162 Depth=1
	v_max_f64 v[2:3], |v[12:13]|, |v[12:13]|
	v_max_f64 v[22:23], |v[10:11]|, |v[10:11]|
	s_mov_b32 s88, s78
	v_cmp_class_f64_e64 s[14:15], v[12:13], s40
	v_max_f64 v[24:25], v[22:23], v[2:3]
	v_min_f64 v[2:3], v[22:23], v[2:3]
	v_div_scale_f64 v[22:23], s[2:3], v[24:25], v[24:25], v[2:3]
	v_cmp_eq_f64_e64 s[2:3], 0, v[12:13]
	v_rcp_f64_e32 v[28:29], v[22:23]
	v_fma_f64 v[30:31], -v[22:23], v[28:29], 1.0
	v_fma_f64 v[28:29], v[28:29], v[30:31], v[28:29]
	v_div_scale_f64 v[30:31], vcc, v[2:3], v[24:25], v[2:3]
	v_fma_f64 v[32:33], -v[22:23], v[28:29], 1.0
	v_fma_f64 v[28:29], v[28:29], v[32:33], v[28:29]
	v_mul_f64 v[32:33], v[30:31], v[28:29]
	v_fma_f64 v[22:23], -v[22:23], v[32:33], v[30:31]
	v_div_fmas_f64 v[22:23], v[22:23], v[28:29], v[32:33]
	v_mul_f64 v[28:29], v[26:27], 0.5
	v_cmp_gt_i32_e32 vcc, 0, v11
	v_cndmask_b32_e32 v4, v62, v63, vcc
	v_div_fixup_f64 v[2:3], v[22:23], v[24:25], v[2:3]
	v_mul_f64 v[22:23], v[2:3], v[2:3]
	v_fma_f64 v[24:25], v[22:23], s[16:17], v[38:39]
	v_cmp_class_f64_e64 s[16:17], v[10:11], s40
	v_cndmask_b32_e32 v10, v64, v65, vcc
	v_bfi_b32 v10, s12, v10, v13
	v_fma_f64 v[24:25], v[22:23], v[24:25], s[42:43]
	v_fma_f64 v[24:25], v[22:23], v[24:25], s[44:45]
	;; [unrolled: 1-line block ×18, first 2 shown]
	v_mul_f64 v[22:23], v[22:23], v[24:25]
	v_fma_f64 v[2:3], v[2:3], v[22:23], v[2:3]
	v_add_f64 v[22:23], -v[2:3], s[78:79]
	v_cndmask_b32_e64 v3, v3, v23, s[0:1]
	v_cndmask_b32_e64 v2, v2, v22, s[0:1]
	v_add_f64 v[23:24], -v[2:3], s[88:89]
	v_ashrrev_i32_e32 v22, 31, v11
	v_and_b32_e32 v25, 0x54442d18, v22
	v_and_b32_e32 v11, 0x400921fb, v22
	v_cndmask_b32_e32 v2, v2, v23, vcc
	v_mul_f64 v[22:23], v[26:27], v[28:29]
	v_cndmask_b32_e32 v3, v3, v24, vcc
	v_cndmask_b32_e64 v2, v2, v25, s[2:3]
	v_cndmask_b32_e64 v3, v3, v11, s[2:3]
	s_and_b64 vcc, s[16:17], s[14:15]
	s_mov_b32 s16, 0xb5e68a13
	s_mov_b32 s17, 0x3eeba404
	v_cndmask_b32_e32 v25, v3, v10, vcc
	v_cndmask_b32_e32 v24, v2, v4, vcc
.LBB173_219:                            ;   in Loop: Header=BB173_162 Depth=1
	s_or_b64 exec, exec, s[4:5]
.LBB173_220:                            ;   in Loop: Header=BB173_162 Depth=1
	s_or_b64 exec, exec, s[6:7]
.LBB173_221:                            ;   in Loop: Header=BB173_162 Depth=1
	s_andn2_saveexec_b64 s[4:5], s[92:93]
	s_cbranch_execz .LBB173_223
; %bb.222:                              ;   in Loop: Header=BB173_162 Depth=1
	v_div_scale_f64 v[2:3], s[2:3], s[84:85], s[84:85], v[10:11]
	v_div_scale_f64 v[22:23], s[2:3], s[84:85], s[84:85], v[12:13]
	;; [unrolled: 1-line block ×3, first 2 shown]
	s_mov_b32 s31, s19
	s_mov_b32 s88, s78
	v_cmp_class_f64_e64 s[14:15], v[10:11], s40
	v_rcp_f64_e32 v[24:25], v[2:3]
	v_rcp_f64_e32 v[26:27], v[22:23]
	v_fma_f64 v[28:29], -v[2:3], v[24:25], 1.0
	v_fma_f64 v[30:31], -v[22:23], v[26:27], 1.0
	v_fma_f64 v[24:25], v[24:25], v[28:29], v[24:25]
	v_div_scale_f64 v[28:29], vcc, v[10:11], s[84:85], v[10:11]
	v_fma_f64 v[26:27], v[26:27], v[30:31], v[26:27]
	v_fma_f64 v[30:31], -v[2:3], v[24:25], 1.0
	v_fma_f64 v[42:43], -v[22:23], v[26:27], 1.0
	v_fma_f64 v[24:25], v[24:25], v[30:31], v[24:25]
	v_fma_f64 v[26:27], v[26:27], v[42:43], v[26:27]
	v_mul_f64 v[30:31], v[28:29], v[24:25]
	v_mul_f64 v[42:43], v[32:33], v[26:27]
	v_fma_f64 v[2:3], -v[2:3], v[30:31], v[28:29]
	v_fma_f64 v[22:23], -v[22:23], v[42:43], v[32:33]
	v_max_f64 v[32:33], |v[10:11]|, |v[10:11]|
	v_div_fmas_f64 v[2:3], v[2:3], v[24:25], v[30:31]
	s_mov_b64 vcc, s[2:3]
	v_div_fmas_f64 v[22:23], v[22:23], v[26:27], v[42:43]
	v_div_fixup_f64 v[2:3], v[2:3], s[84:85], v[10:11]
	v_ashrrev_i32_e32 v10, 31, v11
	v_div_fixup_f64 v[22:23], v[22:23], s[84:85], v[12:13]
	v_cmp_class_f64_e64 s[2:3], v[2:3], s40
	v_max_f64 v[24:25], |v[2:3]|, |v[22:23]|
	v_cmp_class_f64_e64 s[6:7], v[22:23], s40
	v_frexp_exp_i32_f64_e32 v4, v[24:25]
	v_sub_u32_e32 v26, 0, v4
	v_ldexp_f64 v[24:25], |v[22:23]|, v26
	v_ldexp_f64 v[26:27], |v[2:3]|, v26
	v_mul_f64 v[24:25], v[24:25], v[24:25]
	v_fma_f64 v[24:25], v[26:27], v[26:27], v[24:25]
	v_rsq_f64_e32 v[26:27], v[24:25]
	v_cmp_eq_f64_e32 vcc, 0, v[24:25]
	v_mul_f64 v[28:29], v[24:25], v[26:27]
	v_mul_f64 v[26:27], v[26:27], 0.5
	v_fma_f64 v[30:31], -v[26:27], v[28:29], 0.5
	v_fma_f64 v[28:29], v[28:29], v[30:31], v[28:29]
	v_fma_f64 v[26:27], v[26:27], v[30:31], v[26:27]
	v_fma_f64 v[30:31], -v[28:29], v[28:29], v[24:25]
	v_fma_f64 v[26:27], v[30:31], v[26:27], v[28:29]
	v_max_f64 v[30:31], |v[12:13]|, |v[12:13]|
	v_cndmask_b32_e32 v25, v27, v25, vcc
	v_cndmask_b32_e32 v24, v26, v24, vcc
	v_ldexp_f64 v[24:25], v[24:25], v4
	v_cmp_o_f64_e32 vcc, v[2:3], v[22:23]
	v_cndmask_b32_e32 v2, 0, v24, vcc
	v_cndmask_b32_e32 v3, v60, v25, vcc
	s_or_b64 vcc, s[2:3], s[6:7]
	v_cndmask_b32_e32 v3, v3, v59, vcc
	v_cndmask_b32_e64 v2, v2, 0, vcc
	v_frexp_mant_f64_e32 v[22:23], v[2:3]
	v_cmp_gt_f64_e64 s[2:3], s[18:19], v[22:23]
	v_cndmask_b32_e64 v4, 0, 1, s[2:3]
	v_ldexp_f64 v[22:23], v[22:23], v4
	v_frexp_exp_i32_f64_e32 v4, v[2:3]
	v_add_f64 v[24:25], v[22:23], 1.0
	v_add_f64 v[44:45], v[22:23], -1.0
	v_rcp_f64_e32 v[26:27], v[24:25]
	v_add_f64 v[48:49], v[24:25], -1.0
	v_add_f64 v[22:23], v[22:23], -v[48:49]
	v_fma_f64 v[28:29], -v[24:25], v[26:27], 1.0
	v_fma_f64 v[26:27], v[28:29], v[26:27], v[26:27]
	v_max_f64 v[28:29], v[32:33], v[30:31]
	v_min_f64 v[30:31], v[32:33], v[30:31]
	v_fma_f64 v[32:33], -v[24:25], v[26:27], 1.0
	v_div_scale_f64 v[42:43], s[6:7], v[28:29], v[28:29], v[30:31]
	v_cmp_class_f64_e64 s[6:7], v[12:13], s40
	v_fma_f64 v[26:27], v[32:33], v[26:27], v[26:27]
	v_mul_f64 v[32:33], v[44:45], v[26:27]
	v_rcp_f64_e32 v[46:47], v[42:43]
	v_mul_f64 v[50:51], v[24:25], v[32:33]
	v_fma_f64 v[24:25], v[32:33], v[24:25], -v[50:51]
	v_fma_f64 v[48:49], -v[42:43], v[46:47], 1.0
	v_fma_f64 v[22:23], v[32:33], v[22:23], v[24:25]
	v_fma_f64 v[24:25], v[46:47], v[48:49], v[46:47]
	v_div_scale_f64 v[48:49], vcc, v[30:31], v[28:29], v[30:31]
	v_add_f64 v[46:47], v[50:51], v[22:23]
	v_fma_f64 v[52:53], -v[42:43], v[24:25], 1.0
	v_add_f64 v[54:55], v[44:45], -v[46:47]
	v_add_f64 v[50:51], v[46:47], -v[50:51]
	v_fma_f64 v[24:25], v[24:25], v[52:53], v[24:25]
	v_add_f64 v[44:45], v[44:45], -v[54:55]
	v_add_f64 v[22:23], v[50:51], -v[22:23]
	v_mul_f64 v[52:53], v[48:49], v[24:25]
	v_add_f64 v[44:45], v[44:45], -v[46:47]
	v_fma_f64 v[42:43], -v[42:43], v[52:53], v[48:49]
	v_add_f64 v[22:23], v[22:23], v[44:45]
	v_div_fmas_f64 v[24:25], v[42:43], v[24:25], v[52:53]
	v_subbrev_co_u32_e64 v4, vcc, 0, v4, s[2:3]
	v_cmp_gt_i32_e32 vcc, 0, v11
	v_cmp_eq_f64_e64 s[2:3], 0, v[12:13]
	v_add_f64 v[22:23], v[54:55], v[22:23]
	v_mul_f64 v[22:23], v[26:27], v[22:23]
	v_div_fixup_f64 v[24:25], v[24:25], v[28:29], v[30:31]
	v_add_f64 v[26:27], v[32:33], v[22:23]
	v_mul_f64 v[28:29], v[24:25], v[24:25]
	v_mul_f64 v[30:31], v[26:27], v[26:27]
	v_fma_f64 v[42:43], v[28:29], s[16:17], v[38:39]
	v_fma_f64 v[44:45], v[30:31], s[20:21], v[36:37]
	v_mul_f64 v[46:47], v[26:27], v[30:31]
	v_fma_f64 v[42:43], v[28:29], v[42:43], s[42:43]
	v_fma_f64 v[44:45], v[30:31], v[44:45], s[22:23]
	;; [unrolled: 1-line block ×10, first 2 shown]
	v_ldexp_f64 v[44:45], v[26:27], 1
	v_fma_f64 v[42:43], v[28:29], v[42:43], s[52:53]
	v_add_f64 v[26:27], v[26:27], -v[32:33]
	v_mul_f64 v[30:31], v[46:47], v[30:31]
	v_cvt_f64_i32_e32 v[46:47], v4
	v_fma_f64 v[42:43], v[28:29], v[42:43], s[54:55]
	v_add_f64 v[22:23], v[22:23], -v[26:27]
	v_cndmask_b32_e32 v4, v62, v63, vcc
	v_mul_f64 v[48:49], v[46:47], s[34:35]
	v_add_f64 v[32:33], v[44:45], v[30:31]
	v_fma_f64 v[42:43], v[28:29], v[42:43], s[56:57]
	v_ldexp_f64 v[22:23], v[22:23], 1
	v_add_f64 v[26:27], v[32:33], -v[44:45]
	v_fma_f64 v[44:45], v[46:47], s[34:35], -v[48:49]
	v_fma_f64 v[42:43], v[28:29], v[42:43], s[58:59]
	v_add_f64 v[26:27], v[30:31], -v[26:27]
	v_fma_f64 v[30:31], v[28:29], v[42:43], s[60:61]
	v_fma_f64 v[42:43], v[46:47], s[36:37], v[44:45]
	v_add_f64 v[22:23], v[22:23], v[26:27]
	v_fma_f64 v[26:27], v[28:29], v[30:31], s[62:63]
	v_add_f64 v[30:31], v[48:49], v[42:43]
	v_add_f64 v[44:45], v[32:33], v[22:23]
	v_fma_f64 v[26:27], v[28:29], v[26:27], s[64:65]
	v_add_f64 v[48:49], v[30:31], -v[48:49]
	v_add_f64 v[46:47], v[30:31], v[44:45]
	v_add_f64 v[32:33], v[44:45], -v[32:33]
	v_fma_f64 v[26:27], v[28:29], v[26:27], s[66:67]
	v_add_f64 v[42:43], v[42:43], -v[48:49]
	v_add_f64 v[50:51], v[46:47], -v[30:31]
	;; [unrolled: 1-line block ×3, first 2 shown]
	v_fma_f64 v[26:27], v[28:29], v[26:27], s[68:69]
	v_add_f64 v[52:53], v[46:47], -v[50:51]
	v_add_f64 v[32:33], v[44:45], -v[50:51]
	v_fma_f64 v[26:27], v[28:29], v[26:27], s[70:71]
	v_add_f64 v[44:45], v[42:43], v[22:23]
	v_add_f64 v[30:31], v[30:31], -v[52:53]
	v_fma_f64 v[26:27], v[28:29], v[26:27], s[72:73]
	v_add_f64 v[30:31], v[32:33], v[30:31]
	;; [unrolled: 3-line block ×3, first 2 shown]
	v_add_f64 v[44:45], v[44:45], -v[32:33]
	v_fma_f64 v[26:27], v[28:29], v[26:27], s[76:77]
	v_add_f64 v[22:23], v[22:23], -v[32:33]
	v_add_f64 v[48:49], v[46:47], v[30:31]
	v_mul_f64 v[26:27], v[28:29], v[26:27]
	v_add_f64 v[28:29], v[42:43], -v[44:45]
	v_add_f64 v[32:33], v[48:49], -v[46:47]
	v_fma_f64 v[24:25], v[24:25], v[26:27], v[24:25]
	v_add_f64 v[22:23], v[22:23], v[28:29]
	v_add_f64 v[26:27], v[30:31], -v[32:33]
	v_add_f64 v[28:29], -v[24:25], s[78:79]
	v_add_f64 v[22:23], v[22:23], v[26:27]
	v_cndmask_b32_e64 v25, v25, v29, s[0:1]
	v_cndmask_b32_e64 v24, v24, v28, s[0:1]
	v_add_f64 v[26:27], -v[24:25], s[88:89]
	v_cmp_class_f64_e64 s[0:1], v[2:3], s40
	v_and_b32_e32 v29, 0x54442d18, v10
	v_cndmask_b32_e32 v28, v64, v65, vcc
	v_add_f64 v[22:23], v[48:49], v[22:23]
	v_cndmask_b32_e32 v24, v24, v26, vcc
	v_and_b32_e32 v26, 0x400921fb, v10
	v_cndmask_b32_e64 v24, v24, v29, s[2:3]
	v_cndmask_b32_e64 v11, v23, v3, s[0:1]
	v_cndmask_b32_e64 v10, v22, v2, s[0:1]
	v_add_f64 v[10:11], v[10:11], 1.0
	v_cmp_ngt_f64_e64 s[0:1], 0, v[2:3]
	v_cndmask_b32_e32 v23, v25, v27, vcc
	v_bfi_b32 v22, s12, v28, v13
	v_cndmask_b32_e64 v23, v23, v26, s[2:3]
	s_and_b64 vcc, s[14:15], s[6:7]
	v_cndmask_b32_e32 v25, v23, v22, vcc
	v_cndmask_b32_e32 v24, v24, v4, vcc
	v_cndmask_b32_e64 v11, v60, v11, s[0:1]
	v_cmp_nge_f64_e64 s[0:1], 0, v[2:3]
	v_cndmask_b32_e64 v22, 0, v10, s[0:1]
	v_cmp_neq_f64_e64 s[0:1], 0, v[2:3]
	v_cndmask_b32_e64 v23, v61, v11, s[0:1]
.LBB173_223:                            ;   in Loop: Header=BB173_162 Depth=1
	s_or_b64 exec, exec, s[4:5]
.LBB173_224:                            ;   in Loop: Header=BB173_162 Depth=1
	s_andn2_saveexec_b64 s[0:1], s[90:91]
	s_cbranch_execz .LBB173_230
; %bb.225:                              ;   in Loop: Header=BB173_162 Depth=1
	v_cmp_nlt_f64_e64 s[2:3], |v[10:11]|, s[86:87]
	v_cmp_nlt_f64_e64 s[4:5], |v[12:13]|, s[86:87]
                                        ; implicit-def: $vgpr2_vgpr3
	s_or_b64 s[2:3], s[2:3], s[4:5]
	s_and_saveexec_b64 s[4:5], s[2:3]
	s_xor_b64 s[2:3], exec, s[4:5]
	s_cbranch_execz .LBB173_227
; %bb.226:                              ;   in Loop: Header=BB173_162 Depth=1
	v_mul_f64 v[2:3], v[12:13], v[12:13]
	v_fma_f64 v[2:3], v[10:11], v[10:11], v[2:3]
.LBB173_227:                            ;   in Loop: Header=BB173_162 Depth=1
	s_andn2_saveexec_b64 s[2:3], s[2:3]
	s_cbranch_execz .LBB173_229
; %bb.228:                              ;   in Loop: Header=BB173_162 Depth=1
	v_mul_f64 v[2:3], v[12:13], 4.0
	v_mul_f64 v[10:11], v[10:11], 4.0
	v_mul_f64 v[2:3], v[2:3], v[2:3]
	v_fma_f64 v[2:3], v[10:11], v[10:11], v[2:3]
	v_ldexp_f64 v[2:3], v[2:3], -4
.LBB173_229:                            ;   in Loop: Header=BB173_162 Depth=1
	s_or_b64 exec, exec, s[2:3]
	v_frexp_mant_f64_e32 v[10:11], v[2:3]
	s_mov_b32 s31, s19
	v_cmp_gt_f64_e32 vcc, s[18:19], v[10:11]
	v_cndmask_b32_e64 v4, 0, 1, vcc
	v_ldexp_f64 v[10:11], v[10:11], v4
	v_frexp_exp_i32_f64_e32 v4, v[2:3]
	v_add_f64 v[22:23], v[10:11], 1.0
	v_add_f64 v[28:29], v[10:11], -1.0
	v_subbrev_co_u32_e32 v4, vcc, 0, v4, vcc
	v_cmp_class_f64_e64 vcc, v[2:3], s40
	v_rcp_f64_e32 v[24:25], v[22:23]
	v_add_f64 v[30:31], v[22:23], -1.0
	v_add_f64 v[10:11], v[10:11], -v[30:31]
	v_fma_f64 v[26:27], -v[22:23], v[24:25], 1.0
	v_fma_f64 v[24:25], v[26:27], v[24:25], v[24:25]
	v_fma_f64 v[26:27], -v[22:23], v[24:25], 1.0
	v_fma_f64 v[24:25], v[26:27], v[24:25], v[24:25]
	v_mul_f64 v[26:27], v[28:29], v[24:25]
	v_mul_f64 v[32:33], v[22:23], v[26:27]
	v_fma_f64 v[22:23], v[26:27], v[22:23], -v[32:33]
	v_fma_f64 v[10:11], v[26:27], v[10:11], v[22:23]
	v_add_f64 v[22:23], v[32:33], v[10:11]
	v_add_f64 v[30:31], v[28:29], -v[22:23]
	v_add_f64 v[32:33], v[22:23], -v[32:33]
	;; [unrolled: 1-line block ×5, first 2 shown]
	v_add_f64 v[10:11], v[10:11], v[22:23]
	v_add_f64 v[10:11], v[30:31], v[10:11]
	v_mul_f64 v[10:11], v[24:25], v[10:11]
	v_add_f64 v[22:23], v[26:27], v[10:11]
	v_mul_f64 v[24:25], v[22:23], v[22:23]
	v_fma_f64 v[28:29], v[24:25], s[20:21], v[36:37]
	v_mul_f64 v[30:31], v[22:23], v[24:25]
	v_fma_f64 v[28:29], v[24:25], v[28:29], s[22:23]
	v_fma_f64 v[28:29], v[24:25], v[28:29], s[24:25]
	;; [unrolled: 1-line block ×5, first 2 shown]
	v_ldexp_f64 v[28:29], v[22:23], 1
	v_add_f64 v[22:23], v[22:23], -v[26:27]
	v_mul_f64 v[24:25], v[30:31], v[24:25]
	v_cvt_f64_i32_e32 v[30:31], v4
	v_add_f64 v[10:11], v[10:11], -v[22:23]
	v_mul_f64 v[32:33], v[30:31], s[34:35]
	v_add_f64 v[26:27], v[28:29], v[24:25]
	v_ldexp_f64 v[10:11], v[10:11], 1
	v_add_f64 v[22:23], v[26:27], -v[28:29]
	v_fma_f64 v[28:29], v[30:31], s[34:35], -v[32:33]
	v_add_f64 v[22:23], v[24:25], -v[22:23]
	v_fma_f64 v[24:25], v[30:31], s[36:37], v[28:29]
	v_add_f64 v[10:11], v[10:11], v[22:23]
	v_add_f64 v[22:23], v[32:33], v[24:25]
	;; [unrolled: 1-line block ×3, first 2 shown]
	v_add_f64 v[32:33], v[22:23], -v[32:33]
	v_add_f64 v[30:31], v[22:23], v[28:29]
	v_add_f64 v[26:27], v[28:29], -v[26:27]
	v_add_f64 v[24:25], v[24:25], -v[32:33]
	v_add_f64 v[42:43], v[30:31], -v[22:23]
	v_add_f64 v[10:11], v[10:11], -v[26:27]
	v_add_f64 v[44:45], v[30:31], -v[42:43]
	v_add_f64 v[26:27], v[28:29], -v[42:43]
	v_add_f64 v[28:29], v[24:25], v[10:11]
	v_add_f64 v[22:23], v[22:23], -v[44:45]
	v_add_f64 v[22:23], v[26:27], v[22:23]
	v_add_f64 v[26:27], v[28:29], -v[24:25]
	;; [unrolled: 2-line block ×3, first 2 shown]
	v_add_f64 v[10:11], v[10:11], -v[26:27]
	v_add_f64 v[32:33], v[30:31], v[22:23]
	v_add_f64 v[24:25], v[24:25], -v[28:29]
	v_add_f64 v[26:27], v[32:33], -v[30:31]
	v_add_f64 v[10:11], v[10:11], v[24:25]
	v_mov_b32_e32 v24, 0
	v_mov_b32_e32 v25, 0x7ff80000
	v_add_f64 v[22:23], v[22:23], -v[26:27]
	v_add_f64 v[10:11], v[10:11], v[22:23]
	v_add_f64 v[10:11], v[32:33], v[10:11]
	v_cndmask_b32_e32 v4, v10, v2, vcc
	v_cndmask_b32_e32 v10, v11, v3, vcc
	v_cmp_ngt_f64_e32 vcc, 0, v[2:3]
	v_cndmask_b32_e32 v10, v60, v10, vcc
	v_cmp_nge_f64_e32 vcc, 0, v[2:3]
	v_cndmask_b32_e32 v22, 0, v4, vcc
	v_cmp_neq_f64_e32 vcc, 0, v[2:3]
	v_cndmask_b32_e32 v23, v61, v10, vcc
.LBB173_230:                            ;   in Loop: Header=BB173_162 Depth=1
	s_or_b64 exec, exec, s[0:1]
	s_waitcnt vmcnt(0)
	v_cmp_o_f64_e32 vcc, v[14:15], v[16:17]
                                        ; implicit-def: $vgpr26_vgpr27
	s_and_saveexec_b64 s[0:1], vcc
	s_xor_b64 s[90:91], exec, s[0:1]
	s_cbranch_execz .LBB173_258
; %bb.231:                              ;   in Loop: Header=BB173_162 Depth=1
	v_cmp_lt_f64_e64 s[0:1], |v[14:15]|, |v[16:17]|
	v_and_b32_e32 v2, 0x7fffffff, v15
	v_and_b32_e32 v3, 0x7fffffff, v17
	s_mov_b32 s2, 0x85ebc8a0
	s_mov_b32 s3, 0x7fd1ccf3
	v_mov_b32_e32 v4, v16
                                        ; implicit-def: $vgpr26_vgpr27
	v_cndmask_b32_e64 v11, v3, v2, s[0:1]
	v_cndmask_b32_e64 v10, v16, v14, s[0:1]
	v_cmp_nlt_f64_e32 vcc, s[2:3], v[10:11]
	s_and_saveexec_b64 s[2:3], vcc
	s_xor_b64 s[92:93], exec, s[2:3]
	s_cbranch_execz .LBB173_255
; %bb.232:                              ;   in Loop: Header=BB173_162 Depth=1
	v_cndmask_b32_e64 v31, v2, v3, s[0:1]
	v_cndmask_b32_e64 v30, v14, v4, s[0:1]
	v_cmp_neq_f64_e32 vcc, 1.0, v[30:31]
                                        ; implicit-def: $vgpr26_vgpr27
	s_and_saveexec_b64 s[2:3], vcc
	s_xor_b64 s[94:95], exec, s[2:3]
	s_cbranch_execz .LBB173_248
; %bb.233:                              ;   in Loop: Header=BB173_162 Depth=1
	v_max_f64 v[2:3], v[10:11], v[10:11]
	v_max_f64 v[26:27], v[30:31], v[30:31]
	s_mov_b32 s2, 0x4ad4b81f
	s_mov_b32 s3, 0x358dee7a
	v_min_f64 v[28:29], v[26:27], v[2:3]
	v_max_f64 v[2:3], v[26:27], v[2:3]
	v_cmp_ngt_f64_e32 vcc, s[2:3], v[28:29]
	s_mov_b32 s2, 0xc57e649a
	s_mov_b32 s3, 0x4a511b0e
	v_cmp_nlt_f64_e64 s[2:3], s[2:3], v[2:3]
                                        ; implicit-def: $vgpr26_vgpr27
	s_and_b64 s[2:3], s[2:3], vcc
	s_and_saveexec_b64 s[4:5], s[2:3]
	s_xor_b64 s[80:81], exec, s[4:5]
	s_cbranch_execz .LBB173_245
; %bb.234:                              ;   in Loop: Header=BB173_162 Depth=1
	v_cmp_le_f64_e32 vcc, 1.0, v[30:31]
                                        ; implicit-def: $vgpr26_vgpr27
	s_and_saveexec_b64 s[2:3], vcc
	s_xor_b64 s[14:15], exec, s[2:3]
	s_cbranch_execz .LBB173_236
; %bb.235:                              ;   in Loop: Header=BB173_162 Depth=1
	v_add_f64 v[2:3], v[30:31], -1.0
	v_add_f64 v[26:27], v[30:31], 1.0
	s_mov_b32 s31, s19
	s_mov_b32 s88, s78
	v_cmp_class_f64_e64 s[38:39], v[14:15], s40
	v_mul_f64 v[2:3], v[2:3], v[26:27]
	v_fma_f64 v[2:3], v[10:11], v[10:11], v[2:3]
	v_add_f64 v[10:11], v[2:3], 1.0
	v_cmp_nge_f64_e64 s[4:5], -1.0, v[2:3]
	v_cmp_neq_f64_e64 s[6:7], s[82:83], v[2:3]
	v_frexp_mant_f64_e32 v[28:29], v[10:11]
	v_frexp_exp_i32_f64_e32 v4, v[10:11]
	v_add_f64 v[26:27], v[10:11], -1.0
	v_cmp_gt_f64_e32 vcc, s[18:19], v[28:29]
	v_add_f64 v[30:31], v[26:27], -v[10:11]
	v_add_f64 v[26:27], v[2:3], -v[26:27]
	v_subbrev_co_u32_e32 v4, vcc, 0, v4, vcc
	v_sub_u32_e32 v12, 0, v4
	v_ldexp_f64 v[10:11], v[10:11], v12
	v_add_f64 v[28:29], v[30:31], 1.0
	v_add_f64 v[30:31], v[10:11], 1.0
	v_add_f64 v[26:27], v[26:27], v[28:29]
	v_add_f64 v[44:45], v[10:11], -1.0
	v_add_f64 v[28:29], v[30:31], -1.0
	v_ldexp_f64 v[26:27], v[26:27], v12
	v_add_f64 v[46:47], v[44:45], 1.0
	v_ashrrev_i32_e32 v12, 31, v15
	v_add_f64 v[28:29], v[10:11], -v[28:29]
	v_add_f64 v[10:11], v[10:11], -v[46:47]
	v_add_f64 v[32:33], v[26:27], v[28:29]
	v_add_f64 v[46:47], v[26:27], v[10:11]
	;; [unrolled: 1-line block ×3, first 2 shown]
	v_rcp_f64_e32 v[42:43], v[28:29]
	v_add_f64 v[30:31], v[28:29], -v[30:31]
	v_add_f64 v[32:33], v[32:33], -v[30:31]
	v_fma_f64 v[48:49], -v[28:29], v[42:43], 1.0
	v_fma_f64 v[42:43], v[48:49], v[42:43], v[42:43]
	v_add_f64 v[48:49], v[44:45], v[46:47]
	v_fma_f64 v[10:11], -v[28:29], v[42:43], 1.0
	v_add_f64 v[44:45], v[48:49], -v[44:45]
	v_fma_f64 v[10:11], v[10:11], v[42:43], v[42:43]
	v_add_f64 v[44:45], v[46:47], -v[44:45]
	v_mul_f64 v[26:27], v[48:49], v[10:11]
	v_mul_f64 v[42:43], v[28:29], v[26:27]
	v_fma_f64 v[30:31], v[26:27], v[28:29], -v[42:43]
	v_fma_f64 v[50:51], v[26:27], v[32:33], v[30:31]
	v_add_f64 v[52:53], v[42:43], v[50:51]
	v_add_f64 v[30:31], v[48:49], -v[52:53]
	v_add_f64 v[42:43], v[52:53], -v[42:43]
	;; [unrolled: 1-line block ×5, first 2 shown]
	v_add_f64 v[44:45], v[44:45], v[46:47]
	v_max_f64 v[46:47], |v[14:15]|, |v[14:15]|
	v_add_f64 v[42:43], v[42:43], v[44:45]
	v_max_f64 v[44:45], |v[16:17]|, |v[16:17]|
	v_add_f64 v[48:49], v[30:31], v[42:43]
	v_max_f64 v[50:51], v[46:47], v[44:45]
	v_min_f64 v[44:45], v[46:47], v[44:45]
	v_mul_f64 v[46:47], v[10:11], v[48:49]
	v_add_f64 v[30:31], v[30:31], -v[48:49]
	v_div_scale_f64 v[52:53], s[2:3], v[50:51], v[50:51], v[44:45]
	v_cmp_eq_f64_e64 s[2:3], 0, v[16:17]
	v_mul_f64 v[54:55], v[28:29], v[46:47]
	v_add_f64 v[30:31], v[42:43], v[30:31]
	v_fma_f64 v[28:29], v[46:47], v[28:29], -v[54:55]
	v_rcp_f64_e32 v[56:57], v[52:53]
	v_fma_f64 v[28:29], v[46:47], v[32:33], v[28:29]
	v_add_f64 v[32:33], v[54:55], v[28:29]
	v_fma_f64 v[66:67], -v[52:53], v[56:57], 1.0
	v_add_f64 v[68:69], v[48:49], -v[32:33]
	v_add_f64 v[42:43], v[32:33], -v[54:55]
	v_fma_f64 v[56:57], v[56:57], v[66:67], v[56:57]
	v_div_scale_f64 v[66:67], vcc, v[44:45], v[50:51], v[44:45]
	v_add_f64 v[48:49], v[48:49], -v[68:69]
	v_add_f64 v[28:29], v[42:43], -v[28:29]
	v_fma_f64 v[70:71], -v[52:53], v[56:57], 1.0
	v_add_f64 v[42:43], v[26:27], v[46:47]
	v_add_f64 v[32:33], v[48:49], -v[32:33]
	v_fma_f64 v[48:49], v[56:57], v[70:71], v[56:57]
	v_add_f64 v[26:27], v[42:43], -v[26:27]
	v_add_f64 v[30:31], v[30:31], v[32:33]
	v_mul_f64 v[32:33], v[66:67], v[48:49]
	v_add_f64 v[26:27], v[46:47], -v[26:27]
	v_add_f64 v[28:29], v[28:29], v[30:31]
	v_fma_f64 v[30:31], -v[52:53], v[32:33], v[66:67]
	v_add_f64 v[28:29], v[68:69], v[28:29]
	v_div_fmas_f64 v[30:31], v[30:31], v[48:49], v[32:33]
	v_cmp_gt_i32_e32 vcc, 0, v15
	v_and_b32_e32 v15, 0x54442d18, v12
	v_and_b32_e32 v12, 0x400921fb, v12
	v_cndmask_b32_e32 v14, v64, v65, vcc
	v_bfi_b32 v14, s12, v14, v17
	v_mul_f64 v[10:11], v[10:11], v[28:29]
	v_add_f64 v[10:11], v[26:27], v[10:11]
	v_div_fixup_f64 v[26:27], v[30:31], v[50:51], v[44:45]
	v_add_f64 v[28:29], v[42:43], v[10:11]
	v_mul_f64 v[30:31], v[26:27], v[26:27]
	v_mul_f64 v[32:33], v[28:29], v[28:29]
	v_fma_f64 v[44:45], v[30:31], s[16:17], v[38:39]
	v_cmp_class_f64_e64 s[16:17], v[16:17], s40
	v_fma_f64 v[46:47], v[32:33], s[20:21], v[36:37]
	v_mul_f64 v[48:49], v[28:29], v[32:33]
	v_fma_f64 v[44:45], v[30:31], v[44:45], s[42:43]
	v_fma_f64 v[46:47], v[32:33], v[46:47], s[22:23]
	;; [unrolled: 1-line block ×10, first 2 shown]
	v_ldexp_f64 v[46:47], v[28:29], 1
	v_fma_f64 v[44:45], v[30:31], v[44:45], s[52:53]
	v_add_f64 v[28:29], v[28:29], -v[42:43]
	v_mul_f64 v[32:33], v[48:49], v[32:33]
	v_cvt_f64_i32_e32 v[48:49], v4
	v_fma_f64 v[44:45], v[30:31], v[44:45], s[54:55]
	v_add_f64 v[10:11], v[10:11], -v[28:29]
	v_cndmask_b32_e32 v4, v62, v63, vcc
	v_mul_f64 v[50:51], v[48:49], s[34:35]
	v_add_f64 v[42:43], v[46:47], v[32:33]
	v_fma_f64 v[44:45], v[30:31], v[44:45], s[56:57]
	v_ldexp_f64 v[10:11], v[10:11], 1
	v_add_f64 v[28:29], v[42:43], -v[46:47]
	v_fma_f64 v[46:47], v[48:49], s[34:35], -v[50:51]
	v_fma_f64 v[44:45], v[30:31], v[44:45], s[58:59]
	v_add_f64 v[28:29], v[32:33], -v[28:29]
	v_fma_f64 v[32:33], v[30:31], v[44:45], s[60:61]
	v_fma_f64 v[44:45], v[48:49], s[36:37], v[46:47]
	v_add_f64 v[10:11], v[10:11], v[28:29]
	v_fma_f64 v[28:29], v[30:31], v[32:33], s[62:63]
	v_add_f64 v[32:33], v[50:51], v[44:45]
	v_add_f64 v[46:47], v[42:43], v[10:11]
	v_fma_f64 v[28:29], v[30:31], v[28:29], s[64:65]
	v_add_f64 v[50:51], v[32:33], -v[50:51]
	v_add_f64 v[48:49], v[32:33], v[46:47]
	v_add_f64 v[42:43], v[46:47], -v[42:43]
	v_fma_f64 v[28:29], v[30:31], v[28:29], s[66:67]
	v_add_f64 v[44:45], v[44:45], -v[50:51]
	v_add_f64 v[52:53], v[48:49], -v[32:33]
	v_add_f64 v[10:11], v[10:11], -v[42:43]
	v_fma_f64 v[28:29], v[30:31], v[28:29], s[68:69]
	v_add_f64 v[54:55], v[48:49], -v[52:53]
	v_add_f64 v[42:43], v[46:47], -v[52:53]
	v_fma_f64 v[28:29], v[30:31], v[28:29], s[70:71]
	v_add_f64 v[46:47], v[44:45], v[10:11]
	v_add_f64 v[32:33], v[32:33], -v[54:55]
	v_fma_f64 v[28:29], v[30:31], v[28:29], s[72:73]
	v_add_f64 v[32:33], v[42:43], v[32:33]
	;; [unrolled: 3-line block ×3, first 2 shown]
	v_add_f64 v[46:47], v[46:47], -v[42:43]
	v_fma_f64 v[28:29], v[30:31], v[28:29], s[76:77]
	v_add_f64 v[10:11], v[10:11], -v[42:43]
	v_add_f64 v[50:51], v[48:49], v[32:33]
	v_mul_f64 v[28:29], v[30:31], v[28:29]
	v_add_f64 v[30:31], v[44:45], -v[46:47]
	v_add_f64 v[42:43], v[50:51], -v[48:49]
	v_fma_f64 v[26:27], v[26:27], v[28:29], v[26:27]
	v_add_f64 v[10:11], v[10:11], v[30:31]
	v_add_f64 v[28:29], v[32:33], -v[42:43]
	v_add_f64 v[30:31], -v[26:27], s[78:79]
	v_add_f64 v[10:11], v[10:11], v[28:29]
	v_cndmask_b32_e64 v27, v27, v31, s[0:1]
	v_cndmask_b32_e64 v26, v26, v30, s[0:1]
	v_add_f64 v[28:29], -v[26:27], s[88:89]
                                        ; implicit-def: $vgpr30_vgpr31
	v_add_f64 v[10:11], v[50:51], v[10:11]
	v_cndmask_b32_e32 v26, v26, v28, vcc
	v_cndmask_b32_e32 v27, v27, v29, vcc
	v_cndmask_b32_e64 v15, v26, v15, s[2:3]
	v_cndmask_b32_e64 v12, v27, v12, s[2:3]
	v_mul_f64 v[10:11], v[10:11], 0.5
	s_and_b64 s[2:3], s[4:5], s[6:7]
	s_and_b64 vcc, s[38:39], s[16:17]
	s_mov_b32 s16, 0xb5e68a13
	s_mov_b32 s17, 0x3eeba404
	v_cndmask_b32_e32 v29, v12, v14, vcc
	v_cndmask_b32_e32 v28, v15, v4, vcc
	v_cndmask_b32_e64 v26, 0, v10, s[2:3]
	v_cmp_ngt_f64_e64 s[2:3], -1.0, v[2:3]
	v_cndmask_b32_e64 v11, v59, v11, s[6:7]
	v_cndmask_b32_e64 v10, v60, v11, s[2:3]
	v_cmp_neq_f64_e64 s[2:3], -1.0, v[2:3]
	v_cndmask_b32_e64 v27, v61, v10, s[2:3]
                                        ; implicit-def: $vgpr10_vgpr11
.LBB173_236:                            ;   in Loop: Header=BB173_162 Depth=1
	s_andn2_saveexec_b64 s[38:39], s[14:15]
	s_cbranch_execz .LBB173_244
; %bb.237:                              ;   in Loop: Header=BB173_162 Depth=1
	v_mul_f64 v[2:3], v[10:11], v[10:11]
	s_mov_b32 s2, 0x66666666
	s_mov_b32 s3, 0x3fe66666
                                        ; implicit-def: $vgpr26_vgpr27
	v_fma_f64 v[2:3], v[30:31], v[30:31], v[2:3]
	v_cmp_ge_f64_e32 vcc, s[2:3], v[2:3]
	s_and_saveexec_b64 s[2:3], vcc
	s_xor_b64 s[6:7], exec, s[2:3]
	s_cbranch_execz .LBB173_239
; %bb.238:                              ;   in Loop: Header=BB173_162 Depth=1
	v_frexp_mant_f64_e32 v[10:11], v[2:3]
	v_max_f64 v[32:33], |v[16:17]|, |v[16:17]|
	v_max_f64 v[42:43], |v[14:15]|, |v[14:15]|
	s_mov_b32 s31, s19
	s_mov_b32 s88, s78
	v_cmp_class_f64_e64 s[14:15], v[16:17], s40
	v_ashrrev_i32_e32 v12, 31, v15
	v_cmp_gt_f64_e64 s[2:3], s[18:19], v[10:11]
	v_cndmask_b32_e64 v4, 0, 1, s[2:3]
	v_ldexp_f64 v[10:11], v[10:11], v4
	v_frexp_exp_i32_f64_e32 v4, v[2:3]
	v_add_f64 v[26:27], v[10:11], 1.0
	v_add_f64 v[46:47], v[10:11], -1.0
	v_rcp_f64_e32 v[28:29], v[26:27]
	v_add_f64 v[50:51], v[26:27], -1.0
	v_add_f64 v[10:11], v[10:11], -v[50:51]
	v_fma_f64 v[30:31], -v[26:27], v[28:29], 1.0
	v_fma_f64 v[28:29], v[30:31], v[28:29], v[28:29]
	v_max_f64 v[30:31], v[42:43], v[32:33]
	v_min_f64 v[32:33], v[42:43], v[32:33]
	v_fma_f64 v[42:43], -v[26:27], v[28:29], 1.0
	v_div_scale_f64 v[44:45], s[4:5], v[30:31], v[30:31], v[32:33]
	v_cmp_neq_f64_e64 s[4:5], 0, v[2:3]
	v_fma_f64 v[28:29], v[42:43], v[28:29], v[28:29]
	v_mul_f64 v[42:43], v[46:47], v[28:29]
	v_rcp_f64_e32 v[48:49], v[44:45]
	v_mul_f64 v[52:53], v[26:27], v[42:43]
	v_fma_f64 v[26:27], v[42:43], v[26:27], -v[52:53]
	v_fma_f64 v[50:51], -v[44:45], v[48:49], 1.0
	v_fma_f64 v[10:11], v[42:43], v[10:11], v[26:27]
	v_fma_f64 v[26:27], v[48:49], v[50:51], v[48:49]
	v_div_scale_f64 v[50:51], vcc, v[32:33], v[30:31], v[32:33]
	v_add_f64 v[48:49], v[52:53], v[10:11]
	v_fma_f64 v[54:55], -v[44:45], v[26:27], 1.0
	v_add_f64 v[56:57], v[46:47], -v[48:49]
	v_add_f64 v[52:53], v[48:49], -v[52:53]
	v_fma_f64 v[26:27], v[26:27], v[54:55], v[26:27]
	v_add_f64 v[46:47], v[46:47], -v[56:57]
	v_add_f64 v[10:11], v[52:53], -v[10:11]
	v_mul_f64 v[54:55], v[50:51], v[26:27]
	v_add_f64 v[46:47], v[46:47], -v[48:49]
	v_fma_f64 v[44:45], -v[44:45], v[54:55], v[50:51]
	v_add_f64 v[10:11], v[10:11], v[46:47]
	v_div_fmas_f64 v[26:27], v[44:45], v[26:27], v[54:55]
	v_subbrev_co_u32_e64 v4, vcc, 0, v4, s[2:3]
	v_cmp_eq_f64_e64 s[2:3], 0, v[16:17]
	v_cmp_gt_i32_e32 vcc, 0, v15
	v_add_f64 v[10:11], v[56:57], v[10:11]
	v_mul_f64 v[10:11], v[28:29], v[10:11]
	v_div_fixup_f64 v[26:27], v[26:27], v[30:31], v[32:33]
	v_add_f64 v[28:29], v[42:43], v[10:11]
	v_mul_f64 v[30:31], v[26:27], v[26:27]
	v_mul_f64 v[32:33], v[28:29], v[28:29]
	v_fma_f64 v[44:45], v[30:31], s[16:17], v[38:39]
	v_cmp_class_f64_e64 s[16:17], v[14:15], s40
	v_and_b32_e32 v14, 0x54442d18, v12
	v_and_b32_e32 v12, 0x400921fb, v12
	v_fma_f64 v[46:47], v[32:33], s[20:21], v[36:37]
	v_mul_f64 v[48:49], v[28:29], v[32:33]
	v_fma_f64 v[44:45], v[30:31], v[44:45], s[42:43]
	v_fma_f64 v[46:47], v[32:33], v[46:47], s[22:23]
	;; [unrolled: 1-line block ×10, first 2 shown]
	v_ldexp_f64 v[46:47], v[28:29], 1
	v_fma_f64 v[44:45], v[30:31], v[44:45], s[52:53]
	v_add_f64 v[28:29], v[28:29], -v[42:43]
	v_mul_f64 v[32:33], v[48:49], v[32:33]
	v_cvt_f64_i32_e32 v[48:49], v4
	v_fma_f64 v[44:45], v[30:31], v[44:45], s[54:55]
	v_add_f64 v[10:11], v[10:11], -v[28:29]
	v_cndmask_b32_e32 v4, v62, v63, vcc
	v_mul_f64 v[50:51], v[48:49], s[34:35]
	v_add_f64 v[42:43], v[46:47], v[32:33]
	v_fma_f64 v[44:45], v[30:31], v[44:45], s[56:57]
	v_ldexp_f64 v[10:11], v[10:11], 1
	v_add_f64 v[28:29], v[42:43], -v[46:47]
	v_fma_f64 v[46:47], v[48:49], s[34:35], -v[50:51]
	v_fma_f64 v[44:45], v[30:31], v[44:45], s[58:59]
	v_add_f64 v[28:29], v[32:33], -v[28:29]
	v_fma_f64 v[32:33], v[30:31], v[44:45], s[60:61]
	v_fma_f64 v[44:45], v[48:49], s[36:37], v[46:47]
	v_add_f64 v[10:11], v[10:11], v[28:29]
	v_fma_f64 v[28:29], v[30:31], v[32:33], s[62:63]
	v_add_f64 v[32:33], v[50:51], v[44:45]
	v_add_f64 v[46:47], v[42:43], v[10:11]
	v_fma_f64 v[28:29], v[30:31], v[28:29], s[64:65]
	v_add_f64 v[50:51], v[32:33], -v[50:51]
	v_add_f64 v[48:49], v[32:33], v[46:47]
	v_add_f64 v[42:43], v[46:47], -v[42:43]
	v_fma_f64 v[28:29], v[30:31], v[28:29], s[66:67]
	v_add_f64 v[44:45], v[44:45], -v[50:51]
	v_add_f64 v[52:53], v[48:49], -v[32:33]
	;; [unrolled: 1-line block ×3, first 2 shown]
	v_fma_f64 v[28:29], v[30:31], v[28:29], s[68:69]
	v_add_f64 v[54:55], v[48:49], -v[52:53]
	v_add_f64 v[42:43], v[46:47], -v[52:53]
	v_fma_f64 v[28:29], v[30:31], v[28:29], s[70:71]
	v_add_f64 v[46:47], v[44:45], v[10:11]
	v_add_f64 v[32:33], v[32:33], -v[54:55]
	v_fma_f64 v[28:29], v[30:31], v[28:29], s[72:73]
	v_add_f64 v[32:33], v[42:43], v[32:33]
	;; [unrolled: 3-line block ×3, first 2 shown]
	v_add_f64 v[46:47], v[46:47], -v[42:43]
	v_fma_f64 v[28:29], v[30:31], v[28:29], s[76:77]
	v_add_f64 v[10:11], v[10:11], -v[42:43]
	v_add_f64 v[50:51], v[48:49], v[32:33]
	v_mul_f64 v[28:29], v[30:31], v[28:29]
	v_add_f64 v[30:31], v[44:45], -v[46:47]
	v_add_f64 v[42:43], v[50:51], -v[48:49]
	v_fma_f64 v[26:27], v[26:27], v[28:29], v[26:27]
	v_add_f64 v[10:11], v[10:11], v[30:31]
	v_add_f64 v[28:29], v[32:33], -v[42:43]
	v_add_f64 v[30:31], -v[26:27], s[78:79]
	v_add_f64 v[10:11], v[10:11], v[28:29]
	v_cndmask_b32_e64 v27, v27, v31, s[0:1]
	v_cndmask_b32_e64 v26, v26, v30, s[0:1]
	v_add_f64 v[28:29], -v[26:27], s[88:89]
                                        ; implicit-def: $vgpr30_vgpr31
	v_add_f64 v[10:11], v[50:51], v[10:11]
	v_cndmask_b32_e32 v15, v26, v28, vcc
	v_cndmask_b32_e32 v26, v64, v65, vcc
	;; [unrolled: 1-line block ×3, first 2 shown]
	v_bfi_b32 v2, s12, v26, v17
	v_mul_f64 v[10:11], v[10:11], 0.5
	v_cndmask_b32_e64 v14, v15, v14, s[2:3]
	v_cndmask_b32_e64 v3, v3, v12, s[2:3]
	s_and_b64 vcc, s[16:17], s[14:15]
	s_mov_b32 s16, 0xb5e68a13
	s_mov_b32 s17, 0x3eeba404
	v_cndmask_b32_e32 v29, v3, v2, vcc
	v_cndmask_b32_e32 v28, v14, v4, vcc
	v_cndmask_b32_e64 v27, v61, v11, s[4:5]
	v_cndmask_b32_e64 v26, 0, v10, s[4:5]
                                        ; implicit-def: $vgpr10_vgpr11
.LBB173_239:                            ;   in Loop: Header=BB173_162 Depth=1
	s_andn2_saveexec_b64 s[14:15], s[6:7]
	s_cbranch_execz .LBB173_243
; %bb.240:                              ;   in Loop: Header=BB173_162 Depth=1
	v_and_b32_e32 v35, 0x7ffffff8, v31
	v_and_b32_e32 v27, 0x7ffffff8, v11
	v_mov_b32_e32 v26, v34
	v_add_f64 v[2:3], v[30:31], -v[34:35]
	v_add_f64 v[10:11], v[10:11], -v[26:27]
	v_mov_b32_e32 v30, v34
	v_mov_b32_e32 v46, v34
	v_add_f64 v[42:43], v[34:35], v[34:35]
	v_add_f64 v[44:45], v[26:27], v[26:27]
	s_mov_b64 s[16:17], 0
	v_and_b32_e32 v31, -8, v3
	v_and_b32_e32 v47, -8, v11
	v_add_f64 v[52:53], v[2:3], -v[30:31]
	v_add_f64 v[54:55], v[10:11], -v[46:47]
	v_add_f64 v[56:57], v[30:31], v[30:31]
	v_add_f64 v[66:67], v[46:47], v[46:47]
	v_mul_f64 v[2:3], v[34:35], v[34:35]
	v_mul_f64 v[10:11], v[26:27], v[26:27]
	;; [unrolled: 1-line block ×12, first 2 shown]
.LBB173_241:                            ;   Parent Loop BB173_162 Depth=1
                                        ; =>  This Inner Loop Header: Depth=2
	v_cmp_nlt_f64_e32 vcc, v[2:3], v[10:11]
	v_cndmask_b32_e32 v55, v3, v11, vcc
	v_cndmask_b32_e32 v54, v2, v10, vcc
	v_cmp_nlt_f64_e64 s[2:3], v[54:55], v[28:29]
	v_cndmask_b32_e32 v3, v11, v3, vcc
	v_cndmask_b32_e32 v2, v10, v2, vcc
	v_cndmask_b32_e64 v57, v55, v29, s[2:3]
	v_cndmask_b32_e64 v56, v54, v28, s[2:3]
	v_cmp_nlt_f64_e64 s[4:5], v[56:57], v[26:27]
	v_cndmask_b32_e64 v11, v29, v55, s[2:3]
	v_cndmask_b32_e64 v10, v28, v54, s[2:3]
	s_and_b64 s[82:83], vcc, s[2:3]
	v_cndmask_b32_e64 v67, v57, v27, s[4:5]
	v_cndmask_b32_e64 v66, v56, v26, s[4:5]
	v_cmp_nlt_f64_e64 s[6:7], v[66:67], v[32:33]
	v_cndmask_b32_e64 v29, v27, v57, s[4:5]
	v_cndmask_b32_e64 v28, v26, v56, s[4:5]
	;; [unrolled: 1-line block ×4, first 2 shown]
	v_cmp_nlt_f64_e32 vcc, v[54:55], v[46:47]
	v_cndmask_b32_e64 v27, v33, v67, s[6:7]
	v_cndmask_b32_e64 v26, v32, v66, s[6:7]
	s_and_b64 s[6:7], s[4:5], s[6:7]
	v_cndmask_b32_e32 v57, v55, v47, vcc
	v_cndmask_b32_e32 v56, v54, v46, vcc
	v_cmp_nlt_f64_e64 s[2:3], v[56:57], v[50:51]
	v_cndmask_b32_e32 v33, v47, v55, vcc
	v_cndmask_b32_e32 v32, v46, v54, vcc
	v_cndmask_b32_e64 v55, v57, v51, s[2:3]
	v_cndmask_b32_e64 v54, v56, v50, s[2:3]
	v_cmp_nlt_f64_e64 s[4:5], v[54:55], v[48:49]
	v_cndmask_b32_e64 v47, v51, v57, s[2:3]
	v_cndmask_b32_e64 v46, v50, v56, s[2:3]
	s_and_b64 s[2:3], vcc, s[2:3]
	v_cndmask_b32_e64 v57, v55, v49, s[4:5]
	v_cndmask_b32_e64 v56, v54, v48, s[4:5]
	v_cmp_nlt_f64_e32 vcc, v[56:57], v[44:45]
	v_cndmask_b32_e64 v51, v49, v55, s[4:5]
	v_cndmask_b32_e64 v50, v48, v54, s[4:5]
	s_and_b64 s[4:5], s[2:3], s[4:5]
	v_cndmask_b32_e32 v55, v57, v45, vcc
	v_cndmask_b32_e32 v54, v56, v44, vcc
	v_cmp_nlt_f64_e64 s[2:3], v[54:55], v[42:43]
	v_cndmask_b32_e32 v49, v45, v57, vcc
	v_cndmask_b32_e32 v48, v44, v56, vcc
	s_and_b64 s[4:5], s[4:5], vcc
	v_cndmask_b32_e64 v57, v55, v43, s[2:3]
	v_cndmask_b32_e64 v56, v54, v42, s[2:3]
	v_cmp_nlt_f64_e32 vcc, v[56:57], v[30:31]
	v_cndmask_b32_e64 v45, v43, v55, s[2:3]
	v_cndmask_b32_e64 v44, v42, v54, s[2:3]
	s_and_b64 s[4:5], s[4:5], s[2:3]
	v_cndmask_b32_e32 v67, v57, v31, vcc
	v_cndmask_b32_e32 v66, v56, v30, vcc
	v_cmp_nlt_f64_e64 s[2:3], v[66:67], v[52:53]
	s_and_b64 s[4:5], s[4:5], vcc
	v_cndmask_b32_e32 v43, v31, v57, vcc
	v_cndmask_b32_e32 v42, v30, v56, vcc
	v_cndmask_b32_e64 v55, v67, v53, s[2:3]
	v_cndmask_b32_e64 v54, v66, v52, s[2:3]
	;; [unrolled: 1-line block ×4, first 2 shown]
	s_and_b64 s[2:3], s[4:5], s[2:3]
	s_and_b64 s[2:3], s[2:3], s[6:7]
	;; [unrolled: 1-line block ×3, first 2 shown]
	s_and_b64 s[2:3], exec, s[2:3]
	v_mov_b32_e32 v52, v54
	s_or_b64 s[16:17], s[2:3], s[16:17]
	v_mov_b32_e32 v53, v55
	s_andn2_b64 exec, exec, s[16:17]
	s_cbranch_execnz .LBB173_241
; %bb.242:                              ;   in Loop: Header=BB173_162 Depth=1
	s_or_b64 exec, exec, s[16:17]
	v_add_f64 v[2:3], v[2:3], -1.0
	s_mov_b32 s31, s19
	s_mov_b32 s88, s78
	s_mov_b32 s6, 0
	s_mov_b32 s7, 0x7ff00000
	v_cmp_class_f64_e64 s[82:83], v[14:15], s40
	v_cmp_class_f64_e64 s[16:17], v[16:17], s40
	v_add_f64 v[2:3], v[2:3], v[10:11]
	v_add_f64 v[2:3], v[2:3], v[28:29]
	;; [unrolled: 1-line block ×11, first 2 shown]
	v_add_f64 v[10:11], v[2:3], 1.0
	v_cmp_nge_f64_e64 s[4:5], -1.0, v[2:3]
	v_cmp_neq_f64_e64 s[6:7], s[6:7], v[2:3]
	v_frexp_mant_f64_e32 v[28:29], v[10:11]
	v_frexp_exp_i32_f64_e32 v4, v[10:11]
	v_add_f64 v[26:27], v[10:11], -1.0
	v_cmp_gt_f64_e32 vcc, s[18:19], v[28:29]
	v_add_f64 v[30:31], v[26:27], -v[10:11]
	v_add_f64 v[26:27], v[2:3], -v[26:27]
	v_subbrev_co_u32_e32 v4, vcc, 0, v4, vcc
	v_sub_u32_e32 v12, 0, v4
	v_ldexp_f64 v[10:11], v[10:11], v12
	v_add_f64 v[28:29], v[30:31], 1.0
	v_add_f64 v[30:31], v[10:11], 1.0
	v_add_f64 v[26:27], v[26:27], v[28:29]
	v_add_f64 v[44:45], v[10:11], -1.0
	v_add_f64 v[28:29], v[30:31], -1.0
	v_ldexp_f64 v[26:27], v[26:27], v12
	v_add_f64 v[46:47], v[44:45], 1.0
	v_ashrrev_i32_e32 v12, 31, v15
	v_add_f64 v[28:29], v[10:11], -v[28:29]
	v_add_f64 v[10:11], v[10:11], -v[46:47]
	v_add_f64 v[32:33], v[26:27], v[28:29]
	v_add_f64 v[46:47], v[26:27], v[10:11]
	;; [unrolled: 1-line block ×3, first 2 shown]
	v_rcp_f64_e32 v[42:43], v[28:29]
	v_add_f64 v[30:31], v[28:29], -v[30:31]
	v_add_f64 v[32:33], v[32:33], -v[30:31]
	v_fma_f64 v[48:49], -v[28:29], v[42:43], 1.0
	v_fma_f64 v[42:43], v[48:49], v[42:43], v[42:43]
	v_add_f64 v[48:49], v[44:45], v[46:47]
	v_fma_f64 v[10:11], -v[28:29], v[42:43], 1.0
	v_add_f64 v[44:45], v[48:49], -v[44:45]
	v_fma_f64 v[10:11], v[10:11], v[42:43], v[42:43]
	v_add_f64 v[44:45], v[46:47], -v[44:45]
	v_mul_f64 v[26:27], v[48:49], v[10:11]
	v_mul_f64 v[42:43], v[28:29], v[26:27]
	v_fma_f64 v[30:31], v[26:27], v[28:29], -v[42:43]
	v_fma_f64 v[50:51], v[26:27], v[32:33], v[30:31]
	v_add_f64 v[52:53], v[42:43], v[50:51]
	v_add_f64 v[30:31], v[48:49], -v[52:53]
	v_add_f64 v[42:43], v[52:53], -v[42:43]
	;; [unrolled: 1-line block ×5, first 2 shown]
	v_add_f64 v[44:45], v[44:45], v[46:47]
	v_max_f64 v[46:47], |v[14:15]|, |v[14:15]|
	v_add_f64 v[42:43], v[42:43], v[44:45]
	v_max_f64 v[44:45], |v[16:17]|, |v[16:17]|
	v_add_f64 v[48:49], v[30:31], v[42:43]
	v_max_f64 v[50:51], v[46:47], v[44:45]
	v_min_f64 v[44:45], v[46:47], v[44:45]
	v_mul_f64 v[46:47], v[10:11], v[48:49]
	v_add_f64 v[30:31], v[30:31], -v[48:49]
	v_div_scale_f64 v[52:53], s[2:3], v[50:51], v[50:51], v[44:45]
	s_mov_b32 s2, 0xb5e68a13
	s_mov_b32 s3, 0x3eeba404
	v_mul_f64 v[54:55], v[28:29], v[46:47]
	v_add_f64 v[30:31], v[42:43], v[30:31]
	v_fma_f64 v[28:29], v[46:47], v[28:29], -v[54:55]
	v_rcp_f64_e32 v[56:57], v[52:53]
	v_fma_f64 v[28:29], v[46:47], v[32:33], v[28:29]
	v_add_f64 v[32:33], v[54:55], v[28:29]
	v_fma_f64 v[66:67], -v[52:53], v[56:57], 1.0
	v_add_f64 v[68:69], v[48:49], -v[32:33]
	v_add_f64 v[42:43], v[32:33], -v[54:55]
	v_fma_f64 v[56:57], v[56:57], v[66:67], v[56:57]
	v_div_scale_f64 v[66:67], vcc, v[44:45], v[50:51], v[44:45]
	v_add_f64 v[48:49], v[48:49], -v[68:69]
	v_add_f64 v[28:29], v[42:43], -v[28:29]
	v_fma_f64 v[70:71], -v[52:53], v[56:57], 1.0
	v_add_f64 v[42:43], v[26:27], v[46:47]
	v_add_f64 v[32:33], v[48:49], -v[32:33]
	v_fma_f64 v[48:49], v[56:57], v[70:71], v[56:57]
	v_add_f64 v[26:27], v[42:43], -v[26:27]
	v_add_f64 v[30:31], v[30:31], v[32:33]
	v_mul_f64 v[32:33], v[66:67], v[48:49]
	v_add_f64 v[26:27], v[46:47], -v[26:27]
	v_add_f64 v[28:29], v[28:29], v[30:31]
	v_fma_f64 v[30:31], -v[52:53], v[32:33], v[66:67]
	v_add_f64 v[28:29], v[68:69], v[28:29]
	v_div_fmas_f64 v[30:31], v[30:31], v[48:49], v[32:33]
	v_cmp_gt_i32_e32 vcc, 0, v15
	v_and_b32_e32 v15, 0x54442d18, v12
	v_and_b32_e32 v12, 0x400921fb, v12
	v_cndmask_b32_e32 v14, v64, v65, vcc
	v_bfi_b32 v14, s12, v14, v17
	v_mul_f64 v[10:11], v[10:11], v[28:29]
	v_add_f64 v[10:11], v[26:27], v[10:11]
	v_div_fixup_f64 v[26:27], v[30:31], v[50:51], v[44:45]
	v_add_f64 v[28:29], v[42:43], v[10:11]
	v_mul_f64 v[30:31], v[26:27], v[26:27]
	v_mul_f64 v[32:33], v[28:29], v[28:29]
	v_fma_f64 v[44:45], v[30:31], s[2:3], v[38:39]
	v_cmp_eq_f64_e64 s[2:3], 0, v[16:17]
	v_fma_f64 v[46:47], v[32:33], s[20:21], v[36:37]
	v_mul_f64 v[48:49], v[28:29], v[32:33]
	v_fma_f64 v[44:45], v[30:31], v[44:45], s[42:43]
	v_fma_f64 v[46:47], v[32:33], v[46:47], s[22:23]
	;; [unrolled: 1-line block ×10, first 2 shown]
	v_ldexp_f64 v[46:47], v[28:29], 1
	v_fma_f64 v[44:45], v[30:31], v[44:45], s[52:53]
	v_add_f64 v[28:29], v[28:29], -v[42:43]
	v_mul_f64 v[32:33], v[48:49], v[32:33]
	v_cvt_f64_i32_e32 v[48:49], v4
	v_fma_f64 v[44:45], v[30:31], v[44:45], s[54:55]
	v_add_f64 v[10:11], v[10:11], -v[28:29]
	v_cndmask_b32_e32 v4, v62, v63, vcc
	v_mul_f64 v[50:51], v[48:49], s[34:35]
	v_add_f64 v[42:43], v[46:47], v[32:33]
	v_fma_f64 v[44:45], v[30:31], v[44:45], s[56:57]
	v_ldexp_f64 v[10:11], v[10:11], 1
	v_add_f64 v[28:29], v[42:43], -v[46:47]
	v_fma_f64 v[46:47], v[48:49], s[34:35], -v[50:51]
	v_fma_f64 v[44:45], v[30:31], v[44:45], s[58:59]
	v_add_f64 v[28:29], v[32:33], -v[28:29]
	v_fma_f64 v[32:33], v[30:31], v[44:45], s[60:61]
	v_fma_f64 v[44:45], v[48:49], s[36:37], v[46:47]
	v_add_f64 v[10:11], v[10:11], v[28:29]
	v_fma_f64 v[28:29], v[30:31], v[32:33], s[62:63]
	v_add_f64 v[32:33], v[50:51], v[44:45]
	v_add_f64 v[46:47], v[42:43], v[10:11]
	v_fma_f64 v[28:29], v[30:31], v[28:29], s[64:65]
	v_add_f64 v[50:51], v[32:33], -v[50:51]
	v_add_f64 v[48:49], v[32:33], v[46:47]
	v_add_f64 v[42:43], v[46:47], -v[42:43]
	v_fma_f64 v[28:29], v[30:31], v[28:29], s[66:67]
	v_add_f64 v[44:45], v[44:45], -v[50:51]
	v_add_f64 v[52:53], v[48:49], -v[32:33]
	;; [unrolled: 1-line block ×3, first 2 shown]
	v_fma_f64 v[28:29], v[30:31], v[28:29], s[68:69]
	v_add_f64 v[54:55], v[48:49], -v[52:53]
	v_add_f64 v[42:43], v[46:47], -v[52:53]
	v_fma_f64 v[28:29], v[30:31], v[28:29], s[70:71]
	v_add_f64 v[46:47], v[44:45], v[10:11]
	v_add_f64 v[32:33], v[32:33], -v[54:55]
	v_fma_f64 v[28:29], v[30:31], v[28:29], s[72:73]
	v_add_f64 v[32:33], v[42:43], v[32:33]
	;; [unrolled: 3-line block ×3, first 2 shown]
	v_add_f64 v[46:47], v[46:47], -v[42:43]
	v_fma_f64 v[28:29], v[30:31], v[28:29], s[76:77]
	v_add_f64 v[10:11], v[10:11], -v[42:43]
	v_add_f64 v[50:51], v[48:49], v[32:33]
	v_mul_f64 v[28:29], v[30:31], v[28:29]
	v_add_f64 v[30:31], v[44:45], -v[46:47]
	v_add_f64 v[42:43], v[50:51], -v[48:49]
	v_fma_f64 v[26:27], v[26:27], v[28:29], v[26:27]
	v_add_f64 v[10:11], v[10:11], v[30:31]
	v_add_f64 v[28:29], v[32:33], -v[42:43]
	v_add_f64 v[30:31], -v[26:27], s[78:79]
	v_add_f64 v[10:11], v[10:11], v[28:29]
	v_cndmask_b32_e64 v27, v27, v31, s[0:1]
	v_cndmask_b32_e64 v26, v26, v30, s[0:1]
	v_add_f64 v[28:29], -v[26:27], s[88:89]
	v_add_f64 v[10:11], v[50:51], v[10:11]
	v_cndmask_b32_e32 v26, v26, v28, vcc
	v_cndmask_b32_e32 v27, v27, v29, vcc
	v_cndmask_b32_e64 v15, v26, v15, s[2:3]
	v_cndmask_b32_e64 v12, v27, v12, s[2:3]
	v_mul_f64 v[10:11], v[10:11], 0.5
	s_and_b64 s[2:3], s[4:5], s[6:7]
	s_and_b64 vcc, s[82:83], s[16:17]
	s_mov_b32 s16, 0xb5e68a13
	s_mov_b32 s82, 0
	;; [unrolled: 1-line block ×4, first 2 shown]
	v_cndmask_b32_e32 v29, v12, v14, vcc
	v_cndmask_b32_e64 v26, 0, v10, s[2:3]
	v_cmp_ngt_f64_e64 s[2:3], -1.0, v[2:3]
	v_cndmask_b32_e64 v11, v59, v11, s[6:7]
	v_cndmask_b32_e32 v28, v15, v4, vcc
	v_cndmask_b32_e64 v10, v60, v11, s[2:3]
	v_cmp_neq_f64_e64 s[2:3], -1.0, v[2:3]
	v_cndmask_b32_e64 v27, v61, v10, s[2:3]
.LBB173_243:                            ;   in Loop: Header=BB173_162 Depth=1
	s_or_b64 exec, exec, s[14:15]
.LBB173_244:                            ;   in Loop: Header=BB173_162 Depth=1
	s_or_b64 exec, exec, s[38:39]
.LBB173_245:                            ;   in Loop: Header=BB173_162 Depth=1
	s_andn2_saveexec_b64 s[6:7], s[80:81]
	s_cbranch_execz .LBB173_247
; %bb.246:                              ;   in Loop: Header=BB173_162 Depth=1
	v_max_f64 v[10:11], |v[16:17]|, |v[16:17]|
	v_max_f64 v[26:27], |v[14:15]|, |v[14:15]|
	v_cmp_class_f64_e64 s[14:15], v[14:15], s40
	v_cmp_class_f64_e64 s[38:39], v[16:17], s40
	s_mov_b32 s31, s19
	s_mov_b32 s88, s78
	v_max_f64 v[28:29], v[26:27], v[10:11]
	v_min_f64 v[10:11], v[26:27], v[10:11]
	v_frexp_exp_i32_f64_e32 v4, v[28:29]
	v_sub_u32_e32 v12, 0, v4
	v_ldexp_f64 v[2:3], |v[16:17]|, v12
	v_ldexp_f64 v[30:31], |v[14:15]|, v12
	v_mul_f64 v[2:3], v[2:3], v[2:3]
	v_fma_f64 v[2:3], v[30:31], v[30:31], v[2:3]
	v_rsq_f64_e32 v[30:31], v[2:3]
	v_cmp_eq_f64_e32 vcc, 0, v[2:3]
	v_mul_f64 v[32:33], v[2:3], v[30:31]
	v_mul_f64 v[30:31], v[30:31], 0.5
	v_fma_f64 v[42:43], -v[30:31], v[32:33], 0.5
	v_fma_f64 v[32:33], v[32:33], v[42:43], v[32:33]
	v_fma_f64 v[30:31], v[30:31], v[42:43], v[30:31]
	v_fma_f64 v[42:43], -v[32:33], v[32:33], v[2:3]
	v_fma_f64 v[30:31], v[42:43], v[30:31], v[32:33]
	v_cndmask_b32_e32 v3, v31, v3, vcc
	v_cndmask_b32_e32 v2, v30, v2, vcc
	v_ldexp_f64 v[2:3], v[2:3], v4
	s_or_b64 vcc, s[14:15], s[38:39]
	v_cndmask_b32_e32 v3, v3, v59, vcc
	v_cndmask_b32_e64 v2, v2, 0, vcc
	v_frexp_mant_f64_e32 v[30:31], v[2:3]
	v_cmp_gt_f64_e64 s[2:3], s[18:19], v[30:31]
	v_cndmask_b32_e64 v4, 0, 1, s[2:3]
	v_ldexp_f64 v[30:31], v[30:31], v4
	v_frexp_exp_i32_f64_e32 v4, v[2:3]
	v_add_f64 v[32:33], v[30:31], 1.0
	v_add_f64 v[46:47], v[30:31], -1.0
	v_rcp_f64_e32 v[42:43], v[32:33]
	v_add_f64 v[50:51], v[32:33], -1.0
	v_add_f64 v[30:31], v[30:31], -v[50:51]
	v_fma_f64 v[44:45], -v[32:33], v[42:43], 1.0
	v_fma_f64 v[26:27], v[44:45], v[42:43], v[42:43]
	v_div_scale_f64 v[42:43], s[4:5], v[28:29], v[28:29], v[10:11]
	v_cmp_class_f64_e64 s[4:5], v[2:3], s40
	v_fma_f64 v[44:45], -v[32:33], v[26:27], 1.0
	v_fma_f64 v[26:27], v[44:45], v[26:27], v[26:27]
	v_rcp_f64_e32 v[44:45], v[42:43]
	v_mul_f64 v[48:49], v[46:47], v[26:27]
	v_mul_f64 v[52:53], v[32:33], v[48:49]
	v_fma_f64 v[54:55], -v[42:43], v[44:45], 1.0
	v_fma_f64 v[32:33], v[48:49], v[32:33], -v[52:53]
	v_fma_f64 v[44:45], v[44:45], v[54:55], v[44:45]
	v_fma_f64 v[30:31], v[48:49], v[30:31], v[32:33]
	v_div_scale_f64 v[32:33], vcc, v[10:11], v[28:29], v[10:11]
	v_fma_f64 v[50:51], -v[42:43], v[44:45], 1.0
	v_add_f64 v[54:55], v[52:53], v[30:31]
	v_fma_f64 v[44:45], v[44:45], v[50:51], v[44:45]
	v_add_f64 v[50:51], v[46:47], -v[54:55]
	v_add_f64 v[52:53], v[54:55], -v[52:53]
	v_mul_f64 v[56:57], v[32:33], v[44:45]
	v_add_f64 v[46:47], v[46:47], -v[50:51]
	v_add_f64 v[30:31], v[52:53], -v[30:31]
	v_fma_f64 v[32:33], -v[42:43], v[56:57], v[32:33]
	v_add_f64 v[42:43], v[46:47], -v[54:55]
	v_div_fmas_f64 v[32:33], v[32:33], v[44:45], v[56:57]
	v_subbrev_co_u32_e64 v4, vcc, 0, v4, s[2:3]
	v_cmp_eq_f64_e64 s[2:3], 0, v[16:17]
	v_cmp_gt_i32_e32 vcc, 0, v15
	v_add_f64 v[30:31], v[30:31], v[42:43]
	v_cndmask_b32_e32 v12, v62, v63, vcc
	v_add_f64 v[30:31], v[50:51], v[30:31]
	v_div_fixup_f64 v[10:11], v[32:33], v[28:29], v[10:11]
	v_mul_f64 v[26:27], v[26:27], v[30:31]
	v_mul_f64 v[28:29], v[10:11], v[10:11]
	v_add_f64 v[30:31], v[48:49], v[26:27]
	v_fma_f64 v[32:33], v[28:29], s[16:17], v[38:39]
	v_mul_f64 v[42:43], v[30:31], v[30:31]
	v_fma_f64 v[32:33], v[28:29], v[32:33], s[42:43]
	v_fma_f64 v[44:45], v[42:43], s[20:21], v[36:37]
	v_mul_f64 v[46:47], v[30:31], v[42:43]
	v_fma_f64 v[32:33], v[28:29], v[32:33], s[44:45]
	v_fma_f64 v[44:45], v[42:43], v[44:45], s[22:23]
	;; [unrolled: 1-line block ×10, first 2 shown]
	v_ldexp_f64 v[44:45], v[30:31], 1
	v_add_f64 v[30:31], v[30:31], -v[48:49]
	v_fma_f64 v[32:33], v[28:29], v[32:33], s[54:55]
	v_cvt_f64_i32_e32 v[48:49], v4
	v_ashrrev_i32_e32 v4, 31, v15
	v_mul_f64 v[42:43], v[46:47], v[42:43]
	v_mul_f64 v[50:51], v[48:49], s[34:35]
	v_add_f64 v[26:27], v[26:27], -v[30:31]
	v_fma_f64 v[32:33], v[28:29], v[32:33], s[56:57]
	v_add_f64 v[46:47], v[44:45], v[42:43]
	v_ldexp_f64 v[26:27], v[26:27], 1
	v_fma_f64 v[32:33], v[28:29], v[32:33], s[58:59]
	v_add_f64 v[30:31], v[46:47], -v[44:45]
	v_fma_f64 v[44:45], v[48:49], s[34:35], -v[50:51]
	v_fma_f64 v[32:33], v[28:29], v[32:33], s[60:61]
	v_add_f64 v[30:31], v[42:43], -v[30:31]
	v_fma_f64 v[42:43], v[48:49], s[36:37], v[44:45]
	v_fma_f64 v[32:33], v[28:29], v[32:33], s[62:63]
	v_add_f64 v[26:27], v[26:27], v[30:31]
	v_fma_f64 v[30:31], v[28:29], v[32:33], s[64:65]
	v_add_f64 v[32:33], v[50:51], v[42:43]
	v_add_f64 v[44:45], v[46:47], v[26:27]
	v_fma_f64 v[30:31], v[28:29], v[30:31], s[66:67]
	v_add_f64 v[50:51], v[32:33], -v[50:51]
	v_add_f64 v[48:49], v[32:33], v[44:45]
	v_add_f64 v[46:47], v[44:45], -v[46:47]
	v_fma_f64 v[30:31], v[28:29], v[30:31], s[68:69]
	v_add_f64 v[42:43], v[42:43], -v[50:51]
	v_add_f64 v[52:53], v[48:49], -v[32:33]
	;; [unrolled: 1-line block ×3, first 2 shown]
	v_fma_f64 v[30:31], v[28:29], v[30:31], s[70:71]
	v_add_f64 v[54:55], v[48:49], -v[52:53]
	v_add_f64 v[44:45], v[44:45], -v[52:53]
	v_add_f64 v[46:47], v[42:43], v[26:27]
	v_fma_f64 v[30:31], v[28:29], v[30:31], s[72:73]
	v_add_f64 v[32:33], v[32:33], -v[54:55]
	v_fma_f64 v[30:31], v[28:29], v[30:31], s[74:75]
	v_add_f64 v[32:33], v[44:45], v[32:33]
	v_add_f64 v[44:45], v[46:47], -v[42:43]
	v_fma_f64 v[30:31], v[28:29], v[30:31], s[76:77]
	v_add_f64 v[32:33], v[46:47], v[32:33]
	v_add_f64 v[26:27], v[26:27], -v[44:45]
	v_mul_f64 v[28:29], v[28:29], v[30:31]
	v_add_f64 v[30:31], v[46:47], -v[44:45]
	v_add_f64 v[46:47], v[48:49], v[32:33]
	v_fma_f64 v[10:11], v[10:11], v[28:29], v[10:11]
	v_add_f64 v[28:29], v[42:43], -v[30:31]
	v_add_f64 v[30:31], v[46:47], -v[48:49]
	v_add_f64 v[42:43], -v[10:11], s[78:79]
	v_add_f64 v[26:27], v[26:27], v[28:29]
	v_add_f64 v[28:29], v[32:33], -v[30:31]
	v_cndmask_b32_e64 v11, v11, v43, s[0:1]
	v_cndmask_b32_e64 v10, v10, v42, s[0:1]
	v_add_f64 v[30:31], -v[10:11], s[88:89]
	v_add_f64 v[26:27], v[26:27], v[28:29]
	v_and_b32_e32 v28, 0x54442d18, v4
	v_and_b32_e32 v4, 0x400921fb, v4
	v_cndmask_b32_e32 v29, v64, v65, vcc
	v_cndmask_b32_e32 v10, v10, v30, vcc
	;; [unrolled: 1-line block ×3, first 2 shown]
	v_cndmask_b32_e64 v10, v10, v28, s[2:3]
	v_add_f64 v[14:15], v[46:47], v[26:27]
	v_cndmask_b32_e64 v4, v11, v4, s[2:3]
	v_cmp_ngt_f64_e64 s[2:3], 0, v[2:3]
	v_bfi_b32 v26, s12, v29, v17
	s_and_b64 vcc, s[14:15], s[38:39]
	v_cndmask_b32_e32 v29, v4, v26, vcc
	v_cndmask_b32_e32 v28, v10, v12, vcc
	v_cndmask_b32_e64 v11, v15, v3, s[4:5]
	v_cndmask_b32_e64 v4, v14, v2, s[4:5]
	;; [unrolled: 1-line block ×3, first 2 shown]
	v_cmp_nge_f64_e64 s[2:3], 0, v[2:3]
	v_cndmask_b32_e64 v26, 0, v4, s[2:3]
	v_cmp_neq_f64_e64 s[2:3], 0, v[2:3]
	v_cndmask_b32_e64 v27, v61, v11, s[2:3]
.LBB173_247:                            ;   in Loop: Header=BB173_162 Depth=1
	s_or_b64 exec, exec, s[6:7]
                                        ; implicit-def: $vgpr10_vgpr11
.LBB173_248:                            ;   in Loop: Header=BB173_162 Depth=1
	s_andn2_saveexec_b64 s[6:7], s[94:95]
	s_cbranch_execz .LBB173_254
; %bb.249:                              ;   in Loop: Header=BB173_162 Depth=1
	s_mov_b32 s2, 0x6a3f9475
	s_mov_b32 s3, 0x20ca2fe7
	v_cmp_ngt_f64_e32 vcc, s[2:3], v[10:11]
                                        ; implicit-def: $vgpr26_vgpr27
	s_and_saveexec_b64 s[2:3], vcc
	s_xor_b64 s[14:15], exec, s[2:3]
	s_cbranch_execz .LBB173_251
; %bb.250:                              ;   in Loop: Header=BB173_162 Depth=1
	v_mul_f64 v[2:3], v[10:11], v[10:11]
	s_mov_b32 s31, s19
	s_mov_b32 s88, s78
	v_cmp_class_f64_e64 s[38:39], v[14:15], s40
	v_add_f64 v[10:11], v[2:3], 1.0
	v_cmp_neq_f64_e64 s[4:5], s[82:83], v[2:3]
	v_frexp_mant_f64_e32 v[28:29], v[10:11]
	v_frexp_exp_i32_f64_e32 v4, v[10:11]
	v_add_f64 v[26:27], v[10:11], -1.0
	v_cmp_gt_f64_e32 vcc, s[18:19], v[28:29]
	v_add_f64 v[30:31], v[26:27], -v[10:11]
	v_add_f64 v[26:27], v[2:3], -v[26:27]
	v_subbrev_co_u32_e32 v4, vcc, 0, v4, vcc
	v_sub_u32_e32 v12, 0, v4
	v_ldexp_f64 v[10:11], v[10:11], v12
	v_add_f64 v[28:29], v[30:31], 1.0
	v_add_f64 v[30:31], v[10:11], 1.0
	v_add_f64 v[26:27], v[26:27], v[28:29]
	v_add_f64 v[44:45], v[10:11], -1.0
	v_add_f64 v[28:29], v[30:31], -1.0
	v_ldexp_f64 v[26:27], v[26:27], v12
	v_add_f64 v[46:47], v[44:45], 1.0
	v_ashrrev_i32_e32 v12, 31, v15
	v_add_f64 v[28:29], v[10:11], -v[28:29]
	v_add_f64 v[10:11], v[10:11], -v[46:47]
	v_add_f64 v[32:33], v[26:27], v[28:29]
	v_add_f64 v[46:47], v[26:27], v[10:11]
	;; [unrolled: 1-line block ×3, first 2 shown]
	v_rcp_f64_e32 v[42:43], v[28:29]
	v_add_f64 v[30:31], v[30:31], -v[28:29]
	v_add_f64 v[32:33], v[32:33], v[30:31]
	v_fma_f64 v[48:49], -v[28:29], v[42:43], 1.0
	v_fma_f64 v[42:43], v[48:49], v[42:43], v[42:43]
	v_add_f64 v[48:49], v[44:45], v[46:47]
	v_fma_f64 v[10:11], -v[28:29], v[42:43], 1.0
	v_add_f64 v[44:45], v[44:45], -v[48:49]
	v_fma_f64 v[10:11], v[10:11], v[42:43], v[42:43]
	v_add_f64 v[44:45], v[46:47], v[44:45]
	v_mul_f64 v[26:27], v[48:49], v[10:11]
	v_mul_f64 v[42:43], v[28:29], v[26:27]
	v_fma_f64 v[30:31], v[26:27], v[28:29], -v[42:43]
	v_fma_f64 v[50:51], v[26:27], v[32:33], v[30:31]
	v_add_f64 v[52:53], v[42:43], v[50:51]
	v_add_f64 v[30:31], v[48:49], -v[52:53]
	v_add_f64 v[42:43], v[52:53], -v[42:43]
	v_add_f64 v[48:49], v[48:49], -v[30:31]
	v_add_f64 v[42:43], v[42:43], -v[50:51]
	v_add_f64 v[46:47], v[48:49], -v[52:53]
	v_add_f64 v[44:45], v[44:45], v[46:47]
	v_max_f64 v[46:47], |v[14:15]|, |v[14:15]|
	v_and_b32_e32 v14, 0x54442d18, v12
	v_and_b32_e32 v12, 0x400921fb, v12
	v_add_f64 v[42:43], v[42:43], v[44:45]
	v_max_f64 v[44:45], |v[16:17]|, |v[16:17]|
	v_add_f64 v[48:49], v[30:31], v[42:43]
	v_max_f64 v[50:51], v[46:47], v[44:45]
	v_min_f64 v[44:45], v[46:47], v[44:45]
	v_mul_f64 v[46:47], v[10:11], v[48:49]
	v_add_f64 v[30:31], v[30:31], -v[48:49]
	v_div_scale_f64 v[52:53], s[2:3], v[50:51], v[50:51], v[44:45]
	v_cmp_eq_f64_e64 s[2:3], 0, v[16:17]
	v_mul_f64 v[54:55], v[28:29], v[46:47]
	v_add_f64 v[30:31], v[42:43], v[30:31]
	v_fma_f64 v[28:29], v[46:47], v[28:29], -v[54:55]
	v_rcp_f64_e32 v[56:57], v[52:53]
	v_fma_f64 v[28:29], v[46:47], v[32:33], v[28:29]
	v_add_f64 v[32:33], v[54:55], v[28:29]
	v_fma_f64 v[66:67], -v[52:53], v[56:57], 1.0
	v_add_f64 v[68:69], v[48:49], -v[32:33]
	v_add_f64 v[42:43], v[32:33], -v[54:55]
	v_fma_f64 v[56:57], v[56:57], v[66:67], v[56:57]
	v_div_scale_f64 v[66:67], vcc, v[44:45], v[50:51], v[44:45]
	v_add_f64 v[48:49], v[48:49], -v[68:69]
	v_add_f64 v[28:29], v[42:43], -v[28:29]
	v_fma_f64 v[70:71], -v[52:53], v[56:57], 1.0
	v_add_f64 v[42:43], v[26:27], v[46:47]
	v_add_f64 v[32:33], v[48:49], -v[32:33]
	v_fma_f64 v[48:49], v[56:57], v[70:71], v[56:57]
	v_add_f64 v[26:27], v[42:43], -v[26:27]
	v_add_f64 v[30:31], v[30:31], v[32:33]
	v_mul_f64 v[32:33], v[66:67], v[48:49]
	v_add_f64 v[26:27], v[46:47], -v[26:27]
	v_add_f64 v[28:29], v[28:29], v[30:31]
	v_fma_f64 v[30:31], -v[52:53], v[32:33], v[66:67]
	v_add_f64 v[28:29], v[68:69], v[28:29]
	v_div_fmas_f64 v[30:31], v[30:31], v[48:49], v[32:33]
	v_cmp_gt_i32_e32 vcc, 0, v15
	v_mul_f64 v[10:11], v[10:11], v[28:29]
	v_add_f64 v[10:11], v[26:27], v[10:11]
	v_div_fixup_f64 v[26:27], v[30:31], v[50:51], v[44:45]
	v_add_f64 v[28:29], v[42:43], v[10:11]
	v_mul_f64 v[30:31], v[26:27], v[26:27]
	v_mul_f64 v[32:33], v[28:29], v[28:29]
	v_fma_f64 v[44:45], v[30:31], s[16:17], v[38:39]
	v_cmp_class_f64_e64 s[16:17], v[16:17], s40
	v_fma_f64 v[46:47], v[32:33], s[20:21], v[36:37]
	v_mul_f64 v[48:49], v[28:29], v[32:33]
	v_fma_f64 v[44:45], v[30:31], v[44:45], s[42:43]
	v_fma_f64 v[46:47], v[32:33], v[46:47], s[22:23]
	;; [unrolled: 1-line block ×10, first 2 shown]
	v_ldexp_f64 v[46:47], v[28:29], 1
	v_fma_f64 v[44:45], v[30:31], v[44:45], s[52:53]
	v_add_f64 v[28:29], v[28:29], -v[42:43]
	v_mul_f64 v[32:33], v[48:49], v[32:33]
	v_cvt_f64_i32_e32 v[48:49], v4
	v_fma_f64 v[44:45], v[30:31], v[44:45], s[54:55]
	v_add_f64 v[10:11], v[10:11], -v[28:29]
	v_cndmask_b32_e32 v4, v62, v63, vcc
	v_mul_f64 v[50:51], v[48:49], s[34:35]
	v_add_f64 v[42:43], v[46:47], v[32:33]
	v_fma_f64 v[44:45], v[30:31], v[44:45], s[56:57]
	v_ldexp_f64 v[10:11], v[10:11], 1
	v_add_f64 v[28:29], v[42:43], -v[46:47]
	v_fma_f64 v[46:47], v[48:49], s[34:35], -v[50:51]
	v_fma_f64 v[44:45], v[30:31], v[44:45], s[58:59]
	v_add_f64 v[28:29], v[32:33], -v[28:29]
	v_fma_f64 v[32:33], v[30:31], v[44:45], s[60:61]
	v_fma_f64 v[44:45], v[48:49], s[36:37], v[46:47]
	v_add_f64 v[10:11], v[10:11], v[28:29]
	v_fma_f64 v[28:29], v[30:31], v[32:33], s[62:63]
	v_add_f64 v[32:33], v[50:51], v[44:45]
	v_add_f64 v[46:47], v[42:43], v[10:11]
	v_fma_f64 v[28:29], v[30:31], v[28:29], s[64:65]
	v_add_f64 v[50:51], v[32:33], -v[50:51]
	v_add_f64 v[48:49], v[32:33], v[46:47]
	v_add_f64 v[42:43], v[46:47], -v[42:43]
	v_fma_f64 v[28:29], v[30:31], v[28:29], s[66:67]
	v_add_f64 v[44:45], v[44:45], -v[50:51]
	v_add_f64 v[52:53], v[48:49], -v[32:33]
	;; [unrolled: 1-line block ×3, first 2 shown]
	v_fma_f64 v[28:29], v[30:31], v[28:29], s[68:69]
	v_add_f64 v[54:55], v[48:49], -v[52:53]
	v_add_f64 v[42:43], v[46:47], -v[52:53]
	v_fma_f64 v[28:29], v[30:31], v[28:29], s[70:71]
	v_add_f64 v[46:47], v[44:45], v[10:11]
	v_add_f64 v[32:33], v[32:33], -v[54:55]
	v_fma_f64 v[28:29], v[30:31], v[28:29], s[72:73]
	v_add_f64 v[32:33], v[42:43], v[32:33]
	;; [unrolled: 3-line block ×3, first 2 shown]
	v_add_f64 v[46:47], v[46:47], -v[42:43]
	v_fma_f64 v[28:29], v[30:31], v[28:29], s[76:77]
	v_add_f64 v[10:11], v[10:11], -v[42:43]
	v_add_f64 v[50:51], v[48:49], v[32:33]
	v_mul_f64 v[28:29], v[30:31], v[28:29]
	v_add_f64 v[30:31], v[44:45], -v[46:47]
	v_add_f64 v[42:43], v[50:51], -v[48:49]
	v_fma_f64 v[26:27], v[26:27], v[28:29], v[26:27]
	v_add_f64 v[10:11], v[10:11], v[30:31]
	v_add_f64 v[28:29], v[32:33], -v[42:43]
	v_add_f64 v[30:31], -v[26:27], s[78:79]
	v_add_f64 v[10:11], v[10:11], v[28:29]
	v_cndmask_b32_e64 v27, v27, v31, s[0:1]
	v_cndmask_b32_e64 v26, v26, v30, s[0:1]
	v_add_f64 v[28:29], -v[26:27], s[88:89]
	v_add_f64 v[10:11], v[50:51], v[10:11]
	v_cndmask_b32_e32 v15, v26, v28, vcc
	v_cndmask_b32_e32 v26, v64, v65, vcc
	;; [unrolled: 1-line block ×3, first 2 shown]
	v_bfi_b32 v2, s12, v26, v17
	v_mul_f64 v[10:11], v[10:11], 0.5
	v_cndmask_b32_e64 v14, v15, v14, s[2:3]
	v_cndmask_b32_e64 v3, v3, v12, s[2:3]
	s_and_b64 vcc, s[38:39], s[16:17]
	s_mov_b32 s16, 0xb5e68a13
	s_mov_b32 s17, 0x3eeba404
	v_cndmask_b32_e32 v29, v3, v2, vcc
	v_cndmask_b32_e32 v28, v14, v4, vcc
	v_cndmask_b32_e64 v27, v59, v11, s[4:5]
	v_cndmask_b32_e64 v26, 0, v10, s[4:5]
                                        ; implicit-def: $vgpr10_vgpr11
.LBB173_251:                            ;   in Loop: Header=BB173_162 Depth=1
	s_andn2_saveexec_b64 s[4:5], s[14:15]
	s_cbranch_execz .LBB173_253
; %bb.252:                              ;   in Loop: Header=BB173_162 Depth=1
	v_max_f64 v[2:3], |v[16:17]|, |v[16:17]|
	v_max_f64 v[26:27], |v[14:15]|, |v[14:15]|
	s_mov_b32 s88, s78
	v_cmp_class_f64_e64 s[14:15], v[16:17], s40
	v_ashrrev_i32_e32 v12, 31, v15
	v_max_f64 v[28:29], v[26:27], v[2:3]
	v_min_f64 v[2:3], v[26:27], v[2:3]
	v_div_scale_f64 v[26:27], s[2:3], v[28:29], v[28:29], v[2:3]
	v_cmp_eq_f64_e64 s[2:3], 0, v[16:17]
	v_rcp_f64_e32 v[30:31], v[26:27]
	v_fma_f64 v[32:33], -v[26:27], v[30:31], 1.0
	v_fma_f64 v[30:31], v[30:31], v[32:33], v[30:31]
	v_div_scale_f64 v[32:33], vcc, v[2:3], v[28:29], v[2:3]
	v_fma_f64 v[42:43], -v[26:27], v[30:31], 1.0
	v_fma_f64 v[30:31], v[30:31], v[42:43], v[30:31]
	v_mul_f64 v[42:43], v[32:33], v[30:31]
	v_fma_f64 v[26:27], -v[26:27], v[42:43], v[32:33]
	v_div_fmas_f64 v[26:27], v[26:27], v[30:31], v[42:43]
	v_cmp_gt_i32_e32 vcc, 0, v15
	v_and_b32_e32 v31, 0x54442d18, v12
	v_and_b32_e32 v12, 0x400921fb, v12
	v_cndmask_b32_e32 v4, v62, v63, vcc
	v_div_fixup_f64 v[2:3], v[26:27], v[28:29], v[2:3]
	v_mul_f64 v[26:27], v[2:3], v[2:3]
	v_fma_f64 v[28:29], v[26:27], s[16:17], v[38:39]
	v_cmp_class_f64_e64 s[16:17], v[14:15], s40
	v_cndmask_b32_e32 v14, v64, v65, vcc
	v_fma_f64 v[28:29], v[26:27], v[28:29], s[42:43]
	v_fma_f64 v[28:29], v[26:27], v[28:29], s[44:45]
	;; [unrolled: 1-line block ×18, first 2 shown]
	v_mul_f64 v[26:27], v[26:27], v[28:29]
	v_mul_f64 v[29:30], v[10:11], 0.5
	v_fma_f64 v[2:3], v[2:3], v[26:27], v[2:3]
	v_add_f64 v[26:27], -v[2:3], s[78:79]
	v_cndmask_b32_e64 v3, v3, v27, s[0:1]
	v_cndmask_b32_e64 v2, v2, v26, s[0:1]
	v_add_f64 v[27:28], -v[2:3], s[88:89]
	v_cndmask_b32_e32 v2, v2, v27, vcc
	v_mul_f64 v[26:27], v[10:11], v[29:30]
	v_cndmask_b32_e32 v3, v3, v28, vcc
	v_bfi_b32 v10, s12, v14, v17
	v_cndmask_b32_e64 v2, v2, v31, s[2:3]
	v_cndmask_b32_e64 v3, v3, v12, s[2:3]
	s_and_b64 vcc, s[16:17], s[14:15]
	s_mov_b32 s16, 0xb5e68a13
	s_mov_b32 s17, 0x3eeba404
	v_cndmask_b32_e32 v29, v3, v10, vcc
	v_cndmask_b32_e32 v28, v2, v4, vcc
.LBB173_253:                            ;   in Loop: Header=BB173_162 Depth=1
	s_or_b64 exec, exec, s[4:5]
.LBB173_254:                            ;   in Loop: Header=BB173_162 Depth=1
	s_or_b64 exec, exec, s[6:7]
.LBB173_255:                            ;   in Loop: Header=BB173_162 Depth=1
	s_andn2_saveexec_b64 s[6:7], s[92:93]
	s_cbranch_execz .LBB173_257
; %bb.256:                              ;   in Loop: Header=BB173_162 Depth=1
	v_div_scale_f64 v[2:3], s[2:3], s[84:85], s[84:85], v[14:15]
	s_mov_b32 s31, s19
	s_mov_b32 s88, s78
	v_rcp_f64_e32 v[10:11], v[2:3]
	v_fma_f64 v[26:27], -v[2:3], v[10:11], 1.0
	v_fma_f64 v[10:11], v[10:11], v[26:27], v[10:11]
	v_fma_f64 v[26:27], -v[2:3], v[10:11], 1.0
	v_fma_f64 v[10:11], v[10:11], v[26:27], v[10:11]
	v_div_scale_f64 v[26:27], vcc, v[14:15], s[84:85], v[14:15]
	v_mul_f64 v[28:29], v[26:27], v[10:11]
	v_fma_f64 v[2:3], -v[2:3], v[28:29], v[26:27]
	s_nop 1
	v_div_fmas_f64 v[2:3], v[2:3], v[10:11], v[28:29]
	v_div_scale_f64 v[10:11], s[2:3], s[84:85], s[84:85], v[16:17]
	v_div_fixup_f64 v[2:3], v[2:3], s[84:85], v[14:15]
	v_rcp_f64_e32 v[26:27], v[10:11]
	v_cmp_class_f64_e64 s[2:3], v[2:3], s40
	v_fma_f64 v[28:29], -v[10:11], v[26:27], 1.0
	v_fma_f64 v[26:27], v[26:27], v[28:29], v[26:27]
	v_fma_f64 v[28:29], -v[10:11], v[26:27], 1.0
	v_fma_f64 v[26:27], v[26:27], v[28:29], v[26:27]
	v_div_scale_f64 v[28:29], vcc, v[16:17], s[84:85], v[16:17]
	v_mul_f64 v[30:31], v[28:29], v[26:27]
	v_fma_f64 v[10:11], -v[10:11], v[30:31], v[28:29]
	s_nop 1
	v_div_fmas_f64 v[10:11], v[10:11], v[26:27], v[30:31]
	v_div_fixup_f64 v[10:11], v[10:11], s[84:85], v[16:17]
	v_max_f64 v[26:27], |v[2:3]|, |v[10:11]|
	v_cmp_class_f64_e64 s[4:5], v[10:11], s40
	v_frexp_exp_i32_f64_e32 v4, v[26:27]
	v_sub_u32_e32 v12, 0, v4
	v_ldexp_f64 v[28:29], |v[10:11]|, v12
	v_ldexp_f64 v[26:27], |v[2:3]|, v12
	v_mul_f64 v[28:29], v[28:29], v[28:29]
	v_fma_f64 v[26:27], v[26:27], v[26:27], v[28:29]
	v_rsq_f64_e32 v[28:29], v[26:27]
	v_cmp_eq_f64_e32 vcc, 0, v[26:27]
	v_mul_f64 v[30:31], v[26:27], v[28:29]
	v_mul_f64 v[28:29], v[28:29], 0.5
	v_fma_f64 v[32:33], -v[28:29], v[30:31], 0.5
	v_fma_f64 v[30:31], v[30:31], v[32:33], v[30:31]
	v_fma_f64 v[28:29], v[28:29], v[32:33], v[28:29]
	v_fma_f64 v[32:33], -v[30:31], v[30:31], v[26:27]
	v_fma_f64 v[28:29], v[32:33], v[28:29], v[30:31]
	v_cndmask_b32_e32 v27, v29, v27, vcc
	v_cndmask_b32_e32 v26, v28, v26, vcc
	v_ldexp_f64 v[26:27], v[26:27], v4
	v_cmp_o_f64_e32 vcc, v[2:3], v[10:11]
	v_cndmask_b32_e32 v4, 0, v26, vcc
	v_cndmask_b32_e32 v12, v60, v27, vcc
	s_or_b64 vcc, s[2:3], s[4:5]
	v_cndmask_b32_e32 v3, v12, v59, vcc
	v_cndmask_b32_e64 v2, v4, 0, vcc
	v_frexp_mant_f64_e32 v[10:11], v[2:3]
	v_frexp_exp_i32_f64_e32 v4, v[2:3]
	v_cmp_class_f64_e64 s[4:5], v[14:15], s40
	v_cmp_gt_f64_e32 vcc, s[18:19], v[10:11]
	v_cndmask_b32_e64 v12, 0, 1, vcc
	v_ldexp_f64 v[10:11], v[10:11], v12
	v_subbrev_co_u32_e32 v4, vcc, 0, v4, vcc
	v_cmp_class_f64_e64 vcc, v[2:3], s40
	v_add_f64 v[28:29], v[10:11], 1.0
	v_add_f64 v[26:27], v[10:11], -1.0
	v_add_f64 v[30:31], v[28:29], -1.0
	v_add_f64 v[10:11], v[10:11], -v[30:31]
	v_rcp_f64_e32 v[30:31], v[28:29]
	v_fma_f64 v[32:33], -v[28:29], v[30:31], 1.0
	v_fma_f64 v[30:31], v[32:33], v[30:31], v[30:31]
	v_fma_f64 v[32:33], -v[28:29], v[30:31], 1.0
	v_fma_f64 v[30:31], v[32:33], v[30:31], v[30:31]
	v_mul_f64 v[32:33], v[26:27], v[30:31]
	v_mul_f64 v[42:43], v[28:29], v[32:33]
	v_fma_f64 v[28:29], v[32:33], v[28:29], -v[42:43]
	v_fma_f64 v[10:11], v[32:33], v[10:11], v[28:29]
	v_add_f64 v[28:29], v[42:43], v[10:11]
	v_add_f64 v[44:45], v[26:27], -v[28:29]
	v_add_f64 v[42:43], v[28:29], -v[42:43]
	;; [unrolled: 1-line block ×5, first 2 shown]
	v_add_f64 v[10:11], v[10:11], v[26:27]
	v_add_f64 v[10:11], v[44:45], v[10:11]
	v_mul_f64 v[10:11], v[30:31], v[10:11]
	v_add_f64 v[26:27], v[32:33], v[10:11]
	v_add_f64 v[28:29], v[26:27], -v[32:33]
	v_ldexp_f64 v[32:33], v[26:27], 1
	v_add_f64 v[10:11], v[10:11], -v[28:29]
	v_mul_f64 v[28:29], v[26:27], v[26:27]
	v_ldexp_f64 v[10:11], v[10:11], 1
	v_fma_f64 v[30:31], v[28:29], s[20:21], v[36:37]
	v_mul_f64 v[26:27], v[26:27], v[28:29]
	v_fma_f64 v[30:31], v[28:29], v[30:31], s[22:23]
	v_fma_f64 v[30:31], v[28:29], v[30:31], s[24:25]
	;; [unrolled: 1-line block ×5, first 2 shown]
	v_mul_f64 v[26:27], v[26:27], v[30:31]
	v_add_f64 v[28:29], v[32:33], v[26:27]
	v_add_f64 v[30:31], v[28:29], -v[32:33]
	v_add_f64 v[26:27], v[26:27], -v[30:31]
	v_add_f64 v[10:11], v[10:11], v[26:27]
	v_add_f64 v[26:27], v[28:29], v[10:11]
	v_add_f64 v[28:29], v[26:27], -v[28:29]
	v_add_f64 v[10:11], v[10:11], -v[28:29]
	v_cvt_f64_i32_e32 v[28:29], v4
	v_mul_f64 v[30:31], v[28:29], s[34:35]
	v_fma_f64 v[32:33], v[28:29], s[34:35], -v[30:31]
	v_fma_f64 v[28:29], v[28:29], s[36:37], v[32:33]
	v_add_f64 v[32:33], v[30:31], v[28:29]
	v_add_f64 v[30:31], v[32:33], -v[30:31]
	v_add_f64 v[28:29], v[28:29], -v[30:31]
	v_add_f64 v[30:31], v[32:33], v[26:27]
	v_add_f64 v[42:43], v[30:31], -v[32:33]
	v_add_f64 v[44:45], v[30:31], -v[42:43]
	;; [unrolled: 1-line block ×4, first 2 shown]
	v_add_f64 v[26:27], v[26:27], v[32:33]
	v_add_f64 v[32:33], v[28:29], v[10:11]
	v_add_f64 v[42:43], v[32:33], -v[28:29]
	v_add_f64 v[26:27], v[32:33], v[26:27]
	v_add_f64 v[44:45], v[32:33], -v[42:43]
	v_add_f64 v[10:11], v[10:11], -v[42:43]
	;; [unrolled: 1-line block ×3, first 2 shown]
	v_add_f64 v[10:11], v[10:11], v[28:29]
	v_add_f64 v[28:29], v[30:31], v[26:27]
	v_add_f64 v[30:31], v[28:29], -v[30:31]
	v_add_f64 v[26:27], v[26:27], -v[30:31]
	v_add_f64 v[10:11], v[10:11], v[26:27]
	v_add_f64 v[10:11], v[28:29], v[10:11]
	v_cndmask_b32_e32 v11, v11, v3, vcc
	v_cndmask_b32_e32 v10, v10, v2, vcc
	v_add_f64 v[10:11], v[10:11], 1.0
	v_cmp_ngt_f64_e32 vcc, 0, v[2:3]
	v_cndmask_b32_e32 v4, v60, v11, vcc
	v_cmp_nge_f64_e32 vcc, 0, v[2:3]
	v_cndmask_b32_e32 v26, 0, v10, vcc
	v_cmp_neq_f64_e32 vcc, 0, v[2:3]
	v_max_f64 v[2:3], |v[16:17]|, |v[16:17]|
	v_max_f64 v[10:11], |v[14:15]|, |v[14:15]|
	v_cndmask_b32_e32 v27, v61, v4, vcc
	v_max_f64 v[28:29], v[10:11], v[2:3]
	v_min_f64 v[2:3], v[10:11], v[2:3]
	v_div_scale_f64 v[10:11], s[2:3], v[28:29], v[28:29], v[2:3]
	v_cmp_class_f64_e64 s[2:3], v[16:17], s40
	v_rcp_f64_e32 v[30:31], v[10:11]
	v_fma_f64 v[32:33], -v[10:11], v[30:31], 1.0
	v_fma_f64 v[30:31], v[30:31], v[32:33], v[30:31]
	v_fma_f64 v[32:33], -v[10:11], v[30:31], 1.0
	v_fma_f64 v[30:31], v[30:31], v[32:33], v[30:31]
	v_div_scale_f64 v[32:33], vcc, v[2:3], v[28:29], v[2:3]
	v_mul_f64 v[42:43], v[32:33], v[30:31]
	v_fma_f64 v[10:11], -v[10:11], v[42:43], v[32:33]
	s_nop 1
	v_div_fmas_f64 v[10:11], v[10:11], v[30:31], v[42:43]
	s_and_b64 vcc, s[4:5], s[2:3]
	v_cmp_gt_i32_e64 s[2:3], 0, v15
	v_cmp_eq_f64_e64 s[4:5], 0, v[16:17]
	v_cndmask_b32_e64 v4, v62, v63, s[2:3]
	v_div_fixup_f64 v[2:3], v[10:11], v[28:29], v[2:3]
	v_mul_f64 v[10:11], v[2:3], v[2:3]
	v_fma_f64 v[28:29], v[10:11], s[16:17], v[38:39]
	v_fma_f64 v[28:29], v[10:11], v[28:29], s[42:43]
	;; [unrolled: 1-line block ×19, first 2 shown]
	v_mul_f64 v[10:11], v[10:11], v[28:29]
	v_fma_f64 v[2:3], v[2:3], v[10:11], v[2:3]
	v_cndmask_b32_e64 v10, v64, v65, s[2:3]
	v_bfi_b32 v12, s12, v10, v17
	v_ashrrev_i32_e32 v10, 31, v15
	v_and_b32_e32 v14, 0x400921fb, v10
	v_and_b32_e32 v15, 0x54442d18, v10
	v_add_f64 v[10:11], -v[2:3], s[78:79]
	v_cndmask_b32_e64 v3, v3, v11, s[0:1]
	v_cndmask_b32_e64 v2, v2, v10, s[0:1]
	v_add_f64 v[10:11], -v[2:3], s[88:89]
	v_cndmask_b32_e64 v3, v3, v11, s[2:3]
	v_cndmask_b32_e64 v2, v2, v10, s[2:3]
	v_cndmask_b32_e64 v2, v2, v15, s[4:5]
	v_cndmask_b32_e64 v3, v3, v14, s[4:5]
	v_cndmask_b32_e32 v29, v3, v12, vcc
	v_cndmask_b32_e32 v28, v2, v4, vcc
.LBB173_257:                            ;   in Loop: Header=BB173_162 Depth=1
	s_or_b64 exec, exec, s[6:7]
.LBB173_258:                            ;   in Loop: Header=BB173_162 Depth=1
	s_andn2_saveexec_b64 s[0:1], s[90:91]
	s_cbranch_execz .LBB173_264
; %bb.259:                              ;   in Loop: Header=BB173_162 Depth=1
	v_cmp_nlt_f64_e64 s[2:3], |v[14:15]|, s[86:87]
	v_cmp_nlt_f64_e64 s[4:5], |v[16:17]|, s[86:87]
                                        ; implicit-def: $vgpr2_vgpr3
	s_or_b64 s[2:3], s[2:3], s[4:5]
	s_and_saveexec_b64 s[4:5], s[2:3]
	s_xor_b64 s[2:3], exec, s[4:5]
	s_cbranch_execz .LBB173_261
; %bb.260:                              ;   in Loop: Header=BB173_162 Depth=1
	v_mul_f64 v[2:3], v[16:17], v[16:17]
	v_fma_f64 v[2:3], v[14:15], v[14:15], v[2:3]
.LBB173_261:                            ;   in Loop: Header=BB173_162 Depth=1
	s_andn2_saveexec_b64 s[2:3], s[2:3]
	s_cbranch_execz .LBB173_263
; %bb.262:                              ;   in Loop: Header=BB173_162 Depth=1
	v_mul_f64 v[2:3], v[16:17], 4.0
	v_mul_f64 v[10:11], v[14:15], 4.0
	v_mul_f64 v[2:3], v[2:3], v[2:3]
	v_fma_f64 v[2:3], v[10:11], v[10:11], v[2:3]
	v_ldexp_f64 v[2:3], v[2:3], -4
.LBB173_263:                            ;   in Loop: Header=BB173_162 Depth=1
	s_or_b64 exec, exec, s[2:3]
	v_frexp_mant_f64_e32 v[10:11], v[2:3]
	s_mov_b32 s31, s19
	v_cmp_gt_f64_e32 vcc, s[18:19], v[10:11]
	v_cndmask_b32_e64 v4, 0, 1, vcc
	v_ldexp_f64 v[10:11], v[10:11], v4
	v_frexp_exp_i32_f64_e32 v4, v[2:3]
	v_add_f64 v[14:15], v[10:11], 1.0
	v_add_f64 v[30:31], v[10:11], -1.0
	v_subbrev_co_u32_e32 v4, vcc, 0, v4, vcc
	v_cmp_class_f64_e64 vcc, v[2:3], s40
	v_rcp_f64_e32 v[26:27], v[14:15]
	v_add_f64 v[32:33], v[14:15], -1.0
	v_add_f64 v[10:11], v[10:11], -v[32:33]
	v_fma_f64 v[28:29], -v[14:15], v[26:27], 1.0
	v_fma_f64 v[26:27], v[28:29], v[26:27], v[26:27]
	v_fma_f64 v[28:29], -v[14:15], v[26:27], 1.0
	v_fma_f64 v[26:27], v[28:29], v[26:27], v[26:27]
	v_mul_f64 v[28:29], v[30:31], v[26:27]
	v_mul_f64 v[42:43], v[14:15], v[28:29]
	v_fma_f64 v[14:15], v[28:29], v[14:15], -v[42:43]
	v_fma_f64 v[10:11], v[28:29], v[10:11], v[14:15]
	v_add_f64 v[14:15], v[42:43], v[10:11]
	v_add_f64 v[32:33], v[30:31], -v[14:15]
	v_add_f64 v[42:43], v[14:15], -v[42:43]
	;; [unrolled: 1-line block ×5, first 2 shown]
	v_add_f64 v[10:11], v[10:11], v[14:15]
	v_add_f64 v[10:11], v[32:33], v[10:11]
	v_mul_f64 v[10:11], v[26:27], v[10:11]
	v_add_f64 v[14:15], v[28:29], v[10:11]
	v_mul_f64 v[26:27], v[14:15], v[14:15]
	v_fma_f64 v[30:31], v[26:27], s[20:21], v[36:37]
	v_mul_f64 v[32:33], v[14:15], v[26:27]
	v_fma_f64 v[30:31], v[26:27], v[30:31], s[22:23]
	v_fma_f64 v[30:31], v[26:27], v[30:31], s[24:25]
	;; [unrolled: 1-line block ×5, first 2 shown]
	v_ldexp_f64 v[30:31], v[14:15], 1
	v_add_f64 v[14:15], v[14:15], -v[28:29]
	v_mul_f64 v[26:27], v[32:33], v[26:27]
	v_cvt_f64_i32_e32 v[32:33], v4
	v_add_f64 v[10:11], v[10:11], -v[14:15]
	v_mul_f64 v[42:43], v[32:33], s[34:35]
	v_add_f64 v[28:29], v[30:31], v[26:27]
	v_ldexp_f64 v[10:11], v[10:11], 1
	v_add_f64 v[14:15], v[28:29], -v[30:31]
	v_fma_f64 v[30:31], v[32:33], s[34:35], -v[42:43]
	v_add_f64 v[14:15], v[26:27], -v[14:15]
	v_fma_f64 v[26:27], v[32:33], s[36:37], v[30:31]
	v_add_f64 v[10:11], v[10:11], v[14:15]
	v_add_f64 v[14:15], v[42:43], v[26:27]
	;; [unrolled: 1-line block ×3, first 2 shown]
	v_add_f64 v[42:43], v[14:15], -v[42:43]
	v_add_f64 v[32:33], v[14:15], v[30:31]
	v_add_f64 v[28:29], v[30:31], -v[28:29]
	v_add_f64 v[26:27], v[26:27], -v[42:43]
	;; [unrolled: 1-line block ×6, first 2 shown]
	v_add_f64 v[30:31], v[26:27], v[10:11]
	v_add_f64 v[14:15], v[14:15], -v[46:47]
	v_add_f64 v[14:15], v[28:29], v[14:15]
	v_add_f64 v[28:29], v[30:31], -v[26:27]
	;; [unrolled: 2-line block ×3, first 2 shown]
	v_add_f64 v[10:11], v[10:11], -v[28:29]
	v_add_f64 v[42:43], v[32:33], v[14:15]
	v_add_f64 v[26:27], v[26:27], -v[30:31]
	v_add_f64 v[28:29], v[42:43], -v[32:33]
	v_add_f64 v[10:11], v[10:11], v[26:27]
	v_add_f64 v[14:15], v[14:15], -v[28:29]
	v_mov_b32_e32 v28, 0
	v_mov_b32_e32 v29, 0x7ff80000
	v_add_f64 v[10:11], v[10:11], v[14:15]
	v_add_f64 v[10:11], v[42:43], v[10:11]
	v_cndmask_b32_e32 v4, v10, v2, vcc
	v_cndmask_b32_e32 v10, v11, v3, vcc
	v_cmp_ngt_f64_e32 vcc, 0, v[2:3]
	v_cndmask_b32_e32 v10, v60, v10, vcc
	v_cmp_nge_f64_e32 vcc, 0, v[2:3]
	v_cndmask_b32_e32 v26, 0, v4, vcc
	v_cmp_neq_f64_e32 vcc, 0, v[2:3]
	v_cndmask_b32_e32 v27, v61, v10, vcc
.LBB173_264:                            ;   in Loop: Header=BB173_162 Depth=1
	s_or_b64 exec, exec, s[0:1]
	v_cmp_o_f64_e32 vcc, v[6:7], v[8:9]
                                        ; implicit-def: $vgpr30_vgpr31
	s_and_saveexec_b64 s[0:1], vcc
	s_xor_b64 s[90:91], exec, s[0:1]
	s_cbranch_execz .LBB173_292
; %bb.265:                              ;   in Loop: Header=BB173_162 Depth=1
	v_cmp_lt_f64_e64 s[0:1], |v[6:7]|, |v[8:9]|
	v_and_b32_e32 v2, 0x7fffffff, v7
	v_and_b32_e32 v3, 0x7fffffff, v9
	s_mov_b32 s2, 0x85ebc8a0
	s_mov_b32 s3, 0x7fd1ccf3
	v_mov_b32_e32 v4, v8
                                        ; implicit-def: $vgpr30_vgpr31
	v_cndmask_b32_e64 v11, v3, v2, s[0:1]
	v_cndmask_b32_e64 v10, v8, v6, s[0:1]
	v_cmp_nlt_f64_e32 vcc, s[2:3], v[10:11]
	s_and_saveexec_b64 s[2:3], vcc
	s_xor_b64 s[92:93], exec, s[2:3]
	s_cbranch_execz .LBB173_289
; %bb.266:                              ;   in Loop: Header=BB173_162 Depth=1
	v_cndmask_b32_e64 v15, v2, v3, s[0:1]
	v_cndmask_b32_e64 v14, v6, v4, s[0:1]
	v_cmp_neq_f64_e32 vcc, 1.0, v[14:15]
                                        ; implicit-def: $vgpr30_vgpr31
	s_and_saveexec_b64 s[2:3], vcc
	s_xor_b64 s[94:95], exec, s[2:3]
	s_cbranch_execz .LBB173_282
; %bb.267:                              ;   in Loop: Header=BB173_162 Depth=1
	v_max_f64 v[2:3], v[10:11], v[10:11]
	v_max_f64 v[30:31], v[14:15], v[14:15]
	s_mov_b32 s2, 0x4ad4b81f
	s_mov_b32 s3, 0x358dee7a
	v_min_f64 v[32:33], v[30:31], v[2:3]
	v_max_f64 v[2:3], v[30:31], v[2:3]
	v_cmp_ngt_f64_e32 vcc, s[2:3], v[32:33]
	s_mov_b32 s2, 0xc57e649a
	s_mov_b32 s3, 0x4a511b0e
	v_cmp_nlt_f64_e64 s[2:3], s[2:3], v[2:3]
                                        ; implicit-def: $vgpr30_vgpr31
	s_and_b64 s[2:3], s[2:3], vcc
	s_and_saveexec_b64 s[4:5], s[2:3]
	s_xor_b64 s[80:81], exec, s[4:5]
	s_cbranch_execz .LBB173_279
; %bb.268:                              ;   in Loop: Header=BB173_162 Depth=1
	v_cmp_le_f64_e32 vcc, 1.0, v[14:15]
                                        ; implicit-def: $vgpr30_vgpr31
	s_and_saveexec_b64 s[2:3], vcc
	s_xor_b64 s[14:15], exec, s[2:3]
	s_cbranch_execz .LBB173_270
; %bb.269:                              ;   in Loop: Header=BB173_162 Depth=1
	v_add_f64 v[2:3], v[14:15], -1.0
	v_add_f64 v[14:15], v[14:15], 1.0
	s_mov_b32 s31, s19
	s_mov_b32 s88, s78
	v_cmp_class_f64_e64 s[38:39], v[6:7], s40
	v_mul_f64 v[2:3], v[2:3], v[14:15]
	v_fma_f64 v[2:3], v[10:11], v[10:11], v[2:3]
	v_add_f64 v[10:11], v[2:3], 1.0
	v_cmp_nge_f64_e64 s[4:5], -1.0, v[2:3]
	v_cmp_neq_f64_e64 s[6:7], s[82:83], v[2:3]
	v_frexp_mant_f64_e32 v[30:31], v[10:11]
	v_frexp_exp_i32_f64_e32 v4, v[10:11]
	v_add_f64 v[14:15], v[10:11], -1.0
	v_cmp_gt_f64_e32 vcc, s[18:19], v[30:31]
	v_add_f64 v[32:33], v[14:15], -v[10:11]
	v_add_f64 v[14:15], v[2:3], -v[14:15]
	v_subbrev_co_u32_e32 v4, vcc, 0, v4, vcc
	v_sub_u32_e32 v12, 0, v4
	v_ldexp_f64 v[10:11], v[10:11], v12
	v_add_f64 v[30:31], v[32:33], 1.0
	v_add_f64 v[32:33], v[10:11], 1.0
	v_add_f64 v[14:15], v[14:15], v[30:31]
	v_add_f64 v[46:47], v[10:11], -1.0
	v_add_f64 v[30:31], v[32:33], -1.0
	v_ldexp_f64 v[14:15], v[14:15], v12
	v_add_f64 v[48:49], v[46:47], 1.0
	v_add_f64 v[30:31], v[10:11], -v[30:31]
	v_add_f64 v[10:11], v[10:11], -v[48:49]
	v_add_f64 v[42:43], v[14:15], v[30:31]
	v_add_f64 v[48:49], v[14:15], v[10:11]
	;; [unrolled: 1-line block ×3, first 2 shown]
	v_rcp_f64_e32 v[44:45], v[30:31]
	v_add_f64 v[32:33], v[30:31], -v[32:33]
	v_add_f64 v[42:43], v[42:43], -v[32:33]
	v_fma_f64 v[50:51], -v[30:31], v[44:45], 1.0
	v_fma_f64 v[44:45], v[50:51], v[44:45], v[44:45]
	v_add_f64 v[50:51], v[46:47], v[48:49]
	v_fma_f64 v[10:11], -v[30:31], v[44:45], 1.0
	v_add_f64 v[46:47], v[50:51], -v[46:47]
	v_fma_f64 v[10:11], v[10:11], v[44:45], v[44:45]
	v_add_f64 v[46:47], v[48:49], -v[46:47]
	v_mul_f64 v[14:15], v[50:51], v[10:11]
	v_mul_f64 v[44:45], v[30:31], v[14:15]
	v_fma_f64 v[32:33], v[14:15], v[30:31], -v[44:45]
	v_fma_f64 v[52:53], v[14:15], v[42:43], v[32:33]
	v_add_f64 v[54:55], v[44:45], v[52:53]
	v_add_f64 v[32:33], v[50:51], -v[54:55]
	v_add_f64 v[44:45], v[54:55], -v[44:45]
	;; [unrolled: 1-line block ×5, first 2 shown]
	v_add_f64 v[46:47], v[46:47], v[48:49]
	v_max_f64 v[48:49], |v[6:7]|, |v[6:7]|
	v_ashrrev_i32_e32 v6, 31, v7
	v_and_b32_e32 v16, 0x54442d18, v6
	v_add_f64 v[44:45], v[44:45], v[46:47]
	v_max_f64 v[46:47], |v[8:9]|, |v[8:9]|
	v_add_f64 v[50:51], v[32:33], v[44:45]
	v_max_f64 v[52:53], v[48:49], v[46:47]
	v_min_f64 v[46:47], v[48:49], v[46:47]
	v_mul_f64 v[48:49], v[10:11], v[50:51]
	v_add_f64 v[32:33], v[32:33], -v[50:51]
	v_div_scale_f64 v[54:55], s[2:3], v[52:53], v[52:53], v[46:47]
	v_cmp_eq_f64_e64 s[2:3], 0, v[8:9]
	v_mul_f64 v[56:57], v[30:31], v[48:49]
	v_add_f64 v[32:33], v[44:45], v[32:33]
	v_fma_f64 v[30:31], v[48:49], v[30:31], -v[56:57]
	v_rcp_f64_e32 v[66:67], v[54:55]
	v_fma_f64 v[30:31], v[48:49], v[42:43], v[30:31]
	v_add_f64 v[42:43], v[56:57], v[30:31]
	v_fma_f64 v[68:69], -v[54:55], v[66:67], 1.0
	v_add_f64 v[70:71], v[50:51], -v[42:43]
	v_add_f64 v[44:45], v[42:43], -v[56:57]
	v_fma_f64 v[66:67], v[66:67], v[68:69], v[66:67]
	v_div_scale_f64 v[68:69], vcc, v[46:47], v[52:53], v[46:47]
	v_add_f64 v[50:51], v[50:51], -v[70:71]
	v_add_f64 v[30:31], v[44:45], -v[30:31]
	v_fma_f64 v[72:73], -v[54:55], v[66:67], 1.0
	v_add_f64 v[44:45], v[14:15], v[48:49]
	v_add_f64 v[42:43], v[50:51], -v[42:43]
	v_fma_f64 v[50:51], v[66:67], v[72:73], v[66:67]
	v_add_f64 v[14:15], v[44:45], -v[14:15]
	v_add_f64 v[32:33], v[32:33], v[42:43]
	v_mul_f64 v[42:43], v[68:69], v[50:51]
	v_add_f64 v[14:15], v[48:49], -v[14:15]
	v_add_f64 v[30:31], v[30:31], v[32:33]
	v_fma_f64 v[32:33], -v[54:55], v[42:43], v[68:69]
	v_add_f64 v[30:31], v[70:71], v[30:31]
	v_div_fmas_f64 v[32:33], v[32:33], v[50:51], v[42:43]
	v_cmp_gt_i32_e32 vcc, 0, v7
	v_cndmask_b32_e32 v12, v64, v65, vcc
	v_mul_f64 v[10:11], v[10:11], v[30:31]
	v_add_f64 v[10:11], v[14:15], v[10:11]
	v_div_fixup_f64 v[14:15], v[32:33], v[52:53], v[46:47]
	v_add_f64 v[30:31], v[44:45], v[10:11]
	v_mul_f64 v[32:33], v[14:15], v[14:15]
	v_mul_f64 v[42:43], v[30:31], v[30:31]
	v_fma_f64 v[46:47], v[32:33], s[16:17], v[38:39]
	v_cmp_class_f64_e64 s[16:17], v[8:9], s40
	v_fma_f64 v[48:49], v[42:43], s[20:21], v[36:37]
	v_mul_f64 v[50:51], v[30:31], v[42:43]
	v_fma_f64 v[46:47], v[32:33], v[46:47], s[42:43]
	v_fma_f64 v[48:49], v[42:43], v[48:49], s[22:23]
	;; [unrolled: 1-line block ×10, first 2 shown]
	v_ldexp_f64 v[48:49], v[30:31], 1
	v_fma_f64 v[46:47], v[32:33], v[46:47], s[52:53]
	v_add_f64 v[30:31], v[30:31], -v[44:45]
	v_mul_f64 v[42:43], v[50:51], v[42:43]
	v_cvt_f64_i32_e32 v[50:51], v4
	v_fma_f64 v[46:47], v[32:33], v[46:47], s[54:55]
	v_add_f64 v[10:11], v[10:11], -v[30:31]
	v_cndmask_b32_e32 v4, v62, v63, vcc
	v_mul_f64 v[52:53], v[50:51], s[34:35]
	v_add_f64 v[44:45], v[48:49], v[42:43]
	v_fma_f64 v[46:47], v[32:33], v[46:47], s[56:57]
	v_ldexp_f64 v[10:11], v[10:11], 1
	v_add_f64 v[30:31], v[44:45], -v[48:49]
	v_fma_f64 v[48:49], v[50:51], s[34:35], -v[52:53]
	v_fma_f64 v[46:47], v[32:33], v[46:47], s[58:59]
	v_add_f64 v[30:31], v[42:43], -v[30:31]
	v_fma_f64 v[42:43], v[32:33], v[46:47], s[60:61]
	v_fma_f64 v[46:47], v[50:51], s[36:37], v[48:49]
	v_add_f64 v[10:11], v[10:11], v[30:31]
	v_fma_f64 v[30:31], v[32:33], v[42:43], s[62:63]
	v_add_f64 v[42:43], v[52:53], v[46:47]
	v_add_f64 v[48:49], v[44:45], v[10:11]
	v_fma_f64 v[30:31], v[32:33], v[30:31], s[64:65]
	v_add_f64 v[52:53], v[42:43], -v[52:53]
	v_add_f64 v[50:51], v[42:43], v[48:49]
	v_add_f64 v[44:45], v[48:49], -v[44:45]
	v_fma_f64 v[30:31], v[32:33], v[30:31], s[66:67]
	v_add_f64 v[46:47], v[46:47], -v[52:53]
	v_add_f64 v[54:55], v[50:51], -v[42:43]
	;; [unrolled: 1-line block ×3, first 2 shown]
	v_fma_f64 v[30:31], v[32:33], v[30:31], s[68:69]
	v_add_f64 v[56:57], v[50:51], -v[54:55]
	v_add_f64 v[44:45], v[48:49], -v[54:55]
	v_fma_f64 v[30:31], v[32:33], v[30:31], s[70:71]
	v_add_f64 v[48:49], v[46:47], v[10:11]
	v_add_f64 v[42:43], v[42:43], -v[56:57]
	v_fma_f64 v[30:31], v[32:33], v[30:31], s[72:73]
	v_add_f64 v[42:43], v[44:45], v[42:43]
	;; [unrolled: 3-line block ×3, first 2 shown]
	v_add_f64 v[48:49], v[48:49], -v[44:45]
	v_fma_f64 v[30:31], v[32:33], v[30:31], s[76:77]
	v_add_f64 v[10:11], v[10:11], -v[44:45]
	v_add_f64 v[52:53], v[50:51], v[42:43]
	v_mul_f64 v[30:31], v[32:33], v[30:31]
	v_add_f64 v[32:33], v[46:47], -v[48:49]
	v_add_f64 v[44:45], v[52:53], -v[50:51]
	v_fma_f64 v[14:15], v[14:15], v[30:31], v[14:15]
	v_add_f64 v[10:11], v[10:11], v[32:33]
	v_add_f64 v[30:31], v[42:43], -v[44:45]
	v_add_f64 v[32:33], -v[14:15], s[78:79]
	v_add_f64 v[10:11], v[10:11], v[30:31]
	v_cndmask_b32_e64 v15, v15, v33, s[0:1]
	v_cndmask_b32_e64 v14, v14, v32, s[0:1]
	v_add_f64 v[30:31], -v[14:15], s[88:89]
	v_add_f64 v[10:11], v[52:53], v[10:11]
	v_cndmask_b32_e32 v14, v14, v30, vcc
	v_and_b32_e32 v30, 0x400921fb, v6
	v_mul_f64 v[6:7], v[10:11], 0.5
	v_cndmask_b32_e32 v11, v15, v31, vcc
	v_bfi_b32 v10, s12, v12, v9
	v_cndmask_b32_e64 v12, v14, v16, s[2:3]
	v_cndmask_b32_e64 v11, v11, v30, s[2:3]
	s_and_b64 s[2:3], s[4:5], s[6:7]
	s_and_b64 vcc, s[38:39], s[16:17]
	s_mov_b32 s16, 0xb5e68a13
	v_cndmask_b32_e64 v30, 0, v6, s[2:3]
	v_cmp_ngt_f64_e64 s[2:3], -1.0, v[2:3]
	v_cndmask_b32_e64 v7, v59, v7, s[6:7]
	s_mov_b32 s17, 0x3eeba404
	v_cndmask_b32_e32 v33, v11, v10, vcc
	v_cndmask_b32_e32 v32, v12, v4, vcc
                                        ; implicit-def: $vgpr10_vgpr11
                                        ; implicit-def: $vgpr14_vgpr15
	v_cndmask_b32_e64 v6, v60, v7, s[2:3]
	v_cmp_neq_f64_e64 s[2:3], -1.0, v[2:3]
	v_cndmask_b32_e64 v31, v61, v6, s[2:3]
.LBB173_270:                            ;   in Loop: Header=BB173_162 Depth=1
	s_andn2_saveexec_b64 s[38:39], s[14:15]
	s_cbranch_execz .LBB173_278
; %bb.271:                              ;   in Loop: Header=BB173_162 Depth=1
	v_mul_f64 v[2:3], v[10:11], v[10:11]
	s_mov_b32 s2, 0x66666666
	s_mov_b32 s3, 0x3fe66666
                                        ; implicit-def: $vgpr30_vgpr31
	v_fma_f64 v[2:3], v[14:15], v[14:15], v[2:3]
	v_cmp_ge_f64_e32 vcc, s[2:3], v[2:3]
	s_and_saveexec_b64 s[2:3], vcc
	s_xor_b64 s[6:7], exec, s[2:3]
	s_cbranch_execz .LBB173_273
; %bb.272:                              ;   in Loop: Header=BB173_162 Depth=1
	v_frexp_mant_f64_e32 v[10:11], v[2:3]
	v_max_f64 v[42:43], |v[8:9]|, |v[8:9]|
	v_max_f64 v[44:45], |v[6:7]|, |v[6:7]|
	s_mov_b32 s31, s19
	s_mov_b32 s88, s78
	v_cmp_class_f64_e64 s[14:15], v[8:9], s40
	v_cmp_gt_f64_e64 s[2:3], s[18:19], v[10:11]
	v_cndmask_b32_e64 v4, 0, 1, s[2:3]
	v_ldexp_f64 v[10:11], v[10:11], v4
	v_frexp_exp_i32_f64_e32 v4, v[2:3]
	v_add_f64 v[14:15], v[10:11], 1.0
	v_add_f64 v[48:49], v[10:11], -1.0
	v_rcp_f64_e32 v[30:31], v[14:15]
	v_add_f64 v[52:53], v[14:15], -1.0
	v_add_f64 v[10:11], v[10:11], -v[52:53]
	v_fma_f64 v[32:33], -v[14:15], v[30:31], 1.0
	v_fma_f64 v[30:31], v[32:33], v[30:31], v[30:31]
	v_max_f64 v[32:33], v[44:45], v[42:43]
	v_min_f64 v[42:43], v[44:45], v[42:43]
	v_fma_f64 v[44:45], -v[14:15], v[30:31], 1.0
	v_div_scale_f64 v[46:47], s[4:5], v[32:33], v[32:33], v[42:43]
	v_cmp_neq_f64_e64 s[4:5], 0, v[2:3]
	v_fma_f64 v[30:31], v[44:45], v[30:31], v[30:31]
	v_mul_f64 v[44:45], v[48:49], v[30:31]
	v_rcp_f64_e32 v[50:51], v[46:47]
	v_mul_f64 v[54:55], v[14:15], v[44:45]
	v_fma_f64 v[14:15], v[44:45], v[14:15], -v[54:55]
	v_fma_f64 v[52:53], -v[46:47], v[50:51], 1.0
	v_fma_f64 v[10:11], v[44:45], v[10:11], v[14:15]
	v_fma_f64 v[14:15], v[50:51], v[52:53], v[50:51]
	v_div_scale_f64 v[52:53], vcc, v[42:43], v[32:33], v[42:43]
	v_add_f64 v[50:51], v[54:55], v[10:11]
	v_fma_f64 v[56:57], -v[46:47], v[14:15], 1.0
	v_add_f64 v[66:67], v[48:49], -v[50:51]
	v_add_f64 v[54:55], v[50:51], -v[54:55]
	v_fma_f64 v[14:15], v[14:15], v[56:57], v[14:15]
	v_add_f64 v[48:49], v[48:49], -v[66:67]
	v_add_f64 v[10:11], v[54:55], -v[10:11]
	v_mul_f64 v[56:57], v[52:53], v[14:15]
	v_add_f64 v[48:49], v[48:49], -v[50:51]
	v_fma_f64 v[46:47], -v[46:47], v[56:57], v[52:53]
	v_add_f64 v[10:11], v[10:11], v[48:49]
	v_div_fmas_f64 v[14:15], v[46:47], v[14:15], v[56:57]
	v_subbrev_co_u32_e64 v4, vcc, 0, v4, s[2:3]
	v_cmp_gt_i32_e32 vcc, 0, v7
	v_cmp_eq_f64_e64 s[2:3], 0, v[8:9]
	v_cndmask_b32_e32 v16, v64, v65, vcc
	v_add_f64 v[10:11], v[66:67], v[10:11]
	v_bfi_b32 v2, s12, v16, v9
	v_mul_f64 v[10:11], v[30:31], v[10:11]
	v_div_fixup_f64 v[14:15], v[14:15], v[32:33], v[42:43]
	v_add_f64 v[30:31], v[44:45], v[10:11]
	v_mul_f64 v[32:33], v[14:15], v[14:15]
	v_mul_f64 v[42:43], v[30:31], v[30:31]
	v_fma_f64 v[46:47], v[32:33], s[16:17], v[38:39]
	v_cmp_class_f64_e64 s[16:17], v[6:7], s40
	v_ashrrev_i32_e32 v6, 31, v7
	v_and_b32_e32 v12, 0x54442d18, v6
	v_fma_f64 v[48:49], v[42:43], s[20:21], v[36:37]
	v_mul_f64 v[50:51], v[30:31], v[42:43]
	v_fma_f64 v[46:47], v[32:33], v[46:47], s[42:43]
	v_fma_f64 v[48:49], v[42:43], v[48:49], s[22:23]
	;; [unrolled: 1-line block ×10, first 2 shown]
	v_ldexp_f64 v[48:49], v[30:31], 1
	v_fma_f64 v[46:47], v[32:33], v[46:47], s[52:53]
	v_add_f64 v[30:31], v[30:31], -v[44:45]
	v_mul_f64 v[42:43], v[50:51], v[42:43]
	v_cvt_f64_i32_e32 v[50:51], v4
	v_fma_f64 v[46:47], v[32:33], v[46:47], s[54:55]
	v_add_f64 v[10:11], v[10:11], -v[30:31]
	v_cndmask_b32_e32 v4, v62, v63, vcc
	v_mul_f64 v[52:53], v[50:51], s[34:35]
	v_add_f64 v[44:45], v[48:49], v[42:43]
	v_fma_f64 v[46:47], v[32:33], v[46:47], s[56:57]
	v_ldexp_f64 v[10:11], v[10:11], 1
	v_add_f64 v[30:31], v[44:45], -v[48:49]
	v_fma_f64 v[48:49], v[50:51], s[34:35], -v[52:53]
	v_fma_f64 v[46:47], v[32:33], v[46:47], s[58:59]
	v_add_f64 v[30:31], v[42:43], -v[30:31]
	v_fma_f64 v[42:43], v[32:33], v[46:47], s[60:61]
	v_fma_f64 v[46:47], v[50:51], s[36:37], v[48:49]
	v_add_f64 v[10:11], v[10:11], v[30:31]
	v_fma_f64 v[30:31], v[32:33], v[42:43], s[62:63]
	v_add_f64 v[42:43], v[52:53], v[46:47]
	v_add_f64 v[48:49], v[44:45], v[10:11]
	v_fma_f64 v[30:31], v[32:33], v[30:31], s[64:65]
	v_add_f64 v[52:53], v[42:43], -v[52:53]
	v_add_f64 v[50:51], v[42:43], v[48:49]
	v_add_f64 v[44:45], v[48:49], -v[44:45]
	v_fma_f64 v[30:31], v[32:33], v[30:31], s[66:67]
	v_add_f64 v[46:47], v[46:47], -v[52:53]
	v_add_f64 v[54:55], v[50:51], -v[42:43]
	v_add_f64 v[10:11], v[10:11], -v[44:45]
	v_fma_f64 v[30:31], v[32:33], v[30:31], s[68:69]
	v_add_f64 v[56:57], v[50:51], -v[54:55]
	v_add_f64 v[44:45], v[48:49], -v[54:55]
	v_fma_f64 v[30:31], v[32:33], v[30:31], s[70:71]
	v_add_f64 v[48:49], v[46:47], v[10:11]
	v_add_f64 v[42:43], v[42:43], -v[56:57]
	v_fma_f64 v[30:31], v[32:33], v[30:31], s[72:73]
	v_add_f64 v[42:43], v[44:45], v[42:43]
	;; [unrolled: 3-line block ×3, first 2 shown]
	v_add_f64 v[48:49], v[48:49], -v[44:45]
	v_fma_f64 v[30:31], v[32:33], v[30:31], s[76:77]
	v_add_f64 v[10:11], v[10:11], -v[44:45]
	v_add_f64 v[52:53], v[50:51], v[42:43]
	v_mul_f64 v[30:31], v[32:33], v[30:31]
	v_add_f64 v[32:33], v[46:47], -v[48:49]
	v_add_f64 v[44:45], v[52:53], -v[50:51]
	v_fma_f64 v[14:15], v[14:15], v[30:31], v[14:15]
	v_add_f64 v[10:11], v[10:11], v[32:33]
	v_add_f64 v[30:31], v[42:43], -v[44:45]
	v_add_f64 v[32:33], -v[14:15], s[78:79]
	v_add_f64 v[10:11], v[10:11], v[30:31]
	v_cndmask_b32_e64 v15, v15, v33, s[0:1]
	v_cndmask_b32_e64 v14, v14, v32, s[0:1]
	v_add_f64 v[30:31], -v[14:15], s[88:89]
	v_add_f64 v[10:11], v[52:53], v[10:11]
	v_cndmask_b32_e32 v14, v14, v30, vcc
	v_and_b32_e32 v30, 0x400921fb, v6
	v_cndmask_b32_e32 v3, v15, v31, vcc
	v_cndmask_b32_e64 v3, v3, v30, s[2:3]
	v_mul_f64 v[6:7], v[10:11], 0.5
	v_cndmask_b32_e64 v10, v14, v12, s[2:3]
	s_and_b64 vcc, s[16:17], s[14:15]
	s_mov_b32 s16, 0xb5e68a13
	s_mov_b32 s17, 0x3eeba404
	v_cndmask_b32_e32 v33, v3, v2, vcc
	v_cndmask_b32_e32 v32, v10, v4, vcc
                                        ; implicit-def: $vgpr14_vgpr15
                                        ; implicit-def: $vgpr10_vgpr11
	v_cndmask_b32_e64 v31, v61, v7, s[4:5]
	v_cndmask_b32_e64 v30, 0, v6, s[4:5]
.LBB173_273:                            ;   in Loop: Header=BB173_162 Depth=1
	s_andn2_saveexec_b64 s[14:15], s[6:7]
	s_cbranch_execz .LBB173_277
; %bb.274:                              ;   in Loop: Header=BB173_162 Depth=1
	v_and_b32_e32 v35, 0x7ffffff8, v15
	v_add_f64 v[2:3], v[14:15], -v[34:35]
	v_and_b32_e32 v15, 0x7ffffff8, v11
	v_mov_b32_e32 v14, v34
	v_add_f64 v[10:11], v[10:11], -v[14:15]
	v_mov_b32_e32 v32, v34
	v_mov_b32_e32 v48, v34
	v_add_f64 v[44:45], v[34:35], v[34:35]
	v_add_f64 v[46:47], v[14:15], v[14:15]
	v_and_b32_e32 v33, -8, v3
	v_add_f64 v[54:55], v[2:3], -v[32:33]
	v_add_f64 v[66:67], v[32:33], v[32:33]
	v_and_b32_e32 v49, -8, v11
	v_add_f64 v[56:57], v[10:11], -v[48:49]
	v_add_f64 v[68:69], v[48:49], v[48:49]
	v_mul_f64 v[2:3], v[34:35], v[34:35]
	v_mul_f64 v[10:11], v[14:15], v[14:15]
	;; [unrolled: 1-line block ×12, first 2 shown]
	s_mov_b64 s[16:17], 0
.LBB173_275:                            ;   Parent Loop BB173_162 Depth=1
                                        ; =>  This Inner Loop Header: Depth=2
	v_cmp_nlt_f64_e32 vcc, v[2:3], v[10:11]
	v_cndmask_b32_e32 v57, v3, v11, vcc
	v_cndmask_b32_e32 v56, v2, v10, vcc
	v_cmp_nlt_f64_e64 s[2:3], v[56:57], v[30:31]
	v_cndmask_b32_e32 v3, v11, v3, vcc
	v_cndmask_b32_e32 v2, v10, v2, vcc
	v_cndmask_b32_e64 v67, v57, v31, s[2:3]
	v_cndmask_b32_e64 v66, v56, v30, s[2:3]
	v_cmp_nlt_f64_e64 s[4:5], v[66:67], v[14:15]
	v_cndmask_b32_e64 v11, v31, v57, s[2:3]
	v_cndmask_b32_e64 v10, v30, v56, s[2:3]
	s_and_b64 s[82:83], vcc, s[2:3]
	v_cndmask_b32_e64 v69, v67, v15, s[4:5]
	v_cndmask_b32_e64 v68, v66, v14, s[4:5]
	v_cmp_nlt_f64_e64 s[6:7], v[68:69], v[42:43]
	v_cndmask_b32_e64 v31, v15, v67, s[4:5]
	v_cndmask_b32_e64 v30, v14, v66, s[4:5]
	;; [unrolled: 1-line block ×4, first 2 shown]
	v_cmp_nlt_f64_e32 vcc, v[56:57], v[48:49]
	v_cndmask_b32_e64 v15, v43, v69, s[6:7]
	v_cndmask_b32_e64 v14, v42, v68, s[6:7]
	s_and_b64 s[6:7], s[4:5], s[6:7]
	v_cndmask_b32_e32 v67, v57, v49, vcc
	v_cndmask_b32_e32 v66, v56, v48, vcc
	v_cmp_nlt_f64_e64 s[2:3], v[66:67], v[52:53]
	v_cndmask_b32_e32 v43, v49, v57, vcc
	v_cndmask_b32_e32 v42, v48, v56, vcc
	v_cndmask_b32_e64 v57, v67, v53, s[2:3]
	v_cndmask_b32_e64 v56, v66, v52, s[2:3]
	v_cmp_nlt_f64_e64 s[4:5], v[56:57], v[50:51]
	v_cndmask_b32_e64 v49, v53, v67, s[2:3]
	v_cndmask_b32_e64 v48, v52, v66, s[2:3]
	s_and_b64 s[2:3], vcc, s[2:3]
	v_cndmask_b32_e64 v67, v57, v51, s[4:5]
	v_cndmask_b32_e64 v66, v56, v50, s[4:5]
	v_cmp_nlt_f64_e32 vcc, v[66:67], v[46:47]
	v_cndmask_b32_e64 v53, v51, v57, s[4:5]
	v_cndmask_b32_e64 v52, v50, v56, s[4:5]
	s_and_b64 s[4:5], s[2:3], s[4:5]
	v_cndmask_b32_e32 v57, v67, v47, vcc
	v_cndmask_b32_e32 v56, v66, v46, vcc
	v_cmp_nlt_f64_e64 s[2:3], v[56:57], v[44:45]
	v_cndmask_b32_e32 v51, v47, v67, vcc
	v_cndmask_b32_e32 v50, v46, v66, vcc
	s_and_b64 s[4:5], s[4:5], vcc
	v_cndmask_b32_e64 v67, v57, v45, s[2:3]
	v_cndmask_b32_e64 v66, v56, v44, s[2:3]
	v_cmp_nlt_f64_e32 vcc, v[66:67], v[32:33]
	v_cndmask_b32_e64 v47, v45, v57, s[2:3]
	v_cndmask_b32_e64 v46, v44, v56, s[2:3]
	s_and_b64 s[4:5], s[4:5], s[2:3]
	v_cndmask_b32_e32 v69, v67, v33, vcc
	v_cndmask_b32_e32 v68, v66, v32, vcc
	v_cmp_nlt_f64_e64 s[2:3], v[68:69], v[54:55]
	s_and_b64 s[4:5], s[4:5], vcc
	v_cndmask_b32_e32 v45, v33, v67, vcc
	v_cndmask_b32_e32 v44, v32, v66, vcc
	v_cndmask_b32_e64 v57, v69, v55, s[2:3]
	v_cndmask_b32_e64 v56, v68, v54, s[2:3]
	;; [unrolled: 1-line block ×4, first 2 shown]
	s_and_b64 s[2:3], s[4:5], s[2:3]
	s_and_b64 s[2:3], s[2:3], s[6:7]
	;; [unrolled: 1-line block ×3, first 2 shown]
	s_and_b64 s[2:3], exec, s[2:3]
	v_mov_b32_e32 v54, v56
	s_or_b64 s[16:17], s[2:3], s[16:17]
	v_mov_b32_e32 v55, v57
	s_andn2_b64 exec, exec, s[16:17]
	s_cbranch_execnz .LBB173_275
; %bb.276:                              ;   in Loop: Header=BB173_162 Depth=1
	s_or_b64 exec, exec, s[16:17]
	v_add_f64 v[2:3], v[2:3], -1.0
	s_mov_b32 s31, s19
	s_mov_b32 s88, s78
	;; [unrolled: 1-line block ×4, first 2 shown]
	v_cmp_class_f64_e64 s[82:83], v[6:7], s40
	v_cmp_class_f64_e64 s[16:17], v[8:9], s40
	v_add_f64 v[2:3], v[2:3], v[10:11]
	v_add_f64 v[2:3], v[2:3], v[30:31]
	v_add_f64 v[2:3], v[2:3], v[14:15]
	v_add_f64 v[2:3], v[2:3], v[42:43]
	v_add_f64 v[2:3], v[2:3], v[48:49]
	v_add_f64 v[2:3], v[2:3], v[52:53]
	v_add_f64 v[2:3], v[2:3], v[50:51]
	v_add_f64 v[2:3], v[2:3], v[46:47]
	v_add_f64 v[2:3], v[2:3], v[44:45]
	v_add_f64 v[2:3], v[2:3], v[32:33]
	v_add_f64 v[2:3], v[56:57], v[2:3]
	v_add_f64 v[10:11], v[2:3], 1.0
	v_cmp_nge_f64_e64 s[4:5], -1.0, v[2:3]
	v_cmp_neq_f64_e64 s[6:7], s[6:7], v[2:3]
	v_frexp_mant_f64_e32 v[30:31], v[10:11]
	v_frexp_exp_i32_f64_e32 v4, v[10:11]
	v_add_f64 v[14:15], v[10:11], -1.0
	v_cmp_gt_f64_e32 vcc, s[18:19], v[30:31]
	v_add_f64 v[32:33], v[14:15], -v[10:11]
	v_add_f64 v[14:15], v[2:3], -v[14:15]
	v_subbrev_co_u32_e32 v4, vcc, 0, v4, vcc
	v_sub_u32_e32 v12, 0, v4
	v_ldexp_f64 v[10:11], v[10:11], v12
	v_add_f64 v[30:31], v[32:33], 1.0
	v_add_f64 v[32:33], v[10:11], 1.0
	v_add_f64 v[14:15], v[14:15], v[30:31]
	v_add_f64 v[46:47], v[10:11], -1.0
	v_add_f64 v[30:31], v[32:33], -1.0
	v_ldexp_f64 v[14:15], v[14:15], v12
	v_add_f64 v[48:49], v[46:47], 1.0
	v_add_f64 v[30:31], v[10:11], -v[30:31]
	v_add_f64 v[10:11], v[10:11], -v[48:49]
	v_add_f64 v[42:43], v[14:15], v[30:31]
	v_add_f64 v[48:49], v[14:15], v[10:11]
	;; [unrolled: 1-line block ×3, first 2 shown]
	v_rcp_f64_e32 v[44:45], v[30:31]
	v_add_f64 v[32:33], v[30:31], -v[32:33]
	v_add_f64 v[42:43], v[42:43], -v[32:33]
	v_fma_f64 v[50:51], -v[30:31], v[44:45], 1.0
	v_fma_f64 v[44:45], v[50:51], v[44:45], v[44:45]
	v_add_f64 v[50:51], v[46:47], v[48:49]
	v_fma_f64 v[10:11], -v[30:31], v[44:45], 1.0
	v_add_f64 v[46:47], v[50:51], -v[46:47]
	v_fma_f64 v[10:11], v[10:11], v[44:45], v[44:45]
	v_add_f64 v[46:47], v[48:49], -v[46:47]
	v_mul_f64 v[14:15], v[50:51], v[10:11]
	v_mul_f64 v[44:45], v[30:31], v[14:15]
	v_fma_f64 v[32:33], v[14:15], v[30:31], -v[44:45]
	v_fma_f64 v[52:53], v[14:15], v[42:43], v[32:33]
	v_add_f64 v[54:55], v[44:45], v[52:53]
	v_add_f64 v[32:33], v[50:51], -v[54:55]
	v_add_f64 v[44:45], v[54:55], -v[44:45]
	v_add_f64 v[50:51], v[50:51], -v[32:33]
	v_add_f64 v[44:45], v[44:45], -v[52:53]
	v_add_f64 v[48:49], v[50:51], -v[54:55]
	v_add_f64 v[46:47], v[46:47], v[48:49]
	v_max_f64 v[48:49], |v[6:7]|, |v[6:7]|
	v_ashrrev_i32_e32 v6, 31, v7
	v_and_b32_e32 v16, 0x54442d18, v6
	v_add_f64 v[44:45], v[44:45], v[46:47]
	v_max_f64 v[46:47], |v[8:9]|, |v[8:9]|
	v_add_f64 v[50:51], v[32:33], v[44:45]
	v_max_f64 v[52:53], v[48:49], v[46:47]
	v_min_f64 v[46:47], v[48:49], v[46:47]
	v_mul_f64 v[48:49], v[10:11], v[50:51]
	v_add_f64 v[32:33], v[32:33], -v[50:51]
	v_div_scale_f64 v[54:55], s[2:3], v[52:53], v[52:53], v[46:47]
	s_mov_b32 s2, 0xb5e68a13
	s_mov_b32 s3, 0x3eeba404
	v_mul_f64 v[56:57], v[30:31], v[48:49]
	v_add_f64 v[32:33], v[44:45], v[32:33]
	v_fma_f64 v[30:31], v[48:49], v[30:31], -v[56:57]
	v_rcp_f64_e32 v[66:67], v[54:55]
	v_fma_f64 v[30:31], v[48:49], v[42:43], v[30:31]
	v_add_f64 v[42:43], v[56:57], v[30:31]
	v_fma_f64 v[68:69], -v[54:55], v[66:67], 1.0
	v_add_f64 v[70:71], v[50:51], -v[42:43]
	v_add_f64 v[44:45], v[42:43], -v[56:57]
	v_fma_f64 v[66:67], v[66:67], v[68:69], v[66:67]
	v_div_scale_f64 v[68:69], vcc, v[46:47], v[52:53], v[46:47]
	v_add_f64 v[50:51], v[50:51], -v[70:71]
	v_add_f64 v[30:31], v[44:45], -v[30:31]
	v_fma_f64 v[72:73], -v[54:55], v[66:67], 1.0
	v_add_f64 v[44:45], v[14:15], v[48:49]
	v_add_f64 v[42:43], v[50:51], -v[42:43]
	v_fma_f64 v[50:51], v[66:67], v[72:73], v[66:67]
	v_add_f64 v[14:15], v[44:45], -v[14:15]
	v_add_f64 v[32:33], v[32:33], v[42:43]
	v_mul_f64 v[42:43], v[68:69], v[50:51]
	v_add_f64 v[14:15], v[48:49], -v[14:15]
	v_add_f64 v[30:31], v[30:31], v[32:33]
	v_fma_f64 v[32:33], -v[54:55], v[42:43], v[68:69]
	v_add_f64 v[30:31], v[70:71], v[30:31]
	v_div_fmas_f64 v[32:33], v[32:33], v[50:51], v[42:43]
	v_cmp_gt_i32_e32 vcc, 0, v7
	v_cndmask_b32_e32 v12, v64, v65, vcc
	v_mul_f64 v[10:11], v[10:11], v[30:31]
	v_add_f64 v[10:11], v[14:15], v[10:11]
	v_div_fixup_f64 v[14:15], v[32:33], v[52:53], v[46:47]
	v_add_f64 v[30:31], v[44:45], v[10:11]
	v_mul_f64 v[32:33], v[14:15], v[14:15]
	v_mul_f64 v[42:43], v[30:31], v[30:31]
	v_fma_f64 v[46:47], v[32:33], s[2:3], v[38:39]
	v_cmp_eq_f64_e64 s[2:3], 0, v[8:9]
	v_fma_f64 v[48:49], v[42:43], s[20:21], v[36:37]
	v_mul_f64 v[50:51], v[30:31], v[42:43]
	v_fma_f64 v[46:47], v[32:33], v[46:47], s[42:43]
	v_fma_f64 v[48:49], v[42:43], v[48:49], s[22:23]
	v_fma_f64 v[46:47], v[32:33], v[46:47], s[44:45]
	v_fma_f64 v[48:49], v[42:43], v[48:49], s[24:25]
	v_fma_f64 v[46:47], v[32:33], v[46:47], s[46:47]
	v_fma_f64 v[48:49], v[42:43], v[48:49], s[26:27]
	v_fma_f64 v[46:47], v[32:33], v[46:47], s[48:49]
	v_fma_f64 v[48:49], v[42:43], v[48:49], s[28:29]
	v_fma_f64 v[46:47], v[32:33], v[46:47], s[50:51]
	v_fma_f64 v[42:43], v[42:43], v[48:49], s[30:31]
	v_ldexp_f64 v[48:49], v[30:31], 1
	v_fma_f64 v[46:47], v[32:33], v[46:47], s[52:53]
	v_add_f64 v[30:31], v[30:31], -v[44:45]
	v_mul_f64 v[42:43], v[50:51], v[42:43]
	v_cvt_f64_i32_e32 v[50:51], v4
	v_fma_f64 v[46:47], v[32:33], v[46:47], s[54:55]
	v_add_f64 v[10:11], v[10:11], -v[30:31]
	v_cndmask_b32_e32 v4, v62, v63, vcc
	v_mul_f64 v[52:53], v[50:51], s[34:35]
	v_add_f64 v[44:45], v[48:49], v[42:43]
	v_fma_f64 v[46:47], v[32:33], v[46:47], s[56:57]
	v_ldexp_f64 v[10:11], v[10:11], 1
	v_add_f64 v[30:31], v[44:45], -v[48:49]
	v_fma_f64 v[48:49], v[50:51], s[34:35], -v[52:53]
	v_fma_f64 v[46:47], v[32:33], v[46:47], s[58:59]
	v_add_f64 v[30:31], v[42:43], -v[30:31]
	v_fma_f64 v[42:43], v[32:33], v[46:47], s[60:61]
	v_fma_f64 v[46:47], v[50:51], s[36:37], v[48:49]
	v_add_f64 v[10:11], v[10:11], v[30:31]
	v_fma_f64 v[30:31], v[32:33], v[42:43], s[62:63]
	v_add_f64 v[42:43], v[52:53], v[46:47]
	v_add_f64 v[48:49], v[44:45], v[10:11]
	v_fma_f64 v[30:31], v[32:33], v[30:31], s[64:65]
	v_add_f64 v[52:53], v[42:43], -v[52:53]
	v_add_f64 v[50:51], v[42:43], v[48:49]
	v_add_f64 v[44:45], v[48:49], -v[44:45]
	v_fma_f64 v[30:31], v[32:33], v[30:31], s[66:67]
	v_add_f64 v[46:47], v[46:47], -v[52:53]
	v_add_f64 v[54:55], v[50:51], -v[42:43]
	;; [unrolled: 1-line block ×3, first 2 shown]
	v_fma_f64 v[30:31], v[32:33], v[30:31], s[68:69]
	v_add_f64 v[56:57], v[50:51], -v[54:55]
	v_add_f64 v[44:45], v[48:49], -v[54:55]
	v_fma_f64 v[30:31], v[32:33], v[30:31], s[70:71]
	v_add_f64 v[48:49], v[46:47], v[10:11]
	v_add_f64 v[42:43], v[42:43], -v[56:57]
	v_fma_f64 v[30:31], v[32:33], v[30:31], s[72:73]
	v_add_f64 v[42:43], v[44:45], v[42:43]
	v_add_f64 v[44:45], v[48:49], -v[46:47]
	v_fma_f64 v[30:31], v[32:33], v[30:31], s[74:75]
	v_add_f64 v[42:43], v[48:49], v[42:43]
	v_add_f64 v[48:49], v[48:49], -v[44:45]
	v_fma_f64 v[30:31], v[32:33], v[30:31], s[76:77]
	v_add_f64 v[10:11], v[10:11], -v[44:45]
	v_add_f64 v[52:53], v[50:51], v[42:43]
	v_mul_f64 v[30:31], v[32:33], v[30:31]
	v_add_f64 v[32:33], v[46:47], -v[48:49]
	v_add_f64 v[44:45], v[52:53], -v[50:51]
	v_fma_f64 v[14:15], v[14:15], v[30:31], v[14:15]
	v_add_f64 v[10:11], v[10:11], v[32:33]
	v_add_f64 v[30:31], v[42:43], -v[44:45]
	v_add_f64 v[32:33], -v[14:15], s[78:79]
	v_add_f64 v[10:11], v[10:11], v[30:31]
	v_cndmask_b32_e64 v15, v15, v33, s[0:1]
	v_cndmask_b32_e64 v14, v14, v32, s[0:1]
	v_add_f64 v[30:31], -v[14:15], s[88:89]
	v_add_f64 v[10:11], v[52:53], v[10:11]
	v_cndmask_b32_e32 v14, v14, v30, vcc
	v_and_b32_e32 v30, 0x400921fb, v6
	v_mul_f64 v[6:7], v[10:11], 0.5
	v_cndmask_b32_e32 v11, v15, v31, vcc
	v_bfi_b32 v10, s12, v12, v9
	v_cndmask_b32_e64 v12, v14, v16, s[2:3]
	v_cndmask_b32_e64 v11, v11, v30, s[2:3]
	s_and_b64 s[2:3], s[4:5], s[6:7]
	s_and_b64 vcc, s[82:83], s[16:17]
	s_mov_b32 s16, 0xb5e68a13
	v_cndmask_b32_e64 v30, 0, v6, s[2:3]
	v_cmp_ngt_f64_e64 s[2:3], -1.0, v[2:3]
	v_cndmask_b32_e64 v7, v59, v7, s[6:7]
	s_mov_b32 s82, 0
	s_mov_b32 s17, 0x3eeba404
	;; [unrolled: 1-line block ×3, first 2 shown]
	v_cndmask_b32_e32 v33, v11, v10, vcc
	v_cndmask_b32_e32 v32, v12, v4, vcc
	v_cndmask_b32_e64 v6, v60, v7, s[2:3]
	v_cmp_neq_f64_e64 s[2:3], -1.0, v[2:3]
	v_cndmask_b32_e64 v31, v61, v6, s[2:3]
.LBB173_277:                            ;   in Loop: Header=BB173_162 Depth=1
	s_or_b64 exec, exec, s[14:15]
.LBB173_278:                            ;   in Loop: Header=BB173_162 Depth=1
	s_or_b64 exec, exec, s[38:39]
.LBB173_279:                            ;   in Loop: Header=BB173_162 Depth=1
	s_andn2_saveexec_b64 s[6:7], s[80:81]
	s_cbranch_execz .LBB173_281
; %bb.280:                              ;   in Loop: Header=BB173_162 Depth=1
	v_max_f64 v[14:15], |v[8:9]|, |v[8:9]|
	v_max_f64 v[30:31], |v[6:7]|, |v[6:7]|
	v_cmp_class_f64_e64 s[14:15], v[6:7], s40
	v_cmp_class_f64_e64 s[38:39], v[8:9], s40
	s_mov_b32 s31, s19
	s_mov_b32 s88, s78
	v_max_f64 v[10:11], v[30:31], v[14:15]
	v_min_f64 v[14:15], v[30:31], v[14:15]
	v_frexp_exp_i32_f64_e32 v4, v[10:11]
	v_sub_u32_e32 v12, 0, v4
	v_ldexp_f64 v[2:3], |v[8:9]|, v12
	v_ldexp_f64 v[32:33], |v[6:7]|, v12
	v_ashrrev_i32_e32 v6, 31, v7
	v_and_b32_e32 v12, 0x54442d18, v6
	v_mul_f64 v[2:3], v[2:3], v[2:3]
	v_fma_f64 v[2:3], v[32:33], v[32:33], v[2:3]
	v_rsq_f64_e32 v[32:33], v[2:3]
	v_cmp_eq_f64_e32 vcc, 0, v[2:3]
	v_mul_f64 v[42:43], v[2:3], v[32:33]
	v_mul_f64 v[32:33], v[32:33], 0.5
	v_fma_f64 v[44:45], -v[32:33], v[42:43], 0.5
	v_fma_f64 v[42:43], v[42:43], v[44:45], v[42:43]
	v_fma_f64 v[32:33], v[32:33], v[44:45], v[32:33]
	v_fma_f64 v[44:45], -v[42:43], v[42:43], v[2:3]
	v_fma_f64 v[32:33], v[44:45], v[32:33], v[42:43]
	v_cndmask_b32_e32 v3, v33, v3, vcc
	v_cndmask_b32_e32 v2, v32, v2, vcc
	v_ldexp_f64 v[2:3], v[2:3], v4
	s_or_b64 vcc, s[14:15], s[38:39]
	v_cndmask_b32_e32 v3, v3, v59, vcc
	v_cndmask_b32_e64 v2, v2, 0, vcc
	v_frexp_mant_f64_e32 v[32:33], v[2:3]
	v_cmp_gt_f64_e64 s[2:3], s[18:19], v[32:33]
	v_cndmask_b32_e64 v4, 0, 1, s[2:3]
	v_ldexp_f64 v[32:33], v[32:33], v4
	v_frexp_exp_i32_f64_e32 v4, v[2:3]
	v_add_f64 v[42:43], v[32:33], 1.0
	v_add_f64 v[48:49], v[32:33], -1.0
	v_rcp_f64_e32 v[44:45], v[42:43]
	v_add_f64 v[52:53], v[42:43], -1.0
	v_add_f64 v[32:33], v[32:33], -v[52:53]
	v_fma_f64 v[46:47], -v[42:43], v[44:45], 1.0
	v_fma_f64 v[30:31], v[46:47], v[44:45], v[44:45]
	v_div_scale_f64 v[44:45], s[4:5], v[10:11], v[10:11], v[14:15]
	v_cmp_class_f64_e64 s[4:5], v[2:3], s40
	v_fma_f64 v[46:47], -v[42:43], v[30:31], 1.0
	v_fma_f64 v[30:31], v[46:47], v[30:31], v[30:31]
	v_rcp_f64_e32 v[46:47], v[44:45]
	v_mul_f64 v[50:51], v[48:49], v[30:31]
	v_mul_f64 v[54:55], v[42:43], v[50:51]
	v_fma_f64 v[56:57], -v[44:45], v[46:47], 1.0
	v_fma_f64 v[42:43], v[50:51], v[42:43], -v[54:55]
	v_fma_f64 v[46:47], v[46:47], v[56:57], v[46:47]
	v_fma_f64 v[32:33], v[50:51], v[32:33], v[42:43]
	v_div_scale_f64 v[42:43], vcc, v[14:15], v[10:11], v[14:15]
	v_fma_f64 v[52:53], -v[44:45], v[46:47], 1.0
	v_add_f64 v[56:57], v[54:55], v[32:33]
	v_fma_f64 v[46:47], v[46:47], v[52:53], v[46:47]
	v_add_f64 v[52:53], v[48:49], -v[56:57]
	v_add_f64 v[54:55], v[56:57], -v[54:55]
	v_mul_f64 v[66:67], v[42:43], v[46:47]
	v_add_f64 v[48:49], v[48:49], -v[52:53]
	v_add_f64 v[32:33], v[54:55], -v[32:33]
	v_fma_f64 v[42:43], -v[44:45], v[66:67], v[42:43]
	v_add_f64 v[44:45], v[48:49], -v[56:57]
	v_div_fmas_f64 v[42:43], v[42:43], v[46:47], v[66:67]
	v_subbrev_co_u32_e64 v4, vcc, 0, v4, s[2:3]
	v_cmp_eq_f64_e64 s[2:3], 0, v[8:9]
	v_cmp_gt_i32_e32 vcc, 0, v7
	v_add_f64 v[32:33], v[32:33], v[44:45]
	v_cndmask_b32_e32 v16, v64, v65, vcc
	v_add_f64 v[32:33], v[52:53], v[32:33]
	v_div_fixup_f64 v[10:11], v[42:43], v[10:11], v[14:15]
	v_mul_f64 v[14:15], v[30:31], v[32:33]
	v_mul_f64 v[30:31], v[10:11], v[10:11]
	v_add_f64 v[32:33], v[50:51], v[14:15]
	v_fma_f64 v[42:43], v[30:31], s[16:17], v[38:39]
	v_mul_f64 v[44:45], v[32:33], v[32:33]
	v_fma_f64 v[42:43], v[30:31], v[42:43], s[42:43]
	v_fma_f64 v[46:47], v[44:45], s[20:21], v[36:37]
	v_mul_f64 v[48:49], v[32:33], v[44:45]
	v_fma_f64 v[42:43], v[30:31], v[42:43], s[44:45]
	v_fma_f64 v[46:47], v[44:45], v[46:47], s[22:23]
	;; [unrolled: 1-line block ×10, first 2 shown]
	v_ldexp_f64 v[46:47], v[32:33], 1
	v_add_f64 v[32:33], v[32:33], -v[50:51]
	v_fma_f64 v[42:43], v[30:31], v[42:43], s[54:55]
	v_cvt_f64_i32_e32 v[50:51], v4
	v_cndmask_b32_e32 v4, v62, v63, vcc
	v_mul_f64 v[44:45], v[48:49], v[44:45]
	v_mul_f64 v[52:53], v[50:51], s[34:35]
	v_add_f64 v[14:15], v[14:15], -v[32:33]
	v_fma_f64 v[42:43], v[30:31], v[42:43], s[56:57]
	v_add_f64 v[48:49], v[46:47], v[44:45]
	v_ldexp_f64 v[14:15], v[14:15], 1
	v_fma_f64 v[42:43], v[30:31], v[42:43], s[58:59]
	v_add_f64 v[32:33], v[48:49], -v[46:47]
	v_fma_f64 v[46:47], v[50:51], s[34:35], -v[52:53]
	v_fma_f64 v[42:43], v[30:31], v[42:43], s[60:61]
	v_add_f64 v[32:33], v[44:45], -v[32:33]
	v_fma_f64 v[44:45], v[50:51], s[36:37], v[46:47]
	v_fma_f64 v[42:43], v[30:31], v[42:43], s[62:63]
	v_add_f64 v[14:15], v[14:15], v[32:33]
	v_fma_f64 v[32:33], v[30:31], v[42:43], s[64:65]
	v_add_f64 v[42:43], v[52:53], v[44:45]
	v_add_f64 v[46:47], v[48:49], v[14:15]
	v_fma_f64 v[32:33], v[30:31], v[32:33], s[66:67]
	v_add_f64 v[52:53], v[42:43], -v[52:53]
	v_add_f64 v[50:51], v[42:43], v[46:47]
	v_add_f64 v[48:49], v[46:47], -v[48:49]
	v_fma_f64 v[32:33], v[30:31], v[32:33], s[68:69]
	v_add_f64 v[44:45], v[44:45], -v[52:53]
	v_add_f64 v[54:55], v[50:51], -v[42:43]
	;; [unrolled: 1-line block ×3, first 2 shown]
	v_fma_f64 v[32:33], v[30:31], v[32:33], s[70:71]
	v_add_f64 v[56:57], v[50:51], -v[54:55]
	v_add_f64 v[46:47], v[46:47], -v[54:55]
	v_add_f64 v[48:49], v[44:45], v[14:15]
	v_fma_f64 v[32:33], v[30:31], v[32:33], s[72:73]
	v_add_f64 v[42:43], v[42:43], -v[56:57]
	v_fma_f64 v[32:33], v[30:31], v[32:33], s[74:75]
	v_add_f64 v[42:43], v[46:47], v[42:43]
	v_add_f64 v[46:47], v[48:49], -v[44:45]
	v_fma_f64 v[32:33], v[30:31], v[32:33], s[76:77]
	v_add_f64 v[42:43], v[48:49], v[42:43]
	v_add_f64 v[14:15], v[14:15], -v[46:47]
	v_mul_f64 v[30:31], v[30:31], v[32:33]
	v_add_f64 v[32:33], v[48:49], -v[46:47]
	v_add_f64 v[48:49], v[50:51], v[42:43]
	v_fma_f64 v[10:11], v[10:11], v[30:31], v[10:11]
	v_add_f64 v[30:31], v[44:45], -v[32:33]
	v_add_f64 v[32:33], v[48:49], -v[50:51]
	v_add_f64 v[44:45], -v[10:11], s[78:79]
	v_add_f64 v[14:15], v[14:15], v[30:31]
	v_add_f64 v[30:31], v[42:43], -v[32:33]
	v_cndmask_b32_e64 v11, v11, v45, s[0:1]
	v_cndmask_b32_e64 v10, v10, v44, s[0:1]
	v_add_f64 v[32:33], -v[10:11], s[88:89]
	v_add_f64 v[14:15], v[14:15], v[30:31]
	v_and_b32_e32 v30, 0x400921fb, v6
	v_cndmask_b32_e32 v10, v10, v32, vcc
	v_cndmask_b32_e32 v11, v11, v33, vcc
	v_cndmask_b32_e64 v10, v10, v12, s[2:3]
	v_add_f64 v[6:7], v[48:49], v[14:15]
	v_cndmask_b32_e64 v11, v11, v30, s[2:3]
	v_cmp_ngt_f64_e64 s[2:3], 0, v[2:3]
	v_bfi_b32 v14, s12, v16, v9
	s_and_b64 vcc, s[14:15], s[38:39]
	v_cndmask_b32_e32 v33, v11, v14, vcc
	v_cndmask_b32_e32 v32, v10, v4, vcc
	v_cndmask_b32_e64 v7, v7, v3, s[4:5]
	v_cndmask_b32_e64 v6, v6, v2, s[4:5]
	;; [unrolled: 1-line block ×3, first 2 shown]
	v_cmp_nge_f64_e64 s[2:3], 0, v[2:3]
	v_cndmask_b32_e64 v30, 0, v6, s[2:3]
	v_cmp_neq_f64_e64 s[2:3], 0, v[2:3]
	v_cndmask_b32_e64 v31, v61, v7, s[2:3]
.LBB173_281:                            ;   in Loop: Header=BB173_162 Depth=1
	s_or_b64 exec, exec, s[6:7]
                                        ; implicit-def: $vgpr10_vgpr11
.LBB173_282:                            ;   in Loop: Header=BB173_162 Depth=1
	s_andn2_saveexec_b64 s[6:7], s[94:95]
	s_cbranch_execz .LBB173_288
; %bb.283:                              ;   in Loop: Header=BB173_162 Depth=1
	s_mov_b32 s2, 0x6a3f9475
	s_mov_b32 s3, 0x20ca2fe7
	v_cmp_ngt_f64_e32 vcc, s[2:3], v[10:11]
                                        ; implicit-def: $vgpr30_vgpr31
	s_and_saveexec_b64 s[2:3], vcc
	s_xor_b64 s[14:15], exec, s[2:3]
	s_cbranch_execz .LBB173_285
; %bb.284:                              ;   in Loop: Header=BB173_162 Depth=1
	v_mul_f64 v[2:3], v[10:11], v[10:11]
	s_mov_b32 s31, s19
	s_mov_b32 s88, s78
	v_cmp_class_f64_e64 s[38:39], v[6:7], s40
	v_add_f64 v[10:11], v[2:3], 1.0
	v_cmp_neq_f64_e64 s[4:5], s[82:83], v[2:3]
	v_frexp_mant_f64_e32 v[30:31], v[10:11]
	v_frexp_exp_i32_f64_e32 v4, v[10:11]
	v_add_f64 v[14:15], v[10:11], -1.0
	v_cmp_gt_f64_e32 vcc, s[18:19], v[30:31]
	v_add_f64 v[32:33], v[14:15], -v[10:11]
	v_add_f64 v[14:15], v[2:3], -v[14:15]
	v_subbrev_co_u32_e32 v4, vcc, 0, v4, vcc
	v_sub_u32_e32 v12, 0, v4
	v_ldexp_f64 v[10:11], v[10:11], v12
	v_add_f64 v[30:31], v[32:33], 1.0
	v_add_f64 v[32:33], v[10:11], 1.0
	v_add_f64 v[14:15], v[14:15], v[30:31]
	v_add_f64 v[46:47], v[10:11], -1.0
	v_add_f64 v[30:31], v[32:33], -1.0
	v_ldexp_f64 v[14:15], v[14:15], v12
	v_add_f64 v[48:49], v[46:47], 1.0
	v_add_f64 v[30:31], v[10:11], -v[30:31]
	v_add_f64 v[10:11], v[10:11], -v[48:49]
	v_add_f64 v[42:43], v[14:15], v[30:31]
	v_add_f64 v[48:49], v[14:15], v[10:11]
	;; [unrolled: 1-line block ×3, first 2 shown]
	v_rcp_f64_e32 v[44:45], v[30:31]
	v_add_f64 v[32:33], v[32:33], -v[30:31]
	v_add_f64 v[42:43], v[42:43], v[32:33]
	v_fma_f64 v[50:51], -v[30:31], v[44:45], 1.0
	v_fma_f64 v[44:45], v[50:51], v[44:45], v[44:45]
	v_add_f64 v[50:51], v[46:47], v[48:49]
	v_fma_f64 v[10:11], -v[30:31], v[44:45], 1.0
	v_add_f64 v[46:47], v[46:47], -v[50:51]
	v_fma_f64 v[10:11], v[10:11], v[44:45], v[44:45]
	v_add_f64 v[46:47], v[48:49], v[46:47]
	v_mul_f64 v[14:15], v[50:51], v[10:11]
	v_mul_f64 v[44:45], v[30:31], v[14:15]
	v_fma_f64 v[32:33], v[14:15], v[30:31], -v[44:45]
	v_fma_f64 v[52:53], v[14:15], v[42:43], v[32:33]
	v_add_f64 v[54:55], v[44:45], v[52:53]
	v_add_f64 v[32:33], v[50:51], -v[54:55]
	v_add_f64 v[44:45], v[54:55], -v[44:45]
	;; [unrolled: 1-line block ×5, first 2 shown]
	v_add_f64 v[46:47], v[46:47], v[48:49]
	v_max_f64 v[48:49], |v[6:7]|, |v[6:7]|
	v_ashrrev_i32_e32 v6, 31, v7
	v_and_b32_e32 v12, 0x54442d18, v6
	v_add_f64 v[44:45], v[44:45], v[46:47]
	v_max_f64 v[46:47], |v[8:9]|, |v[8:9]|
	v_add_f64 v[50:51], v[32:33], v[44:45]
	v_max_f64 v[52:53], v[48:49], v[46:47]
	v_min_f64 v[46:47], v[48:49], v[46:47]
	v_mul_f64 v[48:49], v[10:11], v[50:51]
	v_add_f64 v[32:33], v[32:33], -v[50:51]
	v_div_scale_f64 v[54:55], s[2:3], v[52:53], v[52:53], v[46:47]
	v_cmp_eq_f64_e64 s[2:3], 0, v[8:9]
	v_mul_f64 v[56:57], v[30:31], v[48:49]
	v_add_f64 v[32:33], v[44:45], v[32:33]
	v_fma_f64 v[30:31], v[48:49], v[30:31], -v[56:57]
	v_rcp_f64_e32 v[66:67], v[54:55]
	v_fma_f64 v[30:31], v[48:49], v[42:43], v[30:31]
	v_add_f64 v[42:43], v[56:57], v[30:31]
	v_fma_f64 v[68:69], -v[54:55], v[66:67], 1.0
	v_add_f64 v[70:71], v[50:51], -v[42:43]
	v_add_f64 v[44:45], v[42:43], -v[56:57]
	v_fma_f64 v[66:67], v[66:67], v[68:69], v[66:67]
	v_div_scale_f64 v[68:69], vcc, v[46:47], v[52:53], v[46:47]
	v_add_f64 v[50:51], v[50:51], -v[70:71]
	v_add_f64 v[30:31], v[44:45], -v[30:31]
	v_fma_f64 v[72:73], -v[54:55], v[66:67], 1.0
	v_add_f64 v[44:45], v[14:15], v[48:49]
	v_add_f64 v[42:43], v[50:51], -v[42:43]
	v_fma_f64 v[50:51], v[66:67], v[72:73], v[66:67]
	v_add_f64 v[14:15], v[44:45], -v[14:15]
	v_add_f64 v[32:33], v[32:33], v[42:43]
	v_mul_f64 v[42:43], v[68:69], v[50:51]
	v_add_f64 v[14:15], v[48:49], -v[14:15]
	v_add_f64 v[30:31], v[30:31], v[32:33]
	v_fma_f64 v[32:33], -v[54:55], v[42:43], v[68:69]
	v_add_f64 v[30:31], v[70:71], v[30:31]
	v_div_fmas_f64 v[32:33], v[32:33], v[50:51], v[42:43]
	v_cmp_gt_i32_e32 vcc, 0, v7
	v_cndmask_b32_e32 v16, v64, v65, vcc
	v_bfi_b32 v2, s12, v16, v9
	v_mul_f64 v[10:11], v[10:11], v[30:31]
	v_add_f64 v[10:11], v[14:15], v[10:11]
	v_div_fixup_f64 v[14:15], v[32:33], v[52:53], v[46:47]
	v_add_f64 v[30:31], v[44:45], v[10:11]
	v_mul_f64 v[32:33], v[14:15], v[14:15]
	v_mul_f64 v[42:43], v[30:31], v[30:31]
	v_fma_f64 v[46:47], v[32:33], s[16:17], v[38:39]
	v_cmp_class_f64_e64 s[16:17], v[8:9], s40
	v_fma_f64 v[48:49], v[42:43], s[20:21], v[36:37]
	v_mul_f64 v[50:51], v[30:31], v[42:43]
	v_fma_f64 v[46:47], v[32:33], v[46:47], s[42:43]
	v_fma_f64 v[48:49], v[42:43], v[48:49], s[22:23]
	;; [unrolled: 1-line block ×10, first 2 shown]
	v_ldexp_f64 v[48:49], v[30:31], 1
	v_fma_f64 v[46:47], v[32:33], v[46:47], s[52:53]
	v_add_f64 v[30:31], v[30:31], -v[44:45]
	v_mul_f64 v[42:43], v[50:51], v[42:43]
	v_cvt_f64_i32_e32 v[50:51], v4
	v_fma_f64 v[46:47], v[32:33], v[46:47], s[54:55]
	v_add_f64 v[10:11], v[10:11], -v[30:31]
	v_cndmask_b32_e32 v4, v62, v63, vcc
	v_mul_f64 v[52:53], v[50:51], s[34:35]
	v_add_f64 v[44:45], v[48:49], v[42:43]
	v_fma_f64 v[46:47], v[32:33], v[46:47], s[56:57]
	v_ldexp_f64 v[10:11], v[10:11], 1
	v_add_f64 v[30:31], v[44:45], -v[48:49]
	v_fma_f64 v[48:49], v[50:51], s[34:35], -v[52:53]
	v_fma_f64 v[46:47], v[32:33], v[46:47], s[58:59]
	v_add_f64 v[30:31], v[42:43], -v[30:31]
	v_fma_f64 v[42:43], v[32:33], v[46:47], s[60:61]
	v_fma_f64 v[46:47], v[50:51], s[36:37], v[48:49]
	v_add_f64 v[10:11], v[10:11], v[30:31]
	v_fma_f64 v[30:31], v[32:33], v[42:43], s[62:63]
	v_add_f64 v[42:43], v[52:53], v[46:47]
	v_add_f64 v[48:49], v[44:45], v[10:11]
	v_fma_f64 v[30:31], v[32:33], v[30:31], s[64:65]
	v_add_f64 v[52:53], v[42:43], -v[52:53]
	v_add_f64 v[50:51], v[42:43], v[48:49]
	v_add_f64 v[44:45], v[48:49], -v[44:45]
	v_fma_f64 v[30:31], v[32:33], v[30:31], s[66:67]
	v_add_f64 v[46:47], v[46:47], -v[52:53]
	v_add_f64 v[54:55], v[50:51], -v[42:43]
	;; [unrolled: 1-line block ×3, first 2 shown]
	v_fma_f64 v[30:31], v[32:33], v[30:31], s[68:69]
	v_add_f64 v[56:57], v[50:51], -v[54:55]
	v_add_f64 v[44:45], v[48:49], -v[54:55]
	v_fma_f64 v[30:31], v[32:33], v[30:31], s[70:71]
	v_add_f64 v[48:49], v[46:47], v[10:11]
	v_add_f64 v[42:43], v[42:43], -v[56:57]
	v_fma_f64 v[30:31], v[32:33], v[30:31], s[72:73]
	v_add_f64 v[42:43], v[44:45], v[42:43]
	;; [unrolled: 3-line block ×3, first 2 shown]
	v_add_f64 v[48:49], v[48:49], -v[44:45]
	v_fma_f64 v[30:31], v[32:33], v[30:31], s[76:77]
	v_add_f64 v[10:11], v[10:11], -v[44:45]
	v_add_f64 v[52:53], v[50:51], v[42:43]
	v_mul_f64 v[30:31], v[32:33], v[30:31]
	v_add_f64 v[32:33], v[46:47], -v[48:49]
	v_add_f64 v[44:45], v[52:53], -v[50:51]
	v_fma_f64 v[14:15], v[14:15], v[30:31], v[14:15]
	v_add_f64 v[10:11], v[10:11], v[32:33]
	v_add_f64 v[30:31], v[42:43], -v[44:45]
	v_add_f64 v[32:33], -v[14:15], s[78:79]
	v_add_f64 v[10:11], v[10:11], v[30:31]
	v_cndmask_b32_e64 v15, v15, v33, s[0:1]
	v_cndmask_b32_e64 v14, v14, v32, s[0:1]
	v_add_f64 v[30:31], -v[14:15], s[88:89]
	v_add_f64 v[10:11], v[52:53], v[10:11]
	v_cndmask_b32_e32 v14, v14, v30, vcc
	v_and_b32_e32 v30, 0x400921fb, v6
	v_cndmask_b32_e32 v3, v15, v31, vcc
	v_cndmask_b32_e64 v3, v3, v30, s[2:3]
	v_mul_f64 v[6:7], v[10:11], 0.5
	v_cndmask_b32_e64 v10, v14, v12, s[2:3]
	s_and_b64 vcc, s[38:39], s[16:17]
	s_mov_b32 s16, 0xb5e68a13
	s_mov_b32 s17, 0x3eeba404
	v_cndmask_b32_e32 v33, v3, v2, vcc
	v_cndmask_b32_e32 v32, v10, v4, vcc
                                        ; implicit-def: $vgpr10_vgpr11
	v_cndmask_b32_e64 v31, v59, v7, s[4:5]
	v_cndmask_b32_e64 v30, 0, v6, s[4:5]
.LBB173_285:                            ;   in Loop: Header=BB173_162 Depth=1
	s_andn2_saveexec_b64 s[4:5], s[14:15]
	s_cbranch_execz .LBB173_287
; %bb.286:                              ;   in Loop: Header=BB173_162 Depth=1
	v_max_f64 v[2:3], |v[8:9]|, |v[8:9]|
	v_max_f64 v[14:15], |v[6:7]|, |v[6:7]|
	s_mov_b32 s88, s78
	v_cmp_class_f64_e64 s[14:15], v[8:9], s40
	v_ashrrev_i32_e32 v12, 31, v7
	v_and_b32_e32 v16, 0x54442d18, v12
	v_max_f64 v[30:31], v[14:15], v[2:3]
	v_min_f64 v[2:3], v[14:15], v[2:3]
	v_div_scale_f64 v[14:15], s[2:3], v[30:31], v[30:31], v[2:3]
	v_cmp_eq_f64_e64 s[2:3], 0, v[8:9]
	v_rcp_f64_e32 v[32:33], v[14:15]
	v_fma_f64 v[42:43], -v[14:15], v[32:33], 1.0
	v_fma_f64 v[32:33], v[32:33], v[42:43], v[32:33]
	v_div_scale_f64 v[42:43], vcc, v[2:3], v[30:31], v[2:3]
	v_fma_f64 v[44:45], -v[14:15], v[32:33], 1.0
	v_fma_f64 v[32:33], v[32:33], v[44:45], v[32:33]
	v_mul_f64 v[44:45], v[42:43], v[32:33]
	v_fma_f64 v[14:15], -v[14:15], v[44:45], v[42:43]
	v_div_fmas_f64 v[14:15], v[14:15], v[32:33], v[44:45]
	v_cmp_gt_i32_e32 vcc, 0, v7
	v_cndmask_b32_e32 v4, v62, v63, vcc
	v_div_fixup_f64 v[2:3], v[14:15], v[30:31], v[2:3]
	v_mul_f64 v[14:15], v[2:3], v[2:3]
	v_fma_f64 v[30:31], v[14:15], s[16:17], v[38:39]
	v_cmp_class_f64_e64 s[16:17], v[6:7], s40
	v_cndmask_b32_e32 v6, v64, v65, vcc
	v_and_b32_e32 v7, 0x400921fb, v12
	v_bfi_b32 v6, s12, v6, v9
	v_fma_f64 v[30:31], v[14:15], v[30:31], s[42:43]
	v_fma_f64 v[30:31], v[14:15], v[30:31], s[44:45]
	;; [unrolled: 1-line block ×18, first 2 shown]
	v_mul_f64 v[14:15], v[14:15], v[30:31]
	v_mul_f64 v[30:31], v[10:11], 0.5
	v_fma_f64 v[2:3], v[2:3], v[14:15], v[2:3]
	v_mul_f64 v[30:31], v[10:11], v[30:31]
	v_add_f64 v[14:15], -v[2:3], s[78:79]
	v_cndmask_b32_e64 v3, v3, v15, s[0:1]
	v_cndmask_b32_e64 v2, v2, v14, s[0:1]
	v_add_f64 v[14:15], -v[2:3], s[88:89]
	v_cndmask_b32_e32 v2, v2, v14, vcc
	v_cndmask_b32_e32 v3, v3, v15, vcc
	v_cndmask_b32_e64 v2, v2, v16, s[2:3]
	v_cndmask_b32_e64 v3, v3, v7, s[2:3]
	s_and_b64 vcc, s[16:17], s[14:15]
	s_mov_b32 s16, 0xb5e68a13
	s_mov_b32 s17, 0x3eeba404
	v_cndmask_b32_e32 v33, v3, v6, vcc
	v_cndmask_b32_e32 v32, v2, v4, vcc
.LBB173_287:                            ;   in Loop: Header=BB173_162 Depth=1
	s_or_b64 exec, exec, s[4:5]
.LBB173_288:                            ;   in Loop: Header=BB173_162 Depth=1
	s_or_b64 exec, exec, s[6:7]
.LBB173_289:                            ;   in Loop: Header=BB173_162 Depth=1
	s_andn2_saveexec_b64 s[6:7], s[92:93]
	s_cbranch_execz .LBB173_291
; %bb.290:                              ;   in Loop: Header=BB173_162 Depth=1
	v_div_scale_f64 v[2:3], s[2:3], s[84:85], s[84:85], v[6:7]
	s_mov_b32 s31, s19
	s_mov_b32 s88, s78
	v_rcp_f64_e32 v[10:11], v[2:3]
	v_fma_f64 v[14:15], -v[2:3], v[10:11], 1.0
	v_fma_f64 v[10:11], v[10:11], v[14:15], v[10:11]
	v_fma_f64 v[14:15], -v[2:3], v[10:11], 1.0
	v_fma_f64 v[10:11], v[10:11], v[14:15], v[10:11]
	v_div_scale_f64 v[14:15], vcc, v[6:7], s[84:85], v[6:7]
	v_mul_f64 v[30:31], v[14:15], v[10:11]
	v_fma_f64 v[2:3], -v[2:3], v[30:31], v[14:15]
	s_nop 1
	v_div_fmas_f64 v[2:3], v[2:3], v[10:11], v[30:31]
	v_div_scale_f64 v[10:11], s[2:3], s[84:85], s[84:85], v[8:9]
	v_div_fixup_f64 v[2:3], v[2:3], s[84:85], v[6:7]
	v_rcp_f64_e32 v[14:15], v[10:11]
	v_cmp_class_f64_e64 s[2:3], v[2:3], s40
	v_fma_f64 v[30:31], -v[10:11], v[14:15], 1.0
	v_fma_f64 v[14:15], v[14:15], v[30:31], v[14:15]
	v_fma_f64 v[30:31], -v[10:11], v[14:15], 1.0
	v_fma_f64 v[14:15], v[14:15], v[30:31], v[14:15]
	v_div_scale_f64 v[30:31], vcc, v[8:9], s[84:85], v[8:9]
	v_mul_f64 v[32:33], v[30:31], v[14:15]
	v_fma_f64 v[10:11], -v[10:11], v[32:33], v[30:31]
	s_nop 1
	v_div_fmas_f64 v[10:11], v[10:11], v[14:15], v[32:33]
	v_div_fixup_f64 v[10:11], v[10:11], s[84:85], v[8:9]
	v_max_f64 v[14:15], |v[2:3]|, |v[10:11]|
	v_cmp_class_f64_e64 s[4:5], v[10:11], s40
	v_frexp_exp_i32_f64_e32 v4, v[14:15]
	v_sub_u32_e32 v12, 0, v4
	v_ldexp_f64 v[30:31], |v[10:11]|, v12
	v_ldexp_f64 v[14:15], |v[2:3]|, v12
	v_mul_f64 v[30:31], v[30:31], v[30:31]
	v_fma_f64 v[14:15], v[14:15], v[14:15], v[30:31]
	v_rsq_f64_e32 v[30:31], v[14:15]
	v_cmp_eq_f64_e32 vcc, 0, v[14:15]
	v_mul_f64 v[32:33], v[14:15], v[30:31]
	v_mul_f64 v[30:31], v[30:31], 0.5
	v_fma_f64 v[42:43], -v[30:31], v[32:33], 0.5
	v_fma_f64 v[32:33], v[32:33], v[42:43], v[32:33]
	v_fma_f64 v[30:31], v[30:31], v[42:43], v[30:31]
	v_fma_f64 v[42:43], -v[32:33], v[32:33], v[14:15]
	v_fma_f64 v[30:31], v[42:43], v[30:31], v[32:33]
	v_cndmask_b32_e32 v15, v31, v15, vcc
	v_cndmask_b32_e32 v14, v30, v14, vcc
	v_ldexp_f64 v[14:15], v[14:15], v4
	v_cmp_o_f64_e32 vcc, v[2:3], v[10:11]
	v_cndmask_b32_e32 v4, 0, v14, vcc
	v_cndmask_b32_e32 v12, v60, v15, vcc
	s_or_b64 vcc, s[2:3], s[4:5]
	v_cndmask_b32_e32 v3, v12, v59, vcc
	v_cndmask_b32_e64 v2, v4, 0, vcc
	v_frexp_mant_f64_e32 v[10:11], v[2:3]
	v_frexp_exp_i32_f64_e32 v4, v[2:3]
	v_cmp_class_f64_e64 s[4:5], v[6:7], s40
	v_cmp_gt_f64_e32 vcc, s[18:19], v[10:11]
	v_cndmask_b32_e64 v12, 0, 1, vcc
	v_ldexp_f64 v[10:11], v[10:11], v12
	v_subbrev_co_u32_e32 v4, vcc, 0, v4, vcc
	v_cmp_class_f64_e64 vcc, v[2:3], s40
	v_add_f64 v[30:31], v[10:11], 1.0
	v_add_f64 v[14:15], v[10:11], -1.0
	v_add_f64 v[32:33], v[30:31], -1.0
	v_add_f64 v[10:11], v[10:11], -v[32:33]
	v_rcp_f64_e32 v[32:33], v[30:31]
	v_fma_f64 v[42:43], -v[30:31], v[32:33], 1.0
	v_fma_f64 v[32:33], v[42:43], v[32:33], v[32:33]
	v_fma_f64 v[42:43], -v[30:31], v[32:33], 1.0
	v_fma_f64 v[32:33], v[42:43], v[32:33], v[32:33]
	v_mul_f64 v[42:43], v[14:15], v[32:33]
	v_mul_f64 v[44:45], v[30:31], v[42:43]
	v_fma_f64 v[30:31], v[42:43], v[30:31], -v[44:45]
	v_fma_f64 v[10:11], v[42:43], v[10:11], v[30:31]
	v_add_f64 v[30:31], v[44:45], v[10:11]
	v_add_f64 v[46:47], v[14:15], -v[30:31]
	v_add_f64 v[44:45], v[30:31], -v[44:45]
	v_add_f64 v[14:15], v[14:15], -v[46:47]
	v_add_f64 v[10:11], v[44:45], -v[10:11]
	v_add_f64 v[14:15], v[14:15], -v[30:31]
	v_add_f64 v[10:11], v[10:11], v[14:15]
	v_add_f64 v[10:11], v[46:47], v[10:11]
	v_mul_f64 v[10:11], v[32:33], v[10:11]
	v_add_f64 v[14:15], v[42:43], v[10:11]
	v_add_f64 v[30:31], v[14:15], -v[42:43]
	v_ldexp_f64 v[42:43], v[14:15], 1
	v_add_f64 v[10:11], v[10:11], -v[30:31]
	v_mul_f64 v[30:31], v[14:15], v[14:15]
	v_ldexp_f64 v[10:11], v[10:11], 1
	v_fma_f64 v[32:33], v[30:31], s[20:21], v[36:37]
	v_mul_f64 v[14:15], v[14:15], v[30:31]
	v_fma_f64 v[32:33], v[30:31], v[32:33], s[22:23]
	v_fma_f64 v[32:33], v[30:31], v[32:33], s[24:25]
	;; [unrolled: 1-line block ×5, first 2 shown]
	v_mul_f64 v[14:15], v[14:15], v[32:33]
	v_add_f64 v[30:31], v[42:43], v[14:15]
	v_add_f64 v[32:33], v[30:31], -v[42:43]
	v_add_f64 v[14:15], v[14:15], -v[32:33]
	v_add_f64 v[10:11], v[10:11], v[14:15]
	v_add_f64 v[14:15], v[30:31], v[10:11]
	v_add_f64 v[30:31], v[14:15], -v[30:31]
	v_add_f64 v[10:11], v[10:11], -v[30:31]
	v_cvt_f64_i32_e32 v[30:31], v4
	v_mul_f64 v[32:33], v[30:31], s[34:35]
	v_fma_f64 v[42:43], v[30:31], s[34:35], -v[32:33]
	v_fma_f64 v[30:31], v[30:31], s[36:37], v[42:43]
	v_add_f64 v[42:43], v[32:33], v[30:31]
	v_add_f64 v[32:33], v[42:43], -v[32:33]
	v_add_f64 v[30:31], v[30:31], -v[32:33]
	v_add_f64 v[32:33], v[42:43], v[14:15]
	v_add_f64 v[44:45], v[32:33], -v[42:43]
	v_add_f64 v[46:47], v[32:33], -v[44:45]
	;; [unrolled: 1-line block ×4, first 2 shown]
	v_add_f64 v[14:15], v[14:15], v[42:43]
	v_add_f64 v[42:43], v[30:31], v[10:11]
	v_add_f64 v[44:45], v[42:43], -v[30:31]
	v_add_f64 v[14:15], v[42:43], v[14:15]
	v_add_f64 v[46:47], v[42:43], -v[44:45]
	v_add_f64 v[10:11], v[10:11], -v[44:45]
	v_add_f64 v[30:31], v[30:31], -v[46:47]
	v_add_f64 v[10:11], v[10:11], v[30:31]
	v_add_f64 v[30:31], v[32:33], v[14:15]
	v_add_f64 v[32:33], v[30:31], -v[32:33]
	v_add_f64 v[14:15], v[14:15], -v[32:33]
	v_add_f64 v[10:11], v[10:11], v[14:15]
	v_add_f64 v[10:11], v[30:31], v[10:11]
	v_cndmask_b32_e32 v11, v11, v3, vcc
	v_cndmask_b32_e32 v10, v10, v2, vcc
	v_add_f64 v[10:11], v[10:11], 1.0
	v_cmp_ngt_f64_e32 vcc, 0, v[2:3]
	v_cndmask_b32_e32 v4, v60, v11, vcc
	v_cmp_nge_f64_e32 vcc, 0, v[2:3]
	v_cndmask_b32_e32 v30, 0, v10, vcc
	v_cmp_neq_f64_e32 vcc, 0, v[2:3]
	v_max_f64 v[2:3], |v[8:9]|, |v[8:9]|
	v_max_f64 v[10:11], |v[6:7]|, |v[6:7]|
	v_cndmask_b32_e32 v31, v61, v4, vcc
	v_max_f64 v[14:15], v[10:11], v[2:3]
	v_min_f64 v[2:3], v[10:11], v[2:3]
	v_div_scale_f64 v[10:11], s[2:3], v[14:15], v[14:15], v[2:3]
	v_cmp_class_f64_e64 s[2:3], v[8:9], s40
	v_rcp_f64_e32 v[32:33], v[10:11]
	v_fma_f64 v[42:43], -v[10:11], v[32:33], 1.0
	v_fma_f64 v[32:33], v[32:33], v[42:43], v[32:33]
	v_fma_f64 v[42:43], -v[10:11], v[32:33], 1.0
	v_fma_f64 v[32:33], v[32:33], v[42:43], v[32:33]
	v_div_scale_f64 v[42:43], vcc, v[2:3], v[14:15], v[2:3]
	v_mul_f64 v[44:45], v[42:43], v[32:33]
	v_fma_f64 v[10:11], -v[10:11], v[44:45], v[42:43]
	s_nop 1
	v_div_fmas_f64 v[10:11], v[10:11], v[32:33], v[44:45]
	s_and_b64 vcc, s[4:5], s[2:3]
	v_cmp_gt_i32_e64 s[2:3], 0, v7
	v_cndmask_b32_e64 v6, v64, v65, s[2:3]
	v_cmp_eq_f64_e64 s[4:5], 0, v[8:9]
	v_cndmask_b32_e64 v4, v62, v63, s[2:3]
	v_div_fixup_f64 v[2:3], v[10:11], v[14:15], v[2:3]
	v_mul_f64 v[10:11], v[2:3], v[2:3]
	v_fma_f64 v[14:15], v[10:11], s[16:17], v[38:39]
	v_fma_f64 v[14:15], v[10:11], v[14:15], s[42:43]
	;; [unrolled: 1-line block ×19, first 2 shown]
	v_mul_f64 v[10:11], v[10:11], v[14:15]
	v_fma_f64 v[2:3], v[2:3], v[10:11], v[2:3]
	v_bfi_b32 v10, s12, v6, v9
	v_ashrrev_i32_e32 v6, 31, v7
	v_and_b32_e32 v11, 0x400921fb, v6
	v_and_b32_e32 v12, 0x54442d18, v6
	v_add_f64 v[6:7], -v[2:3], s[78:79]
	v_cndmask_b32_e64 v3, v3, v7, s[0:1]
	v_cndmask_b32_e64 v2, v2, v6, s[0:1]
	v_add_f64 v[6:7], -v[2:3], s[88:89]
	v_cndmask_b32_e64 v3, v3, v7, s[2:3]
	v_cndmask_b32_e64 v2, v2, v6, s[2:3]
	;; [unrolled: 1-line block ×4, first 2 shown]
	v_cndmask_b32_e32 v33, v3, v10, vcc
	v_cndmask_b32_e32 v32, v2, v4, vcc
.LBB173_291:                            ;   in Loop: Header=BB173_162 Depth=1
	s_or_b64 exec, exec, s[6:7]
.LBB173_292:                            ;   in Loop: Header=BB173_162 Depth=1
	s_andn2_saveexec_b64 s[0:1], s[90:91]
	s_cbranch_execz .LBB173_161
; %bb.293:                              ;   in Loop: Header=BB173_162 Depth=1
	v_cmp_nlt_f64_e64 s[2:3], |v[6:7]|, s[86:87]
	v_cmp_nlt_f64_e64 s[4:5], |v[8:9]|, s[86:87]
                                        ; implicit-def: $vgpr2_vgpr3
	s_or_b64 s[2:3], s[2:3], s[4:5]
	s_and_saveexec_b64 s[4:5], s[2:3]
	s_xor_b64 s[2:3], exec, s[4:5]
	s_cbranch_execz .LBB173_295
; %bb.294:                              ;   in Loop: Header=BB173_162 Depth=1
	v_mul_f64 v[2:3], v[8:9], v[8:9]
	v_fma_f64 v[2:3], v[6:7], v[6:7], v[2:3]
.LBB173_295:                            ;   in Loop: Header=BB173_162 Depth=1
	s_andn2_saveexec_b64 s[2:3], s[2:3]
	s_cbranch_execz .LBB173_160
; %bb.296:                              ;   in Loop: Header=BB173_162 Depth=1
	v_mul_f64 v[2:3], v[8:9], 4.0
	v_mul_f64 v[6:7], v[6:7], 4.0
	v_mul_f64 v[2:3], v[2:3], v[2:3]
	v_fma_f64 v[2:3], v[6:7], v[6:7], v[2:3]
	v_ldexp_f64 v[2:3], v[2:3], -4
	s_branch .LBB173_160
.LBB173_297:
	s_endpgm
	.section	.rodata,"a",@progbits
	.p2align	6, 0x0
	.amdhsa_kernel _ZN2at6native12_GLOBAL__N_125multi_tensor_apply_kernelINS1_18TensorListMetadataILi1EEENS1_14UnaryOpFunctorIN3c107complexIdEELi1ELi1ELi0EEEJNS0_3LogIS8_EEEEEvT_T0_DpT1_
		.amdhsa_group_segment_fixed_size 0
		.amdhsa_private_segment_fixed_size 0
		.amdhsa_kernarg_size 3632
		.amdhsa_user_sgpr_count 6
		.amdhsa_user_sgpr_private_segment_buffer 1
		.amdhsa_user_sgpr_dispatch_ptr 0
		.amdhsa_user_sgpr_queue_ptr 0
		.amdhsa_user_sgpr_kernarg_segment_ptr 1
		.amdhsa_user_sgpr_dispatch_id 0
		.amdhsa_user_sgpr_flat_scratch_init 0
		.amdhsa_user_sgpr_private_segment_size 0
		.amdhsa_uses_dynamic_stack 0
		.amdhsa_system_sgpr_private_segment_wavefront_offset 0
		.amdhsa_system_sgpr_workgroup_id_x 1
		.amdhsa_system_sgpr_workgroup_id_y 0
		.amdhsa_system_sgpr_workgroup_id_z 0
		.amdhsa_system_sgpr_workgroup_info 0
		.amdhsa_system_vgpr_workitem_id 0
		.amdhsa_next_free_vgpr 79
		.amdhsa_next_free_sgpr 96
		.amdhsa_reserve_vcc 1
		.amdhsa_reserve_flat_scratch 0
		.amdhsa_float_round_mode_32 0
		.amdhsa_float_round_mode_16_64 0
		.amdhsa_float_denorm_mode_32 3
		.amdhsa_float_denorm_mode_16_64 3
		.amdhsa_dx10_clamp 1
		.amdhsa_ieee_mode 1
		.amdhsa_fp16_overflow 0
		.amdhsa_exception_fp_ieee_invalid_op 0
		.amdhsa_exception_fp_denorm_src 0
		.amdhsa_exception_fp_ieee_div_zero 0
		.amdhsa_exception_fp_ieee_overflow 0
		.amdhsa_exception_fp_ieee_underflow 0
		.amdhsa_exception_fp_ieee_inexact 0
		.amdhsa_exception_int_div_zero 0
	.end_amdhsa_kernel
	.section	.text._ZN2at6native12_GLOBAL__N_125multi_tensor_apply_kernelINS1_18TensorListMetadataILi1EEENS1_14UnaryOpFunctorIN3c107complexIdEELi1ELi1ELi0EEEJNS0_3LogIS8_EEEEEvT_T0_DpT1_,"axG",@progbits,_ZN2at6native12_GLOBAL__N_125multi_tensor_apply_kernelINS1_18TensorListMetadataILi1EEENS1_14UnaryOpFunctorIN3c107complexIdEELi1ELi1ELi0EEEJNS0_3LogIS8_EEEEEvT_T0_DpT1_,comdat
.Lfunc_end173:
	.size	_ZN2at6native12_GLOBAL__N_125multi_tensor_apply_kernelINS1_18TensorListMetadataILi1EEENS1_14UnaryOpFunctorIN3c107complexIdEELi1ELi1ELi0EEEJNS0_3LogIS8_EEEEEvT_T0_DpT1_, .Lfunc_end173-_ZN2at6native12_GLOBAL__N_125multi_tensor_apply_kernelINS1_18TensorListMetadataILi1EEENS1_14UnaryOpFunctorIN3c107complexIdEELi1ELi1ELi0EEEJNS0_3LogIS8_EEEEEvT_T0_DpT1_
                                        ; -- End function
	.set _ZN2at6native12_GLOBAL__N_125multi_tensor_apply_kernelINS1_18TensorListMetadataILi1EEENS1_14UnaryOpFunctorIN3c107complexIdEELi1ELi1ELi0EEEJNS0_3LogIS8_EEEEEvT_T0_DpT1_.num_vgpr, 79
	.set _ZN2at6native12_GLOBAL__N_125multi_tensor_apply_kernelINS1_18TensorListMetadataILi1EEENS1_14UnaryOpFunctorIN3c107complexIdEELi1ELi1ELi0EEEJNS0_3LogIS8_EEEEEvT_T0_DpT1_.num_agpr, 0
	.set _ZN2at6native12_GLOBAL__N_125multi_tensor_apply_kernelINS1_18TensorListMetadataILi1EEENS1_14UnaryOpFunctorIN3c107complexIdEELi1ELi1ELi0EEEJNS0_3LogIS8_EEEEEvT_T0_DpT1_.numbered_sgpr, 96
	.set _ZN2at6native12_GLOBAL__N_125multi_tensor_apply_kernelINS1_18TensorListMetadataILi1EEENS1_14UnaryOpFunctorIN3c107complexIdEELi1ELi1ELi0EEEJNS0_3LogIS8_EEEEEvT_T0_DpT1_.num_named_barrier, 0
	.set _ZN2at6native12_GLOBAL__N_125multi_tensor_apply_kernelINS1_18TensorListMetadataILi1EEENS1_14UnaryOpFunctorIN3c107complexIdEELi1ELi1ELi0EEEJNS0_3LogIS8_EEEEEvT_T0_DpT1_.private_seg_size, 0
	.set _ZN2at6native12_GLOBAL__N_125multi_tensor_apply_kernelINS1_18TensorListMetadataILi1EEENS1_14UnaryOpFunctorIN3c107complexIdEELi1ELi1ELi0EEEJNS0_3LogIS8_EEEEEvT_T0_DpT1_.uses_vcc, 1
	.set _ZN2at6native12_GLOBAL__N_125multi_tensor_apply_kernelINS1_18TensorListMetadataILi1EEENS1_14UnaryOpFunctorIN3c107complexIdEELi1ELi1ELi0EEEJNS0_3LogIS8_EEEEEvT_T0_DpT1_.uses_flat_scratch, 0
	.set _ZN2at6native12_GLOBAL__N_125multi_tensor_apply_kernelINS1_18TensorListMetadataILi1EEENS1_14UnaryOpFunctorIN3c107complexIdEELi1ELi1ELi0EEEJNS0_3LogIS8_EEEEEvT_T0_DpT1_.has_dyn_sized_stack, 0
	.set _ZN2at6native12_GLOBAL__N_125multi_tensor_apply_kernelINS1_18TensorListMetadataILi1EEENS1_14UnaryOpFunctorIN3c107complexIdEELi1ELi1ELi0EEEJNS0_3LogIS8_EEEEEvT_T0_DpT1_.has_recursion, 0
	.set _ZN2at6native12_GLOBAL__N_125multi_tensor_apply_kernelINS1_18TensorListMetadataILi1EEENS1_14UnaryOpFunctorIN3c107complexIdEELi1ELi1ELi0EEEJNS0_3LogIS8_EEEEEvT_T0_DpT1_.has_indirect_call, 0
	.section	.AMDGPU.csdata,"",@progbits
; Kernel info:
; codeLenInByte = 86124
; TotalNumSgprs: 100
; NumVgprs: 79
; ScratchSize: 0
; MemoryBound: 1
; FloatMode: 240
; IeeeMode: 1
; LDSByteSize: 0 bytes/workgroup (compile time only)
; SGPRBlocks: 12
; VGPRBlocks: 19
; NumSGPRsForWavesPerEU: 100
; NumVGPRsForWavesPerEU: 79
; Occupancy: 3
; WaveLimiterHint : 0
; COMPUTE_PGM_RSRC2:SCRATCH_EN: 0
; COMPUTE_PGM_RSRC2:USER_SGPR: 6
; COMPUTE_PGM_RSRC2:TRAP_HANDLER: 0
; COMPUTE_PGM_RSRC2:TGID_X_EN: 1
; COMPUTE_PGM_RSRC2:TGID_Y_EN: 0
; COMPUTE_PGM_RSRC2:TGID_Z_EN: 0
; COMPUTE_PGM_RSRC2:TIDIG_COMP_CNT: 0
	.section	.text._ZN2at6native12_GLOBAL__N_125multi_tensor_apply_kernelINS1_18TensorListMetadataILi1EEENS1_14UnaryOpFunctorIN3c107complexIfEELi1ELi1ELi0EEEJNS0_3LogIS8_EEEEEvT_T0_DpT1_,"axG",@progbits,_ZN2at6native12_GLOBAL__N_125multi_tensor_apply_kernelINS1_18TensorListMetadataILi1EEENS1_14UnaryOpFunctorIN3c107complexIfEELi1ELi1ELi0EEEJNS0_3LogIS8_EEEEEvT_T0_DpT1_,comdat
	.globl	_ZN2at6native12_GLOBAL__N_125multi_tensor_apply_kernelINS1_18TensorListMetadataILi1EEENS1_14UnaryOpFunctorIN3c107complexIfEELi1ELi1ELi0EEEJNS0_3LogIS8_EEEEEvT_T0_DpT1_ ; -- Begin function _ZN2at6native12_GLOBAL__N_125multi_tensor_apply_kernelINS1_18TensorListMetadataILi1EEENS1_14UnaryOpFunctorIN3c107complexIfEELi1ELi1ELi0EEEJNS0_3LogIS8_EEEEEvT_T0_DpT1_
	.p2align	8
	.type	_ZN2at6native12_GLOBAL__N_125multi_tensor_apply_kernelINS1_18TensorListMetadataILi1EEENS1_14UnaryOpFunctorIN3c107complexIfEELi1ELi1ELi0EEEJNS0_3LogIS8_EEEEEvT_T0_DpT1_,@function
_ZN2at6native12_GLOBAL__N_125multi_tensor_apply_kernelINS1_18TensorListMetadataILi1EEENS1_14UnaryOpFunctorIN3c107complexIfEELi1ELi1ELi0EEEJNS0_3LogIS8_EEEEEvT_T0_DpT1_: ; @_ZN2at6native12_GLOBAL__N_125multi_tensor_apply_kernelINS1_18TensorListMetadataILi1EEENS1_14UnaryOpFunctorIN3c107complexIfEELi1ELi1ELi0EEEJNS0_3LogIS8_EEEEEvT_T0_DpT1_
; %bb.0:
	v_mov_b32_e32 v1, s6
	global_load_ubyte v1, v1, s[4:5] offset:1760
	s_add_u32 s0, s4, s6
	s_mul_hi_u32 s1, s6, 3
	s_mul_i32 s6, s6, 3
	s_addc_u32 s2, s5, 0
	s_add_u32 s0, s0, s6
	s_addc_u32 s1, s2, s1
	s_load_dword s0, s[0:1], 0x820
	s_mov_b32 s9, 0
	s_waitcnt vmcnt(0)
	v_readfirstlane_b32 s1, v1
	s_lshl_b32 s1, s1, 3
	s_load_dwordx2 s[2:3], s[4:5], s1 offset:0x0
	s_load_dwordx2 s[6:7], s[4:5], s1 offset:0x370
	s_waitcnt lgkmcnt(0)
	s_ashr_i32 s1, s0, 31
	s_lshl_b64 s[10:11], s[0:1], 19
	s_add_u32 s33, s2, s10
	s_addc_u32 s38, s3, s11
	s_lshl_b64 s[0:1], s[0:1], 16
	s_and_b32 s8, s33, 31
	s_sub_u32 s14, s6, s0
	s_subb_u32 s15, s7, s1
	s_and_b32 s0, s6, 3
	s_mov_b32 s1, s9
	s_or_b64 s[0:1], s[8:9], s[0:1]
	s_cmp_eq_u64 s[0:1], 0
	s_cbranch_scc1 .LBB174_157
; %bb.1:
	v_cmp_lt_i64_e64 s[0:1], s[14:15], 1
	s_and_b64 vcc, exec, s[0:1]
	s_cbranch_vccnz .LBB174_156
; %bb.2:
	v_mov_b32_e32 v1, 0x10000
	s_load_dword s2, s[4:5], 0xd3c
	v_mov_b32_e32 v2, 0
	v_cmp_lt_i64_e32 vcc, s[14:15], v[1:2]
	s_mov_b64 s[20:21], 0
	s_and_b64 s[0:1], vcc, exec
	v_cmp_lt_u64_e32 vcc, s[14:15], v[1:2]
	s_cselect_b32 s17, s15, 0
	s_cselect_b32 s16, s14, 0x10000
	s_waitcnt lgkmcnt(0)
	s_and_b32 s39, s2, 0xffff
	s_and_b64 s[0:1], vcc, exec
	s_cselect_b32 s19, s15, 0
	s_cselect_b32 s18, s14, 0x10000
	s_lshl_b32 s40, s39, 1
	s_mul_i32 s41, s39, 3
	s_lshl_b32 s42, s39, 2
	s_brev_b32 s43, -2
	s_mov_b32 s44, 0x77f684df
	s_mov_b32 s45, 0x358637bd
	;; [unrolled: 1-line block ×4, first 2 shown]
	v_mov_b32_e32 v19, 0x3f2aaada
	s_mov_b32 s48, 0x3f317218
	s_mov_b32 s49, 0x7f800000
	;; [unrolled: 1-line block ×3, first 2 shown]
	v_mov_b32_e32 v20, 0x3d29fb3f
	v_mov_b32_e32 v21, 0xbd97d4d7
	;; [unrolled: 1-line block ×6, first 2 shown]
	s_movk_i32 s51, 0x204
	s_mov_b32 s52, 0x3f333333
	s_mov_b32 s53, 0x800000
	;; [unrolled: 1-line block ×5, first 2 shown]
	s_brev_b32 s57, 4
	v_mov_b32_e32 v26, 0x7f800000
	v_mov_b32_e32 v27, 0x7fc00000
	v_mov_b32_e32 v28, 0xff800000
	v_mov_b32_e32 v29, 0x40490fdb
	v_mov_b32_e32 v30, 0x3f490fdb
	v_mov_b32_e32 v31, 0x4016cbe4
	v_mov_b32_e32 v32, 0x41b17218
	s_branch .LBB174_4
.LBB174_3:                              ;   in Loop: Header=BB174_4 Depth=1
	s_or_b64 exec, exec, s[0:1]
	s_add_u32 s20, s20, s42
	v_mov_b32_e32 v1, s16
	s_addc_u32 s21, s21, 0
	v_mov_b32_e32 v2, s17
	v_cmp_ge_i64_e32 vcc, s[20:21], v[1:2]
	s_cbranch_vccnz .LBB174_156
.LBB174_4:                              ; =>This Loop Header: Depth=1
                                        ;     Child Loop BB174_23 Depth 2
                                        ;     Child Loop BB174_57 Depth 2
	;; [unrolled: 1-line block ×4, first 2 shown]
	v_mov_b32_e32 v1, s21
	v_add_co_u32_e32 v13, vcc, s20, v0
	v_addc_co_u32_e32 v14, vcc, 0, v1, vcc
	v_cmp_gt_u64_e64 s[0:1], s[18:19], v[13:14]
	v_lshlrev_b64 v[1:2], 3, v[13:14]
	v_mov_b32_e32 v8, 0
	v_mov_b32_e32 v7, 0
	s_and_saveexec_b64 s[2:3], s[0:1]
	s_cbranch_execz .LBB174_6
; %bb.5:                                ;   in Loop: Header=BB174_4 Depth=1
	v_mov_b32_e32 v4, s38
	v_add_co_u32_e32 v3, vcc, s33, v1
	v_addc_co_u32_e32 v4, vcc, v4, v2, vcc
	global_load_dwordx2 v[7:8], v[3:4], off
.LBB174_6:                              ;   in Loop: Header=BB174_4 Depth=1
	s_or_b64 exec, exec, s[2:3]
	v_add_co_u32_e32 v5, vcc, s39, v13
	v_addc_co_u32_e32 v6, vcc, 0, v14, vcc
	v_cmp_gt_u64_e64 s[2:3], s[18:19], v[5:6]
	v_lshlrev_b64 v[5:6], 3, v[5:6]
	v_mov_b32_e32 v4, 0
	v_mov_b32_e32 v12, 0
	;; [unrolled: 1-line block ×3, first 2 shown]
	s_and_saveexec_b64 s[6:7], s[2:3]
	s_cbranch_execz .LBB174_8
; %bb.7:                                ;   in Loop: Header=BB174_4 Depth=1
	v_mov_b32_e32 v3, s38
	v_add_co_u32_e32 v9, vcc, s33, v5
	v_addc_co_u32_e32 v10, vcc, v3, v6, vcc
	global_load_dwordx2 v[11:12], v[9:10], off
.LBB174_8:                              ;   in Loop: Header=BB174_4 Depth=1
	s_or_b64 exec, exec, s[6:7]
	v_add_co_u32_e32 v9, vcc, s40, v13
	v_addc_co_u32_e32 v10, vcc, 0, v14, vcc
	v_cmp_gt_u64_e64 s[6:7], s[18:19], v[9:10]
	v_lshlrev_b64 v[9:10], 3, v[9:10]
	v_mov_b32_e32 v3, 0
	s_and_saveexec_b64 s[8:9], s[6:7]
	s_cbranch_execz .LBB174_10
; %bb.9:                                ;   in Loop: Header=BB174_4 Depth=1
	v_mov_b32_e32 v4, s38
	v_add_co_u32_e32 v3, vcc, s33, v9
	v_addc_co_u32_e32 v4, vcc, v4, v10, vcc
	global_load_dwordx2 v[3:4], v[3:4], off
.LBB174_10:                             ;   in Loop: Header=BB174_4 Depth=1
	s_or_b64 exec, exec, s[8:9]
	v_add_co_u32_e32 v13, vcc, s41, v13
	v_addc_co_u32_e32 v14, vcc, 0, v14, vcc
	v_cmp_gt_u64_e64 s[8:9], s[18:19], v[13:14]
	v_lshlrev_b64 v[13:14], 3, v[13:14]
	v_mov_b32_e32 v16, 0
	v_mov_b32_e32 v15, 0
	s_and_saveexec_b64 s[10:11], s[8:9]
	s_cbranch_execz .LBB174_12
; %bb.11:                               ;   in Loop: Header=BB174_4 Depth=1
	v_mov_b32_e32 v16, s38
	v_add_co_u32_e32 v15, vcc, s33, v13
	v_addc_co_u32_e32 v16, vcc, v16, v14, vcc
	global_load_dwordx2 v[15:16], v[15:16], off
.LBB174_12:                             ;   in Loop: Header=BB174_4 Depth=1
	s_or_b64 exec, exec, s[10:11]
	s_waitcnt vmcnt(0)
	v_cmp_o_f32_e32 vcc, v8, v7
                                        ; implicit-def: $vgpr17
                                        ; implicit-def: $vgpr18
	s_and_saveexec_b64 s[10:11], vcc
	s_xor_b64 s[22:23], exec, s[10:11]
	s_cbranch_execz .LBB174_40
; %bb.13:                               ;   in Loop: Header=BB174_4 Depth=1
	v_cmp_lt_f32_e64 s[10:11], |v7|, |v8|
	v_cndmask_b32_e64 v33, |v8|, |v7|, s[10:11]
	v_cmp_nlt_f32_e32 vcc, s44, v33
                                        ; implicit-def: $vgpr17
                                        ; implicit-def: $vgpr18
	s_and_saveexec_b64 s[12:13], vcc
	s_xor_b64 s[24:25], exec, s[12:13]
	s_cbranch_execz .LBB174_37
; %bb.14:                               ;   in Loop: Header=BB174_4 Depth=1
	v_and_b32_e32 v17, 0x7fffffff, v8
	v_cndmask_b32_e64 v34, |v7|, v17, s[10:11]
	v_cmp_neq_f32_e32 vcc, 1.0, v34
                                        ; implicit-def: $vgpr17
                                        ; implicit-def: $vgpr18
	s_and_saveexec_b64 s[12:13], vcc
	s_xor_b64 s[26:27], exec, s[12:13]
	s_cbranch_execz .LBB174_30
; %bb.15:                               ;   in Loop: Header=BB174_4 Depth=1
	v_max_f32_e32 v17, v33, v33
	v_max_f32_e32 v18, v34, v34
	v_min_f32_e32 v35, v18, v17
	v_max_f32_e32 v17, v18, v17
	v_cmp_ngt_f32_e32 vcc, s45, v35
	v_cmp_nlt_f32_e64 s[12:13], s46, v17
	s_and_b64 s[12:13], s[12:13], vcc
                                        ; implicit-def: $vgpr17
                                        ; implicit-def: $vgpr18
	s_and_saveexec_b64 s[28:29], s[12:13]
	s_xor_b64 s[28:29], exec, s[28:29]
	s_cbranch_execz .LBB174_27
; %bb.16:                               ;   in Loop: Header=BB174_4 Depth=1
	v_cmp_le_f32_e32 vcc, 1.0, v34
                                        ; implicit-def: $vgpr17
                                        ; implicit-def: $vgpr18
	s_and_saveexec_b64 s[12:13], vcc
	s_xor_b64 s[30:31], exec, s[12:13]
	s_cbranch_execz .LBB174_18
; %bb.17:                               ;   in Loop: Header=BB174_4 Depth=1
	v_add_f32_e32 v17, -1.0, v34
	v_add_f32_e32 v18, 1.0, v34
	v_mul_f32_e32 v34, v17, v18
	v_fmac_f32_e32 v34, v33, v33
	v_add_f32_e32 v33, 1.0, v34
	v_cvt_f64_f32_e32 v[17:18], v33
	v_add_f32_e32 v35, -1.0, v33
	v_sub_f32_e32 v36, v35, v33
	v_sub_f32_e32 v35, v34, v35
	v_frexp_exp_i32_f64_e32 v17, v[17:18]
	v_frexp_mant_f32_e32 v18, v33
	v_cmp_gt_f32_e32 vcc, s47, v18
	v_add_f32_e32 v36, 1.0, v36
	v_add_f32_e32 v35, v35, v36
	v_cmp_gt_i32_e64 s[12:13], 0, v7
	v_cmp_class_f32_e64 s[34:35], v8, s51
	v_subbrev_co_u32_e32 v17, vcc, 0, v17, vcc
	v_sub_u32_e32 v18, 0, v17
	v_ldexp_f32 v33, v33, v18
	v_ldexp_f32 v18, v35, v18
	v_add_f32_e32 v35, -1.0, v33
	v_add_f32_e32 v38, 1.0, v33
	v_add_f32_e32 v36, 1.0, v35
	v_add_f32_e32 v39, -1.0, v38
	v_sub_f32_e32 v36, v33, v36
	v_sub_f32_e32 v33, v33, v39
	v_add_f32_e32 v36, v18, v36
	v_add_f32_e32 v18, v18, v33
	;; [unrolled: 1-line block ×3, first 2 shown]
	v_rcp_f32_e32 v39, v33
	v_add_f32_e32 v37, v35, v36
	v_sub_f32_e32 v35, v37, v35
	v_sub_f32_e32 v35, v36, v35
	;; [unrolled: 1-line block ×4, first 2 shown]
	v_mul_f32_e32 v36, v37, v39
	v_mul_f32_e32 v38, v33, v36
	v_fma_f32 v40, v36, v33, -v38
	v_fmac_f32_e32 v40, v36, v18
	v_add_f32_e32 v41, v38, v40
	v_sub_f32_e32 v42, v37, v41
	v_sub_f32_e32 v37, v37, v42
	;; [unrolled: 1-line block ×4, first 2 shown]
	v_add_f32_e32 v35, v35, v37
	v_sub_f32_e32 v37, v38, v40
	v_add_f32_e32 v35, v37, v35
	v_add_f32_e32 v37, v42, v35
	v_mul_f32_e32 v38, v39, v37
	v_mul_f32_e32 v40, v33, v38
	v_fma_f32 v33, v38, v33, -v40
	v_fmac_f32_e32 v33, v38, v18
	v_sub_f32_e32 v18, v42, v37
	v_add_f32_e32 v18, v35, v18
	v_add_f32_e32 v35, v40, v33
	v_sub_f32_e32 v41, v37, v35
	v_sub_f32_e32 v37, v37, v41
	;; [unrolled: 1-line block ×4, first 2 shown]
	v_add_f32_e32 v18, v18, v35
	v_sub_f32_e32 v33, v40, v33
	v_cvt_f32_i32_e32 v17, v17
	v_add_f32_e32 v18, v33, v18
	v_add_f32_e32 v33, v36, v38
	;; [unrolled: 1-line block ×3, first 2 shown]
	v_sub_f32_e32 v35, v33, v36
	v_mul_f32_e32 v18, v39, v18
	v_sub_f32_e32 v35, v38, v35
	v_add_f32_e32 v18, v35, v18
	v_mul_f32_e32 v38, 0x3f317218, v17
	v_add_f32_e32 v35, v33, v18
	v_fma_f32 v39, v17, s48, -v38
	v_mul_f32_e32 v36, v35, v35
	v_mov_b32_e32 v37, 0x3ecc95a3
	v_fmac_f32_e32 v39, 0xb102e308, v17
	v_sub_f32_e32 v17, v35, v33
	v_fmac_f32_e32 v37, 0x3e9b6dac, v36
	v_sub_f32_e32 v17, v18, v17
	v_add_f32_e32 v18, v38, v39
	v_fma_f32 v37, v36, v37, v19
	v_sub_f32_e32 v33, v18, v38
	v_ldexp_f32 v38, v35, 1
	v_mul_f32_e32 v35, v35, v36
	v_mul_f32_e32 v35, v35, v37
	v_add_f32_e32 v36, v38, v35
	v_sub_f32_e32 v37, v36, v38
	v_ldexp_f32 v17, v17, 1
	v_sub_f32_e32 v35, v35, v37
	v_add_f32_e32 v17, v17, v35
	v_add_f32_e32 v35, v36, v17
	v_sub_f32_e32 v36, v35, v36
	v_sub_f32_e32 v17, v17, v36
	v_add_f32_e32 v36, v18, v35
	v_sub_f32_e32 v37, v36, v18
	v_sub_f32_e32 v38, v36, v37
	;; [unrolled: 1-line block ×5, first 2 shown]
	v_add_f32_e32 v18, v35, v18
	v_add_f32_e32 v35, v33, v17
	v_sub_f32_e32 v37, v35, v33
	v_sub_f32_e32 v38, v35, v37
	;; [unrolled: 1-line block ×4, first 2 shown]
	v_add_f32_e32 v18, v35, v18
	v_add_f32_e32 v17, v17, v33
	;; [unrolled: 1-line block ×3, first 2 shown]
	v_sub_f32_e32 v35, v33, v36
	v_sub_f32_e32 v18, v18, v35
	v_add_f32_e32 v17, v17, v18
	v_add_f32_e32 v17, v33, v17
	v_cmp_neq_f32_e32 vcc, s49, v34
	v_cndmask_b32_e32 v17, v26, v17, vcc
	v_cmp_ngt_f32_e32 vcc, -1.0, v34
	v_cndmask_b32_e32 v17, v27, v17, vcc
	v_cmp_neq_f32_e32 vcc, -1.0, v34
	v_cndmask_b32_e32 v17, v28, v17, vcc
	v_cmp_lt_f32_e64 vcc, |v34|, s50
	v_max_f32_e64 v18, |v8|, |v8|
	v_max_f32_e64 v33, |v7|, |v7|
	v_cndmask_b32_e32 v17, v17, v34, vcc
	v_min_f32_e32 v34, v33, v18
	v_max_f32_e32 v18, v33, v18
	v_frexp_mant_f32_e32 v33, v18
	v_rcp_f32_e32 v33, v33
	v_frexp_exp_i32_f32_e32 v18, v18
	v_frexp_exp_i32_f32_e32 v35, v34
	v_frexp_mant_f32_e32 v34, v34
	v_mul_f32_e32 v33, v34, v33
	v_sub_u32_e32 v18, v35, v18
	v_ldexp_f32 v18, v33, v18
	v_mul_f32_e32 v33, v18, v18
	v_mov_b32_e32 v34, 0xbc7a590c
	v_fmac_f32_e32 v34, 0x3b2d2a58, v33
	v_fma_f32 v34, v33, v34, v20
	v_fma_f32 v34, v33, v34, v21
	v_fma_f32 v34, v33, v34, v22
	v_fma_f32 v34, v33, v34, v23
	v_fma_f32 v34, v33, v34, v24
	v_fma_f32 v34, v33, v34, v25
	v_mul_f32_e32 v33, v33, v34
	v_fmac_f32_e32 v18, v18, v33
	v_sub_f32_e32 v33, 0x3fc90fdb, v18
	v_cndmask_b32_e64 v18, v18, v33, s[10:11]
	v_sub_f32_e32 v33, 0x40490fdb, v18
	v_cmp_gt_f32_e32 vcc, 0, v7
	v_cndmask_b32_e32 v18, v18, v33, vcc
	v_cndmask_b32_e64 v33, 0, v29, s[12:13]
	v_cmp_eq_f32_e64 s[12:13], 0, v8
	v_cndmask_b32_e64 v18, v18, v33, s[12:13]
	v_cmp_class_f32_e64 s[12:13], v7, s51
	v_cndmask_b32_e32 v33, v30, v31, vcc
	s_and_b64 vcc, s[34:35], s[12:13]
	v_mul_f32_e32 v17, 0.5, v17
	v_cndmask_b32_e32 v18, v18, v33, vcc
                                        ; implicit-def: $vgpr33
                                        ; implicit-def: $vgpr34
.LBB174_18:                             ;   in Loop: Header=BB174_4 Depth=1
	s_andn2_saveexec_b64 s[30:31], s[30:31]
	s_cbranch_execz .LBB174_26
; %bb.19:                               ;   in Loop: Header=BB174_4 Depth=1
	v_mul_f32_e32 v35, v33, v33
	v_fmac_f32_e32 v35, v34, v34
	v_cmp_ge_f32_e32 vcc, s52, v35
                                        ; implicit-def: $vgpr17
                                        ; implicit-def: $vgpr18
	s_and_saveexec_b64 s[12:13], vcc
	s_xor_b64 s[34:35], exec, s[12:13]
	s_cbranch_execz .LBB174_21
; %bb.20:                               ;   in Loop: Header=BB174_4 Depth=1
	v_cmp_gt_f32_e32 vcc, s53, v35
	v_cndmask_b32_e64 v17, 0, 32, vcc
	v_ldexp_f32 v17, v35, v17
	v_log_f32_e32 v17, v17
	v_cndmask_b32_e32 v18, 0, v32, vcc
	v_cmp_gt_i32_e64 s[12:13], 0, v7
	v_cmp_class_f32_e64 s[36:37], v8, s51
	v_mul_f32_e32 v33, 0x3f317217, v17
	v_fma_f32 v33, v17, s54, -v33
	v_fmac_f32_e32 v33, 0x3377d1cf, v17
	v_fmac_f32_e32 v33, 0x3f317217, v17
	v_cmp_lt_f32_e64 vcc, |v17|, s49
	v_cndmask_b32_e32 v17, v17, v33, vcc
	v_sub_f32_e32 v17, v17, v18
	v_max_f32_e64 v18, |v8|, |v8|
	v_max_f32_e64 v33, |v7|, |v7|
	v_min_f32_e32 v34, v33, v18
	v_max_f32_e32 v18, v33, v18
	v_frexp_mant_f32_e32 v33, v18
	v_rcp_f32_e32 v33, v33
	v_frexp_exp_i32_f32_e32 v18, v18
	v_frexp_exp_i32_f32_e32 v35, v34
	v_frexp_mant_f32_e32 v34, v34
	v_mul_f32_e32 v33, v34, v33
	v_sub_u32_e32 v18, v35, v18
	v_ldexp_f32 v18, v33, v18
	v_mul_f32_e32 v33, v18, v18
	v_mov_b32_e32 v34, 0xbc7a590c
	v_fmac_f32_e32 v34, 0x3b2d2a58, v33
	v_fma_f32 v34, v33, v34, v20
	v_fma_f32 v34, v33, v34, v21
	;; [unrolled: 1-line block ×6, first 2 shown]
	v_mul_f32_e32 v33, v33, v34
	v_fmac_f32_e32 v18, v18, v33
	v_sub_f32_e32 v33, 0x3fc90fdb, v18
	v_cndmask_b32_e64 v18, v18, v33, s[10:11]
	v_sub_f32_e32 v33, 0x40490fdb, v18
	v_cmp_gt_f32_e32 vcc, 0, v7
	v_cndmask_b32_e32 v18, v18, v33, vcc
	v_cndmask_b32_e64 v33, 0, v29, s[12:13]
	v_cmp_eq_f32_e64 s[12:13], 0, v8
	v_cndmask_b32_e64 v18, v18, v33, s[12:13]
	v_cmp_class_f32_e64 s[12:13], v7, s51
	v_cndmask_b32_e32 v33, v30, v31, vcc
	s_and_b64 vcc, s[36:37], s[12:13]
	v_mul_f32_e32 v17, 0.5, v17
	v_cndmask_b32_e32 v18, v18, v33, vcc
                                        ; implicit-def: $vgpr34
                                        ; implicit-def: $vgpr33
.LBB174_21:                             ;   in Loop: Header=BB174_4 Depth=1
	s_andn2_saveexec_b64 s[34:35], s[34:35]
	s_cbranch_execz .LBB174_25
; %bb.22:                               ;   in Loop: Header=BB174_4 Depth=1
	v_and_b32_e32 v35, 0x7fff0000, v34
	v_sub_f32_e32 v17, v34, v35
	v_and_b32_e32 v39, 0xffff0000, v17
	v_and_b32_e32 v34, 0x7fff0000, v33
	v_sub_f32_e32 v41, v17, v39
	v_sub_f32_e32 v17, v33, v34
	v_and_b32_e32 v40, 0xffff0000, v17
	v_add_f32_e32 v36, v35, v35
	v_add_f32_e32 v43, v34, v34
	v_sub_f32_e32 v42, v17, v40
	v_mul_f32_e32 v17, v35, v35
	v_mul_f32_e32 v18, v34, v34
	;; [unrolled: 1-line block ×6, first 2 shown]
	v_add_f32_e32 v39, v39, v39
	v_add_f32_e32 v40, v40, v40
	v_mul_f32_e32 v37, v36, v41
	v_mul_f32_e32 v36, v43, v42
	;; [unrolled: 1-line block ×6, first 2 shown]
	s_mov_b64 s[36:37], 0
.LBB174_23:                             ;   Parent Loop BB174_4 Depth=1
                                        ; =>  This Inner Loop Header: Depth=2
	v_cmp_nlt_f32_e32 vcc, v17, v18
	v_mov_b32_e32 v43, v42
	v_cndmask_b32_e32 v42, v17, v18, vcc
	v_cmp_nlt_f32_e64 s[12:13], v42, v35
	v_cndmask_b32_e64 v44, v42, v35, s[12:13]
	v_cndmask_b32_e32 v17, v18, v17, vcc
	s_and_b64 s[58:59], vcc, s[12:13]
	v_cmp_nlt_f32_e32 vcc, v44, v34
	v_cndmask_b32_e64 v18, v35, v42, s[12:13]
	v_cndmask_b32_e32 v42, v44, v34, vcc
	v_cmp_nlt_f32_e64 s[12:13], v42, v38
	v_cndmask_b32_e32 v35, v34, v44, vcc
	v_cndmask_b32_e64 v44, v42, v38, s[12:13]
	s_and_b64 s[60:61], vcc, s[12:13]
	v_cmp_nlt_f32_e32 vcc, v44, v33
	v_cndmask_b32_e64 v34, v38, v42, s[12:13]
	v_cndmask_b32_e32 v42, v44, v33, vcc
	v_cmp_nlt_f32_e64 s[12:13], v42, v37
	v_cndmask_b32_e32 v38, v33, v44, vcc
	v_cndmask_b32_e64 v44, v42, v37, s[12:13]
	v_cndmask_b32_e64 v33, v37, v42, s[12:13]
	s_and_b64 s[12:13], vcc, s[12:13]
	v_cmp_nlt_f32_e32 vcc, v44, v36
	v_cndmask_b32_e32 v42, v44, v36, vcc
	v_cndmask_b32_e32 v37, v36, v44, vcc
	s_and_b64 s[12:13], s[12:13], vcc
	v_cmp_nlt_f32_e32 vcc, v42, v39
	v_cndmask_b32_e32 v44, v42, v39, vcc
	v_cndmask_b32_e32 v36, v39, v42, vcc
	s_and_b64 s[12:13], s[12:13], vcc
	;; [unrolled: 4-line block ×4, first 2 shown]
	v_cmp_nlt_f32_e32 vcc, v44, v43
	s_and_b64 s[12:13], s[12:13], vcc
	s_and_b64 s[12:13], s[12:13], s[60:61]
	s_and_b64 s[12:13], s[12:13], s[58:59]
	s_and_b64 s[12:13], exec, s[12:13]
	v_cndmask_b32_e32 v42, v44, v43, vcc
	s_or_b64 s[36:37], s[12:13], s[36:37]
	v_cndmask_b32_e32 v41, v43, v44, vcc
	s_andn2_b64 exec, exec, s[36:37]
	s_cbranch_execnz .LBB174_23
; %bb.24:                               ;   in Loop: Header=BB174_4 Depth=1
	s_or_b64 exec, exec, s[36:37]
	v_add_f32_e32 v17, -1.0, v17
	v_add_f32_e32 v17, v17, v18
	v_add_f32_e32 v17, v17, v35
	;; [unrolled: 1-line block ×11, first 2 shown]
	v_add_f32_e32 v34, 1.0, v33
	v_cvt_f64_f32_e32 v[17:18], v34
	v_add_f32_e32 v35, -1.0, v34
	v_sub_f32_e32 v36, v35, v34
	v_sub_f32_e32 v35, v33, v35
	v_frexp_exp_i32_f64_e32 v17, v[17:18]
	v_frexp_mant_f32_e32 v18, v34
	v_cmp_gt_f32_e32 vcc, s47, v18
	v_add_f32_e32 v36, 1.0, v36
	v_add_f32_e32 v35, v35, v36
	v_cmp_gt_i32_e64 s[12:13], 0, v7
	v_cmp_class_f32_e64 s[36:37], v8, s51
	v_subbrev_co_u32_e32 v17, vcc, 0, v17, vcc
	v_sub_u32_e32 v18, 0, v17
	v_ldexp_f32 v34, v34, v18
	v_ldexp_f32 v18, v35, v18
	v_add_f32_e32 v35, -1.0, v34
	v_add_f32_e32 v36, 1.0, v34
	v_add_f32_e32 v37, 1.0, v35
	v_add_f32_e32 v39, -1.0, v36
	v_sub_f32_e32 v37, v34, v37
	v_sub_f32_e32 v34, v34, v39
	v_add_f32_e32 v37, v18, v37
	v_add_f32_e32 v18, v18, v34
	;; [unrolled: 1-line block ×3, first 2 shown]
	v_rcp_f32_e32 v39, v34
	v_add_f32_e32 v38, v35, v37
	v_sub_f32_e32 v36, v34, v36
	v_sub_f32_e32 v35, v38, v35
	;; [unrolled: 1-line block ×3, first 2 shown]
	v_mul_f32_e32 v36, v38, v39
	v_sub_f32_e32 v35, v37, v35
	v_mul_f32_e32 v37, v34, v36
	v_fma_f32 v40, v36, v34, -v37
	v_fmac_f32_e32 v40, v36, v18
	v_add_f32_e32 v41, v37, v40
	v_sub_f32_e32 v42, v38, v41
	v_sub_f32_e32 v38, v38, v42
	;; [unrolled: 1-line block ×4, first 2 shown]
	v_add_f32_e32 v35, v35, v38
	v_sub_f32_e32 v37, v37, v40
	v_add_f32_e32 v35, v37, v35
	v_add_f32_e32 v37, v42, v35
	v_mul_f32_e32 v38, v39, v37
	v_mul_f32_e32 v40, v34, v38
	v_fma_f32 v34, v38, v34, -v40
	v_fmac_f32_e32 v34, v38, v18
	v_sub_f32_e32 v18, v42, v37
	v_add_f32_e32 v18, v35, v18
	v_add_f32_e32 v35, v40, v34
	v_sub_f32_e32 v41, v37, v35
	v_sub_f32_e32 v37, v37, v41
	;; [unrolled: 1-line block ×4, first 2 shown]
	v_add_f32_e32 v18, v18, v35
	v_sub_f32_e32 v34, v40, v34
	v_cvt_f32_i32_e32 v17, v17
	v_add_f32_e32 v18, v34, v18
	v_add_f32_e32 v34, v36, v38
	;; [unrolled: 1-line block ×3, first 2 shown]
	v_sub_f32_e32 v35, v34, v36
	v_mul_f32_e32 v18, v39, v18
	v_sub_f32_e32 v35, v38, v35
	v_add_f32_e32 v18, v35, v18
	v_mul_f32_e32 v38, 0x3f317218, v17
	v_add_f32_e32 v35, v34, v18
	v_fma_f32 v39, v17, s48, -v38
	v_mul_f32_e32 v36, v35, v35
	v_mov_b32_e32 v37, 0x3ecc95a3
	v_fmac_f32_e32 v39, 0xb102e308, v17
	v_sub_f32_e32 v17, v35, v34
	v_fmac_f32_e32 v37, 0x3e9b6dac, v36
	v_sub_f32_e32 v17, v18, v17
	v_add_f32_e32 v18, v38, v39
	v_fma_f32 v37, v36, v37, v19
	v_sub_f32_e32 v34, v18, v38
	v_ldexp_f32 v38, v35, 1
	v_mul_f32_e32 v35, v35, v36
	v_mul_f32_e32 v35, v35, v37
	v_add_f32_e32 v36, v38, v35
	v_sub_f32_e32 v37, v36, v38
	v_ldexp_f32 v17, v17, 1
	v_sub_f32_e32 v35, v35, v37
	v_add_f32_e32 v17, v17, v35
	v_add_f32_e32 v35, v36, v17
	v_sub_f32_e32 v36, v35, v36
	v_sub_f32_e32 v17, v17, v36
	v_add_f32_e32 v36, v18, v35
	v_sub_f32_e32 v37, v36, v18
	v_sub_f32_e32 v38, v36, v37
	;; [unrolled: 1-line block ×5, first 2 shown]
	v_add_f32_e32 v18, v35, v18
	v_add_f32_e32 v35, v34, v17
	v_sub_f32_e32 v37, v35, v34
	v_sub_f32_e32 v38, v35, v37
	;; [unrolled: 1-line block ×4, first 2 shown]
	v_add_f32_e32 v18, v35, v18
	v_add_f32_e32 v17, v17, v34
	;; [unrolled: 1-line block ×3, first 2 shown]
	v_sub_f32_e32 v35, v34, v36
	v_sub_f32_e32 v18, v18, v35
	v_add_f32_e32 v17, v17, v18
	v_add_f32_e32 v17, v34, v17
	v_cmp_neq_f32_e32 vcc, s49, v33
	v_cndmask_b32_e32 v17, v26, v17, vcc
	v_cmp_ngt_f32_e32 vcc, -1.0, v33
	v_cndmask_b32_e32 v17, v27, v17, vcc
	v_cmp_neq_f32_e32 vcc, -1.0, v33
	v_cndmask_b32_e32 v17, v28, v17, vcc
	v_cmp_lt_f32_e64 vcc, |v33|, s50
	v_cndmask_b32_e32 v17, v17, v33, vcc
	v_max_f32_e64 v18, |v8|, |v8|
	v_max_f32_e64 v33, |v7|, |v7|
	v_min_f32_e32 v34, v33, v18
	v_max_f32_e32 v18, v33, v18
	v_frexp_mant_f32_e32 v33, v18
	v_rcp_f32_e32 v33, v33
	v_frexp_exp_i32_f32_e32 v18, v18
	v_frexp_exp_i32_f32_e32 v35, v34
	v_frexp_mant_f32_e32 v34, v34
	v_mul_f32_e32 v33, v34, v33
	v_sub_u32_e32 v18, v35, v18
	v_ldexp_f32 v18, v33, v18
	v_mul_f32_e32 v33, v18, v18
	v_mov_b32_e32 v34, 0xbc7a590c
	v_fmac_f32_e32 v34, 0x3b2d2a58, v33
	v_fma_f32 v34, v33, v34, v20
	v_fma_f32 v34, v33, v34, v21
	;; [unrolled: 1-line block ×6, first 2 shown]
	v_mul_f32_e32 v33, v33, v34
	v_fmac_f32_e32 v18, v18, v33
	v_sub_f32_e32 v33, 0x3fc90fdb, v18
	v_cndmask_b32_e64 v18, v18, v33, s[10:11]
	v_sub_f32_e32 v33, 0x40490fdb, v18
	v_cmp_gt_f32_e32 vcc, 0, v7
	v_cndmask_b32_e32 v18, v18, v33, vcc
	v_cndmask_b32_e64 v33, 0, v29, s[12:13]
	v_cmp_eq_f32_e64 s[12:13], 0, v8
	v_cndmask_b32_e64 v18, v18, v33, s[12:13]
	v_cmp_class_f32_e64 s[12:13], v7, s51
	v_cndmask_b32_e32 v33, v30, v31, vcc
	s_and_b64 vcc, s[36:37], s[12:13]
	v_mul_f32_e32 v17, 0.5, v17
	v_cndmask_b32_e32 v18, v18, v33, vcc
.LBB174_25:                             ;   in Loop: Header=BB174_4 Depth=1
	s_or_b64 exec, exec, s[34:35]
.LBB174_26:                             ;   in Loop: Header=BB174_4 Depth=1
	s_or_b64 exec, exec, s[30:31]
.LBB174_27:                             ;   in Loop: Header=BB174_4 Depth=1
	s_andn2_saveexec_b64 s[28:29], s[28:29]
	s_cbranch_execz .LBB174_29
; %bb.28:                               ;   in Loop: Header=BB174_4 Depth=1
	v_max_f32_e64 v33, |v8|, |v8|
	v_max_f32_e64 v34, |v7|, |v7|
	v_max_f32_e32 v35, v34, v33
	v_cvt_f64_f32_e32 v[17:18], v35
	v_cmp_neq_f32_e32 vcc, s49, v35
	v_cmp_gt_i32_e64 s[12:13], 0, v7
	v_cmp_class_f32_e64 s[30:31], v8, s51
	v_frexp_exp_i32_f64_e32 v17, v[17:18]
	v_min_f32_e32 v18, v34, v33
	v_frexp_mant_f32_e32 v34, v35
	v_rcp_f32_e32 v34, v34
	v_frexp_exp_i32_f32_e32 v36, v18
	v_frexp_mant_f32_e32 v18, v18
	v_frexp_exp_i32_f32_e32 v33, v35
	v_mul_f32_e32 v18, v18, v34
	v_sub_u32_e32 v37, 0, v17
	v_ldexp_f32 v38, |v7|, v37
	v_ldexp_f32 v37, |v8|, v37
	v_mul_f32_e32 v37, v37, v37
	v_fmac_f32_e32 v37, v38, v38
	v_sqrt_f32_e32 v37, v37
	v_sub_u32_e32 v33, v36, v33
	v_ldexp_f32 v18, v18, v33
	v_mul_f32_e32 v33, v18, v18
	v_ldexp_f32 v17, v37, v17
	v_cndmask_b32_e32 v17, v26, v17, vcc
	v_cmp_gt_f32_e32 vcc, s53, v17
	v_cndmask_b32_e64 v34, 0, 32, vcc
	v_ldexp_f32 v17, v17, v34
	v_log_f32_e32 v17, v17
	v_cndmask_b32_e32 v34, 0, v32, vcc
	v_mul_f32_e32 v35, 0x3f317217, v17
	v_fma_f32 v35, v17, s54, -v35
	v_fmac_f32_e32 v35, 0x3377d1cf, v17
	v_fmac_f32_e32 v35, 0x3f317217, v17
	v_cmp_lt_f32_e64 vcc, |v17|, s49
	v_cndmask_b32_e32 v17, v17, v35, vcc
	v_sub_f32_e32 v17, v17, v34
	v_mov_b32_e32 v34, 0xbc7a590c
	v_fmac_f32_e32 v34, 0x3b2d2a58, v33
	v_fma_f32 v34, v33, v34, v20
	v_fma_f32 v34, v33, v34, v21
	;; [unrolled: 1-line block ×6, first 2 shown]
	v_mul_f32_e32 v33, v33, v34
	v_fmac_f32_e32 v18, v18, v33
	v_sub_f32_e32 v33, 0x3fc90fdb, v18
	v_cndmask_b32_e64 v18, v18, v33, s[10:11]
	v_sub_f32_e32 v33, 0x40490fdb, v18
	v_cmp_gt_f32_e32 vcc, 0, v7
	v_cndmask_b32_e32 v18, v18, v33, vcc
	v_cndmask_b32_e64 v33, 0, v29, s[12:13]
	v_cmp_eq_f32_e64 s[12:13], 0, v8
	v_cndmask_b32_e64 v18, v18, v33, s[12:13]
	v_cmp_class_f32_e64 s[12:13], v7, s51
	v_cndmask_b32_e32 v33, v30, v31, vcc
	s_and_b64 vcc, s[30:31], s[12:13]
	v_cndmask_b32_e32 v18, v18, v33, vcc
.LBB174_29:                             ;   in Loop: Header=BB174_4 Depth=1
	s_or_b64 exec, exec, s[28:29]
                                        ; implicit-def: $vgpr33
.LBB174_30:                             ;   in Loop: Header=BB174_4 Depth=1
	s_andn2_saveexec_b64 s[26:27], s[26:27]
	s_cbranch_execz .LBB174_36
; %bb.31:                               ;   in Loop: Header=BB174_4 Depth=1
	v_cmp_ngt_f32_e32 vcc, s55, v33
                                        ; implicit-def: $vgpr17
                                        ; implicit-def: $vgpr18
	s_and_saveexec_b64 s[12:13], vcc
	s_xor_b64 s[28:29], exec, s[12:13]
	s_cbranch_execz .LBB174_33
; %bb.32:                               ;   in Loop: Header=BB174_4 Depth=1
	v_mul_f32_e32 v33, v33, v33
	v_add_f32_e32 v34, 1.0, v33
	v_cvt_f64_f32_e32 v[17:18], v34
	v_add_f32_e32 v35, -1.0, v34
	v_sub_f32_e32 v36, v35, v34
	v_sub_f32_e32 v35, v33, v35
	v_frexp_exp_i32_f64_e32 v17, v[17:18]
	v_frexp_mant_f32_e32 v18, v34
	v_cmp_gt_f32_e32 vcc, s47, v18
	v_add_f32_e32 v36, 1.0, v36
	v_add_f32_e32 v35, v35, v36
	v_cmp_gt_i32_e64 s[12:13], 0, v7
	v_cmp_class_f32_e64 s[30:31], v8, s51
	v_subbrev_co_u32_e32 v17, vcc, 0, v17, vcc
	v_sub_u32_e32 v18, 0, v17
	v_ldexp_f32 v34, v34, v18
	v_ldexp_f32 v18, v35, v18
	v_add_f32_e32 v35, -1.0, v34
	v_add_f32_e32 v36, 1.0, v34
	v_add_f32_e32 v37, 1.0, v35
	v_add_f32_e32 v39, -1.0, v36
	v_sub_f32_e32 v37, v34, v37
	v_sub_f32_e32 v34, v34, v39
	v_add_f32_e32 v37, v18, v37
	v_add_f32_e32 v18, v18, v34
	v_add_f32_e32 v34, v36, v18
	v_rcp_f32_e32 v39, v34
	v_add_f32_e32 v38, v35, v37
	v_sub_f32_e32 v36, v36, v34
	v_sub_f32_e32 v35, v35, v38
	v_add_f32_e32 v18, v18, v36
	v_mul_f32_e32 v36, v38, v39
	v_add_f32_e32 v35, v37, v35
	v_mul_f32_e32 v37, v34, v36
	v_fma_f32 v40, v36, v34, -v37
	v_fmac_f32_e32 v40, v36, v18
	v_add_f32_e32 v41, v37, v40
	v_sub_f32_e32 v42, v38, v41
	v_sub_f32_e32 v38, v38, v42
	;; [unrolled: 1-line block ×4, first 2 shown]
	v_add_f32_e32 v35, v35, v38
	v_sub_f32_e32 v37, v37, v40
	v_add_f32_e32 v35, v37, v35
	v_add_f32_e32 v37, v42, v35
	v_mul_f32_e32 v38, v39, v37
	v_mul_f32_e32 v40, v34, v38
	v_fma_f32 v34, v38, v34, -v40
	v_fmac_f32_e32 v34, v38, v18
	v_sub_f32_e32 v18, v42, v37
	v_add_f32_e32 v18, v35, v18
	v_add_f32_e32 v35, v40, v34
	v_sub_f32_e32 v41, v37, v35
	v_sub_f32_e32 v37, v37, v41
	;; [unrolled: 1-line block ×4, first 2 shown]
	v_add_f32_e32 v18, v18, v35
	v_sub_f32_e32 v34, v40, v34
	v_cvt_f32_i32_e32 v17, v17
	v_add_f32_e32 v18, v34, v18
	v_add_f32_e32 v34, v36, v38
	;; [unrolled: 1-line block ×3, first 2 shown]
	v_sub_f32_e32 v35, v34, v36
	v_mul_f32_e32 v18, v39, v18
	v_sub_f32_e32 v35, v38, v35
	v_add_f32_e32 v18, v35, v18
	v_mul_f32_e32 v38, 0x3f317218, v17
	v_add_f32_e32 v35, v34, v18
	v_fma_f32 v39, v17, s48, -v38
	v_mul_f32_e32 v36, v35, v35
	v_mov_b32_e32 v37, 0x3ecc95a3
	v_fmac_f32_e32 v39, 0xb102e308, v17
	v_sub_f32_e32 v17, v35, v34
	v_fmac_f32_e32 v37, 0x3e9b6dac, v36
	v_sub_f32_e32 v17, v18, v17
	v_add_f32_e32 v18, v38, v39
	v_fma_f32 v37, v36, v37, v19
	v_sub_f32_e32 v34, v18, v38
	v_ldexp_f32 v38, v35, 1
	v_mul_f32_e32 v35, v35, v36
	v_mul_f32_e32 v35, v35, v37
	v_add_f32_e32 v36, v38, v35
	v_sub_f32_e32 v37, v36, v38
	v_ldexp_f32 v17, v17, 1
	v_sub_f32_e32 v35, v35, v37
	v_add_f32_e32 v17, v17, v35
	v_add_f32_e32 v35, v36, v17
	v_sub_f32_e32 v36, v35, v36
	v_sub_f32_e32 v17, v17, v36
	v_add_f32_e32 v36, v18, v35
	v_sub_f32_e32 v37, v36, v18
	v_sub_f32_e32 v38, v36, v37
	;; [unrolled: 1-line block ×5, first 2 shown]
	v_add_f32_e32 v18, v35, v18
	v_add_f32_e32 v35, v34, v17
	v_sub_f32_e32 v37, v35, v34
	v_sub_f32_e32 v38, v35, v37
	;; [unrolled: 1-line block ×4, first 2 shown]
	v_add_f32_e32 v18, v35, v18
	v_add_f32_e32 v17, v17, v34
	;; [unrolled: 1-line block ×3, first 2 shown]
	v_sub_f32_e32 v35, v34, v36
	v_sub_f32_e32 v18, v18, v35
	v_add_f32_e32 v17, v17, v18
	v_add_f32_e32 v17, v34, v17
	v_cmp_neq_f32_e32 vcc, s49, v33
	v_cndmask_b32_e32 v17, v26, v17, vcc
	v_cmp_lt_f32_e64 vcc, |v33|, s50
	v_cndmask_b32_e32 v17, v17, v33, vcc
	v_max_f32_e64 v18, |v8|, |v8|
	v_max_f32_e64 v33, |v7|, |v7|
	v_min_f32_e32 v34, v33, v18
	v_max_f32_e32 v18, v33, v18
	v_frexp_mant_f32_e32 v33, v18
	v_rcp_f32_e32 v33, v33
	v_frexp_exp_i32_f32_e32 v18, v18
	v_frexp_exp_i32_f32_e32 v35, v34
	v_frexp_mant_f32_e32 v34, v34
	v_mul_f32_e32 v33, v34, v33
	v_sub_u32_e32 v18, v35, v18
	v_ldexp_f32 v18, v33, v18
	v_mul_f32_e32 v33, v18, v18
	v_mov_b32_e32 v34, 0xbc7a590c
	v_fmac_f32_e32 v34, 0x3b2d2a58, v33
	v_fma_f32 v34, v33, v34, v20
	v_fma_f32 v34, v33, v34, v21
	;; [unrolled: 1-line block ×6, first 2 shown]
	v_mul_f32_e32 v33, v33, v34
	v_fmac_f32_e32 v18, v18, v33
	v_sub_f32_e32 v33, 0x3fc90fdb, v18
	v_cndmask_b32_e64 v18, v18, v33, s[10:11]
	v_sub_f32_e32 v33, 0x40490fdb, v18
	v_cmp_gt_f32_e32 vcc, 0, v7
	v_cndmask_b32_e32 v18, v18, v33, vcc
	v_cndmask_b32_e64 v33, 0, v29, s[12:13]
	v_cmp_eq_f32_e64 s[12:13], 0, v8
	v_cndmask_b32_e64 v18, v18, v33, s[12:13]
	v_cmp_class_f32_e64 s[12:13], v7, s51
	v_cndmask_b32_e32 v33, v30, v31, vcc
	s_and_b64 vcc, s[30:31], s[12:13]
	v_mul_f32_e32 v17, 0.5, v17
	v_cndmask_b32_e32 v18, v18, v33, vcc
                                        ; implicit-def: $vgpr33
.LBB174_33:                             ;   in Loop: Header=BB174_4 Depth=1
	s_andn2_saveexec_b64 s[28:29], s[28:29]
	s_cbranch_execz .LBB174_35
; %bb.34:                               ;   in Loop: Header=BB174_4 Depth=1
	v_mul_f32_e32 v17, 0.5, v33
	v_mul_f32_e32 v17, v33, v17
	v_max_f32_e64 v18, |v8|, |v8|
	v_max_f32_e64 v33, |v7|, |v7|
	v_min_f32_e32 v34, v33, v18
	v_max_f32_e32 v18, v33, v18
	v_frexp_mant_f32_e32 v33, v18
	v_rcp_f32_e32 v33, v33
	v_frexp_exp_i32_f32_e32 v18, v18
	v_frexp_exp_i32_f32_e32 v35, v34
	v_frexp_mant_f32_e32 v34, v34
	v_mul_f32_e32 v33, v34, v33
	v_sub_u32_e32 v18, v35, v18
	v_ldexp_f32 v18, v33, v18
	v_mul_f32_e32 v33, v18, v18
	v_mov_b32_e32 v34, 0xbc7a590c
	v_fmac_f32_e32 v34, 0x3b2d2a58, v33
	v_fma_f32 v34, v33, v34, v20
	v_fma_f32 v34, v33, v34, v21
	;; [unrolled: 1-line block ×6, first 2 shown]
	v_mul_f32_e32 v33, v33, v34
	v_fmac_f32_e32 v18, v18, v33
	v_sub_f32_e32 v33, 0x3fc90fdb, v18
	v_cndmask_b32_e64 v18, v18, v33, s[10:11]
	v_sub_f32_e32 v33, 0x40490fdb, v18
	v_cmp_gt_f32_e32 vcc, 0, v7
	v_cmp_gt_i32_e64 s[12:13], 0, v7
	v_cndmask_b32_e32 v18, v18, v33, vcc
	v_cndmask_b32_e64 v33, 0, v29, s[12:13]
	v_cmp_eq_f32_e64 s[12:13], 0, v8
	v_cndmask_b32_e64 v18, v18, v33, s[12:13]
	v_cmp_class_f32_e64 s[12:13], v7, s51
	v_cmp_class_f32_e64 s[30:31], v8, s51
	v_cndmask_b32_e32 v33, v30, v31, vcc
	s_and_b64 vcc, s[30:31], s[12:13]
	v_cndmask_b32_e32 v18, v18, v33, vcc
.LBB174_35:                             ;   in Loop: Header=BB174_4 Depth=1
	s_or_b64 exec, exec, s[28:29]
.LBB174_36:                             ;   in Loop: Header=BB174_4 Depth=1
	s_or_b64 exec, exec, s[26:27]
.LBB174_37:                             ;   in Loop: Header=BB174_4 Depth=1
	s_andn2_saveexec_b64 s[24:25], s[24:25]
	s_cbranch_execz .LBB174_39
; %bb.38:                               ;   in Loop: Header=BB174_4 Depth=1
	v_div_scale_f32 v17, s[12:13], s56, s56, v7
	v_div_scale_f32 v18, s[12:13], s56, s56, v8
	v_div_scale_f32 v33, vcc, v7, s56, v7
	v_div_scale_f32 v34, s[12:13], v8, s56, v8
	v_rcp_f32_e32 v35, v17
	v_rcp_f32_e32 v36, v18
	v_fma_f32 v37, -v17, v35, 1.0
	v_fmac_f32_e32 v35, v37, v35
	v_fma_f32 v38, -v18, v36, 1.0
	v_fmac_f32_e32 v36, v38, v36
	v_mul_f32_e32 v37, v33, v35
	v_mul_f32_e32 v38, v34, v36
	v_fma_f32 v39, -v17, v37, v33
	v_fma_f32 v40, -v18, v38, v34
	v_fmac_f32_e32 v37, v39, v35
	v_fmac_f32_e32 v38, v40, v36
	v_fma_f32 v17, -v17, v37, v33
	v_fma_f32 v18, -v18, v38, v34
	v_div_fmas_f32 v17, v17, v35, v37
	s_mov_b64 vcc, s[12:13]
	v_div_fmas_f32 v18, v18, v36, v38
	v_max_f32_e64 v33, |v8|, |v8|
	v_max_f32_e64 v34, |v7|, |v7|
	v_min_f32_e32 v36, v34, v33
	v_max_f32_e32 v33, v34, v33
	v_frexp_exp_i32_f32_e32 v34, v33
	v_frexp_exp_i32_f32_e32 v37, v36
	v_sub_u32_e32 v34, v37, v34
	v_frexp_mant_f32_e32 v33, v33
	v_rcp_f32_e32 v33, v33
	v_frexp_mant_f32_e32 v36, v36
	v_mov_b32_e32 v35, 0xbc7a590c
	v_cmp_class_f32_e64 s[12:13], v8, s51
	v_mul_f32_e32 v33, v36, v33
	v_div_fixup_f32 v37, v17, s56, v7
	v_ldexp_f32 v33, v33, v34
	v_div_fixup_f32 v38, v18, s56, v8
	v_max_f32_e64 v39, |v37|, |v38|
	v_cvt_f64_f32_e32 v[17:18], v39
	v_mul_f32_e32 v34, v33, v33
	v_fmac_f32_e32 v35, 0x3b2d2a58, v34
	v_cmp_neq_f32_e32 vcc, s49, v39
	v_frexp_exp_i32_f64_e32 v17, v[17:18]
	v_fma_f32 v18, v34, v35, v20
	v_fma_f32 v18, v34, v18, v21
	;; [unrolled: 1-line block ×6, first 2 shown]
	v_mul_f32_e32 v18, v34, v18
	v_sub_u32_e32 v35, 0, v17
	v_ldexp_f32 v36, |v37|, v35
	v_ldexp_f32 v35, |v38|, v35
	v_mul_f32_e32 v35, v35, v35
	v_fmac_f32_e32 v35, v36, v36
	v_sqrt_f32_e32 v35, v35
	v_fmac_f32_e32 v33, v33, v18
	v_sub_f32_e32 v18, 0x3fc90fdb, v33
	v_cndmask_b32_e64 v18, v33, v18, s[10:11]
	v_ldexp_f32 v17, v35, v17
	v_cndmask_b32_e32 v17, v26, v17, vcc
	v_cmp_gt_f32_e32 vcc, s53, v17
	v_cndmask_b32_e64 v34, 0, 32, vcc
	v_ldexp_f32 v17, v17, v34
	v_log_f32_e32 v17, v17
	v_cndmask_b32_e32 v34, 0, v32, vcc
	v_sub_f32_e32 v33, 0x40490fdb, v18
	v_cmp_gt_i32_e64 s[10:11], 0, v7
	v_mul_f32_e32 v35, 0x3f317217, v17
	v_fma_f32 v35, v17, s54, -v35
	v_fmac_f32_e32 v35, 0x3377d1cf, v17
	v_fmac_f32_e32 v35, 0x3f317217, v17
	v_cmp_lt_f32_e64 vcc, |v17|, s49
	v_cndmask_b32_e32 v17, v17, v35, vcc
	v_cmp_gt_f32_e32 vcc, 0, v7
	v_cndmask_b32_e32 v18, v18, v33, vcc
	v_cndmask_b32_e64 v33, 0, v29, s[10:11]
	v_cmp_eq_f32_e64 s[10:11], 0, v8
	v_cndmask_b32_e64 v18, v18, v33, s[10:11]
	v_cmp_class_f32_e64 s[10:11], v7, s51
	v_sub_f32_e32 v17, v17, v34
	v_cndmask_b32_e32 v33, v30, v31, vcc
	s_and_b64 vcc, s[12:13], s[10:11]
	v_add_f32_e32 v17, 1.0, v17
	v_cndmask_b32_e32 v18, v18, v33, vcc
.LBB174_39:                             ;   in Loop: Header=BB174_4 Depth=1
	s_or_b64 exec, exec, s[24:25]
.LBB174_40:                             ;   in Loop: Header=BB174_4 Depth=1
	s_andn2_saveexec_b64 s[10:11], s[22:23]
	s_cbranch_execz .LBB174_46
; %bb.41:                               ;   in Loop: Header=BB174_4 Depth=1
	v_cmp_nlt_f32_e64 s[12:13], |v7|, s57
	v_cmp_nlt_f32_e64 s[22:23], |v8|, s57
	s_or_b64 s[12:13], s[22:23], s[12:13]
                                        ; implicit-def: $vgpr17
	s_and_saveexec_b64 s[22:23], s[12:13]
	s_xor_b64 s[12:13], exec, s[22:23]
; %bb.42:                               ;   in Loop: Header=BB174_4 Depth=1
	v_mul_f32_e32 v17, v7, v7
	v_fmac_f32_e32 v17, v8, v8
; %bb.43:                               ;   in Loop: Header=BB174_4 Depth=1
	s_andn2_saveexec_b64 s[12:13], s[12:13]
; %bb.44:                               ;   in Loop: Header=BB174_4 Depth=1
	v_mul_f32_e32 v7, 4.0, v7
	v_mul_f32_e32 v17, 4.0, v8
	v_mul_f32_e32 v7, v7, v7
	v_fmac_f32_e32 v7, v17, v17
	v_mul_f32_e32 v17, 0x3d800000, v7
; %bb.45:                               ;   in Loop: Header=BB174_4 Depth=1
	s_or_b64 exec, exec, s[12:13]
	v_cmp_gt_f32_e32 vcc, s53, v17
	v_cndmask_b32_e64 v7, 0, 32, vcc
	v_ldexp_f32 v7, v17, v7
	v_log_f32_e32 v7, v7
	v_cndmask_b32_e32 v17, 0, v32, vcc
	v_mul_f32_e32 v18, 0x3f317217, v7
	v_fma_f32 v18, v7, s54, -v18
	v_fmac_f32_e32 v18, 0x3377d1cf, v7
	v_fmac_f32_e32 v18, 0x3f317217, v7
	v_cmp_lt_f32_e64 vcc, |v7|, s49
	v_cndmask_b32_e32 v7, v7, v18, vcc
	v_sub_f32_e32 v17, v7, v17
	v_mov_b32_e32 v18, 0x7fc00000
.LBB174_46:                             ;   in Loop: Header=BB174_4 Depth=1
	s_or_b64 exec, exec, s[10:11]
	v_cmp_o_f32_e32 vcc, v12, v11
                                        ; implicit-def: $vgpr7
                                        ; implicit-def: $vgpr33
	s_and_saveexec_b64 s[10:11], vcc
	s_xor_b64 s[22:23], exec, s[10:11]
	s_cbranch_execz .LBB174_74
; %bb.47:                               ;   in Loop: Header=BB174_4 Depth=1
	v_cmp_lt_f32_e64 s[10:11], |v11|, |v12|
	v_cndmask_b32_e64 v34, |v12|, |v11|, s[10:11]
	v_cmp_nlt_f32_e32 vcc, s44, v34
                                        ; implicit-def: $vgpr7
                                        ; implicit-def: $vgpr33
	s_and_saveexec_b64 s[12:13], vcc
	s_xor_b64 s[24:25], exec, s[12:13]
	s_cbranch_execz .LBB174_71
; %bb.48:                               ;   in Loop: Header=BB174_4 Depth=1
	v_and_b32_e32 v7, 0x7fffffff, v12
	v_cndmask_b32_e64 v35, |v11|, v7, s[10:11]
	v_cmp_neq_f32_e32 vcc, 1.0, v35
                                        ; implicit-def: $vgpr7
                                        ; implicit-def: $vgpr33
	s_and_saveexec_b64 s[12:13], vcc
	s_xor_b64 s[26:27], exec, s[12:13]
	s_cbranch_execz .LBB174_64
; %bb.49:                               ;   in Loop: Header=BB174_4 Depth=1
	v_max_f32_e32 v7, v34, v34
	v_max_f32_e32 v33, v35, v35
	v_min_f32_e32 v36, v33, v7
	v_max_f32_e32 v7, v33, v7
	v_cmp_ngt_f32_e32 vcc, s45, v36
	v_cmp_nlt_f32_e64 s[12:13], s46, v7
	s_and_b64 s[12:13], s[12:13], vcc
                                        ; implicit-def: $vgpr7
                                        ; implicit-def: $vgpr33
	s_and_saveexec_b64 s[28:29], s[12:13]
	s_xor_b64 s[28:29], exec, s[28:29]
	s_cbranch_execz .LBB174_61
; %bb.50:                               ;   in Loop: Header=BB174_4 Depth=1
	v_cmp_le_f32_e32 vcc, 1.0, v35
                                        ; implicit-def: $vgpr7
                                        ; implicit-def: $vgpr33
	s_and_saveexec_b64 s[12:13], vcc
	s_xor_b64 s[30:31], exec, s[12:13]
	s_cbranch_execz .LBB174_52
; %bb.51:                               ;   in Loop: Header=BB174_4 Depth=1
	v_add_f32_e32 v7, -1.0, v35
	v_add_f32_e32 v33, 1.0, v35
	v_mul_f32_e32 v7, v7, v33
	v_fmac_f32_e32 v7, v34, v34
	v_add_f32_e32 v35, 1.0, v7
	v_cvt_f64_f32_e32 v[33:34], v35
	v_add_f32_e32 v36, -1.0, v35
	v_sub_f32_e32 v37, v36, v35
	v_sub_f32_e32 v36, v7, v36
	v_frexp_exp_i32_f64_e32 v33, v[33:34]
	v_frexp_mant_f32_e32 v34, v35
	v_cmp_gt_f32_e32 vcc, s47, v34
	v_add_f32_e32 v37, 1.0, v37
	v_add_f32_e32 v36, v36, v37
	v_cmp_gt_i32_e64 s[12:13], 0, v11
	v_cmp_class_f32_e64 s[34:35], v12, s51
	v_subbrev_co_u32_e32 v33, vcc, 0, v33, vcc
	v_sub_u32_e32 v34, 0, v33
	v_ldexp_f32 v35, v35, v34
	v_ldexp_f32 v34, v36, v34
	v_add_f32_e32 v36, -1.0, v35
	v_add_f32_e32 v39, 1.0, v35
	v_add_f32_e32 v37, 1.0, v36
	v_add_f32_e32 v40, -1.0, v39
	v_sub_f32_e32 v37, v35, v37
	v_sub_f32_e32 v35, v35, v40
	v_add_f32_e32 v37, v34, v37
	v_add_f32_e32 v34, v34, v35
	v_add_f32_e32 v35, v39, v34
	v_rcp_f32_e32 v40, v35
	v_add_f32_e32 v38, v36, v37
	v_sub_f32_e32 v36, v38, v36
	v_sub_f32_e32 v36, v37, v36
	;; [unrolled: 1-line block ×4, first 2 shown]
	v_mul_f32_e32 v37, v38, v40
	v_mul_f32_e32 v39, v35, v37
	v_fma_f32 v41, v37, v35, -v39
	v_fmac_f32_e32 v41, v37, v34
	v_add_f32_e32 v42, v39, v41
	v_sub_f32_e32 v43, v38, v42
	v_sub_f32_e32 v38, v38, v43
	;; [unrolled: 1-line block ×4, first 2 shown]
	v_add_f32_e32 v36, v36, v38
	v_sub_f32_e32 v38, v39, v41
	v_add_f32_e32 v36, v38, v36
	v_add_f32_e32 v38, v43, v36
	v_mul_f32_e32 v39, v40, v38
	v_mul_f32_e32 v41, v35, v39
	v_fma_f32 v35, v39, v35, -v41
	v_fmac_f32_e32 v35, v39, v34
	v_sub_f32_e32 v34, v43, v38
	v_add_f32_e32 v34, v36, v34
	v_add_f32_e32 v36, v41, v35
	v_sub_f32_e32 v42, v38, v36
	v_sub_f32_e32 v38, v38, v42
	;; [unrolled: 1-line block ×4, first 2 shown]
	v_add_f32_e32 v34, v34, v36
	v_sub_f32_e32 v35, v41, v35
	v_cvt_f32_i32_e32 v33, v33
	v_add_f32_e32 v34, v35, v34
	v_add_f32_e32 v35, v37, v39
	;; [unrolled: 1-line block ×3, first 2 shown]
	v_sub_f32_e32 v36, v35, v37
	v_mul_f32_e32 v34, v40, v34
	v_sub_f32_e32 v36, v39, v36
	v_add_f32_e32 v34, v36, v34
	v_mul_f32_e32 v39, 0x3f317218, v33
	v_add_f32_e32 v36, v35, v34
	v_fma_f32 v40, v33, s48, -v39
	v_mul_f32_e32 v37, v36, v36
	v_mov_b32_e32 v38, 0x3ecc95a3
	v_fmac_f32_e32 v40, 0xb102e308, v33
	v_sub_f32_e32 v33, v36, v35
	v_fmac_f32_e32 v38, 0x3e9b6dac, v37
	v_sub_f32_e32 v33, v34, v33
	v_add_f32_e32 v34, v39, v40
	v_fma_f32 v38, v37, v38, v19
	v_sub_f32_e32 v35, v34, v39
	v_ldexp_f32 v39, v36, 1
	v_mul_f32_e32 v36, v36, v37
	v_mul_f32_e32 v36, v36, v38
	v_add_f32_e32 v37, v39, v36
	v_sub_f32_e32 v38, v37, v39
	v_ldexp_f32 v33, v33, 1
	v_sub_f32_e32 v36, v36, v38
	v_add_f32_e32 v33, v33, v36
	v_add_f32_e32 v36, v37, v33
	v_sub_f32_e32 v37, v36, v37
	v_sub_f32_e32 v33, v33, v37
	v_add_f32_e32 v37, v34, v36
	v_sub_f32_e32 v38, v37, v34
	v_sub_f32_e32 v39, v37, v38
	;; [unrolled: 1-line block ×5, first 2 shown]
	v_add_f32_e32 v34, v36, v34
	v_add_f32_e32 v36, v35, v33
	v_sub_f32_e32 v38, v36, v35
	v_sub_f32_e32 v39, v36, v38
	;; [unrolled: 1-line block ×4, first 2 shown]
	v_add_f32_e32 v34, v36, v34
	v_add_f32_e32 v33, v33, v35
	;; [unrolled: 1-line block ×3, first 2 shown]
	v_sub_f32_e32 v36, v35, v37
	v_sub_f32_e32 v34, v34, v36
	v_add_f32_e32 v33, v33, v34
	v_add_f32_e32 v33, v35, v33
	v_cmp_neq_f32_e32 vcc, s49, v7
	v_cndmask_b32_e32 v33, v26, v33, vcc
	v_cmp_ngt_f32_e32 vcc, -1.0, v7
	v_cndmask_b32_e32 v33, v27, v33, vcc
	v_cmp_neq_f32_e32 vcc, -1.0, v7
	v_cndmask_b32_e32 v33, v28, v33, vcc
	v_cmp_lt_f32_e64 vcc, |v7|, s50
	v_cndmask_b32_e32 v7, v33, v7, vcc
	v_max_f32_e64 v33, |v12|, |v12|
	v_max_f32_e64 v34, |v11|, |v11|
	v_min_f32_e32 v35, v34, v33
	v_max_f32_e32 v33, v34, v33
	v_frexp_mant_f32_e32 v34, v33
	v_rcp_f32_e32 v34, v34
	v_frexp_exp_i32_f32_e32 v33, v33
	v_frexp_exp_i32_f32_e32 v36, v35
	v_frexp_mant_f32_e32 v35, v35
	v_mul_f32_e32 v34, v35, v34
	v_sub_u32_e32 v33, v36, v33
	v_ldexp_f32 v33, v34, v33
	v_mul_f32_e32 v34, v33, v33
	v_mov_b32_e32 v35, 0xbc7a590c
	v_fmac_f32_e32 v35, 0x3b2d2a58, v34
	v_fma_f32 v35, v34, v35, v20
	v_fma_f32 v35, v34, v35, v21
	;; [unrolled: 1-line block ×6, first 2 shown]
	v_mul_f32_e32 v34, v34, v35
	v_fmac_f32_e32 v33, v33, v34
	v_sub_f32_e32 v34, 0x3fc90fdb, v33
	v_cndmask_b32_e64 v33, v33, v34, s[10:11]
	v_sub_f32_e32 v34, 0x40490fdb, v33
	v_cmp_gt_f32_e32 vcc, 0, v11
	v_cndmask_b32_e32 v33, v33, v34, vcc
	v_cndmask_b32_e64 v34, 0, v29, s[12:13]
	v_cmp_eq_f32_e64 s[12:13], 0, v12
	v_cndmask_b32_e64 v33, v33, v34, s[12:13]
	v_cmp_class_f32_e64 s[12:13], v11, s51
	v_cndmask_b32_e32 v34, v30, v31, vcc
	s_and_b64 vcc, s[34:35], s[12:13]
	v_mul_f32_e32 v7, 0.5, v7
	v_cndmask_b32_e32 v33, v33, v34, vcc
                                        ; implicit-def: $vgpr34
                                        ; implicit-def: $vgpr35
.LBB174_52:                             ;   in Loop: Header=BB174_4 Depth=1
	s_andn2_saveexec_b64 s[30:31], s[30:31]
	s_cbranch_execz .LBB174_60
; %bb.53:                               ;   in Loop: Header=BB174_4 Depth=1
	v_mul_f32_e32 v36, v34, v34
	v_fmac_f32_e32 v36, v35, v35
	v_cmp_ge_f32_e32 vcc, s52, v36
                                        ; implicit-def: $vgpr7
                                        ; implicit-def: $vgpr33
	s_and_saveexec_b64 s[12:13], vcc
	s_xor_b64 s[34:35], exec, s[12:13]
	s_cbranch_execz .LBB174_55
; %bb.54:                               ;   in Loop: Header=BB174_4 Depth=1
	v_cmp_gt_f32_e32 vcc, s53, v36
	v_cndmask_b32_e64 v7, 0, 32, vcc
	v_ldexp_f32 v7, v36, v7
	v_log_f32_e32 v7, v7
	v_cndmask_b32_e32 v33, 0, v32, vcc
	v_cmp_gt_i32_e64 s[12:13], 0, v11
	v_cmp_class_f32_e64 s[36:37], v12, s51
	v_mul_f32_e32 v34, 0x3f317217, v7
	v_fma_f32 v34, v7, s54, -v34
	v_fmac_f32_e32 v34, 0x3377d1cf, v7
	v_fmac_f32_e32 v34, 0x3f317217, v7
	v_cmp_lt_f32_e64 vcc, |v7|, s49
	v_cndmask_b32_e32 v7, v7, v34, vcc
	v_sub_f32_e32 v7, v7, v33
	v_max_f32_e64 v33, |v12|, |v12|
	v_max_f32_e64 v34, |v11|, |v11|
	v_min_f32_e32 v35, v34, v33
	v_max_f32_e32 v33, v34, v33
	v_frexp_mant_f32_e32 v34, v33
	v_rcp_f32_e32 v34, v34
	v_frexp_exp_i32_f32_e32 v33, v33
	v_frexp_exp_i32_f32_e32 v36, v35
	v_frexp_mant_f32_e32 v35, v35
	v_mul_f32_e32 v34, v35, v34
	v_sub_u32_e32 v33, v36, v33
	v_ldexp_f32 v33, v34, v33
	v_mul_f32_e32 v34, v33, v33
	v_mov_b32_e32 v35, 0xbc7a590c
	v_fmac_f32_e32 v35, 0x3b2d2a58, v34
	v_fma_f32 v35, v34, v35, v20
	v_fma_f32 v35, v34, v35, v21
	;; [unrolled: 1-line block ×6, first 2 shown]
	v_mul_f32_e32 v34, v34, v35
	v_fmac_f32_e32 v33, v33, v34
	v_sub_f32_e32 v34, 0x3fc90fdb, v33
	v_cndmask_b32_e64 v33, v33, v34, s[10:11]
	v_sub_f32_e32 v34, 0x40490fdb, v33
	v_cmp_gt_f32_e32 vcc, 0, v11
	v_cndmask_b32_e32 v33, v33, v34, vcc
	v_cndmask_b32_e64 v34, 0, v29, s[12:13]
	v_cmp_eq_f32_e64 s[12:13], 0, v12
	v_cndmask_b32_e64 v33, v33, v34, s[12:13]
	v_cmp_class_f32_e64 s[12:13], v11, s51
	v_cndmask_b32_e32 v34, v30, v31, vcc
	s_and_b64 vcc, s[36:37], s[12:13]
	v_mul_f32_e32 v7, 0.5, v7
	v_cndmask_b32_e32 v33, v33, v34, vcc
                                        ; implicit-def: $vgpr35
                                        ; implicit-def: $vgpr34
.LBB174_55:                             ;   in Loop: Header=BB174_4 Depth=1
	s_andn2_saveexec_b64 s[34:35], s[34:35]
	s_cbranch_execz .LBB174_59
; %bb.56:                               ;   in Loop: Header=BB174_4 Depth=1
	v_and_b32_e32 v36, 0x7fff0000, v35
	v_sub_f32_e32 v7, v35, v36
	v_and_b32_e32 v40, 0xffff0000, v7
	v_and_b32_e32 v35, 0x7fff0000, v34
	v_sub_f32_e32 v42, v7, v40
	v_sub_f32_e32 v7, v34, v35
	v_and_b32_e32 v41, 0xffff0000, v7
	v_add_f32_e32 v37, v36, v36
	v_add_f32_e32 v44, v35, v35
	v_sub_f32_e32 v43, v7, v41
	v_mul_f32_e32 v7, v36, v36
	v_mul_f32_e32 v33, v35, v35
	;; [unrolled: 1-line block ×6, first 2 shown]
	v_add_f32_e32 v40, v40, v40
	v_add_f32_e32 v41, v41, v41
	v_mul_f32_e32 v38, v37, v42
	v_mul_f32_e32 v37, v44, v43
	;; [unrolled: 1-line block ×6, first 2 shown]
	s_mov_b64 s[36:37], 0
.LBB174_57:                             ;   Parent Loop BB174_4 Depth=1
                                        ; =>  This Inner Loop Header: Depth=2
	v_cmp_nlt_f32_e32 vcc, v7, v33
	v_mov_b32_e32 v44, v43
	v_cndmask_b32_e32 v43, v7, v33, vcc
	v_cmp_nlt_f32_e64 s[12:13], v43, v36
	v_cndmask_b32_e64 v45, v43, v36, s[12:13]
	v_cndmask_b32_e32 v7, v33, v7, vcc
	s_and_b64 s[58:59], vcc, s[12:13]
	v_cmp_nlt_f32_e32 vcc, v45, v35
	v_cndmask_b32_e64 v33, v36, v43, s[12:13]
	v_cndmask_b32_e32 v43, v45, v35, vcc
	v_cmp_nlt_f32_e64 s[12:13], v43, v39
	v_cndmask_b32_e32 v36, v35, v45, vcc
	v_cndmask_b32_e64 v45, v43, v39, s[12:13]
	s_and_b64 s[60:61], vcc, s[12:13]
	v_cmp_nlt_f32_e32 vcc, v45, v34
	v_cndmask_b32_e64 v35, v39, v43, s[12:13]
	v_cndmask_b32_e32 v43, v45, v34, vcc
	v_cmp_nlt_f32_e64 s[12:13], v43, v38
	v_cndmask_b32_e32 v39, v34, v45, vcc
	v_cndmask_b32_e64 v45, v43, v38, s[12:13]
	v_cndmask_b32_e64 v34, v38, v43, s[12:13]
	s_and_b64 s[12:13], vcc, s[12:13]
	v_cmp_nlt_f32_e32 vcc, v45, v37
	v_cndmask_b32_e32 v43, v45, v37, vcc
	v_cndmask_b32_e32 v38, v37, v45, vcc
	s_and_b64 s[12:13], s[12:13], vcc
	v_cmp_nlt_f32_e32 vcc, v43, v40
	v_cndmask_b32_e32 v45, v43, v40, vcc
	v_cndmask_b32_e32 v37, v40, v43, vcc
	s_and_b64 s[12:13], s[12:13], vcc
	;; [unrolled: 4-line block ×4, first 2 shown]
	v_cmp_nlt_f32_e32 vcc, v45, v44
	s_and_b64 s[12:13], s[12:13], vcc
	s_and_b64 s[12:13], s[12:13], s[60:61]
	s_and_b64 s[12:13], s[12:13], s[58:59]
	s_and_b64 s[12:13], exec, s[12:13]
	v_cndmask_b32_e32 v43, v45, v44, vcc
	s_or_b64 s[36:37], s[12:13], s[36:37]
	v_cndmask_b32_e32 v42, v44, v45, vcc
	s_andn2_b64 exec, exec, s[36:37]
	s_cbranch_execnz .LBB174_57
; %bb.58:                               ;   in Loop: Header=BB174_4 Depth=1
	s_or_b64 exec, exec, s[36:37]
	v_add_f32_e32 v7, -1.0, v7
	v_add_f32_e32 v7, v7, v33
	v_add_f32_e32 v7, v7, v36
	;; [unrolled: 1-line block ×11, first 2 shown]
	v_add_f32_e32 v35, 1.0, v7
	v_cvt_f64_f32_e32 v[33:34], v35
	v_add_f32_e32 v36, -1.0, v35
	v_sub_f32_e32 v37, v36, v35
	v_sub_f32_e32 v36, v7, v36
	v_frexp_exp_i32_f64_e32 v33, v[33:34]
	v_frexp_mant_f32_e32 v34, v35
	v_cmp_gt_f32_e32 vcc, s47, v34
	v_add_f32_e32 v37, 1.0, v37
	v_add_f32_e32 v36, v36, v37
	v_cmp_gt_i32_e64 s[12:13], 0, v11
	v_cmp_class_f32_e64 s[36:37], v12, s51
	v_subbrev_co_u32_e32 v33, vcc, 0, v33, vcc
	v_sub_u32_e32 v34, 0, v33
	v_ldexp_f32 v35, v35, v34
	v_ldexp_f32 v34, v36, v34
	v_add_f32_e32 v36, -1.0, v35
	v_add_f32_e32 v37, 1.0, v35
	v_add_f32_e32 v38, 1.0, v36
	v_add_f32_e32 v40, -1.0, v37
	v_sub_f32_e32 v38, v35, v38
	v_sub_f32_e32 v35, v35, v40
	v_add_f32_e32 v38, v34, v38
	v_add_f32_e32 v34, v34, v35
	;; [unrolled: 1-line block ×3, first 2 shown]
	v_rcp_f32_e32 v40, v35
	v_add_f32_e32 v39, v36, v38
	v_sub_f32_e32 v37, v35, v37
	v_sub_f32_e32 v36, v39, v36
	v_sub_f32_e32 v34, v34, v37
	v_mul_f32_e32 v37, v39, v40
	v_sub_f32_e32 v36, v38, v36
	v_mul_f32_e32 v38, v35, v37
	v_fma_f32 v41, v37, v35, -v38
	v_fmac_f32_e32 v41, v37, v34
	v_add_f32_e32 v42, v38, v41
	v_sub_f32_e32 v43, v39, v42
	v_sub_f32_e32 v39, v39, v43
	;; [unrolled: 1-line block ×4, first 2 shown]
	v_add_f32_e32 v36, v36, v39
	v_sub_f32_e32 v38, v38, v41
	v_add_f32_e32 v36, v38, v36
	v_add_f32_e32 v38, v43, v36
	v_mul_f32_e32 v39, v40, v38
	v_mul_f32_e32 v41, v35, v39
	v_fma_f32 v35, v39, v35, -v41
	v_fmac_f32_e32 v35, v39, v34
	v_sub_f32_e32 v34, v43, v38
	v_add_f32_e32 v34, v36, v34
	v_add_f32_e32 v36, v41, v35
	v_sub_f32_e32 v42, v38, v36
	v_sub_f32_e32 v38, v38, v42
	;; [unrolled: 1-line block ×4, first 2 shown]
	v_add_f32_e32 v34, v34, v36
	v_sub_f32_e32 v35, v41, v35
	v_cvt_f32_i32_e32 v33, v33
	v_add_f32_e32 v34, v35, v34
	v_add_f32_e32 v35, v37, v39
	;; [unrolled: 1-line block ×3, first 2 shown]
	v_sub_f32_e32 v36, v35, v37
	v_mul_f32_e32 v34, v40, v34
	v_sub_f32_e32 v36, v39, v36
	v_add_f32_e32 v34, v36, v34
	v_mul_f32_e32 v39, 0x3f317218, v33
	v_add_f32_e32 v36, v35, v34
	v_fma_f32 v40, v33, s48, -v39
	v_mul_f32_e32 v37, v36, v36
	v_mov_b32_e32 v38, 0x3ecc95a3
	v_fmac_f32_e32 v40, 0xb102e308, v33
	v_sub_f32_e32 v33, v36, v35
	v_fmac_f32_e32 v38, 0x3e9b6dac, v37
	v_sub_f32_e32 v33, v34, v33
	v_add_f32_e32 v34, v39, v40
	v_fma_f32 v38, v37, v38, v19
	v_sub_f32_e32 v35, v34, v39
	v_ldexp_f32 v39, v36, 1
	v_mul_f32_e32 v36, v36, v37
	v_mul_f32_e32 v36, v36, v38
	v_add_f32_e32 v37, v39, v36
	v_sub_f32_e32 v38, v37, v39
	v_ldexp_f32 v33, v33, 1
	v_sub_f32_e32 v36, v36, v38
	v_add_f32_e32 v33, v33, v36
	v_add_f32_e32 v36, v37, v33
	v_sub_f32_e32 v37, v36, v37
	v_sub_f32_e32 v33, v33, v37
	v_add_f32_e32 v37, v34, v36
	v_sub_f32_e32 v38, v37, v34
	v_sub_f32_e32 v39, v37, v38
	;; [unrolled: 1-line block ×5, first 2 shown]
	v_add_f32_e32 v34, v36, v34
	v_add_f32_e32 v36, v35, v33
	v_sub_f32_e32 v38, v36, v35
	v_sub_f32_e32 v39, v36, v38
	v_sub_f32_e32 v35, v35, v39
	v_sub_f32_e32 v33, v33, v38
	v_add_f32_e32 v34, v36, v34
	v_add_f32_e32 v33, v33, v35
	;; [unrolled: 1-line block ×3, first 2 shown]
	v_sub_f32_e32 v36, v35, v37
	v_sub_f32_e32 v34, v34, v36
	v_add_f32_e32 v33, v33, v34
	v_add_f32_e32 v33, v35, v33
	v_cmp_neq_f32_e32 vcc, s49, v7
	v_cndmask_b32_e32 v33, v26, v33, vcc
	v_cmp_ngt_f32_e32 vcc, -1.0, v7
	v_cndmask_b32_e32 v33, v27, v33, vcc
	v_cmp_neq_f32_e32 vcc, -1.0, v7
	v_cndmask_b32_e32 v33, v28, v33, vcc
	v_cmp_lt_f32_e64 vcc, |v7|, s50
	v_cndmask_b32_e32 v7, v33, v7, vcc
	v_max_f32_e64 v33, |v12|, |v12|
	v_max_f32_e64 v34, |v11|, |v11|
	v_min_f32_e32 v35, v34, v33
	v_max_f32_e32 v33, v34, v33
	v_frexp_mant_f32_e32 v34, v33
	v_rcp_f32_e32 v34, v34
	v_frexp_exp_i32_f32_e32 v33, v33
	v_frexp_exp_i32_f32_e32 v36, v35
	v_frexp_mant_f32_e32 v35, v35
	v_mul_f32_e32 v34, v35, v34
	v_sub_u32_e32 v33, v36, v33
	v_ldexp_f32 v33, v34, v33
	v_mul_f32_e32 v34, v33, v33
	v_mov_b32_e32 v35, 0xbc7a590c
	v_fmac_f32_e32 v35, 0x3b2d2a58, v34
	v_fma_f32 v35, v34, v35, v20
	v_fma_f32 v35, v34, v35, v21
	;; [unrolled: 1-line block ×6, first 2 shown]
	v_mul_f32_e32 v34, v34, v35
	v_fmac_f32_e32 v33, v33, v34
	v_sub_f32_e32 v34, 0x3fc90fdb, v33
	v_cndmask_b32_e64 v33, v33, v34, s[10:11]
	v_sub_f32_e32 v34, 0x40490fdb, v33
	v_cmp_gt_f32_e32 vcc, 0, v11
	v_cndmask_b32_e32 v33, v33, v34, vcc
	v_cndmask_b32_e64 v34, 0, v29, s[12:13]
	v_cmp_eq_f32_e64 s[12:13], 0, v12
	v_cndmask_b32_e64 v33, v33, v34, s[12:13]
	v_cmp_class_f32_e64 s[12:13], v11, s51
	v_cndmask_b32_e32 v34, v30, v31, vcc
	s_and_b64 vcc, s[36:37], s[12:13]
	v_mul_f32_e32 v7, 0.5, v7
	v_cndmask_b32_e32 v33, v33, v34, vcc
.LBB174_59:                             ;   in Loop: Header=BB174_4 Depth=1
	s_or_b64 exec, exec, s[34:35]
.LBB174_60:                             ;   in Loop: Header=BB174_4 Depth=1
	s_or_b64 exec, exec, s[30:31]
.LBB174_61:                             ;   in Loop: Header=BB174_4 Depth=1
	s_andn2_saveexec_b64 s[28:29], s[28:29]
	s_cbranch_execz .LBB174_63
; %bb.62:                               ;   in Loop: Header=BB174_4 Depth=1
	v_max_f32_e64 v7, |v12|, |v12|
	v_max_f32_e64 v35, |v11|, |v11|
	v_max_f32_e32 v36, v35, v7
	v_cvt_f64_f32_e32 v[33:34], v36
	v_min_f32_e32 v7, v35, v7
	v_frexp_mant_f32_e32 v35, v36
	v_rcp_f32_e32 v35, v35
	v_frexp_exp_i32_f64_e32 v33, v[33:34]
	v_cmp_neq_f32_e32 vcc, s49, v36
	v_frexp_exp_i32_f32_e32 v37, v7
	v_frexp_mant_f32_e32 v7, v7
	v_mul_f32_e32 v7, v7, v35
	v_frexp_exp_i32_f32_e32 v34, v36
	v_sub_u32_e32 v34, v37, v34
	v_ldexp_f32 v34, v7, v34
	v_sub_u32_e32 v38, 0, v33
	v_ldexp_f32 v39, |v11|, v38
	v_ldexp_f32 v38, |v12|, v38
	v_mul_f32_e32 v38, v38, v38
	v_fmac_f32_e32 v38, v39, v39
	v_sqrt_f32_e32 v38, v38
	v_cmp_gt_i32_e64 s[12:13], 0, v11
	v_cmp_class_f32_e64 s[30:31], v12, s51
	v_ldexp_f32 v33, v38, v33
	v_cndmask_b32_e32 v33, v26, v33, vcc
	v_cmp_gt_f32_e32 vcc, s53, v33
	v_cndmask_b32_e64 v35, 0, 32, vcc
	v_ldexp_f32 v33, v33, v35
	v_log_f32_e32 v33, v33
	v_cndmask_b32_e32 v7, 0, v32, vcc
	v_mul_f32_e32 v35, v34, v34
	v_mul_f32_e32 v36, 0x3f317217, v33
	v_fma_f32 v36, v33, s54, -v36
	v_fmac_f32_e32 v36, 0x3377d1cf, v33
	v_fmac_f32_e32 v36, 0x3f317217, v33
	v_cmp_lt_f32_e64 vcc, |v33|, s49
	v_cndmask_b32_e32 v33, v33, v36, vcc
	v_sub_f32_e32 v7, v33, v7
	v_mov_b32_e32 v33, 0xbc7a590c
	v_fmac_f32_e32 v33, 0x3b2d2a58, v35
	v_fma_f32 v33, v35, v33, v20
	v_fma_f32 v33, v35, v33, v21
	v_fma_f32 v33, v35, v33, v22
	v_fma_f32 v33, v35, v33, v23
	v_fma_f32 v33, v35, v33, v24
	v_fma_f32 v33, v35, v33, v25
	v_mul_f32_e32 v33, v35, v33
	v_fmac_f32_e32 v34, v34, v33
	v_sub_f32_e32 v33, 0x3fc90fdb, v34
	v_cndmask_b32_e64 v33, v34, v33, s[10:11]
	v_sub_f32_e32 v34, 0x40490fdb, v33
	v_cmp_gt_f32_e32 vcc, 0, v11
	v_cndmask_b32_e32 v33, v33, v34, vcc
	v_cndmask_b32_e64 v34, 0, v29, s[12:13]
	v_cmp_eq_f32_e64 s[12:13], 0, v12
	v_cndmask_b32_e64 v33, v33, v34, s[12:13]
	v_cmp_class_f32_e64 s[12:13], v11, s51
	v_cndmask_b32_e32 v34, v30, v31, vcc
	s_and_b64 vcc, s[30:31], s[12:13]
	v_cndmask_b32_e32 v33, v33, v34, vcc
.LBB174_63:                             ;   in Loop: Header=BB174_4 Depth=1
	s_or_b64 exec, exec, s[28:29]
                                        ; implicit-def: $vgpr34
.LBB174_64:                             ;   in Loop: Header=BB174_4 Depth=1
	s_andn2_saveexec_b64 s[26:27], s[26:27]
	s_cbranch_execz .LBB174_70
; %bb.65:                               ;   in Loop: Header=BB174_4 Depth=1
	v_cmp_ngt_f32_e32 vcc, s55, v34
                                        ; implicit-def: $vgpr7
                                        ; implicit-def: $vgpr33
	s_and_saveexec_b64 s[12:13], vcc
	s_xor_b64 s[28:29], exec, s[12:13]
	s_cbranch_execz .LBB174_67
; %bb.66:                               ;   in Loop: Header=BB174_4 Depth=1
	v_mul_f32_e32 v7, v34, v34
	v_add_f32_e32 v35, 1.0, v7
	v_cvt_f64_f32_e32 v[33:34], v35
	v_add_f32_e32 v36, -1.0, v35
	v_sub_f32_e32 v37, v36, v35
	v_sub_f32_e32 v36, v7, v36
	v_frexp_exp_i32_f64_e32 v33, v[33:34]
	v_frexp_mant_f32_e32 v34, v35
	v_cmp_gt_f32_e32 vcc, s47, v34
	v_add_f32_e32 v37, 1.0, v37
	v_add_f32_e32 v36, v36, v37
	v_cmp_gt_i32_e64 s[12:13], 0, v11
	v_cmp_class_f32_e64 s[30:31], v12, s51
	v_subbrev_co_u32_e32 v33, vcc, 0, v33, vcc
	v_sub_u32_e32 v34, 0, v33
	v_ldexp_f32 v35, v35, v34
	v_ldexp_f32 v34, v36, v34
	v_add_f32_e32 v36, -1.0, v35
	v_add_f32_e32 v37, 1.0, v35
	v_add_f32_e32 v38, 1.0, v36
	v_add_f32_e32 v40, -1.0, v37
	v_sub_f32_e32 v38, v35, v38
	v_sub_f32_e32 v35, v35, v40
	v_add_f32_e32 v38, v34, v38
	v_add_f32_e32 v34, v34, v35
	;; [unrolled: 1-line block ×3, first 2 shown]
	v_rcp_f32_e32 v40, v35
	v_add_f32_e32 v39, v36, v38
	v_sub_f32_e32 v37, v37, v35
	v_sub_f32_e32 v36, v36, v39
	v_add_f32_e32 v34, v34, v37
	v_mul_f32_e32 v37, v39, v40
	v_add_f32_e32 v36, v38, v36
	v_mul_f32_e32 v38, v35, v37
	v_fma_f32 v41, v37, v35, -v38
	v_fmac_f32_e32 v41, v37, v34
	v_add_f32_e32 v42, v38, v41
	v_sub_f32_e32 v43, v39, v42
	v_sub_f32_e32 v39, v39, v43
	;; [unrolled: 1-line block ×4, first 2 shown]
	v_add_f32_e32 v36, v36, v39
	v_sub_f32_e32 v38, v38, v41
	v_add_f32_e32 v36, v38, v36
	v_add_f32_e32 v38, v43, v36
	v_mul_f32_e32 v39, v40, v38
	v_mul_f32_e32 v41, v35, v39
	v_fma_f32 v35, v39, v35, -v41
	v_fmac_f32_e32 v35, v39, v34
	v_sub_f32_e32 v34, v43, v38
	v_add_f32_e32 v34, v36, v34
	v_add_f32_e32 v36, v41, v35
	v_sub_f32_e32 v42, v38, v36
	v_sub_f32_e32 v38, v38, v42
	;; [unrolled: 1-line block ×4, first 2 shown]
	v_add_f32_e32 v34, v34, v36
	v_sub_f32_e32 v35, v41, v35
	v_cvt_f32_i32_e32 v33, v33
	v_add_f32_e32 v34, v35, v34
	v_add_f32_e32 v35, v37, v39
	v_add_f32_e32 v34, v42, v34
	v_sub_f32_e32 v36, v35, v37
	v_mul_f32_e32 v34, v40, v34
	v_sub_f32_e32 v36, v39, v36
	v_add_f32_e32 v34, v36, v34
	v_mul_f32_e32 v39, 0x3f317218, v33
	v_add_f32_e32 v36, v35, v34
	v_fma_f32 v40, v33, s48, -v39
	v_mul_f32_e32 v37, v36, v36
	v_mov_b32_e32 v38, 0x3ecc95a3
	v_fmac_f32_e32 v40, 0xb102e308, v33
	v_sub_f32_e32 v33, v36, v35
	v_fmac_f32_e32 v38, 0x3e9b6dac, v37
	v_sub_f32_e32 v33, v34, v33
	v_add_f32_e32 v34, v39, v40
	v_fma_f32 v38, v37, v38, v19
	v_sub_f32_e32 v35, v34, v39
	v_ldexp_f32 v39, v36, 1
	v_mul_f32_e32 v36, v36, v37
	v_mul_f32_e32 v36, v36, v38
	v_add_f32_e32 v37, v39, v36
	v_sub_f32_e32 v38, v37, v39
	v_ldexp_f32 v33, v33, 1
	v_sub_f32_e32 v36, v36, v38
	v_add_f32_e32 v33, v33, v36
	v_add_f32_e32 v36, v37, v33
	v_sub_f32_e32 v37, v36, v37
	v_sub_f32_e32 v33, v33, v37
	v_add_f32_e32 v37, v34, v36
	v_sub_f32_e32 v38, v37, v34
	v_sub_f32_e32 v39, v37, v38
	;; [unrolled: 1-line block ×5, first 2 shown]
	v_add_f32_e32 v34, v36, v34
	v_add_f32_e32 v36, v35, v33
	v_sub_f32_e32 v38, v36, v35
	v_sub_f32_e32 v39, v36, v38
	;; [unrolled: 1-line block ×4, first 2 shown]
	v_add_f32_e32 v34, v36, v34
	v_add_f32_e32 v33, v33, v35
	;; [unrolled: 1-line block ×3, first 2 shown]
	v_sub_f32_e32 v36, v35, v37
	v_sub_f32_e32 v34, v34, v36
	v_add_f32_e32 v33, v33, v34
	v_add_f32_e32 v33, v35, v33
	v_cmp_neq_f32_e32 vcc, s49, v7
	v_cndmask_b32_e32 v33, v26, v33, vcc
	v_cmp_lt_f32_e64 vcc, |v7|, s50
	v_cndmask_b32_e32 v7, v33, v7, vcc
	v_max_f32_e64 v33, |v12|, |v12|
	v_max_f32_e64 v34, |v11|, |v11|
	v_min_f32_e32 v35, v34, v33
	v_max_f32_e32 v33, v34, v33
	v_frexp_mant_f32_e32 v34, v33
	v_rcp_f32_e32 v34, v34
	v_frexp_exp_i32_f32_e32 v33, v33
	v_frexp_exp_i32_f32_e32 v36, v35
	v_frexp_mant_f32_e32 v35, v35
	v_mul_f32_e32 v34, v35, v34
	v_sub_u32_e32 v33, v36, v33
	v_ldexp_f32 v33, v34, v33
	v_mul_f32_e32 v34, v33, v33
	v_mov_b32_e32 v35, 0xbc7a590c
	v_fmac_f32_e32 v35, 0x3b2d2a58, v34
	v_fma_f32 v35, v34, v35, v20
	v_fma_f32 v35, v34, v35, v21
	;; [unrolled: 1-line block ×6, first 2 shown]
	v_mul_f32_e32 v34, v34, v35
	v_fmac_f32_e32 v33, v33, v34
	v_sub_f32_e32 v34, 0x3fc90fdb, v33
	v_cndmask_b32_e64 v33, v33, v34, s[10:11]
	v_sub_f32_e32 v34, 0x40490fdb, v33
	v_cmp_gt_f32_e32 vcc, 0, v11
	v_cndmask_b32_e32 v33, v33, v34, vcc
	v_cndmask_b32_e64 v34, 0, v29, s[12:13]
	v_cmp_eq_f32_e64 s[12:13], 0, v12
	v_cndmask_b32_e64 v33, v33, v34, s[12:13]
	v_cmp_class_f32_e64 s[12:13], v11, s51
	v_cndmask_b32_e32 v34, v30, v31, vcc
	s_and_b64 vcc, s[30:31], s[12:13]
	v_mul_f32_e32 v7, 0.5, v7
	v_cndmask_b32_e32 v33, v33, v34, vcc
                                        ; implicit-def: $vgpr34
.LBB174_67:                             ;   in Loop: Header=BB174_4 Depth=1
	s_andn2_saveexec_b64 s[28:29], s[28:29]
	s_cbranch_execz .LBB174_69
; %bb.68:                               ;   in Loop: Header=BB174_4 Depth=1
	v_mul_f32_e32 v7, 0.5, v34
	v_mul_f32_e32 v7, v34, v7
	v_max_f32_e64 v33, |v12|, |v12|
	v_max_f32_e64 v34, |v11|, |v11|
	v_min_f32_e32 v35, v34, v33
	v_max_f32_e32 v33, v34, v33
	v_frexp_mant_f32_e32 v34, v33
	v_rcp_f32_e32 v34, v34
	v_frexp_exp_i32_f32_e32 v33, v33
	v_frexp_exp_i32_f32_e32 v36, v35
	v_frexp_mant_f32_e32 v35, v35
	v_mul_f32_e32 v34, v35, v34
	v_sub_u32_e32 v33, v36, v33
	v_ldexp_f32 v33, v34, v33
	v_mul_f32_e32 v34, v33, v33
	v_mov_b32_e32 v35, 0xbc7a590c
	v_fmac_f32_e32 v35, 0x3b2d2a58, v34
	v_fma_f32 v35, v34, v35, v20
	v_fma_f32 v35, v34, v35, v21
	;; [unrolled: 1-line block ×6, first 2 shown]
	v_mul_f32_e32 v34, v34, v35
	v_fmac_f32_e32 v33, v33, v34
	v_sub_f32_e32 v34, 0x3fc90fdb, v33
	v_cndmask_b32_e64 v33, v33, v34, s[10:11]
	v_sub_f32_e32 v34, 0x40490fdb, v33
	v_cmp_gt_f32_e32 vcc, 0, v11
	v_cmp_gt_i32_e64 s[12:13], 0, v11
	v_cndmask_b32_e32 v33, v33, v34, vcc
	v_cndmask_b32_e64 v34, 0, v29, s[12:13]
	v_cmp_eq_f32_e64 s[12:13], 0, v12
	v_cndmask_b32_e64 v33, v33, v34, s[12:13]
	v_cmp_class_f32_e64 s[12:13], v11, s51
	v_cmp_class_f32_e64 s[30:31], v12, s51
	v_cndmask_b32_e32 v34, v30, v31, vcc
	s_and_b64 vcc, s[30:31], s[12:13]
	v_cndmask_b32_e32 v33, v33, v34, vcc
.LBB174_69:                             ;   in Loop: Header=BB174_4 Depth=1
	s_or_b64 exec, exec, s[28:29]
.LBB174_70:                             ;   in Loop: Header=BB174_4 Depth=1
	s_or_b64 exec, exec, s[26:27]
.LBB174_71:                             ;   in Loop: Header=BB174_4 Depth=1
	s_andn2_saveexec_b64 s[24:25], s[24:25]
	s_cbranch_execz .LBB174_73
; %bb.72:                               ;   in Loop: Header=BB174_4 Depth=1
	v_div_scale_f32 v7, s[12:13], s56, s56, v11
	v_div_scale_f32 v33, s[12:13], s56, s56, v12
	v_div_scale_f32 v34, vcc, v11, s56, v11
	v_div_scale_f32 v35, s[12:13], v12, s56, v12
	v_rcp_f32_e32 v36, v7
	v_rcp_f32_e32 v37, v33
	v_fma_f32 v38, -v7, v36, 1.0
	v_fmac_f32_e32 v36, v38, v36
	v_fma_f32 v39, -v33, v37, 1.0
	v_fmac_f32_e32 v37, v39, v37
	v_mul_f32_e32 v38, v34, v36
	v_mul_f32_e32 v39, v35, v37
	v_fma_f32 v40, -v7, v38, v34
	v_fma_f32 v41, -v33, v39, v35
	v_fmac_f32_e32 v38, v40, v36
	v_fmac_f32_e32 v39, v41, v37
	v_fma_f32 v7, -v7, v38, v34
	v_fma_f32 v33, -v33, v39, v35
	v_div_fmas_f32 v7, v7, v36, v38
	s_mov_b64 vcc, s[12:13]
	v_div_fmas_f32 v33, v33, v37, v39
	v_max_f32_e64 v34, |v12|, |v12|
	v_max_f32_e64 v35, |v11|, |v11|
	v_min_f32_e32 v37, v35, v34
	v_max_f32_e32 v34, v35, v34
	v_frexp_exp_i32_f32_e32 v35, v34
	v_frexp_exp_i32_f32_e32 v38, v37
	v_sub_u32_e32 v35, v38, v35
	v_frexp_mant_f32_e32 v34, v34
	v_rcp_f32_e32 v39, v34
	v_frexp_mant_f32_e32 v37, v37
	v_mov_b32_e32 v36, 0xbc7a590c
	v_cmp_class_f32_e64 s[12:13], v12, s51
	v_mul_f32_e32 v37, v37, v39
	v_div_fixup_f32 v7, v7, s56, v11
	v_ldexp_f32 v35, v37, v35
	v_div_fixup_f32 v38, v33, s56, v12
	v_max_f32_e64 v40, |v7|, |v38|
	v_cvt_f64_f32_e32 v[33:34], v40
	v_mul_f32_e32 v37, v35, v35
	v_fmac_f32_e32 v36, 0x3b2d2a58, v37
	v_cmp_neq_f32_e32 vcc, s49, v40
	v_frexp_exp_i32_f64_e32 v33, v[33:34]
	v_fma_f32 v34, v37, v36, v20
	v_fma_f32 v34, v37, v34, v21
	;; [unrolled: 1-line block ×6, first 2 shown]
	v_mul_f32_e32 v34, v37, v34
	v_sub_u32_e32 v36, 0, v33
	v_ldexp_f32 v7, |v7|, v36
	v_ldexp_f32 v36, |v38|, v36
	v_mul_f32_e32 v36, v36, v36
	v_fmac_f32_e32 v36, v7, v7
	v_sqrt_f32_e32 v7, v36
	v_fmac_f32_e32 v35, v35, v34
	v_sub_f32_e32 v34, 0x3fc90fdb, v35
	v_ldexp_f32 v7, v7, v33
	v_cndmask_b32_e32 v7, v26, v7, vcc
	v_cmp_gt_f32_e32 vcc, s53, v7
	v_cndmask_b32_e64 v33, 0, 32, vcc
	v_ldexp_f32 v7, v7, v33
	v_log_f32_e32 v7, v7
	v_cndmask_b32_e64 v33, v35, v34, s[10:11]
	v_cndmask_b32_e32 v35, 0, v32, vcc
	v_sub_f32_e32 v34, 0x40490fdb, v33
	v_mul_f32_e32 v36, 0x3f317217, v7
	v_fma_f32 v36, v7, s54, -v36
	v_fmac_f32_e32 v36, 0x3377d1cf, v7
	v_fmac_f32_e32 v36, 0x3f317217, v7
	v_cmp_lt_f32_e64 vcc, |v7|, s49
	v_cndmask_b32_e32 v7, v7, v36, vcc
	v_cmp_gt_f32_e32 vcc, 0, v11
	v_cmp_gt_i32_e64 s[10:11], 0, v11
	v_cndmask_b32_e32 v33, v33, v34, vcc
	v_cndmask_b32_e64 v34, 0, v29, s[10:11]
	v_cmp_eq_f32_e64 s[10:11], 0, v12
	v_cndmask_b32_e64 v33, v33, v34, s[10:11]
	v_cmp_class_f32_e64 s[10:11], v11, s51
	v_sub_f32_e32 v7, v7, v35
	v_cndmask_b32_e32 v34, v30, v31, vcc
	s_and_b64 vcc, s[12:13], s[10:11]
	v_add_f32_e32 v7, 1.0, v7
	v_cndmask_b32_e32 v33, v33, v34, vcc
.LBB174_73:                             ;   in Loop: Header=BB174_4 Depth=1
	s_or_b64 exec, exec, s[24:25]
.LBB174_74:                             ;   in Loop: Header=BB174_4 Depth=1
	s_andn2_saveexec_b64 s[10:11], s[22:23]
	s_cbranch_execz .LBB174_80
; %bb.75:                               ;   in Loop: Header=BB174_4 Depth=1
	v_cmp_nlt_f32_e64 s[12:13], |v11|, s57
	v_cmp_nlt_f32_e64 s[22:23], |v12|, s57
	s_or_b64 s[12:13], s[22:23], s[12:13]
                                        ; implicit-def: $vgpr7
	s_and_saveexec_b64 s[22:23], s[12:13]
	s_xor_b64 s[12:13], exec, s[22:23]
; %bb.76:                               ;   in Loop: Header=BB174_4 Depth=1
	v_mul_f32_e32 v7, v11, v11
	v_fmac_f32_e32 v7, v12, v12
; %bb.77:                               ;   in Loop: Header=BB174_4 Depth=1
	s_andn2_saveexec_b64 s[12:13], s[12:13]
; %bb.78:                               ;   in Loop: Header=BB174_4 Depth=1
	v_mul_f32_e32 v7, 4.0, v11
	v_mul_f32_e32 v11, 4.0, v12
	v_mul_f32_e32 v7, v7, v7
	v_fmac_f32_e32 v7, v11, v11
	v_mul_f32_e32 v7, 0x3d800000, v7
; %bb.79:                               ;   in Loop: Header=BB174_4 Depth=1
	s_or_b64 exec, exec, s[12:13]
	v_cmp_gt_f32_e32 vcc, s53, v7
	v_cndmask_b32_e64 v11, 0, 32, vcc
	v_ldexp_f32 v7, v7, v11
	v_log_f32_e32 v7, v7
	v_cndmask_b32_e32 v11, 0, v32, vcc
	v_mul_f32_e32 v33, 0x3f317217, v7
	v_fma_f32 v33, v7, s54, -v33
	v_fmac_f32_e32 v33, 0x3377d1cf, v7
	v_fmac_f32_e32 v33, 0x3f317217, v7
	v_cmp_lt_f32_e64 vcc, |v7|, s49
	v_cndmask_b32_e32 v7, v7, v33, vcc
	v_sub_f32_e32 v7, v7, v11
	v_mov_b32_e32 v33, 0x7fc00000
.LBB174_80:                             ;   in Loop: Header=BB174_4 Depth=1
	s_or_b64 exec, exec, s[10:11]
	v_cmp_o_f32_e32 vcc, v4, v3
                                        ; implicit-def: $vgpr11
                                        ; implicit-def: $vgpr34
	s_and_saveexec_b64 s[10:11], vcc
	s_xor_b64 s[22:23], exec, s[10:11]
	s_cbranch_execz .LBB174_108
; %bb.81:                               ;   in Loop: Header=BB174_4 Depth=1
	v_cmp_lt_f32_e64 s[10:11], |v3|, |v4|
	v_cndmask_b32_e64 v35, |v4|, |v3|, s[10:11]
	v_cmp_nlt_f32_e32 vcc, s44, v35
                                        ; implicit-def: $vgpr11
                                        ; implicit-def: $vgpr34
	s_and_saveexec_b64 s[12:13], vcc
	s_xor_b64 s[24:25], exec, s[12:13]
	s_cbranch_execz .LBB174_105
; %bb.82:                               ;   in Loop: Header=BB174_4 Depth=1
	v_and_b32_e32 v11, 0x7fffffff, v4
	v_cndmask_b32_e64 v36, |v3|, v11, s[10:11]
	v_cmp_neq_f32_e32 vcc, 1.0, v36
                                        ; implicit-def: $vgpr11
                                        ; implicit-def: $vgpr34
	s_and_saveexec_b64 s[12:13], vcc
	s_xor_b64 s[26:27], exec, s[12:13]
	s_cbranch_execz .LBB174_98
; %bb.83:                               ;   in Loop: Header=BB174_4 Depth=1
	v_max_f32_e32 v11, v35, v35
	v_max_f32_e32 v34, v36, v36
	v_min_f32_e32 v37, v34, v11
	v_max_f32_e32 v11, v34, v11
	v_cmp_ngt_f32_e32 vcc, s45, v37
	v_cmp_nlt_f32_e64 s[12:13], s46, v11
	s_and_b64 s[12:13], s[12:13], vcc
                                        ; implicit-def: $vgpr11
                                        ; implicit-def: $vgpr34
	s_and_saveexec_b64 s[28:29], s[12:13]
	s_xor_b64 s[28:29], exec, s[28:29]
	s_cbranch_execz .LBB174_95
; %bb.84:                               ;   in Loop: Header=BB174_4 Depth=1
	v_cmp_le_f32_e32 vcc, 1.0, v36
                                        ; implicit-def: $vgpr11
                                        ; implicit-def: $vgpr34
	s_and_saveexec_b64 s[12:13], vcc
	s_xor_b64 s[30:31], exec, s[12:13]
	s_cbranch_execz .LBB174_86
; %bb.85:                               ;   in Loop: Header=BB174_4 Depth=1
	v_add_f32_e32 v11, -1.0, v36
	v_add_f32_e32 v34, 1.0, v36
	v_mul_f32_e32 v11, v11, v34
	v_fmac_f32_e32 v11, v35, v35
	v_add_f32_e32 v36, 1.0, v11
	v_cvt_f64_f32_e32 v[34:35], v36
	v_add_f32_e32 v37, -1.0, v36
	v_sub_f32_e32 v38, v37, v36
	v_sub_f32_e32 v37, v11, v37
	v_frexp_exp_i32_f64_e32 v34, v[34:35]
	v_frexp_mant_f32_e32 v35, v36
	v_cmp_gt_f32_e32 vcc, s47, v35
	v_add_f32_e32 v38, 1.0, v38
	v_add_f32_e32 v37, v37, v38
	v_cmp_gt_i32_e64 s[12:13], 0, v3
	v_cmp_class_f32_e64 s[34:35], v4, s51
	v_subbrev_co_u32_e32 v34, vcc, 0, v34, vcc
	v_sub_u32_e32 v35, 0, v34
	v_ldexp_f32 v36, v36, v35
	v_ldexp_f32 v35, v37, v35
	v_add_f32_e32 v37, -1.0, v36
	v_add_f32_e32 v40, 1.0, v36
	v_add_f32_e32 v38, 1.0, v37
	v_add_f32_e32 v41, -1.0, v40
	v_sub_f32_e32 v38, v36, v38
	v_sub_f32_e32 v36, v36, v41
	v_add_f32_e32 v38, v35, v38
	v_add_f32_e32 v35, v35, v36
	;; [unrolled: 1-line block ×3, first 2 shown]
	v_rcp_f32_e32 v41, v36
	v_add_f32_e32 v39, v37, v38
	v_sub_f32_e32 v37, v39, v37
	v_sub_f32_e32 v37, v38, v37
	;; [unrolled: 1-line block ×4, first 2 shown]
	v_mul_f32_e32 v38, v39, v41
	v_mul_f32_e32 v40, v36, v38
	v_fma_f32 v42, v38, v36, -v40
	v_fmac_f32_e32 v42, v38, v35
	v_add_f32_e32 v43, v40, v42
	v_sub_f32_e32 v44, v39, v43
	v_sub_f32_e32 v39, v39, v44
	v_sub_f32_e32 v40, v43, v40
	v_sub_f32_e32 v39, v39, v43
	v_add_f32_e32 v37, v37, v39
	v_sub_f32_e32 v39, v40, v42
	v_add_f32_e32 v37, v39, v37
	v_add_f32_e32 v39, v44, v37
	v_mul_f32_e32 v40, v41, v39
	v_mul_f32_e32 v42, v36, v40
	v_fma_f32 v36, v40, v36, -v42
	v_fmac_f32_e32 v36, v40, v35
	v_sub_f32_e32 v35, v44, v39
	v_add_f32_e32 v35, v37, v35
	v_add_f32_e32 v37, v42, v36
	v_sub_f32_e32 v43, v39, v37
	v_sub_f32_e32 v39, v39, v43
	;; [unrolled: 1-line block ×4, first 2 shown]
	v_add_f32_e32 v35, v35, v37
	v_sub_f32_e32 v36, v42, v36
	v_cvt_f32_i32_e32 v34, v34
	v_add_f32_e32 v35, v36, v35
	v_add_f32_e32 v36, v38, v40
	;; [unrolled: 1-line block ×3, first 2 shown]
	v_sub_f32_e32 v37, v36, v38
	v_mul_f32_e32 v35, v41, v35
	v_sub_f32_e32 v37, v40, v37
	v_add_f32_e32 v35, v37, v35
	v_mul_f32_e32 v40, 0x3f317218, v34
	v_add_f32_e32 v37, v36, v35
	v_fma_f32 v41, v34, s48, -v40
	v_mul_f32_e32 v38, v37, v37
	v_mov_b32_e32 v39, 0x3ecc95a3
	v_fmac_f32_e32 v41, 0xb102e308, v34
	v_sub_f32_e32 v34, v37, v36
	v_fmac_f32_e32 v39, 0x3e9b6dac, v38
	v_sub_f32_e32 v34, v35, v34
	v_add_f32_e32 v35, v40, v41
	v_fma_f32 v39, v38, v39, v19
	v_sub_f32_e32 v36, v35, v40
	v_ldexp_f32 v40, v37, 1
	v_mul_f32_e32 v37, v37, v38
	v_mul_f32_e32 v37, v37, v39
	v_add_f32_e32 v38, v40, v37
	v_sub_f32_e32 v39, v38, v40
	v_ldexp_f32 v34, v34, 1
	v_sub_f32_e32 v37, v37, v39
	v_add_f32_e32 v34, v34, v37
	v_add_f32_e32 v37, v38, v34
	v_sub_f32_e32 v38, v37, v38
	v_sub_f32_e32 v34, v34, v38
	v_add_f32_e32 v38, v35, v37
	v_sub_f32_e32 v39, v38, v35
	v_sub_f32_e32 v40, v38, v39
	;; [unrolled: 1-line block ×5, first 2 shown]
	v_add_f32_e32 v35, v37, v35
	v_add_f32_e32 v37, v36, v34
	v_sub_f32_e32 v39, v37, v36
	v_sub_f32_e32 v40, v37, v39
	;; [unrolled: 1-line block ×4, first 2 shown]
	v_add_f32_e32 v35, v37, v35
	v_add_f32_e32 v34, v34, v36
	v_add_f32_e32 v36, v38, v35
	v_sub_f32_e32 v37, v36, v38
	v_sub_f32_e32 v35, v35, v37
	v_add_f32_e32 v34, v34, v35
	v_add_f32_e32 v34, v36, v34
	v_cmp_neq_f32_e32 vcc, s49, v11
	v_cndmask_b32_e32 v34, v26, v34, vcc
	v_cmp_ngt_f32_e32 vcc, -1.0, v11
	v_cndmask_b32_e32 v34, v27, v34, vcc
	v_cmp_neq_f32_e32 vcc, -1.0, v11
	v_cndmask_b32_e32 v34, v28, v34, vcc
	v_cmp_lt_f32_e64 vcc, |v11|, s50
	v_cndmask_b32_e32 v11, v34, v11, vcc
	v_max_f32_e64 v34, |v4|, |v4|
	v_max_f32_e64 v35, |v3|, |v3|
	v_min_f32_e32 v36, v35, v34
	v_max_f32_e32 v34, v35, v34
	v_frexp_mant_f32_e32 v35, v34
	v_rcp_f32_e32 v35, v35
	v_frexp_exp_i32_f32_e32 v34, v34
	v_frexp_exp_i32_f32_e32 v37, v36
	v_frexp_mant_f32_e32 v36, v36
	v_mul_f32_e32 v35, v36, v35
	v_sub_u32_e32 v34, v37, v34
	v_ldexp_f32 v34, v35, v34
	v_mul_f32_e32 v35, v34, v34
	v_mov_b32_e32 v36, 0xbc7a590c
	v_fmac_f32_e32 v36, 0x3b2d2a58, v35
	v_fma_f32 v36, v35, v36, v20
	v_fma_f32 v36, v35, v36, v21
	;; [unrolled: 1-line block ×6, first 2 shown]
	v_mul_f32_e32 v35, v35, v36
	v_fmac_f32_e32 v34, v34, v35
	v_sub_f32_e32 v35, 0x3fc90fdb, v34
	v_cndmask_b32_e64 v34, v34, v35, s[10:11]
	v_sub_f32_e32 v35, 0x40490fdb, v34
	v_cmp_gt_f32_e32 vcc, 0, v3
	v_cndmask_b32_e32 v34, v34, v35, vcc
	v_cndmask_b32_e64 v35, 0, v29, s[12:13]
	v_cmp_eq_f32_e64 s[12:13], 0, v4
	v_cndmask_b32_e64 v34, v34, v35, s[12:13]
	v_cmp_class_f32_e64 s[12:13], v3, s51
	v_cndmask_b32_e32 v35, v30, v31, vcc
	s_and_b64 vcc, s[34:35], s[12:13]
	v_mul_f32_e32 v11, 0.5, v11
	v_cndmask_b32_e32 v34, v34, v35, vcc
                                        ; implicit-def: $vgpr35
                                        ; implicit-def: $vgpr36
.LBB174_86:                             ;   in Loop: Header=BB174_4 Depth=1
	s_andn2_saveexec_b64 s[30:31], s[30:31]
	s_cbranch_execz .LBB174_94
; %bb.87:                               ;   in Loop: Header=BB174_4 Depth=1
	v_mul_f32_e32 v37, v35, v35
	v_fmac_f32_e32 v37, v36, v36
	v_cmp_ge_f32_e32 vcc, s52, v37
                                        ; implicit-def: $vgpr11
                                        ; implicit-def: $vgpr34
	s_and_saveexec_b64 s[12:13], vcc
	s_xor_b64 s[34:35], exec, s[12:13]
	s_cbranch_execz .LBB174_89
; %bb.88:                               ;   in Loop: Header=BB174_4 Depth=1
	v_cmp_gt_f32_e32 vcc, s53, v37
	v_cndmask_b32_e64 v11, 0, 32, vcc
	v_ldexp_f32 v11, v37, v11
	v_log_f32_e32 v11, v11
	v_cndmask_b32_e32 v34, 0, v32, vcc
	v_cmp_gt_i32_e64 s[12:13], 0, v3
	v_cmp_class_f32_e64 s[36:37], v4, s51
	v_mul_f32_e32 v35, 0x3f317217, v11
	v_fma_f32 v35, v11, s54, -v35
	v_fmac_f32_e32 v35, 0x3377d1cf, v11
	v_fmac_f32_e32 v35, 0x3f317217, v11
	v_cmp_lt_f32_e64 vcc, |v11|, s49
	v_cndmask_b32_e32 v11, v11, v35, vcc
	v_sub_f32_e32 v11, v11, v34
	v_max_f32_e64 v34, |v4|, |v4|
	v_max_f32_e64 v35, |v3|, |v3|
	v_min_f32_e32 v36, v35, v34
	v_max_f32_e32 v34, v35, v34
	v_frexp_mant_f32_e32 v35, v34
	v_rcp_f32_e32 v35, v35
	v_frexp_exp_i32_f32_e32 v34, v34
	v_frexp_exp_i32_f32_e32 v37, v36
	v_frexp_mant_f32_e32 v36, v36
	v_mul_f32_e32 v35, v36, v35
	v_sub_u32_e32 v34, v37, v34
	v_ldexp_f32 v34, v35, v34
	v_mul_f32_e32 v35, v34, v34
	v_mov_b32_e32 v36, 0xbc7a590c
	v_fmac_f32_e32 v36, 0x3b2d2a58, v35
	v_fma_f32 v36, v35, v36, v20
	v_fma_f32 v36, v35, v36, v21
	;; [unrolled: 1-line block ×6, first 2 shown]
	v_mul_f32_e32 v35, v35, v36
	v_fmac_f32_e32 v34, v34, v35
	v_sub_f32_e32 v35, 0x3fc90fdb, v34
	v_cndmask_b32_e64 v34, v34, v35, s[10:11]
	v_sub_f32_e32 v35, 0x40490fdb, v34
	v_cmp_gt_f32_e32 vcc, 0, v3
	v_cndmask_b32_e32 v34, v34, v35, vcc
	v_cndmask_b32_e64 v35, 0, v29, s[12:13]
	v_cmp_eq_f32_e64 s[12:13], 0, v4
	v_cndmask_b32_e64 v34, v34, v35, s[12:13]
	v_cmp_class_f32_e64 s[12:13], v3, s51
	v_cndmask_b32_e32 v35, v30, v31, vcc
	s_and_b64 vcc, s[36:37], s[12:13]
	v_mul_f32_e32 v11, 0.5, v11
	v_cndmask_b32_e32 v34, v34, v35, vcc
                                        ; implicit-def: $vgpr36
                                        ; implicit-def: $vgpr35
.LBB174_89:                             ;   in Loop: Header=BB174_4 Depth=1
	s_andn2_saveexec_b64 s[34:35], s[34:35]
	s_cbranch_execz .LBB174_93
; %bb.90:                               ;   in Loop: Header=BB174_4 Depth=1
	v_and_b32_e32 v37, 0x7fff0000, v36
	v_sub_f32_e32 v11, v36, v37
	v_and_b32_e32 v41, 0xffff0000, v11
	v_and_b32_e32 v36, 0x7fff0000, v35
	v_sub_f32_e32 v43, v11, v41
	v_sub_f32_e32 v11, v35, v36
	v_and_b32_e32 v42, 0xffff0000, v11
	v_add_f32_e32 v38, v37, v37
	v_add_f32_e32 v45, v36, v36
	v_sub_f32_e32 v44, v11, v42
	v_mul_f32_e32 v11, v37, v37
	v_mul_f32_e32 v34, v36, v36
	;; [unrolled: 1-line block ×6, first 2 shown]
	v_add_f32_e32 v41, v41, v41
	v_add_f32_e32 v42, v42, v42
	v_mul_f32_e32 v39, v38, v43
	v_mul_f32_e32 v38, v45, v44
	;; [unrolled: 1-line block ×6, first 2 shown]
	s_mov_b64 s[36:37], 0
.LBB174_91:                             ;   Parent Loop BB174_4 Depth=1
                                        ; =>  This Inner Loop Header: Depth=2
	v_cmp_nlt_f32_e32 vcc, v11, v34
	v_mov_b32_e32 v45, v44
	v_cndmask_b32_e32 v44, v11, v34, vcc
	v_cmp_nlt_f32_e64 s[12:13], v44, v37
	v_cndmask_b32_e64 v46, v44, v37, s[12:13]
	v_cndmask_b32_e32 v11, v34, v11, vcc
	s_and_b64 s[58:59], vcc, s[12:13]
	v_cmp_nlt_f32_e32 vcc, v46, v36
	v_cndmask_b32_e64 v34, v37, v44, s[12:13]
	v_cndmask_b32_e32 v44, v46, v36, vcc
	v_cmp_nlt_f32_e64 s[12:13], v44, v40
	v_cndmask_b32_e32 v37, v36, v46, vcc
	v_cndmask_b32_e64 v46, v44, v40, s[12:13]
	s_and_b64 s[60:61], vcc, s[12:13]
	v_cmp_nlt_f32_e32 vcc, v46, v35
	v_cndmask_b32_e64 v36, v40, v44, s[12:13]
	v_cndmask_b32_e32 v44, v46, v35, vcc
	v_cmp_nlt_f32_e64 s[12:13], v44, v39
	v_cndmask_b32_e32 v40, v35, v46, vcc
	v_cndmask_b32_e64 v46, v44, v39, s[12:13]
	v_cndmask_b32_e64 v35, v39, v44, s[12:13]
	s_and_b64 s[12:13], vcc, s[12:13]
	v_cmp_nlt_f32_e32 vcc, v46, v38
	v_cndmask_b32_e32 v44, v46, v38, vcc
	v_cndmask_b32_e32 v39, v38, v46, vcc
	s_and_b64 s[12:13], s[12:13], vcc
	v_cmp_nlt_f32_e32 vcc, v44, v41
	v_cndmask_b32_e32 v46, v44, v41, vcc
	v_cndmask_b32_e32 v38, v41, v44, vcc
	s_and_b64 s[12:13], s[12:13], vcc
	;; [unrolled: 4-line block ×4, first 2 shown]
	v_cmp_nlt_f32_e32 vcc, v46, v45
	s_and_b64 s[12:13], s[12:13], vcc
	s_and_b64 s[12:13], s[12:13], s[60:61]
	s_and_b64 s[12:13], s[12:13], s[58:59]
	s_and_b64 s[12:13], exec, s[12:13]
	v_cndmask_b32_e32 v44, v46, v45, vcc
	s_or_b64 s[36:37], s[12:13], s[36:37]
	v_cndmask_b32_e32 v43, v45, v46, vcc
	s_andn2_b64 exec, exec, s[36:37]
	s_cbranch_execnz .LBB174_91
; %bb.92:                               ;   in Loop: Header=BB174_4 Depth=1
	s_or_b64 exec, exec, s[36:37]
	v_add_f32_e32 v11, -1.0, v11
	v_add_f32_e32 v11, v11, v34
	v_add_f32_e32 v11, v11, v37
	;; [unrolled: 1-line block ×11, first 2 shown]
	v_add_f32_e32 v36, 1.0, v11
	v_cvt_f64_f32_e32 v[34:35], v36
	v_add_f32_e32 v37, -1.0, v36
	v_sub_f32_e32 v38, v37, v36
	v_sub_f32_e32 v37, v11, v37
	v_frexp_exp_i32_f64_e32 v34, v[34:35]
	v_frexp_mant_f32_e32 v35, v36
	v_cmp_gt_f32_e32 vcc, s47, v35
	v_add_f32_e32 v38, 1.0, v38
	v_add_f32_e32 v37, v37, v38
	v_cmp_gt_i32_e64 s[12:13], 0, v3
	v_cmp_class_f32_e64 s[36:37], v4, s51
	v_subbrev_co_u32_e32 v34, vcc, 0, v34, vcc
	v_sub_u32_e32 v35, 0, v34
	v_ldexp_f32 v36, v36, v35
	v_ldexp_f32 v35, v37, v35
	v_add_f32_e32 v37, -1.0, v36
	v_add_f32_e32 v38, 1.0, v36
	v_add_f32_e32 v39, 1.0, v37
	v_add_f32_e32 v41, -1.0, v38
	v_sub_f32_e32 v39, v36, v39
	v_sub_f32_e32 v36, v36, v41
	v_add_f32_e32 v39, v35, v39
	v_add_f32_e32 v35, v35, v36
	;; [unrolled: 1-line block ×3, first 2 shown]
	v_rcp_f32_e32 v41, v36
	v_add_f32_e32 v40, v37, v39
	v_sub_f32_e32 v38, v36, v38
	v_sub_f32_e32 v37, v40, v37
	;; [unrolled: 1-line block ×3, first 2 shown]
	v_mul_f32_e32 v38, v40, v41
	v_sub_f32_e32 v37, v39, v37
	v_mul_f32_e32 v39, v36, v38
	v_fma_f32 v42, v38, v36, -v39
	v_fmac_f32_e32 v42, v38, v35
	v_add_f32_e32 v43, v39, v42
	v_sub_f32_e32 v44, v40, v43
	v_sub_f32_e32 v40, v40, v44
	v_sub_f32_e32 v39, v43, v39
	v_sub_f32_e32 v40, v40, v43
	v_add_f32_e32 v37, v37, v40
	v_sub_f32_e32 v39, v39, v42
	v_add_f32_e32 v37, v39, v37
	v_add_f32_e32 v39, v44, v37
	v_mul_f32_e32 v40, v41, v39
	v_mul_f32_e32 v42, v36, v40
	v_fma_f32 v36, v40, v36, -v42
	v_fmac_f32_e32 v36, v40, v35
	v_sub_f32_e32 v35, v44, v39
	v_add_f32_e32 v35, v37, v35
	v_add_f32_e32 v37, v42, v36
	v_sub_f32_e32 v43, v39, v37
	v_sub_f32_e32 v39, v39, v43
	;; [unrolled: 1-line block ×4, first 2 shown]
	v_add_f32_e32 v35, v35, v37
	v_sub_f32_e32 v36, v42, v36
	v_cvt_f32_i32_e32 v34, v34
	v_add_f32_e32 v35, v36, v35
	v_add_f32_e32 v36, v38, v40
	;; [unrolled: 1-line block ×3, first 2 shown]
	v_sub_f32_e32 v37, v36, v38
	v_mul_f32_e32 v35, v41, v35
	v_sub_f32_e32 v37, v40, v37
	v_add_f32_e32 v35, v37, v35
	v_mul_f32_e32 v40, 0x3f317218, v34
	v_add_f32_e32 v37, v36, v35
	v_fma_f32 v41, v34, s48, -v40
	v_mul_f32_e32 v38, v37, v37
	v_mov_b32_e32 v39, 0x3ecc95a3
	v_fmac_f32_e32 v41, 0xb102e308, v34
	v_sub_f32_e32 v34, v37, v36
	v_fmac_f32_e32 v39, 0x3e9b6dac, v38
	v_sub_f32_e32 v34, v35, v34
	v_add_f32_e32 v35, v40, v41
	v_fma_f32 v39, v38, v39, v19
	v_sub_f32_e32 v36, v35, v40
	v_ldexp_f32 v40, v37, 1
	v_mul_f32_e32 v37, v37, v38
	v_mul_f32_e32 v37, v37, v39
	v_add_f32_e32 v38, v40, v37
	v_sub_f32_e32 v39, v38, v40
	v_ldexp_f32 v34, v34, 1
	v_sub_f32_e32 v37, v37, v39
	v_add_f32_e32 v34, v34, v37
	v_add_f32_e32 v37, v38, v34
	v_sub_f32_e32 v38, v37, v38
	v_sub_f32_e32 v34, v34, v38
	v_add_f32_e32 v38, v35, v37
	v_sub_f32_e32 v39, v38, v35
	v_sub_f32_e32 v40, v38, v39
	;; [unrolled: 1-line block ×5, first 2 shown]
	v_add_f32_e32 v35, v37, v35
	v_add_f32_e32 v37, v36, v34
	v_sub_f32_e32 v39, v37, v36
	v_sub_f32_e32 v40, v37, v39
	;; [unrolled: 1-line block ×4, first 2 shown]
	v_add_f32_e32 v35, v37, v35
	v_add_f32_e32 v34, v34, v36
	;; [unrolled: 1-line block ×3, first 2 shown]
	v_sub_f32_e32 v37, v36, v38
	v_sub_f32_e32 v35, v35, v37
	v_add_f32_e32 v34, v34, v35
	v_add_f32_e32 v34, v36, v34
	v_cmp_neq_f32_e32 vcc, s49, v11
	v_cndmask_b32_e32 v34, v26, v34, vcc
	v_cmp_ngt_f32_e32 vcc, -1.0, v11
	v_cndmask_b32_e32 v34, v27, v34, vcc
	v_cmp_neq_f32_e32 vcc, -1.0, v11
	v_cndmask_b32_e32 v34, v28, v34, vcc
	v_cmp_lt_f32_e64 vcc, |v11|, s50
	v_cndmask_b32_e32 v11, v34, v11, vcc
	v_max_f32_e64 v34, |v4|, |v4|
	v_max_f32_e64 v35, |v3|, |v3|
	v_min_f32_e32 v36, v35, v34
	v_max_f32_e32 v34, v35, v34
	v_frexp_mant_f32_e32 v35, v34
	v_rcp_f32_e32 v35, v35
	v_frexp_exp_i32_f32_e32 v34, v34
	v_frexp_exp_i32_f32_e32 v37, v36
	v_frexp_mant_f32_e32 v36, v36
	v_mul_f32_e32 v35, v36, v35
	v_sub_u32_e32 v34, v37, v34
	v_ldexp_f32 v34, v35, v34
	v_mul_f32_e32 v35, v34, v34
	v_mov_b32_e32 v36, 0xbc7a590c
	v_fmac_f32_e32 v36, 0x3b2d2a58, v35
	v_fma_f32 v36, v35, v36, v20
	v_fma_f32 v36, v35, v36, v21
	;; [unrolled: 1-line block ×6, first 2 shown]
	v_mul_f32_e32 v35, v35, v36
	v_fmac_f32_e32 v34, v34, v35
	v_sub_f32_e32 v35, 0x3fc90fdb, v34
	v_cndmask_b32_e64 v34, v34, v35, s[10:11]
	v_sub_f32_e32 v35, 0x40490fdb, v34
	v_cmp_gt_f32_e32 vcc, 0, v3
	v_cndmask_b32_e32 v34, v34, v35, vcc
	v_cndmask_b32_e64 v35, 0, v29, s[12:13]
	v_cmp_eq_f32_e64 s[12:13], 0, v4
	v_cndmask_b32_e64 v34, v34, v35, s[12:13]
	v_cmp_class_f32_e64 s[12:13], v3, s51
	v_cndmask_b32_e32 v35, v30, v31, vcc
	s_and_b64 vcc, s[36:37], s[12:13]
	v_mul_f32_e32 v11, 0.5, v11
	v_cndmask_b32_e32 v34, v34, v35, vcc
.LBB174_93:                             ;   in Loop: Header=BB174_4 Depth=1
	s_or_b64 exec, exec, s[34:35]
.LBB174_94:                             ;   in Loop: Header=BB174_4 Depth=1
	s_or_b64 exec, exec, s[30:31]
.LBB174_95:                             ;   in Loop: Header=BB174_4 Depth=1
	s_andn2_saveexec_b64 s[28:29], s[28:29]
	s_cbranch_execz .LBB174_97
; %bb.96:                               ;   in Loop: Header=BB174_4 Depth=1
	v_max_f32_e64 v11, |v4|, |v4|
	v_max_f32_e64 v36, |v3|, |v3|
	v_max_f32_e32 v37, v36, v11
	v_cvt_f64_f32_e32 v[34:35], v37
	v_min_f32_e32 v11, v36, v11
	v_frexp_mant_f32_e32 v36, v37
	v_rcp_f32_e32 v36, v36
	v_frexp_exp_i32_f64_e32 v34, v[34:35]
	v_cmp_neq_f32_e32 vcc, s49, v37
	v_frexp_exp_i32_f32_e32 v38, v11
	v_frexp_mant_f32_e32 v11, v11
	v_mul_f32_e32 v11, v11, v36
	v_frexp_exp_i32_f32_e32 v35, v37
	v_sub_u32_e32 v35, v38, v35
	v_ldexp_f32 v35, v11, v35
	v_sub_u32_e32 v39, 0, v34
	v_ldexp_f32 v40, |v3|, v39
	v_ldexp_f32 v39, |v4|, v39
	v_mul_f32_e32 v39, v39, v39
	v_fmac_f32_e32 v39, v40, v40
	v_sqrt_f32_e32 v39, v39
	v_cmp_gt_i32_e64 s[12:13], 0, v3
	v_cmp_class_f32_e64 s[30:31], v4, s51
	v_ldexp_f32 v34, v39, v34
	v_cndmask_b32_e32 v34, v26, v34, vcc
	v_cmp_gt_f32_e32 vcc, s53, v34
	v_cndmask_b32_e64 v36, 0, 32, vcc
	v_ldexp_f32 v34, v34, v36
	v_log_f32_e32 v34, v34
	v_cndmask_b32_e32 v11, 0, v32, vcc
	v_mul_f32_e32 v36, v35, v35
	v_mul_f32_e32 v37, 0x3f317217, v34
	v_fma_f32 v37, v34, s54, -v37
	v_fmac_f32_e32 v37, 0x3377d1cf, v34
	v_fmac_f32_e32 v37, 0x3f317217, v34
	v_cmp_lt_f32_e64 vcc, |v34|, s49
	v_cndmask_b32_e32 v34, v34, v37, vcc
	v_sub_f32_e32 v11, v34, v11
	v_mov_b32_e32 v34, 0xbc7a590c
	v_fmac_f32_e32 v34, 0x3b2d2a58, v36
	v_fma_f32 v34, v36, v34, v20
	v_fma_f32 v34, v36, v34, v21
	v_fma_f32 v34, v36, v34, v22
	v_fma_f32 v34, v36, v34, v23
	v_fma_f32 v34, v36, v34, v24
	v_fma_f32 v34, v36, v34, v25
	v_mul_f32_e32 v34, v36, v34
	v_fmac_f32_e32 v35, v35, v34
	v_sub_f32_e32 v34, 0x3fc90fdb, v35
	v_cndmask_b32_e64 v34, v35, v34, s[10:11]
	v_sub_f32_e32 v35, 0x40490fdb, v34
	v_cmp_gt_f32_e32 vcc, 0, v3
	v_cndmask_b32_e32 v34, v34, v35, vcc
	v_cndmask_b32_e64 v35, 0, v29, s[12:13]
	v_cmp_eq_f32_e64 s[12:13], 0, v4
	v_cndmask_b32_e64 v34, v34, v35, s[12:13]
	v_cmp_class_f32_e64 s[12:13], v3, s51
	v_cndmask_b32_e32 v35, v30, v31, vcc
	s_and_b64 vcc, s[30:31], s[12:13]
	v_cndmask_b32_e32 v34, v34, v35, vcc
.LBB174_97:                             ;   in Loop: Header=BB174_4 Depth=1
	s_or_b64 exec, exec, s[28:29]
                                        ; implicit-def: $vgpr35
.LBB174_98:                             ;   in Loop: Header=BB174_4 Depth=1
	s_andn2_saveexec_b64 s[26:27], s[26:27]
	s_cbranch_execz .LBB174_104
; %bb.99:                               ;   in Loop: Header=BB174_4 Depth=1
	v_cmp_ngt_f32_e32 vcc, s55, v35
                                        ; implicit-def: $vgpr11
                                        ; implicit-def: $vgpr34
	s_and_saveexec_b64 s[12:13], vcc
	s_xor_b64 s[28:29], exec, s[12:13]
	s_cbranch_execz .LBB174_101
; %bb.100:                              ;   in Loop: Header=BB174_4 Depth=1
	v_mul_f32_e32 v11, v35, v35
	v_add_f32_e32 v36, 1.0, v11
	v_cvt_f64_f32_e32 v[34:35], v36
	v_add_f32_e32 v37, -1.0, v36
	v_sub_f32_e32 v38, v37, v36
	v_sub_f32_e32 v37, v11, v37
	v_frexp_exp_i32_f64_e32 v34, v[34:35]
	v_frexp_mant_f32_e32 v35, v36
	v_cmp_gt_f32_e32 vcc, s47, v35
	v_add_f32_e32 v38, 1.0, v38
	v_add_f32_e32 v37, v37, v38
	v_cmp_gt_i32_e64 s[12:13], 0, v3
	v_cmp_class_f32_e64 s[30:31], v4, s51
	v_subbrev_co_u32_e32 v34, vcc, 0, v34, vcc
	v_sub_u32_e32 v35, 0, v34
	v_ldexp_f32 v36, v36, v35
	v_ldexp_f32 v35, v37, v35
	v_add_f32_e32 v37, -1.0, v36
	v_add_f32_e32 v38, 1.0, v36
	v_add_f32_e32 v39, 1.0, v37
	v_add_f32_e32 v41, -1.0, v38
	v_sub_f32_e32 v39, v36, v39
	v_sub_f32_e32 v36, v36, v41
	v_add_f32_e32 v39, v35, v39
	v_add_f32_e32 v35, v35, v36
	v_add_f32_e32 v36, v38, v35
	v_rcp_f32_e32 v41, v36
	v_add_f32_e32 v40, v37, v39
	v_sub_f32_e32 v38, v38, v36
	v_sub_f32_e32 v37, v37, v40
	v_add_f32_e32 v35, v35, v38
	v_mul_f32_e32 v38, v40, v41
	v_add_f32_e32 v37, v39, v37
	v_mul_f32_e32 v39, v36, v38
	v_fma_f32 v42, v38, v36, -v39
	v_fmac_f32_e32 v42, v38, v35
	v_add_f32_e32 v43, v39, v42
	v_sub_f32_e32 v44, v40, v43
	v_sub_f32_e32 v40, v40, v44
	;; [unrolled: 1-line block ×4, first 2 shown]
	v_add_f32_e32 v37, v37, v40
	v_sub_f32_e32 v39, v39, v42
	v_add_f32_e32 v37, v39, v37
	v_add_f32_e32 v39, v44, v37
	v_mul_f32_e32 v40, v41, v39
	v_mul_f32_e32 v42, v36, v40
	v_fma_f32 v36, v40, v36, -v42
	v_fmac_f32_e32 v36, v40, v35
	v_sub_f32_e32 v35, v44, v39
	v_add_f32_e32 v35, v37, v35
	v_add_f32_e32 v37, v42, v36
	v_sub_f32_e32 v43, v39, v37
	v_sub_f32_e32 v39, v39, v43
	;; [unrolled: 1-line block ×4, first 2 shown]
	v_add_f32_e32 v35, v35, v37
	v_sub_f32_e32 v36, v42, v36
	v_cvt_f32_i32_e32 v34, v34
	v_add_f32_e32 v35, v36, v35
	v_add_f32_e32 v36, v38, v40
	;; [unrolled: 1-line block ×3, first 2 shown]
	v_sub_f32_e32 v37, v36, v38
	v_mul_f32_e32 v35, v41, v35
	v_sub_f32_e32 v37, v40, v37
	v_add_f32_e32 v35, v37, v35
	v_mul_f32_e32 v40, 0x3f317218, v34
	v_add_f32_e32 v37, v36, v35
	v_fma_f32 v41, v34, s48, -v40
	v_mul_f32_e32 v38, v37, v37
	v_mov_b32_e32 v39, 0x3ecc95a3
	v_fmac_f32_e32 v41, 0xb102e308, v34
	v_sub_f32_e32 v34, v37, v36
	v_fmac_f32_e32 v39, 0x3e9b6dac, v38
	v_sub_f32_e32 v34, v35, v34
	v_add_f32_e32 v35, v40, v41
	v_fma_f32 v39, v38, v39, v19
	v_sub_f32_e32 v36, v35, v40
	v_ldexp_f32 v40, v37, 1
	v_mul_f32_e32 v37, v37, v38
	v_mul_f32_e32 v37, v37, v39
	v_add_f32_e32 v38, v40, v37
	v_sub_f32_e32 v39, v38, v40
	v_ldexp_f32 v34, v34, 1
	v_sub_f32_e32 v37, v37, v39
	v_add_f32_e32 v34, v34, v37
	v_add_f32_e32 v37, v38, v34
	v_sub_f32_e32 v38, v37, v38
	v_sub_f32_e32 v34, v34, v38
	v_add_f32_e32 v38, v35, v37
	v_sub_f32_e32 v39, v38, v35
	v_sub_f32_e32 v40, v38, v39
	v_sub_f32_e32 v36, v41, v36
	v_sub_f32_e32 v35, v35, v40
	v_sub_f32_e32 v37, v37, v39
	v_add_f32_e32 v35, v37, v35
	v_add_f32_e32 v37, v36, v34
	v_sub_f32_e32 v39, v37, v36
	v_sub_f32_e32 v40, v37, v39
	;; [unrolled: 1-line block ×4, first 2 shown]
	v_add_f32_e32 v35, v37, v35
	v_add_f32_e32 v34, v34, v36
	;; [unrolled: 1-line block ×3, first 2 shown]
	v_sub_f32_e32 v37, v36, v38
	v_sub_f32_e32 v35, v35, v37
	v_add_f32_e32 v34, v34, v35
	v_add_f32_e32 v34, v36, v34
	v_cmp_neq_f32_e32 vcc, s49, v11
	v_cndmask_b32_e32 v34, v26, v34, vcc
	v_cmp_lt_f32_e64 vcc, |v11|, s50
	v_cndmask_b32_e32 v11, v34, v11, vcc
	v_max_f32_e64 v34, |v4|, |v4|
	v_max_f32_e64 v35, |v3|, |v3|
	v_min_f32_e32 v36, v35, v34
	v_max_f32_e32 v34, v35, v34
	v_frexp_mant_f32_e32 v35, v34
	v_rcp_f32_e32 v35, v35
	v_frexp_exp_i32_f32_e32 v34, v34
	v_frexp_exp_i32_f32_e32 v37, v36
	v_frexp_mant_f32_e32 v36, v36
	v_mul_f32_e32 v35, v36, v35
	v_sub_u32_e32 v34, v37, v34
	v_ldexp_f32 v34, v35, v34
	v_mul_f32_e32 v35, v34, v34
	v_mov_b32_e32 v36, 0xbc7a590c
	v_fmac_f32_e32 v36, 0x3b2d2a58, v35
	v_fma_f32 v36, v35, v36, v20
	v_fma_f32 v36, v35, v36, v21
	;; [unrolled: 1-line block ×6, first 2 shown]
	v_mul_f32_e32 v35, v35, v36
	v_fmac_f32_e32 v34, v34, v35
	v_sub_f32_e32 v35, 0x3fc90fdb, v34
	v_cndmask_b32_e64 v34, v34, v35, s[10:11]
	v_sub_f32_e32 v35, 0x40490fdb, v34
	v_cmp_gt_f32_e32 vcc, 0, v3
	v_cndmask_b32_e32 v34, v34, v35, vcc
	v_cndmask_b32_e64 v35, 0, v29, s[12:13]
	v_cmp_eq_f32_e64 s[12:13], 0, v4
	v_cndmask_b32_e64 v34, v34, v35, s[12:13]
	v_cmp_class_f32_e64 s[12:13], v3, s51
	v_cndmask_b32_e32 v35, v30, v31, vcc
	s_and_b64 vcc, s[30:31], s[12:13]
	v_mul_f32_e32 v11, 0.5, v11
	v_cndmask_b32_e32 v34, v34, v35, vcc
                                        ; implicit-def: $vgpr35
.LBB174_101:                            ;   in Loop: Header=BB174_4 Depth=1
	s_andn2_saveexec_b64 s[28:29], s[28:29]
	s_cbranch_execz .LBB174_103
; %bb.102:                              ;   in Loop: Header=BB174_4 Depth=1
	v_mul_f32_e32 v11, 0.5, v35
	v_mul_f32_e32 v11, v35, v11
	v_max_f32_e64 v34, |v4|, |v4|
	v_max_f32_e64 v35, |v3|, |v3|
	v_min_f32_e32 v36, v35, v34
	v_max_f32_e32 v34, v35, v34
	v_frexp_mant_f32_e32 v35, v34
	v_rcp_f32_e32 v35, v35
	v_frexp_exp_i32_f32_e32 v34, v34
	v_frexp_exp_i32_f32_e32 v37, v36
	v_frexp_mant_f32_e32 v36, v36
	v_mul_f32_e32 v35, v36, v35
	v_sub_u32_e32 v34, v37, v34
	v_ldexp_f32 v34, v35, v34
	v_mul_f32_e32 v35, v34, v34
	v_mov_b32_e32 v36, 0xbc7a590c
	v_fmac_f32_e32 v36, 0x3b2d2a58, v35
	v_fma_f32 v36, v35, v36, v20
	v_fma_f32 v36, v35, v36, v21
	;; [unrolled: 1-line block ×6, first 2 shown]
	v_mul_f32_e32 v35, v35, v36
	v_fmac_f32_e32 v34, v34, v35
	v_sub_f32_e32 v35, 0x3fc90fdb, v34
	v_cndmask_b32_e64 v34, v34, v35, s[10:11]
	v_sub_f32_e32 v35, 0x40490fdb, v34
	v_cmp_gt_f32_e32 vcc, 0, v3
	v_cmp_gt_i32_e64 s[12:13], 0, v3
	v_cndmask_b32_e32 v34, v34, v35, vcc
	v_cndmask_b32_e64 v35, 0, v29, s[12:13]
	v_cmp_eq_f32_e64 s[12:13], 0, v4
	v_cndmask_b32_e64 v34, v34, v35, s[12:13]
	v_cmp_class_f32_e64 s[12:13], v3, s51
	v_cmp_class_f32_e64 s[30:31], v4, s51
	v_cndmask_b32_e32 v35, v30, v31, vcc
	s_and_b64 vcc, s[30:31], s[12:13]
	v_cndmask_b32_e32 v34, v34, v35, vcc
.LBB174_103:                            ;   in Loop: Header=BB174_4 Depth=1
	s_or_b64 exec, exec, s[28:29]
.LBB174_104:                            ;   in Loop: Header=BB174_4 Depth=1
	s_or_b64 exec, exec, s[26:27]
.LBB174_105:                            ;   in Loop: Header=BB174_4 Depth=1
	s_andn2_saveexec_b64 s[24:25], s[24:25]
	s_cbranch_execz .LBB174_107
; %bb.106:                              ;   in Loop: Header=BB174_4 Depth=1
	v_div_scale_f32 v11, s[12:13], s56, s56, v3
	v_div_scale_f32 v34, s[12:13], s56, s56, v4
	v_div_scale_f32 v35, vcc, v3, s56, v3
	v_div_scale_f32 v36, s[12:13], v4, s56, v4
	v_rcp_f32_e32 v37, v11
	v_rcp_f32_e32 v38, v34
	v_fma_f32 v39, -v11, v37, 1.0
	v_fmac_f32_e32 v37, v39, v37
	v_fma_f32 v40, -v34, v38, 1.0
	v_fmac_f32_e32 v38, v40, v38
	v_mul_f32_e32 v39, v35, v37
	v_mul_f32_e32 v40, v36, v38
	v_fma_f32 v41, -v11, v39, v35
	v_fma_f32 v42, -v34, v40, v36
	v_fmac_f32_e32 v39, v41, v37
	v_fmac_f32_e32 v40, v42, v38
	v_fma_f32 v11, -v11, v39, v35
	v_fma_f32 v34, -v34, v40, v36
	v_div_fmas_f32 v11, v11, v37, v39
	s_mov_b64 vcc, s[12:13]
	v_div_fmas_f32 v34, v34, v38, v40
	v_max_f32_e64 v35, |v4|, |v4|
	v_max_f32_e64 v36, |v3|, |v3|
	v_min_f32_e32 v38, v36, v35
	v_max_f32_e32 v35, v36, v35
	v_frexp_exp_i32_f32_e32 v36, v35
	v_frexp_exp_i32_f32_e32 v39, v38
	v_sub_u32_e32 v36, v39, v36
	v_frexp_mant_f32_e32 v35, v35
	v_rcp_f32_e32 v40, v35
	v_frexp_mant_f32_e32 v38, v38
	v_mov_b32_e32 v37, 0xbc7a590c
	v_cmp_class_f32_e64 s[12:13], v4, s51
	v_mul_f32_e32 v38, v38, v40
	v_div_fixup_f32 v11, v11, s56, v3
	v_ldexp_f32 v36, v38, v36
	v_div_fixup_f32 v39, v34, s56, v4
	v_max_f32_e64 v41, |v11|, |v39|
	v_cvt_f64_f32_e32 v[34:35], v41
	v_mul_f32_e32 v38, v36, v36
	v_fmac_f32_e32 v37, 0x3b2d2a58, v38
	v_cmp_neq_f32_e32 vcc, s49, v41
	v_frexp_exp_i32_f64_e32 v34, v[34:35]
	v_fma_f32 v35, v38, v37, v20
	v_fma_f32 v35, v38, v35, v21
	;; [unrolled: 1-line block ×6, first 2 shown]
	v_mul_f32_e32 v35, v38, v35
	v_sub_u32_e32 v37, 0, v34
	v_ldexp_f32 v11, |v11|, v37
	v_ldexp_f32 v37, |v39|, v37
	v_mul_f32_e32 v37, v37, v37
	v_fmac_f32_e32 v37, v11, v11
	v_sqrt_f32_e32 v11, v37
	v_fmac_f32_e32 v36, v36, v35
	v_sub_f32_e32 v35, 0x3fc90fdb, v36
	v_ldexp_f32 v11, v11, v34
	v_cndmask_b32_e32 v11, v26, v11, vcc
	v_cmp_gt_f32_e32 vcc, s53, v11
	v_cndmask_b32_e64 v34, 0, 32, vcc
	v_ldexp_f32 v11, v11, v34
	v_log_f32_e32 v11, v11
	v_cndmask_b32_e64 v34, v36, v35, s[10:11]
	v_cndmask_b32_e32 v36, 0, v32, vcc
	v_sub_f32_e32 v35, 0x40490fdb, v34
	v_mul_f32_e32 v37, 0x3f317217, v11
	v_fma_f32 v37, v11, s54, -v37
	v_fmac_f32_e32 v37, 0x3377d1cf, v11
	v_fmac_f32_e32 v37, 0x3f317217, v11
	v_cmp_lt_f32_e64 vcc, |v11|, s49
	v_cndmask_b32_e32 v11, v11, v37, vcc
	v_cmp_gt_f32_e32 vcc, 0, v3
	v_cmp_gt_i32_e64 s[10:11], 0, v3
	v_cndmask_b32_e32 v34, v34, v35, vcc
	v_cndmask_b32_e64 v35, 0, v29, s[10:11]
	v_cmp_eq_f32_e64 s[10:11], 0, v4
	v_cndmask_b32_e64 v34, v34, v35, s[10:11]
	v_cmp_class_f32_e64 s[10:11], v3, s51
	v_sub_f32_e32 v11, v11, v36
	v_cndmask_b32_e32 v35, v30, v31, vcc
	s_and_b64 vcc, s[12:13], s[10:11]
	v_add_f32_e32 v11, 1.0, v11
	v_cndmask_b32_e32 v34, v34, v35, vcc
.LBB174_107:                            ;   in Loop: Header=BB174_4 Depth=1
	s_or_b64 exec, exec, s[24:25]
.LBB174_108:                            ;   in Loop: Header=BB174_4 Depth=1
	s_andn2_saveexec_b64 s[10:11], s[22:23]
	s_cbranch_execz .LBB174_114
; %bb.109:                              ;   in Loop: Header=BB174_4 Depth=1
	v_cmp_nlt_f32_e64 s[12:13], |v3|, s57
	v_cmp_nlt_f32_e64 s[22:23], |v4|, s57
	s_or_b64 s[12:13], s[22:23], s[12:13]
                                        ; implicit-def: $vgpr11
	s_and_saveexec_b64 s[22:23], s[12:13]
	s_xor_b64 s[12:13], exec, s[22:23]
; %bb.110:                              ;   in Loop: Header=BB174_4 Depth=1
	v_mul_f32_e32 v11, v3, v3
	v_fmac_f32_e32 v11, v4, v4
; %bb.111:                              ;   in Loop: Header=BB174_4 Depth=1
	s_andn2_saveexec_b64 s[12:13], s[12:13]
; %bb.112:                              ;   in Loop: Header=BB174_4 Depth=1
	v_mul_f32_e32 v3, 4.0, v3
	v_mul_f32_e32 v11, 4.0, v4
	v_mul_f32_e32 v3, v3, v3
	v_fmac_f32_e32 v3, v11, v11
	v_mul_f32_e32 v11, 0x3d800000, v3
; %bb.113:                              ;   in Loop: Header=BB174_4 Depth=1
	s_or_b64 exec, exec, s[12:13]
	v_cmp_gt_f32_e32 vcc, s53, v11
	v_cndmask_b32_e64 v3, 0, 32, vcc
	v_ldexp_f32 v3, v11, v3
	v_log_f32_e32 v3, v3
	v_cndmask_b32_e32 v11, 0, v32, vcc
	v_mul_f32_e32 v34, 0x3f317217, v3
	v_fma_f32 v34, v3, s54, -v34
	v_fmac_f32_e32 v34, 0x3377d1cf, v3
	v_fmac_f32_e32 v34, 0x3f317217, v3
	v_cmp_lt_f32_e64 vcc, |v3|, s49
	v_cndmask_b32_e32 v3, v3, v34, vcc
	v_sub_f32_e32 v11, v3, v11
	v_mov_b32_e32 v34, 0x7fc00000
.LBB174_114:                            ;   in Loop: Header=BB174_4 Depth=1
	s_or_b64 exec, exec, s[10:11]
	v_cmp_o_f32_e32 vcc, v16, v15
                                        ; implicit-def: $vgpr3
                                        ; implicit-def: $vgpr35
	s_and_saveexec_b64 s[10:11], vcc
	s_xor_b64 s[22:23], exec, s[10:11]
	s_cbranch_execnz .LBB174_120
; %bb.115:                              ;   in Loop: Header=BB174_4 Depth=1
	s_andn2_saveexec_b64 s[10:11], s[22:23]
	s_cbranch_execnz .LBB174_147
.LBB174_116:                            ;   in Loop: Header=BB174_4 Depth=1
	s_or_b64 exec, exec, s[10:11]
	s_and_saveexec_b64 s[10:11], s[0:1]
	s_xor_b64 s[0:1], exec, s[10:11]
	s_cbranch_execnz .LBB174_152
.LBB174_117:                            ;   in Loop: Header=BB174_4 Depth=1
	s_or_b64 exec, exec, s[0:1]
	s_and_saveexec_b64 s[0:1], s[2:3]
	s_cbranch_execnz .LBB174_153
.LBB174_118:                            ;   in Loop: Header=BB174_4 Depth=1
	s_or_b64 exec, exec, s[0:1]
	s_and_saveexec_b64 s[0:1], s[6:7]
	s_cbranch_execnz .LBB174_154
.LBB174_119:                            ;   in Loop: Header=BB174_4 Depth=1
	s_or_b64 exec, exec, s[0:1]
	s_and_saveexec_b64 s[0:1], s[8:9]
	s_cbranch_execz .LBB174_3
	s_branch .LBB174_155
.LBB174_120:                            ;   in Loop: Header=BB174_4 Depth=1
	v_cmp_lt_f32_e64 s[10:11], |v15|, |v16|
	v_cndmask_b32_e64 v36, |v16|, |v15|, s[10:11]
	v_cmp_nlt_f32_e32 vcc, s44, v36
                                        ; implicit-def: $vgpr3
                                        ; implicit-def: $vgpr35
	s_and_saveexec_b64 s[12:13], vcc
	s_xor_b64 s[24:25], exec, s[12:13]
	s_cbranch_execz .LBB174_144
; %bb.121:                              ;   in Loop: Header=BB174_4 Depth=1
	v_and_b32_e32 v3, 0x7fffffff, v16
	v_cndmask_b32_e64 v37, |v15|, v3, s[10:11]
	v_cmp_neq_f32_e32 vcc, 1.0, v37
                                        ; implicit-def: $vgpr3
                                        ; implicit-def: $vgpr35
	s_and_saveexec_b64 s[12:13], vcc
	s_xor_b64 s[26:27], exec, s[12:13]
	s_cbranch_execz .LBB174_137
; %bb.122:                              ;   in Loop: Header=BB174_4 Depth=1
	v_max_f32_e32 v3, v36, v36
	v_max_f32_e32 v35, v37, v37
	v_min_f32_e32 v38, v35, v3
	v_max_f32_e32 v3, v35, v3
	v_cmp_ngt_f32_e32 vcc, s45, v38
	v_cmp_nlt_f32_e64 s[12:13], s46, v3
	s_and_b64 s[12:13], s[12:13], vcc
                                        ; implicit-def: $vgpr3
                                        ; implicit-def: $vgpr35
	s_and_saveexec_b64 s[28:29], s[12:13]
	s_xor_b64 s[28:29], exec, s[28:29]
	s_cbranch_execz .LBB174_134
; %bb.123:                              ;   in Loop: Header=BB174_4 Depth=1
	v_cmp_le_f32_e32 vcc, 1.0, v37
                                        ; implicit-def: $vgpr3
                                        ; implicit-def: $vgpr35
	s_and_saveexec_b64 s[12:13], vcc
	s_xor_b64 s[30:31], exec, s[12:13]
	s_cbranch_execz .LBB174_125
; %bb.124:                              ;   in Loop: Header=BB174_4 Depth=1
	v_add_f32_e32 v3, -1.0, v37
	v_add_f32_e32 v35, 1.0, v37
	v_mul_f32_e32 v3, v3, v35
	v_fmac_f32_e32 v3, v36, v36
	v_add_f32_e32 v37, 1.0, v3
	v_cvt_f64_f32_e32 v[35:36], v37
	v_add_f32_e32 v38, -1.0, v37
	v_sub_f32_e32 v39, v38, v37
	v_sub_f32_e32 v38, v3, v38
	v_frexp_exp_i32_f64_e32 v35, v[35:36]
	v_frexp_mant_f32_e32 v36, v37
	v_cmp_gt_f32_e32 vcc, s47, v36
	v_add_f32_e32 v39, 1.0, v39
	v_add_f32_e32 v38, v38, v39
	v_cmp_gt_i32_e64 s[12:13], 0, v15
	v_cmp_class_f32_e64 s[34:35], v16, s51
	v_subbrev_co_u32_e32 v35, vcc, 0, v35, vcc
	v_sub_u32_e32 v36, 0, v35
	v_ldexp_f32 v37, v37, v36
	v_ldexp_f32 v36, v38, v36
	v_add_f32_e32 v38, -1.0, v37
	v_add_f32_e32 v41, 1.0, v37
	v_add_f32_e32 v39, 1.0, v38
	v_add_f32_e32 v42, -1.0, v41
	v_sub_f32_e32 v39, v37, v39
	v_sub_f32_e32 v37, v37, v42
	v_add_f32_e32 v39, v36, v39
	v_add_f32_e32 v36, v36, v37
	;; [unrolled: 1-line block ×3, first 2 shown]
	v_rcp_f32_e32 v42, v37
	v_add_f32_e32 v40, v38, v39
	v_sub_f32_e32 v38, v40, v38
	v_sub_f32_e32 v38, v39, v38
	;; [unrolled: 1-line block ×4, first 2 shown]
	v_mul_f32_e32 v39, v40, v42
	v_mul_f32_e32 v41, v37, v39
	v_fma_f32 v43, v39, v37, -v41
	v_fmac_f32_e32 v43, v39, v36
	v_add_f32_e32 v44, v41, v43
	v_sub_f32_e32 v45, v40, v44
	v_sub_f32_e32 v40, v40, v45
	;; [unrolled: 1-line block ×4, first 2 shown]
	v_add_f32_e32 v38, v38, v40
	v_sub_f32_e32 v40, v41, v43
	v_add_f32_e32 v38, v40, v38
	v_add_f32_e32 v40, v45, v38
	v_mul_f32_e32 v41, v42, v40
	v_mul_f32_e32 v43, v37, v41
	v_fma_f32 v37, v41, v37, -v43
	v_fmac_f32_e32 v37, v41, v36
	v_sub_f32_e32 v36, v45, v40
	v_add_f32_e32 v36, v38, v36
	v_add_f32_e32 v38, v43, v37
	v_sub_f32_e32 v44, v40, v38
	v_sub_f32_e32 v40, v40, v44
	;; [unrolled: 1-line block ×4, first 2 shown]
	v_add_f32_e32 v36, v36, v38
	v_sub_f32_e32 v37, v43, v37
	v_cvt_f32_i32_e32 v35, v35
	v_add_f32_e32 v36, v37, v36
	v_add_f32_e32 v37, v39, v41
	;; [unrolled: 1-line block ×3, first 2 shown]
	v_sub_f32_e32 v38, v37, v39
	v_mul_f32_e32 v36, v42, v36
	v_sub_f32_e32 v38, v41, v38
	v_add_f32_e32 v36, v38, v36
	v_mul_f32_e32 v41, 0x3f317218, v35
	v_add_f32_e32 v38, v37, v36
	v_fma_f32 v42, v35, s48, -v41
	v_mul_f32_e32 v39, v38, v38
	v_mov_b32_e32 v40, 0x3ecc95a3
	v_fmac_f32_e32 v42, 0xb102e308, v35
	v_sub_f32_e32 v35, v38, v37
	v_fmac_f32_e32 v40, 0x3e9b6dac, v39
	v_sub_f32_e32 v35, v36, v35
	v_add_f32_e32 v36, v41, v42
	v_fma_f32 v40, v39, v40, v19
	v_sub_f32_e32 v37, v36, v41
	v_ldexp_f32 v41, v38, 1
	v_mul_f32_e32 v38, v38, v39
	v_mul_f32_e32 v38, v38, v40
	v_add_f32_e32 v39, v41, v38
	v_sub_f32_e32 v40, v39, v41
	v_ldexp_f32 v35, v35, 1
	v_sub_f32_e32 v38, v38, v40
	v_add_f32_e32 v35, v35, v38
	v_add_f32_e32 v38, v39, v35
	v_sub_f32_e32 v39, v38, v39
	v_sub_f32_e32 v35, v35, v39
	v_add_f32_e32 v39, v36, v38
	v_sub_f32_e32 v40, v39, v36
	v_sub_f32_e32 v41, v39, v40
	;; [unrolled: 1-line block ×5, first 2 shown]
	v_add_f32_e32 v36, v38, v36
	v_add_f32_e32 v38, v37, v35
	v_sub_f32_e32 v40, v38, v37
	v_sub_f32_e32 v41, v38, v40
	;; [unrolled: 1-line block ×4, first 2 shown]
	v_add_f32_e32 v36, v38, v36
	v_add_f32_e32 v35, v35, v37
	;; [unrolled: 1-line block ×3, first 2 shown]
	v_sub_f32_e32 v38, v37, v39
	v_sub_f32_e32 v36, v36, v38
	v_add_f32_e32 v35, v35, v36
	v_add_f32_e32 v35, v37, v35
	v_cmp_neq_f32_e32 vcc, s49, v3
	v_cndmask_b32_e32 v35, v26, v35, vcc
	v_cmp_ngt_f32_e32 vcc, -1.0, v3
	v_cndmask_b32_e32 v35, v27, v35, vcc
	v_cmp_neq_f32_e32 vcc, -1.0, v3
	v_cndmask_b32_e32 v35, v28, v35, vcc
	v_cmp_lt_f32_e64 vcc, |v3|, s50
	v_cndmask_b32_e32 v3, v35, v3, vcc
	v_max_f32_e64 v35, |v16|, |v16|
	v_max_f32_e64 v36, |v15|, |v15|
	v_min_f32_e32 v37, v36, v35
	v_max_f32_e32 v35, v36, v35
	v_frexp_mant_f32_e32 v36, v35
	v_rcp_f32_e32 v36, v36
	v_frexp_exp_i32_f32_e32 v35, v35
	v_frexp_exp_i32_f32_e32 v38, v37
	v_frexp_mant_f32_e32 v37, v37
	v_mul_f32_e32 v36, v37, v36
	v_sub_u32_e32 v35, v38, v35
	v_ldexp_f32 v35, v36, v35
	v_mul_f32_e32 v36, v35, v35
	v_mov_b32_e32 v37, 0xbc7a590c
	v_fmac_f32_e32 v37, 0x3b2d2a58, v36
	v_fma_f32 v37, v36, v37, v20
	v_fma_f32 v37, v36, v37, v21
	;; [unrolled: 1-line block ×6, first 2 shown]
	v_mul_f32_e32 v36, v36, v37
	v_fmac_f32_e32 v35, v35, v36
	v_sub_f32_e32 v36, 0x3fc90fdb, v35
	v_cndmask_b32_e64 v35, v35, v36, s[10:11]
	v_sub_f32_e32 v36, 0x40490fdb, v35
	v_cmp_gt_f32_e32 vcc, 0, v15
	v_cndmask_b32_e32 v35, v35, v36, vcc
	v_cndmask_b32_e64 v36, 0, v29, s[12:13]
	v_cmp_eq_f32_e64 s[12:13], 0, v16
	v_cndmask_b32_e64 v35, v35, v36, s[12:13]
	v_cmp_class_f32_e64 s[12:13], v15, s51
	v_cndmask_b32_e32 v36, v30, v31, vcc
	s_and_b64 vcc, s[34:35], s[12:13]
	v_mul_f32_e32 v3, 0.5, v3
	v_cndmask_b32_e32 v35, v35, v36, vcc
                                        ; implicit-def: $vgpr36
                                        ; implicit-def: $vgpr37
.LBB174_125:                            ;   in Loop: Header=BB174_4 Depth=1
	s_andn2_saveexec_b64 s[30:31], s[30:31]
	s_cbranch_execz .LBB174_133
; %bb.126:                              ;   in Loop: Header=BB174_4 Depth=1
	v_mul_f32_e32 v38, v36, v36
	v_fmac_f32_e32 v38, v37, v37
	v_cmp_ge_f32_e32 vcc, s52, v38
                                        ; implicit-def: $vgpr3
                                        ; implicit-def: $vgpr35
	s_and_saveexec_b64 s[12:13], vcc
	s_xor_b64 s[34:35], exec, s[12:13]
	s_cbranch_execz .LBB174_128
; %bb.127:                              ;   in Loop: Header=BB174_4 Depth=1
	v_cmp_gt_f32_e32 vcc, s53, v38
	v_cndmask_b32_e64 v3, 0, 32, vcc
	v_ldexp_f32 v3, v38, v3
	v_log_f32_e32 v3, v3
	v_cndmask_b32_e32 v35, 0, v32, vcc
	v_cmp_gt_i32_e64 s[12:13], 0, v15
	v_cmp_class_f32_e64 s[36:37], v16, s51
	v_mul_f32_e32 v36, 0x3f317217, v3
	v_fma_f32 v36, v3, s54, -v36
	v_fmac_f32_e32 v36, 0x3377d1cf, v3
	v_fmac_f32_e32 v36, 0x3f317217, v3
	v_cmp_lt_f32_e64 vcc, |v3|, s49
	v_cndmask_b32_e32 v3, v3, v36, vcc
	v_sub_f32_e32 v3, v3, v35
	v_max_f32_e64 v35, |v16|, |v16|
	v_max_f32_e64 v36, |v15|, |v15|
	v_min_f32_e32 v37, v36, v35
	v_max_f32_e32 v35, v36, v35
	v_frexp_mant_f32_e32 v36, v35
	v_rcp_f32_e32 v36, v36
	v_frexp_exp_i32_f32_e32 v35, v35
	v_frexp_exp_i32_f32_e32 v38, v37
	v_frexp_mant_f32_e32 v37, v37
	v_mul_f32_e32 v36, v37, v36
	v_sub_u32_e32 v35, v38, v35
	v_ldexp_f32 v35, v36, v35
	v_mul_f32_e32 v36, v35, v35
	v_mov_b32_e32 v37, 0xbc7a590c
	v_fmac_f32_e32 v37, 0x3b2d2a58, v36
	v_fma_f32 v37, v36, v37, v20
	v_fma_f32 v37, v36, v37, v21
	;; [unrolled: 1-line block ×6, first 2 shown]
	v_mul_f32_e32 v36, v36, v37
	v_fmac_f32_e32 v35, v35, v36
	v_sub_f32_e32 v36, 0x3fc90fdb, v35
	v_cndmask_b32_e64 v35, v35, v36, s[10:11]
	v_sub_f32_e32 v36, 0x40490fdb, v35
	v_cmp_gt_f32_e32 vcc, 0, v15
	v_cndmask_b32_e32 v35, v35, v36, vcc
	v_cndmask_b32_e64 v36, 0, v29, s[12:13]
	v_cmp_eq_f32_e64 s[12:13], 0, v16
	v_cndmask_b32_e64 v35, v35, v36, s[12:13]
	v_cmp_class_f32_e64 s[12:13], v15, s51
	v_cndmask_b32_e32 v36, v30, v31, vcc
	s_and_b64 vcc, s[36:37], s[12:13]
	v_mul_f32_e32 v3, 0.5, v3
	v_cndmask_b32_e32 v35, v35, v36, vcc
                                        ; implicit-def: $vgpr37
                                        ; implicit-def: $vgpr36
.LBB174_128:                            ;   in Loop: Header=BB174_4 Depth=1
	s_andn2_saveexec_b64 s[34:35], s[34:35]
	s_cbranch_execz .LBB174_132
; %bb.129:                              ;   in Loop: Header=BB174_4 Depth=1
	v_and_b32_e32 v38, 0x7fff0000, v37
	v_sub_f32_e32 v3, v37, v38
	v_and_b32_e32 v42, 0xffff0000, v3
	v_and_b32_e32 v37, 0x7fff0000, v36
	v_sub_f32_e32 v44, v3, v42
	v_sub_f32_e32 v3, v36, v37
	v_and_b32_e32 v43, 0xffff0000, v3
	v_add_f32_e32 v39, v38, v38
	v_add_f32_e32 v46, v37, v37
	v_sub_f32_e32 v45, v3, v43
	v_mul_f32_e32 v3, v38, v38
	v_mul_f32_e32 v35, v37, v37
	;; [unrolled: 1-line block ×6, first 2 shown]
	v_add_f32_e32 v42, v42, v42
	v_add_f32_e32 v43, v43, v43
	v_mul_f32_e32 v40, v39, v44
	v_mul_f32_e32 v39, v46, v45
	;; [unrolled: 1-line block ×6, first 2 shown]
	s_mov_b64 s[36:37], 0
.LBB174_130:                            ;   Parent Loop BB174_4 Depth=1
                                        ; =>  This Inner Loop Header: Depth=2
	v_cmp_nlt_f32_e32 vcc, v3, v35
	v_mov_b32_e32 v46, v45
	v_cndmask_b32_e32 v45, v3, v35, vcc
	v_cmp_nlt_f32_e64 s[12:13], v45, v38
	v_cndmask_b32_e64 v47, v45, v38, s[12:13]
	v_cndmask_b32_e32 v3, v35, v3, vcc
	s_and_b64 s[58:59], vcc, s[12:13]
	v_cmp_nlt_f32_e32 vcc, v47, v37
	v_cndmask_b32_e64 v35, v38, v45, s[12:13]
	v_cndmask_b32_e32 v45, v47, v37, vcc
	v_cmp_nlt_f32_e64 s[12:13], v45, v41
	v_cndmask_b32_e32 v38, v37, v47, vcc
	v_cndmask_b32_e64 v47, v45, v41, s[12:13]
	s_and_b64 s[60:61], vcc, s[12:13]
	v_cmp_nlt_f32_e32 vcc, v47, v36
	v_cndmask_b32_e64 v37, v41, v45, s[12:13]
	v_cndmask_b32_e32 v45, v47, v36, vcc
	v_cmp_nlt_f32_e64 s[12:13], v45, v40
	v_cndmask_b32_e32 v41, v36, v47, vcc
	v_cndmask_b32_e64 v47, v45, v40, s[12:13]
	v_cndmask_b32_e64 v36, v40, v45, s[12:13]
	s_and_b64 s[12:13], vcc, s[12:13]
	v_cmp_nlt_f32_e32 vcc, v47, v39
	v_cndmask_b32_e32 v45, v47, v39, vcc
	v_cndmask_b32_e32 v40, v39, v47, vcc
	s_and_b64 s[12:13], s[12:13], vcc
	v_cmp_nlt_f32_e32 vcc, v45, v42
	v_cndmask_b32_e32 v47, v45, v42, vcc
	v_cndmask_b32_e32 v39, v42, v45, vcc
	s_and_b64 s[12:13], s[12:13], vcc
	;; [unrolled: 4-line block ×4, first 2 shown]
	v_cmp_nlt_f32_e32 vcc, v47, v46
	s_and_b64 s[12:13], s[12:13], vcc
	s_and_b64 s[12:13], s[12:13], s[60:61]
	s_and_b64 s[12:13], s[12:13], s[58:59]
	s_and_b64 s[12:13], exec, s[12:13]
	v_cndmask_b32_e32 v45, v47, v46, vcc
	s_or_b64 s[36:37], s[12:13], s[36:37]
	v_cndmask_b32_e32 v44, v46, v47, vcc
	s_andn2_b64 exec, exec, s[36:37]
	s_cbranch_execnz .LBB174_130
; %bb.131:                              ;   in Loop: Header=BB174_4 Depth=1
	s_or_b64 exec, exec, s[36:37]
	v_add_f32_e32 v3, -1.0, v3
	v_add_f32_e32 v3, v3, v35
	v_add_f32_e32 v3, v3, v38
	;; [unrolled: 1-line block ×11, first 2 shown]
	v_add_f32_e32 v37, 1.0, v3
	v_cvt_f64_f32_e32 v[35:36], v37
	v_add_f32_e32 v38, -1.0, v37
	v_sub_f32_e32 v39, v38, v37
	v_sub_f32_e32 v38, v3, v38
	v_frexp_exp_i32_f64_e32 v35, v[35:36]
	v_frexp_mant_f32_e32 v36, v37
	v_cmp_gt_f32_e32 vcc, s47, v36
	v_add_f32_e32 v39, 1.0, v39
	v_add_f32_e32 v38, v38, v39
	v_cmp_gt_i32_e64 s[12:13], 0, v15
	v_cmp_class_f32_e64 s[36:37], v16, s51
	v_subbrev_co_u32_e32 v35, vcc, 0, v35, vcc
	v_sub_u32_e32 v36, 0, v35
	v_ldexp_f32 v37, v37, v36
	v_ldexp_f32 v36, v38, v36
	v_add_f32_e32 v38, -1.0, v37
	v_add_f32_e32 v39, 1.0, v37
	v_add_f32_e32 v40, 1.0, v38
	v_add_f32_e32 v42, -1.0, v39
	v_sub_f32_e32 v40, v37, v40
	v_sub_f32_e32 v37, v37, v42
	v_add_f32_e32 v40, v36, v40
	v_add_f32_e32 v36, v36, v37
	;; [unrolled: 1-line block ×3, first 2 shown]
	v_rcp_f32_e32 v42, v37
	v_add_f32_e32 v41, v38, v40
	v_sub_f32_e32 v39, v37, v39
	v_sub_f32_e32 v38, v41, v38
	;; [unrolled: 1-line block ×3, first 2 shown]
	v_mul_f32_e32 v39, v41, v42
	v_sub_f32_e32 v38, v40, v38
	v_mul_f32_e32 v40, v37, v39
	v_fma_f32 v43, v39, v37, -v40
	v_fmac_f32_e32 v43, v39, v36
	v_add_f32_e32 v44, v40, v43
	v_sub_f32_e32 v45, v41, v44
	v_sub_f32_e32 v41, v41, v45
	;; [unrolled: 1-line block ×4, first 2 shown]
	v_add_f32_e32 v38, v38, v41
	v_sub_f32_e32 v40, v40, v43
	v_add_f32_e32 v38, v40, v38
	v_add_f32_e32 v40, v45, v38
	v_mul_f32_e32 v41, v42, v40
	v_mul_f32_e32 v43, v37, v41
	v_fma_f32 v37, v41, v37, -v43
	v_fmac_f32_e32 v37, v41, v36
	v_sub_f32_e32 v36, v45, v40
	v_add_f32_e32 v36, v38, v36
	v_add_f32_e32 v38, v43, v37
	v_sub_f32_e32 v44, v40, v38
	v_sub_f32_e32 v40, v40, v44
	;; [unrolled: 1-line block ×4, first 2 shown]
	v_add_f32_e32 v36, v36, v38
	v_sub_f32_e32 v37, v43, v37
	v_cvt_f32_i32_e32 v35, v35
	v_add_f32_e32 v36, v37, v36
	v_add_f32_e32 v37, v39, v41
	;; [unrolled: 1-line block ×3, first 2 shown]
	v_sub_f32_e32 v38, v37, v39
	v_mul_f32_e32 v36, v42, v36
	v_sub_f32_e32 v38, v41, v38
	v_add_f32_e32 v36, v38, v36
	v_mul_f32_e32 v41, 0x3f317218, v35
	v_add_f32_e32 v38, v37, v36
	v_fma_f32 v42, v35, s48, -v41
	v_mul_f32_e32 v39, v38, v38
	v_mov_b32_e32 v40, 0x3ecc95a3
	v_fmac_f32_e32 v42, 0xb102e308, v35
	v_sub_f32_e32 v35, v38, v37
	v_fmac_f32_e32 v40, 0x3e9b6dac, v39
	v_sub_f32_e32 v35, v36, v35
	v_add_f32_e32 v36, v41, v42
	v_fma_f32 v40, v39, v40, v19
	v_sub_f32_e32 v37, v36, v41
	v_ldexp_f32 v41, v38, 1
	v_mul_f32_e32 v38, v38, v39
	v_mul_f32_e32 v38, v38, v40
	v_add_f32_e32 v39, v41, v38
	v_sub_f32_e32 v40, v39, v41
	v_ldexp_f32 v35, v35, 1
	v_sub_f32_e32 v38, v38, v40
	v_add_f32_e32 v35, v35, v38
	v_add_f32_e32 v38, v39, v35
	v_sub_f32_e32 v39, v38, v39
	v_sub_f32_e32 v35, v35, v39
	v_add_f32_e32 v39, v36, v38
	v_sub_f32_e32 v40, v39, v36
	v_sub_f32_e32 v41, v39, v40
	;; [unrolled: 1-line block ×5, first 2 shown]
	v_add_f32_e32 v36, v38, v36
	v_add_f32_e32 v38, v37, v35
	v_sub_f32_e32 v40, v38, v37
	v_sub_f32_e32 v41, v38, v40
	;; [unrolled: 1-line block ×4, first 2 shown]
	v_add_f32_e32 v36, v38, v36
	v_add_f32_e32 v35, v35, v37
	;; [unrolled: 1-line block ×3, first 2 shown]
	v_sub_f32_e32 v38, v37, v39
	v_sub_f32_e32 v36, v36, v38
	v_add_f32_e32 v35, v35, v36
	v_add_f32_e32 v35, v37, v35
	v_cmp_neq_f32_e32 vcc, s49, v3
	v_cndmask_b32_e32 v35, v26, v35, vcc
	v_cmp_ngt_f32_e32 vcc, -1.0, v3
	v_cndmask_b32_e32 v35, v27, v35, vcc
	v_cmp_neq_f32_e32 vcc, -1.0, v3
	v_cndmask_b32_e32 v35, v28, v35, vcc
	v_cmp_lt_f32_e64 vcc, |v3|, s50
	v_cndmask_b32_e32 v3, v35, v3, vcc
	v_max_f32_e64 v35, |v16|, |v16|
	v_max_f32_e64 v36, |v15|, |v15|
	v_min_f32_e32 v37, v36, v35
	v_max_f32_e32 v35, v36, v35
	v_frexp_mant_f32_e32 v36, v35
	v_rcp_f32_e32 v36, v36
	v_frexp_exp_i32_f32_e32 v35, v35
	v_frexp_exp_i32_f32_e32 v38, v37
	v_frexp_mant_f32_e32 v37, v37
	v_mul_f32_e32 v36, v37, v36
	v_sub_u32_e32 v35, v38, v35
	v_ldexp_f32 v35, v36, v35
	v_mul_f32_e32 v36, v35, v35
	v_mov_b32_e32 v37, 0xbc7a590c
	v_fmac_f32_e32 v37, 0x3b2d2a58, v36
	v_fma_f32 v37, v36, v37, v20
	v_fma_f32 v37, v36, v37, v21
	;; [unrolled: 1-line block ×6, first 2 shown]
	v_mul_f32_e32 v36, v36, v37
	v_fmac_f32_e32 v35, v35, v36
	v_sub_f32_e32 v36, 0x3fc90fdb, v35
	v_cndmask_b32_e64 v35, v35, v36, s[10:11]
	v_sub_f32_e32 v36, 0x40490fdb, v35
	v_cmp_gt_f32_e32 vcc, 0, v15
	v_cndmask_b32_e32 v35, v35, v36, vcc
	v_cndmask_b32_e64 v36, 0, v29, s[12:13]
	v_cmp_eq_f32_e64 s[12:13], 0, v16
	v_cndmask_b32_e64 v35, v35, v36, s[12:13]
	v_cmp_class_f32_e64 s[12:13], v15, s51
	v_cndmask_b32_e32 v36, v30, v31, vcc
	s_and_b64 vcc, s[36:37], s[12:13]
	v_mul_f32_e32 v3, 0.5, v3
	v_cndmask_b32_e32 v35, v35, v36, vcc
.LBB174_132:                            ;   in Loop: Header=BB174_4 Depth=1
	s_or_b64 exec, exec, s[34:35]
.LBB174_133:                            ;   in Loop: Header=BB174_4 Depth=1
	s_or_b64 exec, exec, s[30:31]
.LBB174_134:                            ;   in Loop: Header=BB174_4 Depth=1
	s_andn2_saveexec_b64 s[28:29], s[28:29]
	s_cbranch_execz .LBB174_136
; %bb.135:                              ;   in Loop: Header=BB174_4 Depth=1
	v_max_f32_e64 v3, |v16|, |v16|
	v_max_f32_e64 v37, |v15|, |v15|
	v_max_f32_e32 v38, v37, v3
	v_cvt_f64_f32_e32 v[35:36], v38
	v_min_f32_e32 v3, v37, v3
	v_frexp_mant_f32_e32 v37, v38
	v_rcp_f32_e32 v37, v37
	v_frexp_exp_i32_f64_e32 v35, v[35:36]
	v_cmp_neq_f32_e32 vcc, s49, v38
	v_frexp_exp_i32_f32_e32 v39, v3
	v_frexp_mant_f32_e32 v3, v3
	v_mul_f32_e32 v3, v3, v37
	v_frexp_exp_i32_f32_e32 v36, v38
	v_sub_u32_e32 v36, v39, v36
	v_ldexp_f32 v36, v3, v36
	v_sub_u32_e32 v40, 0, v35
	v_ldexp_f32 v41, |v15|, v40
	v_ldexp_f32 v40, |v16|, v40
	v_mul_f32_e32 v40, v40, v40
	v_fmac_f32_e32 v40, v41, v41
	v_sqrt_f32_e32 v40, v40
	v_cmp_gt_i32_e64 s[12:13], 0, v15
	v_cmp_class_f32_e64 s[30:31], v16, s51
	v_ldexp_f32 v35, v40, v35
	v_cndmask_b32_e32 v35, v26, v35, vcc
	v_cmp_gt_f32_e32 vcc, s53, v35
	v_cndmask_b32_e64 v37, 0, 32, vcc
	v_ldexp_f32 v35, v35, v37
	v_log_f32_e32 v35, v35
	v_cndmask_b32_e32 v3, 0, v32, vcc
	v_mul_f32_e32 v37, v36, v36
	v_mul_f32_e32 v38, 0x3f317217, v35
	v_fma_f32 v38, v35, s54, -v38
	v_fmac_f32_e32 v38, 0x3377d1cf, v35
	v_fmac_f32_e32 v38, 0x3f317217, v35
	v_cmp_lt_f32_e64 vcc, |v35|, s49
	v_cndmask_b32_e32 v35, v35, v38, vcc
	v_sub_f32_e32 v3, v35, v3
	v_mov_b32_e32 v35, 0xbc7a590c
	v_fmac_f32_e32 v35, 0x3b2d2a58, v37
	v_fma_f32 v35, v37, v35, v20
	v_fma_f32 v35, v37, v35, v21
	;; [unrolled: 1-line block ×6, first 2 shown]
	v_mul_f32_e32 v35, v37, v35
	v_fmac_f32_e32 v36, v36, v35
	v_sub_f32_e32 v35, 0x3fc90fdb, v36
	v_cndmask_b32_e64 v35, v36, v35, s[10:11]
	v_sub_f32_e32 v36, 0x40490fdb, v35
	v_cmp_gt_f32_e32 vcc, 0, v15
	v_cndmask_b32_e32 v35, v35, v36, vcc
	v_cndmask_b32_e64 v36, 0, v29, s[12:13]
	v_cmp_eq_f32_e64 s[12:13], 0, v16
	v_cndmask_b32_e64 v35, v35, v36, s[12:13]
	v_cmp_class_f32_e64 s[12:13], v15, s51
	v_cndmask_b32_e32 v36, v30, v31, vcc
	s_and_b64 vcc, s[30:31], s[12:13]
	v_cndmask_b32_e32 v35, v35, v36, vcc
.LBB174_136:                            ;   in Loop: Header=BB174_4 Depth=1
	s_or_b64 exec, exec, s[28:29]
                                        ; implicit-def: $vgpr36
.LBB174_137:                            ;   in Loop: Header=BB174_4 Depth=1
	s_andn2_saveexec_b64 s[26:27], s[26:27]
	s_cbranch_execz .LBB174_143
; %bb.138:                              ;   in Loop: Header=BB174_4 Depth=1
	v_cmp_ngt_f32_e32 vcc, s55, v36
                                        ; implicit-def: $vgpr3
                                        ; implicit-def: $vgpr35
	s_and_saveexec_b64 s[12:13], vcc
	s_xor_b64 s[28:29], exec, s[12:13]
	s_cbranch_execz .LBB174_140
; %bb.139:                              ;   in Loop: Header=BB174_4 Depth=1
	v_mul_f32_e32 v3, v36, v36
	v_add_f32_e32 v37, 1.0, v3
	v_cvt_f64_f32_e32 v[35:36], v37
	v_add_f32_e32 v38, -1.0, v37
	v_sub_f32_e32 v39, v38, v37
	v_sub_f32_e32 v38, v3, v38
	v_frexp_exp_i32_f64_e32 v35, v[35:36]
	v_frexp_mant_f32_e32 v36, v37
	v_cmp_gt_f32_e32 vcc, s47, v36
	v_add_f32_e32 v39, 1.0, v39
	v_add_f32_e32 v38, v38, v39
	v_cmp_gt_i32_e64 s[12:13], 0, v15
	v_cmp_class_f32_e64 s[30:31], v16, s51
	v_subbrev_co_u32_e32 v35, vcc, 0, v35, vcc
	v_sub_u32_e32 v36, 0, v35
	v_ldexp_f32 v37, v37, v36
	v_ldexp_f32 v36, v38, v36
	v_add_f32_e32 v38, -1.0, v37
	v_add_f32_e32 v39, 1.0, v37
	v_add_f32_e32 v40, 1.0, v38
	v_add_f32_e32 v42, -1.0, v39
	v_sub_f32_e32 v40, v37, v40
	v_sub_f32_e32 v37, v37, v42
	v_add_f32_e32 v40, v36, v40
	v_add_f32_e32 v36, v36, v37
	;; [unrolled: 1-line block ×3, first 2 shown]
	v_rcp_f32_e32 v42, v37
	v_add_f32_e32 v41, v38, v40
	v_sub_f32_e32 v39, v39, v37
	v_sub_f32_e32 v38, v38, v41
	v_add_f32_e32 v36, v36, v39
	v_mul_f32_e32 v39, v41, v42
	v_add_f32_e32 v38, v40, v38
	v_mul_f32_e32 v40, v37, v39
	v_fma_f32 v43, v39, v37, -v40
	v_fmac_f32_e32 v43, v39, v36
	v_add_f32_e32 v44, v40, v43
	v_sub_f32_e32 v45, v41, v44
	v_sub_f32_e32 v41, v41, v45
	;; [unrolled: 1-line block ×4, first 2 shown]
	v_add_f32_e32 v38, v38, v41
	v_sub_f32_e32 v40, v40, v43
	v_add_f32_e32 v38, v40, v38
	v_add_f32_e32 v40, v45, v38
	v_mul_f32_e32 v41, v42, v40
	v_mul_f32_e32 v43, v37, v41
	v_fma_f32 v37, v41, v37, -v43
	v_fmac_f32_e32 v37, v41, v36
	v_sub_f32_e32 v36, v45, v40
	v_add_f32_e32 v36, v38, v36
	v_add_f32_e32 v38, v43, v37
	v_sub_f32_e32 v44, v40, v38
	v_sub_f32_e32 v40, v40, v44
	;; [unrolled: 1-line block ×4, first 2 shown]
	v_add_f32_e32 v36, v36, v38
	v_sub_f32_e32 v37, v43, v37
	v_cvt_f32_i32_e32 v35, v35
	v_add_f32_e32 v36, v37, v36
	v_add_f32_e32 v37, v39, v41
	;; [unrolled: 1-line block ×3, first 2 shown]
	v_sub_f32_e32 v38, v37, v39
	v_mul_f32_e32 v36, v42, v36
	v_sub_f32_e32 v38, v41, v38
	v_add_f32_e32 v36, v38, v36
	v_mul_f32_e32 v41, 0x3f317218, v35
	v_add_f32_e32 v38, v37, v36
	v_fma_f32 v42, v35, s48, -v41
	v_mul_f32_e32 v39, v38, v38
	v_mov_b32_e32 v40, 0x3ecc95a3
	v_fmac_f32_e32 v42, 0xb102e308, v35
	v_sub_f32_e32 v35, v38, v37
	v_fmac_f32_e32 v40, 0x3e9b6dac, v39
	v_sub_f32_e32 v35, v36, v35
	v_add_f32_e32 v36, v41, v42
	v_fma_f32 v40, v39, v40, v19
	v_sub_f32_e32 v37, v36, v41
	v_ldexp_f32 v41, v38, 1
	v_mul_f32_e32 v38, v38, v39
	v_mul_f32_e32 v38, v38, v40
	v_add_f32_e32 v39, v41, v38
	v_sub_f32_e32 v40, v39, v41
	v_ldexp_f32 v35, v35, 1
	v_sub_f32_e32 v38, v38, v40
	v_add_f32_e32 v35, v35, v38
	v_add_f32_e32 v38, v39, v35
	v_sub_f32_e32 v39, v38, v39
	v_sub_f32_e32 v35, v35, v39
	v_add_f32_e32 v39, v36, v38
	v_sub_f32_e32 v40, v39, v36
	v_sub_f32_e32 v41, v39, v40
	;; [unrolled: 1-line block ×5, first 2 shown]
	v_add_f32_e32 v36, v38, v36
	v_add_f32_e32 v38, v37, v35
	v_sub_f32_e32 v40, v38, v37
	v_sub_f32_e32 v41, v38, v40
	;; [unrolled: 1-line block ×4, first 2 shown]
	v_add_f32_e32 v36, v38, v36
	v_add_f32_e32 v35, v35, v37
	;; [unrolled: 1-line block ×3, first 2 shown]
	v_sub_f32_e32 v38, v37, v39
	v_sub_f32_e32 v36, v36, v38
	v_add_f32_e32 v35, v35, v36
	v_add_f32_e32 v35, v37, v35
	v_cmp_neq_f32_e32 vcc, s49, v3
	v_cndmask_b32_e32 v35, v26, v35, vcc
	v_cmp_lt_f32_e64 vcc, |v3|, s50
	v_cndmask_b32_e32 v3, v35, v3, vcc
	v_max_f32_e64 v35, |v16|, |v16|
	v_max_f32_e64 v36, |v15|, |v15|
	v_min_f32_e32 v37, v36, v35
	v_max_f32_e32 v35, v36, v35
	v_frexp_mant_f32_e32 v36, v35
	v_rcp_f32_e32 v36, v36
	v_frexp_exp_i32_f32_e32 v35, v35
	v_frexp_exp_i32_f32_e32 v38, v37
	v_frexp_mant_f32_e32 v37, v37
	v_mul_f32_e32 v36, v37, v36
	v_sub_u32_e32 v35, v38, v35
	v_ldexp_f32 v35, v36, v35
	v_mul_f32_e32 v36, v35, v35
	v_mov_b32_e32 v37, 0xbc7a590c
	v_fmac_f32_e32 v37, 0x3b2d2a58, v36
	v_fma_f32 v37, v36, v37, v20
	v_fma_f32 v37, v36, v37, v21
	;; [unrolled: 1-line block ×6, first 2 shown]
	v_mul_f32_e32 v36, v36, v37
	v_fmac_f32_e32 v35, v35, v36
	v_sub_f32_e32 v36, 0x3fc90fdb, v35
	v_cndmask_b32_e64 v35, v35, v36, s[10:11]
	v_sub_f32_e32 v36, 0x40490fdb, v35
	v_cmp_gt_f32_e32 vcc, 0, v15
	v_cndmask_b32_e32 v35, v35, v36, vcc
	v_cndmask_b32_e64 v36, 0, v29, s[12:13]
	v_cmp_eq_f32_e64 s[12:13], 0, v16
	v_cndmask_b32_e64 v35, v35, v36, s[12:13]
	v_cmp_class_f32_e64 s[12:13], v15, s51
	v_cndmask_b32_e32 v36, v30, v31, vcc
	s_and_b64 vcc, s[30:31], s[12:13]
	v_mul_f32_e32 v3, 0.5, v3
	v_cndmask_b32_e32 v35, v35, v36, vcc
                                        ; implicit-def: $vgpr36
.LBB174_140:                            ;   in Loop: Header=BB174_4 Depth=1
	s_andn2_saveexec_b64 s[28:29], s[28:29]
	s_cbranch_execz .LBB174_142
; %bb.141:                              ;   in Loop: Header=BB174_4 Depth=1
	v_mul_f32_e32 v3, 0.5, v36
	v_mul_f32_e32 v3, v36, v3
	v_max_f32_e64 v35, |v16|, |v16|
	v_max_f32_e64 v36, |v15|, |v15|
	v_min_f32_e32 v37, v36, v35
	v_max_f32_e32 v35, v36, v35
	v_frexp_mant_f32_e32 v36, v35
	v_rcp_f32_e32 v36, v36
	v_frexp_exp_i32_f32_e32 v35, v35
	v_frexp_exp_i32_f32_e32 v38, v37
	v_frexp_mant_f32_e32 v37, v37
	v_mul_f32_e32 v36, v37, v36
	v_sub_u32_e32 v35, v38, v35
	v_ldexp_f32 v35, v36, v35
	v_mul_f32_e32 v36, v35, v35
	v_mov_b32_e32 v37, 0xbc7a590c
	v_fmac_f32_e32 v37, 0x3b2d2a58, v36
	v_fma_f32 v37, v36, v37, v20
	v_fma_f32 v37, v36, v37, v21
	;; [unrolled: 1-line block ×6, first 2 shown]
	v_mul_f32_e32 v36, v36, v37
	v_fmac_f32_e32 v35, v35, v36
	v_sub_f32_e32 v36, 0x3fc90fdb, v35
	v_cndmask_b32_e64 v35, v35, v36, s[10:11]
	v_sub_f32_e32 v36, 0x40490fdb, v35
	v_cmp_gt_f32_e32 vcc, 0, v15
	v_cmp_gt_i32_e64 s[12:13], 0, v15
	v_cndmask_b32_e32 v35, v35, v36, vcc
	v_cndmask_b32_e64 v36, 0, v29, s[12:13]
	v_cmp_eq_f32_e64 s[12:13], 0, v16
	v_cndmask_b32_e64 v35, v35, v36, s[12:13]
	v_cmp_class_f32_e64 s[12:13], v15, s51
	v_cmp_class_f32_e64 s[30:31], v16, s51
	v_cndmask_b32_e32 v36, v30, v31, vcc
	s_and_b64 vcc, s[30:31], s[12:13]
	v_cndmask_b32_e32 v35, v35, v36, vcc
.LBB174_142:                            ;   in Loop: Header=BB174_4 Depth=1
	s_or_b64 exec, exec, s[28:29]
.LBB174_143:                            ;   in Loop: Header=BB174_4 Depth=1
	s_or_b64 exec, exec, s[26:27]
.LBB174_144:                            ;   in Loop: Header=BB174_4 Depth=1
	s_andn2_saveexec_b64 s[24:25], s[24:25]
	s_cbranch_execz .LBB174_146
; %bb.145:                              ;   in Loop: Header=BB174_4 Depth=1
	v_div_scale_f32 v3, s[12:13], s56, s56, v15
	v_div_scale_f32 v35, s[12:13], s56, s56, v16
	v_div_scale_f32 v36, vcc, v15, s56, v15
	v_div_scale_f32 v37, s[12:13], v16, s56, v16
	v_rcp_f32_e32 v38, v3
	v_rcp_f32_e32 v39, v35
	v_fma_f32 v40, -v3, v38, 1.0
	v_fmac_f32_e32 v38, v40, v38
	v_fma_f32 v41, -v35, v39, 1.0
	v_fmac_f32_e32 v39, v41, v39
	v_mul_f32_e32 v40, v36, v38
	v_mul_f32_e32 v41, v37, v39
	v_fma_f32 v42, -v3, v40, v36
	v_fma_f32 v43, -v35, v41, v37
	v_fmac_f32_e32 v40, v42, v38
	v_fmac_f32_e32 v41, v43, v39
	v_fma_f32 v3, -v3, v40, v36
	v_fma_f32 v35, -v35, v41, v37
	v_div_fmas_f32 v3, v3, v38, v40
	s_mov_b64 vcc, s[12:13]
	v_div_fmas_f32 v35, v35, v39, v41
	v_max_f32_e64 v36, |v16|, |v16|
	v_max_f32_e64 v37, |v15|, |v15|
	v_min_f32_e32 v39, v37, v36
	v_max_f32_e32 v36, v37, v36
	v_frexp_exp_i32_f32_e32 v37, v36
	v_frexp_exp_i32_f32_e32 v40, v39
	v_sub_u32_e32 v37, v40, v37
	v_frexp_mant_f32_e32 v36, v36
	v_rcp_f32_e32 v41, v36
	v_frexp_mant_f32_e32 v39, v39
	v_mov_b32_e32 v38, 0xbc7a590c
	v_cmp_class_f32_e64 s[12:13], v16, s51
	v_mul_f32_e32 v39, v39, v41
	v_div_fixup_f32 v3, v3, s56, v15
	v_ldexp_f32 v37, v39, v37
	v_div_fixup_f32 v40, v35, s56, v16
	v_max_f32_e64 v42, |v3|, |v40|
	v_cvt_f64_f32_e32 v[35:36], v42
	v_mul_f32_e32 v39, v37, v37
	v_fmac_f32_e32 v38, 0x3b2d2a58, v39
	v_cmp_neq_f32_e32 vcc, s49, v42
	v_frexp_exp_i32_f64_e32 v35, v[35:36]
	v_fma_f32 v36, v39, v38, v20
	v_fma_f32 v36, v39, v36, v21
	;; [unrolled: 1-line block ×6, first 2 shown]
	v_mul_f32_e32 v36, v39, v36
	v_sub_u32_e32 v38, 0, v35
	v_ldexp_f32 v3, |v3|, v38
	v_ldexp_f32 v38, |v40|, v38
	v_mul_f32_e32 v38, v38, v38
	v_fmac_f32_e32 v38, v3, v3
	v_sqrt_f32_e32 v3, v38
	v_fmac_f32_e32 v37, v37, v36
	v_sub_f32_e32 v36, 0x3fc90fdb, v37
	v_ldexp_f32 v3, v3, v35
	v_cndmask_b32_e32 v3, v26, v3, vcc
	v_cmp_gt_f32_e32 vcc, s53, v3
	v_cndmask_b32_e64 v35, 0, 32, vcc
	v_ldexp_f32 v3, v3, v35
	v_log_f32_e32 v3, v3
	v_cndmask_b32_e64 v35, v37, v36, s[10:11]
	v_cndmask_b32_e32 v37, 0, v32, vcc
	v_sub_f32_e32 v36, 0x40490fdb, v35
	v_mul_f32_e32 v38, 0x3f317217, v3
	v_fma_f32 v38, v3, s54, -v38
	v_fmac_f32_e32 v38, 0x3377d1cf, v3
	v_fmac_f32_e32 v38, 0x3f317217, v3
	v_cmp_lt_f32_e64 vcc, |v3|, s49
	v_cndmask_b32_e32 v3, v3, v38, vcc
	v_cmp_gt_f32_e32 vcc, 0, v15
	v_cmp_gt_i32_e64 s[10:11], 0, v15
	v_cndmask_b32_e32 v35, v35, v36, vcc
	v_cndmask_b32_e64 v36, 0, v29, s[10:11]
	v_cmp_eq_f32_e64 s[10:11], 0, v16
	v_cndmask_b32_e64 v35, v35, v36, s[10:11]
	v_cmp_class_f32_e64 s[10:11], v15, s51
	v_sub_f32_e32 v3, v3, v37
	v_cndmask_b32_e32 v36, v30, v31, vcc
	s_and_b64 vcc, s[12:13], s[10:11]
	v_add_f32_e32 v3, 1.0, v3
	v_cndmask_b32_e32 v35, v35, v36, vcc
.LBB174_146:                            ;   in Loop: Header=BB174_4 Depth=1
	s_or_b64 exec, exec, s[24:25]
	s_andn2_saveexec_b64 s[10:11], s[22:23]
	s_cbranch_execz .LBB174_116
.LBB174_147:                            ;   in Loop: Header=BB174_4 Depth=1
	v_cmp_nlt_f32_e64 s[12:13], |v15|, s57
	v_cmp_nlt_f32_e64 s[22:23], |v16|, s57
	s_or_b64 s[12:13], s[22:23], s[12:13]
                                        ; implicit-def: $vgpr3
	s_and_saveexec_b64 s[22:23], s[12:13]
	s_xor_b64 s[12:13], exec, s[22:23]
; %bb.148:                              ;   in Loop: Header=BB174_4 Depth=1
	v_mul_f32_e32 v3, v15, v15
	v_fmac_f32_e32 v3, v16, v16
; %bb.149:                              ;   in Loop: Header=BB174_4 Depth=1
	s_andn2_saveexec_b64 s[12:13], s[12:13]
; %bb.150:                              ;   in Loop: Header=BB174_4 Depth=1
	v_mul_f32_e32 v3, 4.0, v15
	v_mul_f32_e32 v15, 4.0, v16
	v_mul_f32_e32 v3, v3, v3
	v_fmac_f32_e32 v3, v15, v15
	v_mul_f32_e32 v3, 0x3d800000, v3
; %bb.151:                              ;   in Loop: Header=BB174_4 Depth=1
	s_or_b64 exec, exec, s[12:13]
	v_cmp_gt_f32_e32 vcc, s53, v3
	v_cndmask_b32_e64 v15, 0, 32, vcc
	v_ldexp_f32 v3, v3, v15
	v_log_f32_e32 v3, v3
	v_cndmask_b32_e32 v15, 0, v32, vcc
	v_mul_f32_e32 v35, 0x3f317217, v3
	v_fma_f32 v35, v3, s54, -v35
	v_fmac_f32_e32 v35, 0x3377d1cf, v3
	v_fmac_f32_e32 v35, 0x3f317217, v3
	v_cmp_lt_f32_e64 vcc, |v3|, s49
	v_cndmask_b32_e32 v3, v3, v35, vcc
	v_sub_f32_e32 v3, v3, v15
	v_mov_b32_e32 v35, 0x7fc00000
	s_or_b64 exec, exec, s[10:11]
	s_and_saveexec_b64 s[10:11], s[0:1]
	s_xor_b64 s[0:1], exec, s[10:11]
	s_cbranch_execz .LBB174_117
.LBB174_152:                            ;   in Loop: Header=BB174_4 Depth=1
	v_bfi_b32 v18, s43, v18, v8
	v_mov_b32_e32 v8, s38
	v_add_co_u32_e32 v1, vcc, s33, v1
	v_addc_co_u32_e32 v2, vcc, v8, v2, vcc
	global_store_dwordx2 v[1:2], v[17:18], off
	s_or_b64 exec, exec, s[0:1]
	s_and_saveexec_b64 s[0:1], s[2:3]
	s_cbranch_execz .LBB174_118
.LBB174_153:                            ;   in Loop: Header=BB174_4 Depth=1
	v_mov_b32_e32 v2, s38
	v_add_co_u32_e32 v1, vcc, s33, v5
	v_bfi_b32 v8, s43, v33, v12
	v_addc_co_u32_e32 v2, vcc, v2, v6, vcc
	global_store_dwordx2 v[1:2], v[7:8], off
	s_or_b64 exec, exec, s[0:1]
	s_and_saveexec_b64 s[0:1], s[6:7]
	s_cbranch_execz .LBB174_119
.LBB174_154:                            ;   in Loop: Header=BB174_4 Depth=1
	v_mov_b32_e32 v2, s38
	v_add_co_u32_e32 v1, vcc, s33, v9
	v_bfi_b32 v12, s43, v34, v4
	v_addc_co_u32_e32 v2, vcc, v2, v10, vcc
	global_store_dwordx2 v[1:2], v[11:12], off
	s_or_b64 exec, exec, s[0:1]
	s_and_saveexec_b64 s[0:1], s[8:9]
	s_cbranch_execz .LBB174_3
.LBB174_155:                            ;   in Loop: Header=BB174_4 Depth=1
	v_mov_b32_e32 v2, s38
	v_add_co_u32_e32 v1, vcc, s33, v13
	v_bfi_b32 v4, s43, v35, v16
	v_addc_co_u32_e32 v2, vcc, v2, v14, vcc
	global_store_dwordx2 v[1:2], v[3:4], off
	s_branch .LBB174_3
.LBB174_156:
	s_cbranch_execz .LBB174_158
	s_branch .LBB174_297
.LBB174_157:
.LBB174_158:
	v_mov_b32_e32 v1, 0x10000
	v_mov_b32_e32 v2, 0
	v_cmp_lt_i64_e32 vcc, s[14:15], v[1:2]
	v_mov_b32_e32 v2, 0
	s_and_b64 s[0:1], vcc, exec
	s_cselect_b32 s7, s15, 0
	s_cselect_b32 s6, s14, 0x10000
	v_lshlrev_b32_e32 v1, 2, v0
	v_cmp_gt_i64_e32 vcc, s[6:7], v[1:2]
	s_and_saveexec_b64 s[0:1], vcc
	s_cbranch_execz .LBB174_297
; %bb.159:
	s_load_dword s0, s[4:5], 0xd3c
	v_mov_b32_e32 v1, v2
	s_mov_b64 s[4:5], 0
	v_mov_b32_e32 v20, s38
	s_brev_b32 s22, -2
	s_waitcnt lgkmcnt(0)
	s_and_b32 s23, s0, 0xffff
	s_mov_b32 s24, 0x77f684df
	s_mov_b32 s25, 0x358637bd
	s_mov_b32 s26, 0x49742400
	s_mov_b32 s27, 0x3f2aaaab
	v_mov_b32_e32 v21, 0x3f2aaada
	s_mov_b32 s28, 0x3f317218
	s_mov_b32 s29, 0x7f800000
	s_mov_b32 s30, 0x33800000
	v_mov_b32_e32 v22, 0x3d29fb3f
	v_mov_b32_e32 v23, 0xbd97d4d7
	;; [unrolled: 1-line block ×6, first 2 shown]
	s_movk_i32 s31, 0x204
	s_mov_b32 s34, 0x3f333333
	s_mov_b32 s35, 0x800000
	;; [unrolled: 1-line block ×5, first 2 shown]
	s_brev_b32 s39, 4
	v_mov_b32_e32 v28, 0x7f800000
	v_mov_b32_e32 v29, 0x7fc00000
	;; [unrolled: 1-line block ×7, first 2 shown]
	s_branch .LBB174_162
.LBB174_160:                            ;   in Loop: Header=BB174_162 Depth=1
	s_or_b64 exec, exec, s[2:3]
	v_cmp_gt_f32_e32 vcc, s35, v2
	v_cndmask_b32_e64 v4, 0, 32, vcc
	v_ldexp_f32 v2, v2, v4
	v_log_f32_e32 v2, v2
	v_cndmask_b32_e32 v4, 0, v34, vcc
	v_mul_f32_e32 v13, 0x3f317217, v2
	v_fma_f32 v13, v2, s36, -v13
	v_fmac_f32_e32 v13, 0x3377d1cf, v2
	v_fmac_f32_e32 v13, 0x3f317217, v2
	v_cmp_lt_f32_e64 vcc, |v2|, s29
	v_cndmask_b32_e32 v2, v2, v13, vcc
	v_sub_f32_e32 v16, v2, v4
	v_mov_b32_e32 v2, 0x7fc00000
.LBB174_161:                            ;   in Loop: Header=BB174_162 Depth=1
	s_or_b64 exec, exec, s[0:1]
	v_add_co_u32_e32 v0, vcc, s23, v0
	v_addc_co_u32_e32 v1, vcc, 0, v1, vcc
	v_bfi_b32 v15, s22, v8, v3
	v_lshlrev_b64 v[3:4], 2, v[0:1]
	v_bfi_b32 v13, s22, v6, v9
	v_cmp_le_i64_e32 vcc, s[6:7], v[3:4]
	v_bfi_b32 v11, s22, v11, v7
	v_bfi_b32 v17, s22, v2, v5
	s_or_b64 s[4:5], vcc, s[4:5]
	global_store_dwordx4 v[18:19], v[10:13], off
	global_store_dwordx4 v[18:19], v[14:17], off offset:16
	s_andn2_b64 exec, exec, s[4:5]
	s_cbranch_execz .LBB174_297
.LBB174_162:                            ; =>This Loop Header: Depth=1
                                        ;     Child Loop BB174_173 Depth 2
                                        ;     Child Loop BB174_207 Depth 2
	;; [unrolled: 1-line block ×4, first 2 shown]
	v_lshlrev_b64 v[2:3], 5, v[0:1]
                                        ; implicit-def: $vgpr10
                                        ; implicit-def: $vgpr11
	v_add_co_u32_e32 v18, vcc, s33, v2
	v_addc_co_u32_e32 v19, vcc, v20, v3, vcc
	global_load_dwordx4 v[6:9], v[18:19], off
	global_load_dwordx4 v[2:5], v[18:19], off offset:16
	s_waitcnt vmcnt(1)
	v_cmp_o_f32_e32 vcc, v7, v6
	s_and_saveexec_b64 s[0:1], vcc
	s_xor_b64 s[8:9], exec, s[0:1]
	s_cbranch_execz .LBB174_190
; %bb.163:                              ;   in Loop: Header=BB174_162 Depth=1
	v_cmp_lt_f32_e64 s[0:1], |v6|, |v7|
	v_cndmask_b32_e64 v12, |v7|, |v6|, s[0:1]
	v_cmp_nlt_f32_e32 vcc, s24, v12
                                        ; implicit-def: $vgpr10
                                        ; implicit-def: $vgpr11
	s_and_saveexec_b64 s[2:3], vcc
	s_xor_b64 s[10:11], exec, s[2:3]
	s_cbranch_execz .LBB174_187
; %bb.164:                              ;   in Loop: Header=BB174_162 Depth=1
	v_and_b32_e32 v10, 0x7fffffff, v7
	v_cndmask_b32_e64 v13, |v6|, v10, s[0:1]
	v_cmp_neq_f32_e32 vcc, 1.0, v13
                                        ; implicit-def: $vgpr10
                                        ; implicit-def: $vgpr11
	s_and_saveexec_b64 s[2:3], vcc
	s_xor_b64 s[12:13], exec, s[2:3]
	s_cbranch_execz .LBB174_180
; %bb.165:                              ;   in Loop: Header=BB174_162 Depth=1
	v_max_f32_e32 v10, v12, v12
	v_max_f32_e32 v11, v13, v13
	v_min_f32_e32 v14, v11, v10
	v_max_f32_e32 v10, v11, v10
	v_cmp_ngt_f32_e32 vcc, s25, v14
	v_cmp_nlt_f32_e64 s[2:3], s26, v10
	s_and_b64 s[2:3], s[2:3], vcc
                                        ; implicit-def: $vgpr10
                                        ; implicit-def: $vgpr11
	s_and_saveexec_b64 s[14:15], s[2:3]
	s_xor_b64 s[14:15], exec, s[14:15]
	s_cbranch_execz .LBB174_177
; %bb.166:                              ;   in Loop: Header=BB174_162 Depth=1
	v_cmp_le_f32_e32 vcc, 1.0, v13
                                        ; implicit-def: $vgpr10
                                        ; implicit-def: $vgpr11
	s_and_saveexec_b64 s[2:3], vcc
	s_xor_b64 s[16:17], exec, s[2:3]
	s_cbranch_execz .LBB174_168
; %bb.167:                              ;   in Loop: Header=BB174_162 Depth=1
	v_add_f32_e32 v10, -1.0, v13
	v_add_f32_e32 v11, 1.0, v13
	v_mul_f32_e32 v13, v10, v11
	v_fmac_f32_e32 v13, v12, v12
	v_add_f32_e32 v12, 1.0, v13
	v_cvt_f64_f32_e32 v[10:11], v12
	v_add_f32_e32 v14, -1.0, v12
	v_sub_f32_e32 v15, v14, v12
	v_sub_f32_e32 v14, v13, v14
	v_frexp_exp_i32_f64_e32 v10, v[10:11]
	v_frexp_mant_f32_e32 v11, v12
	v_cmp_gt_f32_e32 vcc, s27, v11
	v_add_f32_e32 v15, 1.0, v15
	v_add_f32_e32 v14, v14, v15
	v_cmp_gt_i32_e64 s[2:3], 0, v6
	v_cmp_class_f32_e64 s[18:19], v7, s31
	v_subbrev_co_u32_e32 v10, vcc, 0, v10, vcc
	v_sub_u32_e32 v11, 0, v10
	v_ldexp_f32 v12, v12, v11
	v_ldexp_f32 v11, v14, v11
	v_add_f32_e32 v14, -1.0, v12
	v_add_f32_e32 v17, 1.0, v12
	v_add_f32_e32 v15, 1.0, v14
	v_add_f32_e32 v35, -1.0, v17
	v_sub_f32_e32 v15, v12, v15
	v_sub_f32_e32 v12, v12, v35
	v_add_f32_e32 v15, v11, v15
	v_add_f32_e32 v11, v11, v12
	;; [unrolled: 1-line block ×3, first 2 shown]
	v_rcp_f32_e32 v35, v12
	v_add_f32_e32 v16, v14, v15
	v_sub_f32_e32 v14, v16, v14
	v_sub_f32_e32 v14, v15, v14
	;; [unrolled: 1-line block ×4, first 2 shown]
	v_mul_f32_e32 v15, v16, v35
	v_mul_f32_e32 v17, v12, v15
	v_fma_f32 v36, v15, v12, -v17
	v_fmac_f32_e32 v36, v15, v11
	v_add_f32_e32 v37, v17, v36
	v_sub_f32_e32 v38, v16, v37
	v_sub_f32_e32 v16, v16, v38
	;; [unrolled: 1-line block ×4, first 2 shown]
	v_add_f32_e32 v14, v14, v16
	v_sub_f32_e32 v16, v17, v36
	v_add_f32_e32 v14, v16, v14
	v_add_f32_e32 v16, v38, v14
	v_mul_f32_e32 v17, v35, v16
	v_mul_f32_e32 v36, v12, v17
	v_fma_f32 v12, v17, v12, -v36
	v_fmac_f32_e32 v12, v17, v11
	v_sub_f32_e32 v11, v38, v16
	v_add_f32_e32 v11, v14, v11
	v_add_f32_e32 v14, v36, v12
	v_sub_f32_e32 v37, v16, v14
	v_sub_f32_e32 v16, v16, v37
	;; [unrolled: 1-line block ×4, first 2 shown]
	v_add_f32_e32 v11, v11, v14
	v_sub_f32_e32 v12, v36, v12
	v_cvt_f32_i32_e32 v10, v10
	v_add_f32_e32 v11, v12, v11
	v_add_f32_e32 v12, v15, v17
	v_add_f32_e32 v11, v37, v11
	v_sub_f32_e32 v14, v12, v15
	v_mul_f32_e32 v11, v35, v11
	v_sub_f32_e32 v14, v17, v14
	v_add_f32_e32 v11, v14, v11
	v_mul_f32_e32 v17, 0x3f317218, v10
	v_add_f32_e32 v14, v12, v11
	v_fma_f32 v35, v10, s28, -v17
	v_mul_f32_e32 v15, v14, v14
	v_mov_b32_e32 v16, 0x3ecc95a3
	v_fmac_f32_e32 v35, 0xb102e308, v10
	v_sub_f32_e32 v10, v14, v12
	v_fmac_f32_e32 v16, 0x3e9b6dac, v15
	v_sub_f32_e32 v10, v11, v10
	v_add_f32_e32 v11, v17, v35
	v_fma_f32 v16, v15, v16, v21
	v_sub_f32_e32 v12, v11, v17
	v_ldexp_f32 v17, v14, 1
	v_mul_f32_e32 v14, v14, v15
	v_mul_f32_e32 v14, v14, v16
	v_add_f32_e32 v15, v17, v14
	v_sub_f32_e32 v16, v15, v17
	v_ldexp_f32 v10, v10, 1
	v_sub_f32_e32 v14, v14, v16
	v_add_f32_e32 v10, v10, v14
	v_add_f32_e32 v14, v15, v10
	v_sub_f32_e32 v15, v14, v15
	v_sub_f32_e32 v10, v10, v15
	v_add_f32_e32 v15, v11, v14
	v_sub_f32_e32 v16, v15, v11
	v_sub_f32_e32 v17, v15, v16
	;; [unrolled: 1-line block ×5, first 2 shown]
	v_add_f32_e32 v11, v14, v11
	v_add_f32_e32 v14, v12, v10
	v_sub_f32_e32 v16, v14, v12
	v_sub_f32_e32 v17, v14, v16
	;; [unrolled: 1-line block ×4, first 2 shown]
	v_add_f32_e32 v11, v14, v11
	v_add_f32_e32 v10, v10, v12
	;; [unrolled: 1-line block ×3, first 2 shown]
	v_sub_f32_e32 v14, v12, v15
	v_sub_f32_e32 v11, v11, v14
	v_add_f32_e32 v10, v10, v11
	v_add_f32_e32 v10, v12, v10
	v_cmp_neq_f32_e32 vcc, s29, v13
	v_cndmask_b32_e32 v10, v28, v10, vcc
	v_cmp_ngt_f32_e32 vcc, -1.0, v13
	v_cndmask_b32_e32 v10, v29, v10, vcc
	v_cmp_neq_f32_e32 vcc, -1.0, v13
	v_cndmask_b32_e32 v10, v30, v10, vcc
	v_cmp_lt_f32_e64 vcc, |v13|, s30
	v_max_f32_e64 v11, |v7|, |v7|
	v_max_f32_e64 v12, |v6|, |v6|
	v_cndmask_b32_e32 v10, v10, v13, vcc
	v_min_f32_e32 v13, v12, v11
	v_max_f32_e32 v11, v12, v11
	v_frexp_mant_f32_e32 v12, v11
	v_rcp_f32_e32 v12, v12
	v_frexp_exp_i32_f32_e32 v11, v11
	v_frexp_exp_i32_f32_e32 v14, v13
	v_frexp_mant_f32_e32 v13, v13
	v_mul_f32_e32 v12, v13, v12
	v_sub_u32_e32 v11, v14, v11
	v_ldexp_f32 v11, v12, v11
	v_mul_f32_e32 v12, v11, v11
	v_mov_b32_e32 v13, 0xbc7a590c
	v_fmac_f32_e32 v13, 0x3b2d2a58, v12
	v_fma_f32 v13, v12, v13, v22
	v_fma_f32 v13, v12, v13, v23
	;; [unrolled: 1-line block ×6, first 2 shown]
	v_mul_f32_e32 v12, v12, v13
	v_fmac_f32_e32 v11, v11, v12
	v_sub_f32_e32 v12, 0x3fc90fdb, v11
	v_cndmask_b32_e64 v11, v11, v12, s[0:1]
	v_sub_f32_e32 v12, 0x40490fdb, v11
	v_cmp_gt_f32_e32 vcc, 0, v6
	v_cndmask_b32_e32 v11, v11, v12, vcc
	v_cndmask_b32_e64 v12, 0, v31, s[2:3]
	v_cmp_eq_f32_e64 s[2:3], 0, v7
	v_cndmask_b32_e64 v11, v11, v12, s[2:3]
	v_cmp_class_f32_e64 s[2:3], v6, s31
	v_cndmask_b32_e32 v12, v32, v33, vcc
	s_and_b64 vcc, s[2:3], s[18:19]
	v_mul_f32_e32 v10, 0.5, v10
	v_cndmask_b32_e32 v11, v11, v12, vcc
                                        ; implicit-def: $vgpr12
                                        ; implicit-def: $vgpr13
.LBB174_168:                            ;   in Loop: Header=BB174_162 Depth=1
	s_andn2_saveexec_b64 s[16:17], s[16:17]
	s_cbranch_execz .LBB174_176
; %bb.169:                              ;   in Loop: Header=BB174_162 Depth=1
	v_mul_f32_e32 v14, v12, v12
	v_fmac_f32_e32 v14, v13, v13
	v_cmp_ge_f32_e32 vcc, s34, v14
                                        ; implicit-def: $vgpr10
                                        ; implicit-def: $vgpr11
	s_and_saveexec_b64 s[2:3], vcc
	s_xor_b64 s[18:19], exec, s[2:3]
	s_cbranch_execz .LBB174_171
; %bb.170:                              ;   in Loop: Header=BB174_162 Depth=1
	v_cmp_gt_f32_e32 vcc, s35, v14
	v_cndmask_b32_e64 v10, 0, 32, vcc
	v_ldexp_f32 v10, v14, v10
	v_log_f32_e32 v10, v10
	v_cndmask_b32_e32 v11, 0, v34, vcc
	v_cmp_gt_i32_e64 s[2:3], 0, v6
	v_cmp_class_f32_e64 s[20:21], v7, s31
	v_mul_f32_e32 v12, 0x3f317217, v10
	v_fma_f32 v12, v10, s36, -v12
	v_fmac_f32_e32 v12, 0x3377d1cf, v10
	v_fmac_f32_e32 v12, 0x3f317217, v10
	v_cmp_lt_f32_e64 vcc, |v10|, s29
	v_cndmask_b32_e32 v10, v10, v12, vcc
	v_sub_f32_e32 v10, v10, v11
	v_max_f32_e64 v11, |v7|, |v7|
	v_max_f32_e64 v12, |v6|, |v6|
	v_min_f32_e32 v13, v12, v11
	v_max_f32_e32 v11, v12, v11
	v_frexp_mant_f32_e32 v12, v11
	v_rcp_f32_e32 v12, v12
	v_frexp_exp_i32_f32_e32 v11, v11
	v_frexp_exp_i32_f32_e32 v14, v13
	v_frexp_mant_f32_e32 v13, v13
	v_mul_f32_e32 v12, v13, v12
	v_sub_u32_e32 v11, v14, v11
	v_ldexp_f32 v11, v12, v11
	v_mul_f32_e32 v12, v11, v11
	v_mov_b32_e32 v13, 0xbc7a590c
	v_fmac_f32_e32 v13, 0x3b2d2a58, v12
	v_fma_f32 v13, v12, v13, v22
	v_fma_f32 v13, v12, v13, v23
	;; [unrolled: 1-line block ×6, first 2 shown]
	v_mul_f32_e32 v12, v12, v13
	v_fmac_f32_e32 v11, v11, v12
	v_sub_f32_e32 v12, 0x3fc90fdb, v11
	v_cndmask_b32_e64 v11, v11, v12, s[0:1]
	v_sub_f32_e32 v12, 0x40490fdb, v11
	v_cmp_gt_f32_e32 vcc, 0, v6
	v_cndmask_b32_e32 v11, v11, v12, vcc
	v_cndmask_b32_e64 v12, 0, v31, s[2:3]
	v_cmp_eq_f32_e64 s[2:3], 0, v7
	v_cndmask_b32_e64 v11, v11, v12, s[2:3]
	v_cmp_class_f32_e64 s[2:3], v6, s31
	v_cndmask_b32_e32 v12, v32, v33, vcc
	s_and_b64 vcc, s[2:3], s[20:21]
	v_mul_f32_e32 v10, 0.5, v10
	v_cndmask_b32_e32 v11, v11, v12, vcc
                                        ; implicit-def: $vgpr13
                                        ; implicit-def: $vgpr12
.LBB174_171:                            ;   in Loop: Header=BB174_162 Depth=1
	s_andn2_saveexec_b64 s[18:19], s[18:19]
	s_cbranch_execz .LBB174_175
; %bb.172:                              ;   in Loop: Header=BB174_162 Depth=1
	v_and_b32_e32 v14, 0x7fff0000, v13
	v_sub_f32_e32 v10, v13, v14
	v_and_b32_e32 v35, 0xffff0000, v10
	v_and_b32_e32 v13, 0x7fff0000, v12
	v_sub_f32_e32 v37, v10, v35
	v_sub_f32_e32 v10, v12, v13
	v_and_b32_e32 v36, 0xffff0000, v10
	v_add_f32_e32 v15, v14, v14
	v_add_f32_e32 v39, v13, v13
	v_sub_f32_e32 v38, v10, v36
	v_mul_f32_e32 v10, v14, v14
	v_mul_f32_e32 v11, v13, v13
	;; [unrolled: 1-line block ×6, first 2 shown]
	v_add_f32_e32 v35, v35, v35
	v_add_f32_e32 v36, v36, v36
	v_mul_f32_e32 v16, v15, v37
	v_mul_f32_e32 v15, v39, v38
	;; [unrolled: 1-line block ×6, first 2 shown]
	s_mov_b64 s[20:21], 0
.LBB174_173:                            ;   Parent Loop BB174_162 Depth=1
                                        ; =>  This Inner Loop Header: Depth=2
	v_cmp_nlt_f32_e32 vcc, v10, v11
	v_mov_b32_e32 v39, v38
	v_cndmask_b32_e32 v38, v10, v11, vcc
	v_cmp_nlt_f32_e64 s[2:3], v38, v14
	v_cndmask_b32_e64 v40, v38, v14, s[2:3]
	v_cndmask_b32_e32 v10, v11, v10, vcc
	s_and_b64 s[40:41], vcc, s[2:3]
	v_cmp_nlt_f32_e32 vcc, v40, v13
	v_cndmask_b32_e64 v11, v14, v38, s[2:3]
	v_cndmask_b32_e32 v38, v40, v13, vcc
	v_cmp_nlt_f32_e64 s[2:3], v38, v17
	v_cndmask_b32_e32 v14, v13, v40, vcc
	v_cndmask_b32_e64 v40, v38, v17, s[2:3]
	s_and_b64 s[42:43], vcc, s[2:3]
	v_cmp_nlt_f32_e32 vcc, v40, v12
	v_cndmask_b32_e64 v13, v17, v38, s[2:3]
	v_cndmask_b32_e32 v38, v40, v12, vcc
	v_cmp_nlt_f32_e64 s[2:3], v38, v16
	v_cndmask_b32_e32 v17, v12, v40, vcc
	v_cndmask_b32_e64 v40, v38, v16, s[2:3]
	v_cndmask_b32_e64 v12, v16, v38, s[2:3]
	s_and_b64 s[2:3], vcc, s[2:3]
	v_cmp_nlt_f32_e32 vcc, v40, v15
	v_cndmask_b32_e32 v38, v40, v15, vcc
	v_cndmask_b32_e32 v16, v15, v40, vcc
	s_and_b64 s[2:3], s[2:3], vcc
	v_cmp_nlt_f32_e32 vcc, v38, v35
	v_cndmask_b32_e32 v40, v38, v35, vcc
	v_cndmask_b32_e32 v15, v35, v38, vcc
	s_and_b64 s[2:3], s[2:3], vcc
	;; [unrolled: 4-line block ×4, first 2 shown]
	v_cmp_nlt_f32_e32 vcc, v40, v39
	s_and_b64 s[2:3], s[2:3], vcc
	s_and_b64 s[2:3], s[2:3], s[42:43]
	s_and_b64 s[2:3], s[2:3], s[40:41]
	s_and_b64 s[2:3], exec, s[2:3]
	v_cndmask_b32_e32 v38, v40, v39, vcc
	s_or_b64 s[20:21], s[2:3], s[20:21]
	v_cndmask_b32_e32 v37, v39, v40, vcc
	s_andn2_b64 exec, exec, s[20:21]
	s_cbranch_execnz .LBB174_173
; %bb.174:                              ;   in Loop: Header=BB174_162 Depth=1
	s_or_b64 exec, exec, s[20:21]
	v_add_f32_e32 v10, -1.0, v10
	v_add_f32_e32 v10, v10, v11
	v_add_f32_e32 v10, v10, v14
	;; [unrolled: 1-line block ×11, first 2 shown]
	v_add_f32_e32 v13, 1.0, v12
	v_cvt_f64_f32_e32 v[10:11], v13
	v_add_f32_e32 v14, -1.0, v13
	v_sub_f32_e32 v15, v14, v13
	v_sub_f32_e32 v14, v12, v14
	v_frexp_exp_i32_f64_e32 v10, v[10:11]
	v_frexp_mant_f32_e32 v11, v13
	v_cmp_gt_f32_e32 vcc, s27, v11
	v_add_f32_e32 v15, 1.0, v15
	v_add_f32_e32 v14, v14, v15
	v_cmp_gt_i32_e64 s[2:3], 0, v6
	v_cmp_class_f32_e64 s[20:21], v7, s31
	v_subbrev_co_u32_e32 v10, vcc, 0, v10, vcc
	v_sub_u32_e32 v11, 0, v10
	v_ldexp_f32 v13, v13, v11
	v_ldexp_f32 v11, v14, v11
	v_add_f32_e32 v14, -1.0, v13
	v_add_f32_e32 v15, 1.0, v13
	v_add_f32_e32 v16, 1.0, v14
	v_add_f32_e32 v35, -1.0, v15
	v_sub_f32_e32 v16, v13, v16
	v_sub_f32_e32 v13, v13, v35
	v_add_f32_e32 v16, v11, v16
	v_add_f32_e32 v11, v11, v13
	;; [unrolled: 1-line block ×3, first 2 shown]
	v_rcp_f32_e32 v35, v13
	v_add_f32_e32 v17, v14, v16
	v_sub_f32_e32 v15, v13, v15
	v_sub_f32_e32 v14, v17, v14
	;; [unrolled: 1-line block ×3, first 2 shown]
	v_mul_f32_e32 v15, v17, v35
	v_sub_f32_e32 v14, v16, v14
	v_mul_f32_e32 v16, v13, v15
	v_fma_f32 v36, v15, v13, -v16
	v_fmac_f32_e32 v36, v15, v11
	v_add_f32_e32 v37, v16, v36
	v_sub_f32_e32 v38, v17, v37
	v_sub_f32_e32 v17, v17, v38
	v_sub_f32_e32 v16, v37, v16
	v_sub_f32_e32 v17, v17, v37
	v_add_f32_e32 v14, v14, v17
	v_sub_f32_e32 v16, v16, v36
	v_add_f32_e32 v14, v16, v14
	v_add_f32_e32 v16, v38, v14
	v_mul_f32_e32 v17, v35, v16
	v_mul_f32_e32 v36, v13, v17
	v_fma_f32 v13, v17, v13, -v36
	v_fmac_f32_e32 v13, v17, v11
	v_sub_f32_e32 v11, v38, v16
	v_add_f32_e32 v11, v14, v11
	v_add_f32_e32 v14, v36, v13
	v_sub_f32_e32 v37, v16, v14
	v_sub_f32_e32 v16, v16, v37
	;; [unrolled: 1-line block ×4, first 2 shown]
	v_add_f32_e32 v11, v11, v14
	v_sub_f32_e32 v13, v36, v13
	v_cvt_f32_i32_e32 v10, v10
	v_add_f32_e32 v11, v13, v11
	v_add_f32_e32 v13, v15, v17
	;; [unrolled: 1-line block ×3, first 2 shown]
	v_sub_f32_e32 v14, v13, v15
	v_mul_f32_e32 v11, v35, v11
	v_sub_f32_e32 v14, v17, v14
	v_add_f32_e32 v11, v14, v11
	v_mul_f32_e32 v17, 0x3f317218, v10
	v_add_f32_e32 v14, v13, v11
	v_fma_f32 v35, v10, s28, -v17
	v_mul_f32_e32 v15, v14, v14
	v_mov_b32_e32 v16, 0x3ecc95a3
	v_fmac_f32_e32 v35, 0xb102e308, v10
	v_sub_f32_e32 v10, v14, v13
	v_fmac_f32_e32 v16, 0x3e9b6dac, v15
	v_sub_f32_e32 v10, v11, v10
	v_add_f32_e32 v11, v17, v35
	v_fma_f32 v16, v15, v16, v21
	v_sub_f32_e32 v13, v11, v17
	v_ldexp_f32 v17, v14, 1
	v_mul_f32_e32 v14, v14, v15
	v_mul_f32_e32 v14, v14, v16
	v_add_f32_e32 v15, v17, v14
	v_sub_f32_e32 v16, v15, v17
	v_ldexp_f32 v10, v10, 1
	v_sub_f32_e32 v14, v14, v16
	v_add_f32_e32 v10, v10, v14
	v_add_f32_e32 v14, v15, v10
	v_sub_f32_e32 v15, v14, v15
	v_sub_f32_e32 v10, v10, v15
	v_add_f32_e32 v15, v11, v14
	v_sub_f32_e32 v16, v15, v11
	v_sub_f32_e32 v17, v15, v16
	v_sub_f32_e32 v13, v35, v13
	v_sub_f32_e32 v11, v11, v17
	v_sub_f32_e32 v14, v14, v16
	v_add_f32_e32 v11, v14, v11
	v_add_f32_e32 v14, v13, v10
	v_sub_f32_e32 v16, v14, v13
	v_sub_f32_e32 v17, v14, v16
	;; [unrolled: 1-line block ×4, first 2 shown]
	v_add_f32_e32 v11, v14, v11
	v_add_f32_e32 v10, v10, v13
	;; [unrolled: 1-line block ×3, first 2 shown]
	v_sub_f32_e32 v14, v13, v15
	v_sub_f32_e32 v11, v11, v14
	v_add_f32_e32 v10, v10, v11
	v_add_f32_e32 v10, v13, v10
	v_cmp_neq_f32_e32 vcc, s29, v12
	v_cndmask_b32_e32 v10, v28, v10, vcc
	v_cmp_ngt_f32_e32 vcc, -1.0, v12
	v_cndmask_b32_e32 v10, v29, v10, vcc
	v_cmp_neq_f32_e32 vcc, -1.0, v12
	v_cndmask_b32_e32 v10, v30, v10, vcc
	v_cmp_lt_f32_e64 vcc, |v12|, s30
	v_cndmask_b32_e32 v10, v10, v12, vcc
	v_max_f32_e64 v11, |v7|, |v7|
	v_max_f32_e64 v12, |v6|, |v6|
	v_min_f32_e32 v13, v12, v11
	v_max_f32_e32 v11, v12, v11
	v_frexp_mant_f32_e32 v12, v11
	v_rcp_f32_e32 v12, v12
	v_frexp_exp_i32_f32_e32 v11, v11
	v_frexp_exp_i32_f32_e32 v14, v13
	v_frexp_mant_f32_e32 v13, v13
	v_mul_f32_e32 v12, v13, v12
	v_sub_u32_e32 v11, v14, v11
	v_ldexp_f32 v11, v12, v11
	v_mul_f32_e32 v12, v11, v11
	v_mov_b32_e32 v13, 0xbc7a590c
	v_fmac_f32_e32 v13, 0x3b2d2a58, v12
	v_fma_f32 v13, v12, v13, v22
	v_fma_f32 v13, v12, v13, v23
	;; [unrolled: 1-line block ×6, first 2 shown]
	v_mul_f32_e32 v12, v12, v13
	v_fmac_f32_e32 v11, v11, v12
	v_sub_f32_e32 v12, 0x3fc90fdb, v11
	v_cndmask_b32_e64 v11, v11, v12, s[0:1]
	v_sub_f32_e32 v12, 0x40490fdb, v11
	v_cmp_gt_f32_e32 vcc, 0, v6
	v_cndmask_b32_e32 v11, v11, v12, vcc
	v_cndmask_b32_e64 v12, 0, v31, s[2:3]
	v_cmp_eq_f32_e64 s[2:3], 0, v7
	v_cndmask_b32_e64 v11, v11, v12, s[2:3]
	v_cmp_class_f32_e64 s[2:3], v6, s31
	v_cndmask_b32_e32 v12, v32, v33, vcc
	s_and_b64 vcc, s[2:3], s[20:21]
	v_mul_f32_e32 v10, 0.5, v10
	v_cndmask_b32_e32 v11, v11, v12, vcc
.LBB174_175:                            ;   in Loop: Header=BB174_162 Depth=1
	s_or_b64 exec, exec, s[18:19]
.LBB174_176:                            ;   in Loop: Header=BB174_162 Depth=1
	s_or_b64 exec, exec, s[16:17]
.LBB174_177:                            ;   in Loop: Header=BB174_162 Depth=1
	s_andn2_saveexec_b64 s[14:15], s[14:15]
	s_cbranch_execz .LBB174_179
; %bb.178:                              ;   in Loop: Header=BB174_162 Depth=1
	v_max_f32_e64 v12, |v7|, |v7|
	v_max_f32_e64 v13, |v6|, |v6|
	v_max_f32_e32 v14, v13, v12
	v_cvt_f64_f32_e32 v[10:11], v14
	v_cmp_neq_f32_e32 vcc, s29, v14
	v_cmp_gt_i32_e64 s[2:3], 0, v6
	v_cmp_class_f32_e64 s[16:17], v7, s31
	v_frexp_exp_i32_f64_e32 v10, v[10:11]
	v_min_f32_e32 v11, v13, v12
	v_frexp_mant_f32_e32 v13, v14
	v_rcp_f32_e32 v13, v13
	v_frexp_exp_i32_f32_e32 v15, v11
	v_frexp_mant_f32_e32 v11, v11
	v_frexp_exp_i32_f32_e32 v12, v14
	v_mul_f32_e32 v11, v11, v13
	v_sub_u32_e32 v16, 0, v10
	v_ldexp_f32 v17, |v6|, v16
	v_ldexp_f32 v16, |v7|, v16
	v_mul_f32_e32 v16, v16, v16
	v_fmac_f32_e32 v16, v17, v17
	v_sqrt_f32_e32 v16, v16
	v_sub_u32_e32 v12, v15, v12
	v_ldexp_f32 v11, v11, v12
	v_mul_f32_e32 v12, v11, v11
	v_ldexp_f32 v10, v16, v10
	v_cndmask_b32_e32 v10, v28, v10, vcc
	v_cmp_gt_f32_e32 vcc, s35, v10
	v_cndmask_b32_e64 v13, 0, 32, vcc
	v_ldexp_f32 v10, v10, v13
	v_log_f32_e32 v10, v10
	v_cndmask_b32_e32 v13, 0, v34, vcc
	v_mul_f32_e32 v14, 0x3f317217, v10
	v_fma_f32 v14, v10, s36, -v14
	v_fmac_f32_e32 v14, 0x3377d1cf, v10
	v_fmac_f32_e32 v14, 0x3f317217, v10
	v_cmp_lt_f32_e64 vcc, |v10|, s29
	v_cndmask_b32_e32 v10, v10, v14, vcc
	v_sub_f32_e32 v10, v10, v13
	v_mov_b32_e32 v13, 0xbc7a590c
	v_fmac_f32_e32 v13, 0x3b2d2a58, v12
	v_fma_f32 v13, v12, v13, v22
	v_fma_f32 v13, v12, v13, v23
	;; [unrolled: 1-line block ×6, first 2 shown]
	v_mul_f32_e32 v12, v12, v13
	v_fmac_f32_e32 v11, v11, v12
	v_sub_f32_e32 v12, 0x3fc90fdb, v11
	v_cndmask_b32_e64 v11, v11, v12, s[0:1]
	v_sub_f32_e32 v12, 0x40490fdb, v11
	v_cmp_gt_f32_e32 vcc, 0, v6
	v_cndmask_b32_e32 v11, v11, v12, vcc
	v_cndmask_b32_e64 v12, 0, v31, s[2:3]
	v_cmp_eq_f32_e64 s[2:3], 0, v7
	v_cndmask_b32_e64 v11, v11, v12, s[2:3]
	v_cmp_class_f32_e64 s[2:3], v6, s31
	v_cndmask_b32_e32 v12, v32, v33, vcc
	s_and_b64 vcc, s[2:3], s[16:17]
	v_cndmask_b32_e32 v11, v11, v12, vcc
.LBB174_179:                            ;   in Loop: Header=BB174_162 Depth=1
	s_or_b64 exec, exec, s[14:15]
                                        ; implicit-def: $vgpr12
.LBB174_180:                            ;   in Loop: Header=BB174_162 Depth=1
	s_andn2_saveexec_b64 s[12:13], s[12:13]
	s_cbranch_execz .LBB174_186
; %bb.181:                              ;   in Loop: Header=BB174_162 Depth=1
	v_cmp_ngt_f32_e32 vcc, s37, v12
                                        ; implicit-def: $vgpr10
                                        ; implicit-def: $vgpr11
	s_and_saveexec_b64 s[2:3], vcc
	s_xor_b64 s[14:15], exec, s[2:3]
	s_cbranch_execz .LBB174_183
; %bb.182:                              ;   in Loop: Header=BB174_162 Depth=1
	v_mul_f32_e32 v12, v12, v12
	v_add_f32_e32 v13, 1.0, v12
	v_cvt_f64_f32_e32 v[10:11], v13
	v_add_f32_e32 v14, -1.0, v13
	v_sub_f32_e32 v15, v14, v13
	v_sub_f32_e32 v14, v12, v14
	v_frexp_exp_i32_f64_e32 v10, v[10:11]
	v_frexp_mant_f32_e32 v11, v13
	v_cmp_gt_f32_e32 vcc, s27, v11
	v_add_f32_e32 v15, 1.0, v15
	v_add_f32_e32 v14, v14, v15
	v_cmp_gt_i32_e64 s[2:3], 0, v6
	v_cmp_class_f32_e64 s[16:17], v7, s31
	v_subbrev_co_u32_e32 v10, vcc, 0, v10, vcc
	v_sub_u32_e32 v11, 0, v10
	v_ldexp_f32 v13, v13, v11
	v_ldexp_f32 v11, v14, v11
	v_add_f32_e32 v14, -1.0, v13
	v_add_f32_e32 v15, 1.0, v13
	v_add_f32_e32 v16, 1.0, v14
	v_add_f32_e32 v35, -1.0, v15
	v_sub_f32_e32 v16, v13, v16
	v_sub_f32_e32 v13, v13, v35
	v_add_f32_e32 v16, v11, v16
	v_add_f32_e32 v11, v11, v13
	;; [unrolled: 1-line block ×3, first 2 shown]
	v_rcp_f32_e32 v35, v13
	v_add_f32_e32 v17, v14, v16
	v_sub_f32_e32 v15, v15, v13
	v_sub_f32_e32 v14, v14, v17
	v_add_f32_e32 v11, v11, v15
	v_mul_f32_e32 v15, v17, v35
	v_add_f32_e32 v14, v16, v14
	v_mul_f32_e32 v16, v13, v15
	v_fma_f32 v36, v15, v13, -v16
	v_fmac_f32_e32 v36, v15, v11
	v_add_f32_e32 v37, v16, v36
	v_sub_f32_e32 v38, v17, v37
	v_sub_f32_e32 v17, v17, v38
	;; [unrolled: 1-line block ×4, first 2 shown]
	v_add_f32_e32 v14, v14, v17
	v_sub_f32_e32 v16, v16, v36
	v_add_f32_e32 v14, v16, v14
	v_add_f32_e32 v16, v38, v14
	v_mul_f32_e32 v17, v35, v16
	v_mul_f32_e32 v36, v13, v17
	v_fma_f32 v13, v17, v13, -v36
	v_fmac_f32_e32 v13, v17, v11
	v_sub_f32_e32 v11, v38, v16
	v_add_f32_e32 v11, v14, v11
	v_add_f32_e32 v14, v36, v13
	v_sub_f32_e32 v37, v16, v14
	v_sub_f32_e32 v16, v16, v37
	;; [unrolled: 1-line block ×4, first 2 shown]
	v_add_f32_e32 v11, v11, v14
	v_sub_f32_e32 v13, v36, v13
	v_cvt_f32_i32_e32 v10, v10
	v_add_f32_e32 v11, v13, v11
	v_add_f32_e32 v13, v15, v17
	;; [unrolled: 1-line block ×3, first 2 shown]
	v_sub_f32_e32 v14, v13, v15
	v_mul_f32_e32 v11, v35, v11
	v_sub_f32_e32 v14, v17, v14
	v_add_f32_e32 v11, v14, v11
	v_mul_f32_e32 v17, 0x3f317218, v10
	v_add_f32_e32 v14, v13, v11
	v_fma_f32 v35, v10, s28, -v17
	v_mul_f32_e32 v15, v14, v14
	v_mov_b32_e32 v16, 0x3ecc95a3
	v_fmac_f32_e32 v35, 0xb102e308, v10
	v_sub_f32_e32 v10, v14, v13
	v_fmac_f32_e32 v16, 0x3e9b6dac, v15
	v_sub_f32_e32 v10, v11, v10
	v_add_f32_e32 v11, v17, v35
	v_fma_f32 v16, v15, v16, v21
	v_sub_f32_e32 v13, v11, v17
	v_ldexp_f32 v17, v14, 1
	v_mul_f32_e32 v14, v14, v15
	v_mul_f32_e32 v14, v14, v16
	v_add_f32_e32 v15, v17, v14
	v_sub_f32_e32 v16, v15, v17
	v_ldexp_f32 v10, v10, 1
	v_sub_f32_e32 v14, v14, v16
	v_add_f32_e32 v10, v10, v14
	v_add_f32_e32 v14, v15, v10
	v_sub_f32_e32 v15, v14, v15
	v_sub_f32_e32 v10, v10, v15
	v_add_f32_e32 v15, v11, v14
	v_sub_f32_e32 v16, v15, v11
	v_sub_f32_e32 v17, v15, v16
	;; [unrolled: 1-line block ×5, first 2 shown]
	v_add_f32_e32 v11, v14, v11
	v_add_f32_e32 v14, v13, v10
	v_sub_f32_e32 v16, v14, v13
	v_sub_f32_e32 v17, v14, v16
	v_sub_f32_e32 v13, v13, v17
	v_sub_f32_e32 v10, v10, v16
	v_add_f32_e32 v11, v14, v11
	v_add_f32_e32 v10, v10, v13
	;; [unrolled: 1-line block ×3, first 2 shown]
	v_sub_f32_e32 v14, v13, v15
	v_sub_f32_e32 v11, v11, v14
	v_add_f32_e32 v10, v10, v11
	v_add_f32_e32 v10, v13, v10
	v_cmp_neq_f32_e32 vcc, s29, v12
	v_cndmask_b32_e32 v10, v28, v10, vcc
	v_cmp_lt_f32_e64 vcc, |v12|, s30
	v_cndmask_b32_e32 v10, v10, v12, vcc
	v_max_f32_e64 v11, |v7|, |v7|
	v_max_f32_e64 v12, |v6|, |v6|
	v_min_f32_e32 v13, v12, v11
	v_max_f32_e32 v11, v12, v11
	v_frexp_mant_f32_e32 v12, v11
	v_rcp_f32_e32 v12, v12
	v_frexp_exp_i32_f32_e32 v11, v11
	v_frexp_exp_i32_f32_e32 v14, v13
	v_frexp_mant_f32_e32 v13, v13
	v_mul_f32_e32 v12, v13, v12
	v_sub_u32_e32 v11, v14, v11
	v_ldexp_f32 v11, v12, v11
	v_mul_f32_e32 v12, v11, v11
	v_mov_b32_e32 v13, 0xbc7a590c
	v_fmac_f32_e32 v13, 0x3b2d2a58, v12
	v_fma_f32 v13, v12, v13, v22
	v_fma_f32 v13, v12, v13, v23
	;; [unrolled: 1-line block ×6, first 2 shown]
	v_mul_f32_e32 v12, v12, v13
	v_fmac_f32_e32 v11, v11, v12
	v_sub_f32_e32 v12, 0x3fc90fdb, v11
	v_cndmask_b32_e64 v11, v11, v12, s[0:1]
	v_sub_f32_e32 v12, 0x40490fdb, v11
	v_cmp_gt_f32_e32 vcc, 0, v6
	v_cndmask_b32_e32 v11, v11, v12, vcc
	v_cndmask_b32_e64 v12, 0, v31, s[2:3]
	v_cmp_eq_f32_e64 s[2:3], 0, v7
	v_cndmask_b32_e64 v11, v11, v12, s[2:3]
	v_cmp_class_f32_e64 s[2:3], v6, s31
	v_cndmask_b32_e32 v12, v32, v33, vcc
	s_and_b64 vcc, s[2:3], s[16:17]
	v_mul_f32_e32 v10, 0.5, v10
	v_cndmask_b32_e32 v11, v11, v12, vcc
                                        ; implicit-def: $vgpr12
.LBB174_183:                            ;   in Loop: Header=BB174_162 Depth=1
	s_andn2_saveexec_b64 s[14:15], s[14:15]
	s_cbranch_execz .LBB174_185
; %bb.184:                              ;   in Loop: Header=BB174_162 Depth=1
	v_mul_f32_e32 v10, 0.5, v12
	v_mul_f32_e32 v10, v12, v10
	v_max_f32_e64 v11, |v7|, |v7|
	v_max_f32_e64 v12, |v6|, |v6|
	v_min_f32_e32 v13, v12, v11
	v_max_f32_e32 v11, v12, v11
	v_frexp_mant_f32_e32 v12, v11
	v_rcp_f32_e32 v12, v12
	v_frexp_exp_i32_f32_e32 v11, v11
	v_frexp_exp_i32_f32_e32 v14, v13
	v_frexp_mant_f32_e32 v13, v13
	v_mul_f32_e32 v12, v13, v12
	v_sub_u32_e32 v11, v14, v11
	v_ldexp_f32 v11, v12, v11
	v_mul_f32_e32 v12, v11, v11
	v_mov_b32_e32 v13, 0xbc7a590c
	v_fmac_f32_e32 v13, 0x3b2d2a58, v12
	v_fma_f32 v13, v12, v13, v22
	v_fma_f32 v13, v12, v13, v23
	;; [unrolled: 1-line block ×6, first 2 shown]
	v_mul_f32_e32 v12, v12, v13
	v_fmac_f32_e32 v11, v11, v12
	v_sub_f32_e32 v12, 0x3fc90fdb, v11
	v_cndmask_b32_e64 v11, v11, v12, s[0:1]
	v_sub_f32_e32 v12, 0x40490fdb, v11
	v_cmp_gt_f32_e32 vcc, 0, v6
	v_cmp_gt_i32_e64 s[2:3], 0, v6
	v_cndmask_b32_e32 v11, v11, v12, vcc
	v_cndmask_b32_e64 v12, 0, v31, s[2:3]
	v_cmp_eq_f32_e64 s[2:3], 0, v7
	v_cndmask_b32_e64 v11, v11, v12, s[2:3]
	v_cmp_class_f32_e64 s[2:3], v6, s31
	v_cmp_class_f32_e64 s[16:17], v7, s31
	v_cndmask_b32_e32 v12, v32, v33, vcc
	s_and_b64 vcc, s[2:3], s[16:17]
	v_cndmask_b32_e32 v11, v11, v12, vcc
.LBB174_185:                            ;   in Loop: Header=BB174_162 Depth=1
	s_or_b64 exec, exec, s[14:15]
.LBB174_186:                            ;   in Loop: Header=BB174_162 Depth=1
	s_or_b64 exec, exec, s[12:13]
.LBB174_187:                            ;   in Loop: Header=BB174_162 Depth=1
	s_andn2_saveexec_b64 s[10:11], s[10:11]
	s_cbranch_execz .LBB174_189
; %bb.188:                              ;   in Loop: Header=BB174_162 Depth=1
	v_div_scale_f32 v10, s[2:3], s38, s38, v6
	v_div_scale_f32 v11, s[2:3], s38, s38, v7
	v_div_scale_f32 v12, vcc, v6, s38, v6
	v_div_scale_f32 v13, s[2:3], v7, s38, v7
	v_rcp_f32_e32 v14, v10
	v_rcp_f32_e32 v15, v11
	v_fma_f32 v16, -v10, v14, 1.0
	v_fmac_f32_e32 v14, v16, v14
	v_fma_f32 v17, -v11, v15, 1.0
	v_fmac_f32_e32 v15, v17, v15
	v_mul_f32_e32 v16, v12, v14
	v_mul_f32_e32 v17, v13, v15
	v_fma_f32 v35, -v10, v16, v12
	v_fma_f32 v36, -v11, v17, v13
	v_fmac_f32_e32 v16, v35, v14
	v_fmac_f32_e32 v17, v36, v15
	v_fma_f32 v10, -v10, v16, v12
	v_fma_f32 v11, -v11, v17, v13
	v_div_fmas_f32 v10, v10, v14, v16
	s_mov_b64 vcc, s[2:3]
	v_div_fmas_f32 v11, v11, v15, v17
	v_max_f32_e64 v12, |v7|, |v7|
	v_max_f32_e64 v13, |v6|, |v6|
	v_min_f32_e32 v15, v13, v12
	v_max_f32_e32 v12, v13, v12
	v_frexp_exp_i32_f32_e32 v13, v12
	v_frexp_exp_i32_f32_e32 v16, v15
	v_sub_u32_e32 v13, v16, v13
	v_frexp_mant_f32_e32 v12, v12
	v_rcp_f32_e32 v12, v12
	v_frexp_mant_f32_e32 v15, v15
	v_mov_b32_e32 v14, 0xbc7a590c
	v_cmp_class_f32_e64 s[2:3], v7, s31
	v_mul_f32_e32 v12, v15, v12
	v_div_fixup_f32 v16, v10, s38, v6
	v_ldexp_f32 v12, v12, v13
	v_div_fixup_f32 v17, v11, s38, v7
	v_max_f32_e64 v35, |v16|, |v17|
	v_cvt_f64_f32_e32 v[10:11], v35
	v_mul_f32_e32 v13, v12, v12
	v_fmac_f32_e32 v14, 0x3b2d2a58, v13
	v_cmp_neq_f32_e32 vcc, s29, v35
	v_frexp_exp_i32_f64_e32 v10, v[10:11]
	v_fma_f32 v11, v13, v14, v22
	v_fma_f32 v11, v13, v11, v23
	;; [unrolled: 1-line block ×6, first 2 shown]
	v_mul_f32_e32 v11, v13, v11
	v_sub_u32_e32 v14, 0, v10
	v_ldexp_f32 v15, |v16|, v14
	v_ldexp_f32 v14, |v17|, v14
	v_mul_f32_e32 v14, v14, v14
	v_fmac_f32_e32 v14, v15, v15
	v_sqrt_f32_e32 v14, v14
	v_fmac_f32_e32 v12, v12, v11
	v_sub_f32_e32 v11, 0x3fc90fdb, v12
	v_cndmask_b32_e64 v11, v12, v11, s[0:1]
	v_ldexp_f32 v10, v14, v10
	v_cndmask_b32_e32 v10, v28, v10, vcc
	v_cmp_gt_f32_e32 vcc, s35, v10
	v_cndmask_b32_e64 v13, 0, 32, vcc
	v_ldexp_f32 v10, v10, v13
	v_log_f32_e32 v10, v10
	v_cndmask_b32_e32 v13, 0, v34, vcc
	v_sub_f32_e32 v12, 0x40490fdb, v11
	v_cmp_gt_i32_e64 s[0:1], 0, v6
	v_mul_f32_e32 v14, 0x3f317217, v10
	v_fma_f32 v14, v10, s36, -v14
	v_fmac_f32_e32 v14, 0x3377d1cf, v10
	v_fmac_f32_e32 v14, 0x3f317217, v10
	v_cmp_lt_f32_e64 vcc, |v10|, s29
	v_cndmask_b32_e32 v10, v10, v14, vcc
	v_cmp_gt_f32_e32 vcc, 0, v6
	v_cndmask_b32_e32 v11, v11, v12, vcc
	v_cndmask_b32_e64 v12, 0, v31, s[0:1]
	v_cmp_eq_f32_e64 s[0:1], 0, v7
	v_cndmask_b32_e64 v11, v11, v12, s[0:1]
	v_cmp_class_f32_e64 s[0:1], v6, s31
	v_sub_f32_e32 v10, v10, v13
	v_cndmask_b32_e32 v12, v32, v33, vcc
	s_and_b64 vcc, s[0:1], s[2:3]
	v_add_f32_e32 v10, 1.0, v10
	v_cndmask_b32_e32 v11, v11, v12, vcc
.LBB174_189:                            ;   in Loop: Header=BB174_162 Depth=1
	s_or_b64 exec, exec, s[10:11]
.LBB174_190:                            ;   in Loop: Header=BB174_162 Depth=1
	s_andn2_saveexec_b64 s[0:1], s[8:9]
	s_cbranch_execz .LBB174_196
; %bb.191:                              ;   in Loop: Header=BB174_162 Depth=1
	v_cmp_nlt_f32_e64 s[2:3], |v6|, s39
	v_cmp_nlt_f32_e64 s[8:9], |v7|, s39
	s_or_b64 s[2:3], s[2:3], s[8:9]
                                        ; implicit-def: $vgpr10
	s_and_saveexec_b64 s[8:9], s[2:3]
	s_xor_b64 s[2:3], exec, s[8:9]
; %bb.192:                              ;   in Loop: Header=BB174_162 Depth=1
	v_mul_f32_e32 v10, v7, v7
	v_fmac_f32_e32 v10, v6, v6
; %bb.193:                              ;   in Loop: Header=BB174_162 Depth=1
	s_andn2_saveexec_b64 s[2:3], s[2:3]
; %bb.194:                              ;   in Loop: Header=BB174_162 Depth=1
	v_mul_f32_e32 v10, 4.0, v7
	v_mul_f32_e32 v6, 4.0, v6
	v_mul_f32_e32 v10, v10, v10
	v_fmac_f32_e32 v10, v6, v6
	v_mul_f32_e32 v10, 0x3d800000, v10
; %bb.195:                              ;   in Loop: Header=BB174_162 Depth=1
	s_or_b64 exec, exec, s[2:3]
	v_cmp_gt_f32_e32 vcc, s35, v10
	v_cndmask_b32_e64 v6, 0, 32, vcc
	v_ldexp_f32 v6, v10, v6
	v_log_f32_e32 v6, v6
	v_cndmask_b32_e32 v10, 0, v34, vcc
	v_mul_f32_e32 v11, 0x3f317217, v6
	v_fma_f32 v11, v6, s36, -v11
	v_fmac_f32_e32 v11, 0x3377d1cf, v6
	v_fmac_f32_e32 v11, 0x3f317217, v6
	v_cmp_lt_f32_e64 vcc, |v6|, s29
	v_cndmask_b32_e32 v6, v6, v11, vcc
	v_sub_f32_e32 v10, v6, v10
	v_mov_b32_e32 v11, 0x7fc00000
.LBB174_196:                            ;   in Loop: Header=BB174_162 Depth=1
	s_or_b64 exec, exec, s[0:1]
	v_cmp_o_f32_e32 vcc, v9, v8
                                        ; implicit-def: $vgpr6
	s_and_saveexec_b64 s[0:1], vcc
	s_xor_b64 s[8:9], exec, s[0:1]
	s_cbranch_execz .LBB174_224
; %bb.197:                              ;   in Loop: Header=BB174_162 Depth=1
	v_cmp_lt_f32_e64 s[0:1], |v8|, |v9|
	v_cndmask_b32_e64 v13, |v9|, |v8|, s[0:1]
	v_cmp_nlt_f32_e32 vcc, s24, v13
                                        ; implicit-def: $vgpr6
	s_and_saveexec_b64 s[2:3], vcc
	s_xor_b64 s[10:11], exec, s[2:3]
	s_cbranch_execz .LBB174_221
; %bb.198:                              ;   in Loop: Header=BB174_162 Depth=1
	v_and_b32_e32 v6, 0x7fffffff, v9
	v_cndmask_b32_e64 v14, |v8|, v6, s[0:1]
	v_cmp_neq_f32_e32 vcc, 1.0, v14
                                        ; implicit-def: $vgpr6
	s_and_saveexec_b64 s[2:3], vcc
	s_xor_b64 s[12:13], exec, s[2:3]
	s_cbranch_execz .LBB174_214
; %bb.199:                              ;   in Loop: Header=BB174_162 Depth=1
	v_max_f32_e32 v6, v13, v13
	v_max_f32_e32 v12, v14, v14
	v_min_f32_e32 v15, v12, v6
	v_max_f32_e32 v6, v12, v6
	v_cmp_ngt_f32_e32 vcc, s25, v15
	v_cmp_nlt_f32_e64 s[2:3], s26, v6
	s_and_b64 s[2:3], s[2:3], vcc
                                        ; implicit-def: $vgpr6
	s_and_saveexec_b64 s[14:15], s[2:3]
	s_xor_b64 s[14:15], exec, s[14:15]
	s_cbranch_execz .LBB174_211
; %bb.200:                              ;   in Loop: Header=BB174_162 Depth=1
	v_cmp_le_f32_e32 vcc, 1.0, v14
                                        ; implicit-def: $vgpr6
	s_and_saveexec_b64 s[2:3], vcc
	s_xor_b64 s[16:17], exec, s[2:3]
	s_cbranch_execz .LBB174_202
; %bb.201:                              ;   in Loop: Header=BB174_162 Depth=1
	v_add_f32_e32 v6, -1.0, v14
	v_add_f32_e32 v12, 1.0, v14
	v_mul_f32_e32 v6, v6, v12
	v_fmac_f32_e32 v6, v13, v13
	v_add_f32_e32 v14, 1.0, v6
	v_cvt_f64_f32_e32 v[12:13], v14
	v_add_f32_e32 v15, -1.0, v14
	v_sub_f32_e32 v16, v15, v14
	v_sub_f32_e32 v15, v6, v15
	v_frexp_exp_i32_f64_e32 v12, v[12:13]
	v_frexp_mant_f32_e32 v13, v14
	v_cmp_gt_f32_e32 vcc, s27, v13
	v_add_f32_e32 v16, 1.0, v16
	v_add_f32_e32 v15, v15, v16
	v_cmp_gt_i32_e64 s[2:3], 0, v8
	v_cmp_class_f32_e64 s[18:19], v9, s31
	v_subbrev_co_u32_e32 v12, vcc, 0, v12, vcc
	v_sub_u32_e32 v13, 0, v12
	v_ldexp_f32 v14, v14, v13
	v_ldexp_f32 v13, v15, v13
	v_add_f32_e32 v15, -1.0, v14
	v_add_f32_e32 v35, 1.0, v14
	v_add_f32_e32 v16, 1.0, v15
	v_add_f32_e32 v36, -1.0, v35
	v_sub_f32_e32 v16, v14, v16
	v_sub_f32_e32 v14, v14, v36
	v_add_f32_e32 v16, v13, v16
	v_add_f32_e32 v13, v13, v14
	;; [unrolled: 1-line block ×3, first 2 shown]
	v_rcp_f32_e32 v36, v14
	v_add_f32_e32 v17, v15, v16
	v_sub_f32_e32 v15, v17, v15
	v_sub_f32_e32 v15, v16, v15
	;; [unrolled: 1-line block ×4, first 2 shown]
	v_mul_f32_e32 v16, v17, v36
	v_mul_f32_e32 v35, v14, v16
	v_fma_f32 v37, v16, v14, -v35
	v_fmac_f32_e32 v37, v16, v13
	v_add_f32_e32 v38, v35, v37
	v_sub_f32_e32 v39, v17, v38
	v_sub_f32_e32 v17, v17, v39
	;; [unrolled: 1-line block ×4, first 2 shown]
	v_add_f32_e32 v15, v15, v17
	v_sub_f32_e32 v17, v35, v37
	v_add_f32_e32 v15, v17, v15
	v_add_f32_e32 v17, v39, v15
	v_mul_f32_e32 v35, v36, v17
	v_mul_f32_e32 v37, v14, v35
	v_fma_f32 v14, v35, v14, -v37
	v_fmac_f32_e32 v14, v35, v13
	v_sub_f32_e32 v13, v39, v17
	v_add_f32_e32 v13, v15, v13
	v_add_f32_e32 v15, v37, v14
	v_sub_f32_e32 v38, v17, v15
	v_sub_f32_e32 v17, v17, v38
	;; [unrolled: 1-line block ×4, first 2 shown]
	v_add_f32_e32 v13, v13, v15
	v_sub_f32_e32 v14, v37, v14
	v_cvt_f32_i32_e32 v12, v12
	v_add_f32_e32 v13, v14, v13
	v_add_f32_e32 v14, v16, v35
	v_add_f32_e32 v13, v38, v13
	v_sub_f32_e32 v15, v14, v16
	v_mul_f32_e32 v13, v36, v13
	v_sub_f32_e32 v15, v35, v15
	v_add_f32_e32 v13, v15, v13
	v_mul_f32_e32 v35, 0x3f317218, v12
	v_add_f32_e32 v15, v14, v13
	v_fma_f32 v36, v12, s28, -v35
	v_mul_f32_e32 v16, v15, v15
	v_mov_b32_e32 v17, 0x3ecc95a3
	v_fmac_f32_e32 v36, 0xb102e308, v12
	v_sub_f32_e32 v12, v15, v14
	v_fmac_f32_e32 v17, 0x3e9b6dac, v16
	v_sub_f32_e32 v12, v13, v12
	v_add_f32_e32 v13, v35, v36
	v_fma_f32 v17, v16, v17, v21
	v_sub_f32_e32 v14, v13, v35
	v_ldexp_f32 v35, v15, 1
	v_mul_f32_e32 v15, v15, v16
	v_mul_f32_e32 v15, v15, v17
	v_add_f32_e32 v16, v35, v15
	v_sub_f32_e32 v17, v16, v35
	v_ldexp_f32 v12, v12, 1
	v_sub_f32_e32 v15, v15, v17
	v_add_f32_e32 v12, v12, v15
	v_add_f32_e32 v15, v16, v12
	v_sub_f32_e32 v16, v15, v16
	v_sub_f32_e32 v12, v12, v16
	v_add_f32_e32 v16, v13, v15
	v_sub_f32_e32 v17, v16, v13
	v_sub_f32_e32 v35, v16, v17
	;; [unrolled: 1-line block ×5, first 2 shown]
	v_add_f32_e32 v13, v15, v13
	v_add_f32_e32 v15, v14, v12
	v_sub_f32_e32 v17, v15, v14
	v_sub_f32_e32 v35, v15, v17
	;; [unrolled: 1-line block ×4, first 2 shown]
	v_add_f32_e32 v13, v15, v13
	v_add_f32_e32 v12, v12, v14
	;; [unrolled: 1-line block ×3, first 2 shown]
	v_sub_f32_e32 v15, v14, v16
	v_sub_f32_e32 v13, v13, v15
	v_add_f32_e32 v12, v12, v13
	v_add_f32_e32 v12, v14, v12
	v_cmp_neq_f32_e32 vcc, s29, v6
	v_cndmask_b32_e32 v12, v28, v12, vcc
	v_cmp_ngt_f32_e32 vcc, -1.0, v6
	v_cndmask_b32_e32 v12, v29, v12, vcc
	v_cmp_neq_f32_e32 vcc, -1.0, v6
	v_cndmask_b32_e32 v12, v30, v12, vcc
	v_cmp_lt_f32_e64 vcc, |v6|, s30
	v_cndmask_b32_e32 v6, v12, v6, vcc
	v_mul_f32_e32 v12, 0.5, v6
	v_max_f32_e64 v6, |v9|, |v9|
	v_max_f32_e64 v13, |v8|, |v8|
	v_min_f32_e32 v14, v13, v6
	v_max_f32_e32 v6, v13, v6
	v_frexp_mant_f32_e32 v13, v6
	v_rcp_f32_e32 v13, v13
	v_frexp_exp_i32_f32_e32 v6, v6
	v_frexp_exp_i32_f32_e32 v15, v14
	v_frexp_mant_f32_e32 v14, v14
	v_mul_f32_e32 v13, v14, v13
	v_sub_u32_e32 v6, v15, v6
	v_ldexp_f32 v6, v13, v6
	v_mul_f32_e32 v13, v6, v6
	v_mov_b32_e32 v14, 0xbc7a590c
	v_fmac_f32_e32 v14, 0x3b2d2a58, v13
	v_fma_f32 v14, v13, v14, v22
	v_fma_f32 v14, v13, v14, v23
	;; [unrolled: 1-line block ×6, first 2 shown]
	v_mul_f32_e32 v13, v13, v14
	v_fmac_f32_e32 v6, v6, v13
	v_sub_f32_e32 v13, 0x3fc90fdb, v6
	v_cndmask_b32_e64 v6, v6, v13, s[0:1]
	v_sub_f32_e32 v13, 0x40490fdb, v6
	v_cmp_gt_f32_e32 vcc, 0, v8
	v_cndmask_b32_e32 v6, v6, v13, vcc
	v_cndmask_b32_e64 v13, 0, v31, s[2:3]
	v_cmp_eq_f32_e64 s[2:3], 0, v9
	v_cndmask_b32_e64 v6, v6, v13, s[2:3]
	v_cmp_class_f32_e64 s[2:3], v8, s31
	v_cndmask_b32_e32 v13, v32, v33, vcc
	s_and_b64 vcc, s[2:3], s[18:19]
	v_cndmask_b32_e32 v6, v6, v13, vcc
                                        ; implicit-def: $vgpr13
                                        ; implicit-def: $vgpr14
.LBB174_202:                            ;   in Loop: Header=BB174_162 Depth=1
	s_andn2_saveexec_b64 s[16:17], s[16:17]
	s_cbranch_execz .LBB174_210
; %bb.203:                              ;   in Loop: Header=BB174_162 Depth=1
	v_mul_f32_e32 v12, v13, v13
	v_fmac_f32_e32 v12, v14, v14
	v_cmp_ge_f32_e32 vcc, s34, v12
                                        ; implicit-def: $vgpr6
	s_and_saveexec_b64 s[2:3], vcc
	s_xor_b64 s[18:19], exec, s[2:3]
	s_cbranch_execz .LBB174_205
; %bb.204:                              ;   in Loop: Header=BB174_162 Depth=1
	v_cmp_gt_f32_e32 vcc, s35, v12
	v_cndmask_b32_e64 v6, 0, 32, vcc
	v_ldexp_f32 v6, v12, v6
	v_log_f32_e32 v6, v6
	v_cndmask_b32_e32 v12, 0, v34, vcc
	v_cmp_gt_i32_e64 s[2:3], 0, v8
	v_cmp_class_f32_e64 s[20:21], v9, s31
	v_mul_f32_e32 v13, 0x3f317217, v6
	v_fma_f32 v13, v6, s36, -v13
	v_fmac_f32_e32 v13, 0x3377d1cf, v6
	v_fmac_f32_e32 v13, 0x3f317217, v6
	v_cmp_lt_f32_e64 vcc, |v6|, s29
	v_cndmask_b32_e32 v6, v6, v13, vcc
	v_sub_f32_e32 v6, v6, v12
	v_mul_f32_e32 v12, 0.5, v6
	v_max_f32_e64 v6, |v9|, |v9|
	v_max_f32_e64 v13, |v8|, |v8|
	v_min_f32_e32 v14, v13, v6
	v_max_f32_e32 v6, v13, v6
	v_frexp_mant_f32_e32 v13, v6
	v_rcp_f32_e32 v13, v13
	v_frexp_exp_i32_f32_e32 v6, v6
	v_frexp_exp_i32_f32_e32 v15, v14
	v_frexp_mant_f32_e32 v14, v14
	v_mul_f32_e32 v13, v14, v13
	v_sub_u32_e32 v6, v15, v6
	v_ldexp_f32 v6, v13, v6
	v_mul_f32_e32 v13, v6, v6
	v_mov_b32_e32 v14, 0xbc7a590c
	v_fmac_f32_e32 v14, 0x3b2d2a58, v13
	v_fma_f32 v14, v13, v14, v22
	v_fma_f32 v14, v13, v14, v23
	;; [unrolled: 1-line block ×6, first 2 shown]
	v_mul_f32_e32 v13, v13, v14
	v_fmac_f32_e32 v6, v6, v13
	v_sub_f32_e32 v13, 0x3fc90fdb, v6
	v_cndmask_b32_e64 v6, v6, v13, s[0:1]
	v_sub_f32_e32 v13, 0x40490fdb, v6
	v_cmp_gt_f32_e32 vcc, 0, v8
	v_cndmask_b32_e32 v6, v6, v13, vcc
	v_cndmask_b32_e64 v13, 0, v31, s[2:3]
	v_cmp_eq_f32_e64 s[2:3], 0, v9
	v_cndmask_b32_e64 v6, v6, v13, s[2:3]
	v_cmp_class_f32_e64 s[2:3], v8, s31
	v_cndmask_b32_e32 v13, v32, v33, vcc
	s_and_b64 vcc, s[2:3], s[20:21]
	v_cndmask_b32_e32 v6, v6, v13, vcc
                                        ; implicit-def: $vgpr14
                                        ; implicit-def: $vgpr13
.LBB174_205:                            ;   in Loop: Header=BB174_162 Depth=1
	s_andn2_saveexec_b64 s[18:19], s[18:19]
	s_cbranch_execz .LBB174_209
; %bb.206:                              ;   in Loop: Header=BB174_162 Depth=1
	v_and_b32_e32 v15, 0x7fff0000, v14
	v_sub_f32_e32 v6, v14, v15
	v_and_b32_e32 v36, 0xffff0000, v6
	v_and_b32_e32 v14, 0x7fff0000, v13
	v_sub_f32_e32 v38, v6, v36
	v_sub_f32_e32 v6, v13, v14
	v_and_b32_e32 v37, 0xffff0000, v6
	v_add_f32_e32 v16, v15, v15
	v_add_f32_e32 v40, v14, v14
	v_sub_f32_e32 v39, v6, v37
	v_mul_f32_e32 v6, v15, v15
	v_mul_f32_e32 v12, v14, v14
	;; [unrolled: 1-line block ×6, first 2 shown]
	v_add_f32_e32 v36, v36, v36
	v_add_f32_e32 v37, v37, v37
	v_mul_f32_e32 v17, v16, v38
	v_mul_f32_e32 v16, v40, v39
	;; [unrolled: 1-line block ×6, first 2 shown]
	s_mov_b64 s[20:21], 0
.LBB174_207:                            ;   Parent Loop BB174_162 Depth=1
                                        ; =>  This Inner Loop Header: Depth=2
	v_cmp_nlt_f32_e32 vcc, v6, v12
	v_mov_b32_e32 v40, v39
	v_cndmask_b32_e32 v39, v6, v12, vcc
	v_cmp_nlt_f32_e64 s[2:3], v39, v15
	v_cndmask_b32_e64 v41, v39, v15, s[2:3]
	v_cndmask_b32_e32 v6, v12, v6, vcc
	s_and_b64 s[40:41], vcc, s[2:3]
	v_cmp_nlt_f32_e32 vcc, v41, v14
	v_cndmask_b32_e64 v12, v15, v39, s[2:3]
	v_cndmask_b32_e32 v39, v41, v14, vcc
	v_cmp_nlt_f32_e64 s[2:3], v39, v35
	v_cndmask_b32_e32 v15, v14, v41, vcc
	v_cndmask_b32_e64 v41, v39, v35, s[2:3]
	s_and_b64 s[42:43], vcc, s[2:3]
	v_cmp_nlt_f32_e32 vcc, v41, v13
	v_cndmask_b32_e64 v14, v35, v39, s[2:3]
	v_cndmask_b32_e32 v39, v41, v13, vcc
	v_cmp_nlt_f32_e64 s[2:3], v39, v17
	v_cndmask_b32_e32 v35, v13, v41, vcc
	v_cndmask_b32_e64 v41, v39, v17, s[2:3]
	v_cndmask_b32_e64 v13, v17, v39, s[2:3]
	s_and_b64 s[2:3], vcc, s[2:3]
	v_cmp_nlt_f32_e32 vcc, v41, v16
	v_cndmask_b32_e32 v39, v41, v16, vcc
	v_cndmask_b32_e32 v17, v16, v41, vcc
	s_and_b64 s[2:3], s[2:3], vcc
	v_cmp_nlt_f32_e32 vcc, v39, v36
	v_cndmask_b32_e32 v41, v39, v36, vcc
	v_cndmask_b32_e32 v16, v36, v39, vcc
	s_and_b64 s[2:3], s[2:3], vcc
	;; [unrolled: 4-line block ×4, first 2 shown]
	v_cmp_nlt_f32_e32 vcc, v41, v40
	s_and_b64 s[2:3], s[2:3], vcc
	s_and_b64 s[2:3], s[2:3], s[42:43]
	s_and_b64 s[2:3], s[2:3], s[40:41]
	s_and_b64 s[2:3], exec, s[2:3]
	v_cndmask_b32_e32 v39, v41, v40, vcc
	s_or_b64 s[20:21], s[2:3], s[20:21]
	v_cndmask_b32_e32 v38, v40, v41, vcc
	s_andn2_b64 exec, exec, s[20:21]
	s_cbranch_execnz .LBB174_207
; %bb.208:                              ;   in Loop: Header=BB174_162 Depth=1
	s_or_b64 exec, exec, s[20:21]
	v_add_f32_e32 v6, -1.0, v6
	v_add_f32_e32 v6, v6, v12
	v_add_f32_e32 v6, v6, v15
	v_add_f32_e32 v6, v6, v14
	v_add_f32_e32 v6, v6, v35
	v_add_f32_e32 v6, v6, v13
	v_add_f32_e32 v6, v6, v17
	v_add_f32_e32 v6, v6, v16
	v_add_f32_e32 v6, v6, v36
	v_add_f32_e32 v6, v6, v37
	v_add_f32_e32 v6, v6, v38
	v_add_f32_e32 v6, v39, v6
	v_add_f32_e32 v14, 1.0, v6
	v_cvt_f64_f32_e32 v[12:13], v14
	v_add_f32_e32 v15, -1.0, v14
	v_sub_f32_e32 v16, v15, v14
	v_sub_f32_e32 v15, v6, v15
	v_frexp_exp_i32_f64_e32 v12, v[12:13]
	v_frexp_mant_f32_e32 v13, v14
	v_cmp_gt_f32_e32 vcc, s27, v13
	v_add_f32_e32 v16, 1.0, v16
	v_add_f32_e32 v15, v15, v16
	v_cmp_gt_i32_e64 s[2:3], 0, v8
	v_cmp_class_f32_e64 s[20:21], v9, s31
	v_subbrev_co_u32_e32 v12, vcc, 0, v12, vcc
	v_sub_u32_e32 v13, 0, v12
	v_ldexp_f32 v14, v14, v13
	v_ldexp_f32 v13, v15, v13
	v_add_f32_e32 v15, -1.0, v14
	v_add_f32_e32 v16, 1.0, v14
	v_add_f32_e32 v17, 1.0, v15
	v_add_f32_e32 v36, -1.0, v16
	v_sub_f32_e32 v17, v14, v17
	v_sub_f32_e32 v14, v14, v36
	v_add_f32_e32 v17, v13, v17
	v_add_f32_e32 v13, v13, v14
	;; [unrolled: 1-line block ×3, first 2 shown]
	v_rcp_f32_e32 v36, v14
	v_add_f32_e32 v35, v15, v17
	v_sub_f32_e32 v16, v14, v16
	v_sub_f32_e32 v15, v35, v15
	;; [unrolled: 1-line block ×3, first 2 shown]
	v_mul_f32_e32 v16, v35, v36
	v_sub_f32_e32 v15, v17, v15
	v_mul_f32_e32 v17, v14, v16
	v_fma_f32 v37, v16, v14, -v17
	v_fmac_f32_e32 v37, v16, v13
	v_add_f32_e32 v38, v17, v37
	v_sub_f32_e32 v39, v35, v38
	v_sub_f32_e32 v35, v35, v39
	v_sub_f32_e32 v17, v38, v17
	v_sub_f32_e32 v35, v35, v38
	v_add_f32_e32 v15, v15, v35
	v_sub_f32_e32 v17, v17, v37
	v_add_f32_e32 v15, v17, v15
	v_add_f32_e32 v17, v39, v15
	v_mul_f32_e32 v35, v36, v17
	v_mul_f32_e32 v37, v14, v35
	v_fma_f32 v14, v35, v14, -v37
	v_fmac_f32_e32 v14, v35, v13
	v_sub_f32_e32 v13, v39, v17
	v_add_f32_e32 v13, v15, v13
	v_add_f32_e32 v15, v37, v14
	v_sub_f32_e32 v38, v17, v15
	v_sub_f32_e32 v17, v17, v38
	;; [unrolled: 1-line block ×4, first 2 shown]
	v_add_f32_e32 v13, v13, v15
	v_sub_f32_e32 v14, v37, v14
	v_cvt_f32_i32_e32 v12, v12
	v_add_f32_e32 v13, v14, v13
	v_add_f32_e32 v14, v16, v35
	;; [unrolled: 1-line block ×3, first 2 shown]
	v_sub_f32_e32 v15, v14, v16
	v_mul_f32_e32 v13, v36, v13
	v_sub_f32_e32 v15, v35, v15
	v_add_f32_e32 v13, v15, v13
	v_mul_f32_e32 v35, 0x3f317218, v12
	v_add_f32_e32 v15, v14, v13
	v_fma_f32 v36, v12, s28, -v35
	v_mul_f32_e32 v16, v15, v15
	v_mov_b32_e32 v17, 0x3ecc95a3
	v_fmac_f32_e32 v36, 0xb102e308, v12
	v_sub_f32_e32 v12, v15, v14
	v_fmac_f32_e32 v17, 0x3e9b6dac, v16
	v_sub_f32_e32 v12, v13, v12
	v_add_f32_e32 v13, v35, v36
	v_fma_f32 v17, v16, v17, v21
	v_sub_f32_e32 v14, v13, v35
	v_ldexp_f32 v35, v15, 1
	v_mul_f32_e32 v15, v15, v16
	v_mul_f32_e32 v15, v15, v17
	v_add_f32_e32 v16, v35, v15
	v_sub_f32_e32 v17, v16, v35
	v_ldexp_f32 v12, v12, 1
	v_sub_f32_e32 v15, v15, v17
	v_add_f32_e32 v12, v12, v15
	v_add_f32_e32 v15, v16, v12
	v_sub_f32_e32 v16, v15, v16
	v_sub_f32_e32 v12, v12, v16
	v_add_f32_e32 v16, v13, v15
	v_sub_f32_e32 v17, v16, v13
	v_sub_f32_e32 v35, v16, v17
	;; [unrolled: 1-line block ×5, first 2 shown]
	v_add_f32_e32 v13, v15, v13
	v_add_f32_e32 v15, v14, v12
	v_sub_f32_e32 v17, v15, v14
	v_sub_f32_e32 v35, v15, v17
	;; [unrolled: 1-line block ×4, first 2 shown]
	v_add_f32_e32 v13, v15, v13
	v_add_f32_e32 v12, v12, v14
	;; [unrolled: 1-line block ×3, first 2 shown]
	v_sub_f32_e32 v15, v14, v16
	v_sub_f32_e32 v13, v13, v15
	v_add_f32_e32 v12, v12, v13
	v_add_f32_e32 v12, v14, v12
	v_cmp_neq_f32_e32 vcc, s29, v6
	v_cndmask_b32_e32 v12, v28, v12, vcc
	v_cmp_ngt_f32_e32 vcc, -1.0, v6
	v_cndmask_b32_e32 v12, v29, v12, vcc
	v_cmp_neq_f32_e32 vcc, -1.0, v6
	v_cndmask_b32_e32 v12, v30, v12, vcc
	v_cmp_lt_f32_e64 vcc, |v6|, s30
	v_cndmask_b32_e32 v6, v12, v6, vcc
	v_mul_f32_e32 v12, 0.5, v6
	v_max_f32_e64 v6, |v9|, |v9|
	v_max_f32_e64 v13, |v8|, |v8|
	v_min_f32_e32 v14, v13, v6
	v_max_f32_e32 v6, v13, v6
	v_frexp_mant_f32_e32 v13, v6
	v_rcp_f32_e32 v13, v13
	v_frexp_exp_i32_f32_e32 v6, v6
	v_frexp_exp_i32_f32_e32 v15, v14
	v_frexp_mant_f32_e32 v14, v14
	v_mul_f32_e32 v13, v14, v13
	v_sub_u32_e32 v6, v15, v6
	v_ldexp_f32 v6, v13, v6
	v_mul_f32_e32 v13, v6, v6
	v_mov_b32_e32 v14, 0xbc7a590c
	v_fmac_f32_e32 v14, 0x3b2d2a58, v13
	v_fma_f32 v14, v13, v14, v22
	v_fma_f32 v14, v13, v14, v23
	;; [unrolled: 1-line block ×6, first 2 shown]
	v_mul_f32_e32 v13, v13, v14
	v_fmac_f32_e32 v6, v6, v13
	v_sub_f32_e32 v13, 0x3fc90fdb, v6
	v_cndmask_b32_e64 v6, v6, v13, s[0:1]
	v_sub_f32_e32 v13, 0x40490fdb, v6
	v_cmp_gt_f32_e32 vcc, 0, v8
	v_cndmask_b32_e32 v6, v6, v13, vcc
	v_cndmask_b32_e64 v13, 0, v31, s[2:3]
	v_cmp_eq_f32_e64 s[2:3], 0, v9
	v_cndmask_b32_e64 v6, v6, v13, s[2:3]
	v_cmp_class_f32_e64 s[2:3], v8, s31
	v_cndmask_b32_e32 v13, v32, v33, vcc
	s_and_b64 vcc, s[2:3], s[20:21]
	v_cndmask_b32_e32 v6, v6, v13, vcc
.LBB174_209:                            ;   in Loop: Header=BB174_162 Depth=1
	s_or_b64 exec, exec, s[18:19]
.LBB174_210:                            ;   in Loop: Header=BB174_162 Depth=1
	s_or_b64 exec, exec, s[16:17]
.LBB174_211:                            ;   in Loop: Header=BB174_162 Depth=1
	s_andn2_saveexec_b64 s[14:15], s[14:15]
	s_cbranch_execz .LBB174_213
; %bb.212:                              ;   in Loop: Header=BB174_162 Depth=1
	v_max_f32_e64 v6, |v9|, |v9|
	v_max_f32_e64 v14, |v8|, |v8|
	v_max_f32_e32 v15, v14, v6
	v_cvt_f64_f32_e32 v[12:13], v15
	v_min_f32_e32 v6, v14, v6
	v_frexp_mant_f32_e32 v14, v15
	v_rcp_f32_e32 v14, v14
	v_frexp_exp_i32_f64_e32 v12, v[12:13]
	v_cmp_neq_f32_e32 vcc, s29, v15
	v_frexp_exp_i32_f32_e32 v16, v6
	v_frexp_mant_f32_e32 v6, v6
	v_mul_f32_e32 v6, v6, v14
	v_frexp_exp_i32_f32_e32 v13, v15
	v_sub_u32_e32 v13, v16, v13
	v_ldexp_f32 v6, v6, v13
	v_sub_u32_e32 v17, 0, v12
	v_ldexp_f32 v35, |v8|, v17
	v_ldexp_f32 v17, |v9|, v17
	v_mul_f32_e32 v17, v17, v17
	v_fmac_f32_e32 v17, v35, v35
	v_sqrt_f32_e32 v17, v17
	v_mul_f32_e32 v13, v6, v6
	v_cmp_gt_i32_e64 s[2:3], 0, v8
	v_cmp_class_f32_e64 s[16:17], v9, s31
	v_ldexp_f32 v12, v17, v12
	v_cndmask_b32_e32 v12, v28, v12, vcc
	v_cmp_gt_f32_e32 vcc, s35, v12
	v_cndmask_b32_e64 v14, 0, 32, vcc
	v_ldexp_f32 v12, v12, v14
	v_log_f32_e32 v12, v12
	v_cndmask_b32_e32 v14, 0, v34, vcc
	v_mul_f32_e32 v15, 0x3f317217, v12
	v_fma_f32 v15, v12, s36, -v15
	v_fmac_f32_e32 v15, 0x3377d1cf, v12
	v_fmac_f32_e32 v15, 0x3f317217, v12
	v_cmp_lt_f32_e64 vcc, |v12|, s29
	v_cndmask_b32_e32 v12, v12, v15, vcc
	v_sub_f32_e32 v12, v12, v14
	v_mov_b32_e32 v14, 0xbc7a590c
	v_fmac_f32_e32 v14, 0x3b2d2a58, v13
	v_fma_f32 v14, v13, v14, v22
	v_fma_f32 v14, v13, v14, v23
	v_fma_f32 v14, v13, v14, v24
	v_fma_f32 v14, v13, v14, v25
	v_fma_f32 v14, v13, v14, v26
	v_fma_f32 v14, v13, v14, v27
	v_mul_f32_e32 v13, v13, v14
	v_fmac_f32_e32 v6, v6, v13
	v_sub_f32_e32 v13, 0x3fc90fdb, v6
	v_cndmask_b32_e64 v6, v6, v13, s[0:1]
	v_sub_f32_e32 v13, 0x40490fdb, v6
	v_cmp_gt_f32_e32 vcc, 0, v8
	v_cndmask_b32_e32 v6, v6, v13, vcc
	v_cndmask_b32_e64 v13, 0, v31, s[2:3]
	v_cmp_eq_f32_e64 s[2:3], 0, v9
	v_cndmask_b32_e64 v6, v6, v13, s[2:3]
	v_cmp_class_f32_e64 s[2:3], v8, s31
	v_cndmask_b32_e32 v13, v32, v33, vcc
	s_and_b64 vcc, s[2:3], s[16:17]
	v_cndmask_b32_e32 v6, v6, v13, vcc
.LBB174_213:                            ;   in Loop: Header=BB174_162 Depth=1
	s_or_b64 exec, exec, s[14:15]
                                        ; implicit-def: $vgpr13
.LBB174_214:                            ;   in Loop: Header=BB174_162 Depth=1
	s_andn2_saveexec_b64 s[12:13], s[12:13]
	s_cbranch_execz .LBB174_220
; %bb.215:                              ;   in Loop: Header=BB174_162 Depth=1
	v_cmp_ngt_f32_e32 vcc, s37, v13
                                        ; implicit-def: $vgpr6
	s_and_saveexec_b64 s[2:3], vcc
	s_xor_b64 s[14:15], exec, s[2:3]
	s_cbranch_execz .LBB174_217
; %bb.216:                              ;   in Loop: Header=BB174_162 Depth=1
	v_mul_f32_e32 v6, v13, v13
	v_add_f32_e32 v14, 1.0, v6
	v_cvt_f64_f32_e32 v[12:13], v14
	v_add_f32_e32 v15, -1.0, v14
	v_sub_f32_e32 v16, v15, v14
	v_sub_f32_e32 v15, v6, v15
	v_frexp_exp_i32_f64_e32 v12, v[12:13]
	v_frexp_mant_f32_e32 v13, v14
	v_cmp_gt_f32_e32 vcc, s27, v13
	v_add_f32_e32 v16, 1.0, v16
	v_add_f32_e32 v15, v15, v16
	v_cmp_gt_i32_e64 s[2:3], 0, v8
	v_cmp_class_f32_e64 s[16:17], v9, s31
	v_subbrev_co_u32_e32 v12, vcc, 0, v12, vcc
	v_sub_u32_e32 v13, 0, v12
	v_ldexp_f32 v14, v14, v13
	v_ldexp_f32 v13, v15, v13
	v_add_f32_e32 v15, -1.0, v14
	v_add_f32_e32 v16, 1.0, v14
	v_add_f32_e32 v17, 1.0, v15
	v_add_f32_e32 v36, -1.0, v16
	v_sub_f32_e32 v17, v14, v17
	v_sub_f32_e32 v14, v14, v36
	v_add_f32_e32 v17, v13, v17
	v_add_f32_e32 v13, v13, v14
	;; [unrolled: 1-line block ×3, first 2 shown]
	v_rcp_f32_e32 v36, v14
	v_add_f32_e32 v35, v15, v17
	v_sub_f32_e32 v16, v16, v14
	v_sub_f32_e32 v15, v15, v35
	v_add_f32_e32 v13, v13, v16
	v_mul_f32_e32 v16, v35, v36
	v_add_f32_e32 v15, v17, v15
	v_mul_f32_e32 v17, v14, v16
	v_fma_f32 v37, v16, v14, -v17
	v_fmac_f32_e32 v37, v16, v13
	v_add_f32_e32 v38, v17, v37
	v_sub_f32_e32 v39, v35, v38
	v_sub_f32_e32 v35, v35, v39
	;; [unrolled: 1-line block ×4, first 2 shown]
	v_add_f32_e32 v15, v15, v35
	v_sub_f32_e32 v17, v17, v37
	v_add_f32_e32 v15, v17, v15
	v_add_f32_e32 v17, v39, v15
	v_mul_f32_e32 v35, v36, v17
	v_mul_f32_e32 v37, v14, v35
	v_fma_f32 v14, v35, v14, -v37
	v_fmac_f32_e32 v14, v35, v13
	v_sub_f32_e32 v13, v39, v17
	v_add_f32_e32 v13, v15, v13
	v_add_f32_e32 v15, v37, v14
	v_sub_f32_e32 v38, v17, v15
	v_sub_f32_e32 v17, v17, v38
	;; [unrolled: 1-line block ×4, first 2 shown]
	v_add_f32_e32 v13, v13, v15
	v_sub_f32_e32 v14, v37, v14
	v_cvt_f32_i32_e32 v12, v12
	v_add_f32_e32 v13, v14, v13
	v_add_f32_e32 v14, v16, v35
	;; [unrolled: 1-line block ×3, first 2 shown]
	v_sub_f32_e32 v15, v14, v16
	v_mul_f32_e32 v13, v36, v13
	v_sub_f32_e32 v15, v35, v15
	v_add_f32_e32 v13, v15, v13
	v_mul_f32_e32 v35, 0x3f317218, v12
	v_add_f32_e32 v15, v14, v13
	v_fma_f32 v36, v12, s28, -v35
	v_mul_f32_e32 v16, v15, v15
	v_mov_b32_e32 v17, 0x3ecc95a3
	v_fmac_f32_e32 v36, 0xb102e308, v12
	v_sub_f32_e32 v12, v15, v14
	v_fmac_f32_e32 v17, 0x3e9b6dac, v16
	v_sub_f32_e32 v12, v13, v12
	v_add_f32_e32 v13, v35, v36
	v_fma_f32 v17, v16, v17, v21
	v_sub_f32_e32 v14, v13, v35
	v_ldexp_f32 v35, v15, 1
	v_mul_f32_e32 v15, v15, v16
	v_mul_f32_e32 v15, v15, v17
	v_add_f32_e32 v16, v35, v15
	v_sub_f32_e32 v17, v16, v35
	v_ldexp_f32 v12, v12, 1
	v_sub_f32_e32 v15, v15, v17
	v_add_f32_e32 v12, v12, v15
	v_add_f32_e32 v15, v16, v12
	v_sub_f32_e32 v16, v15, v16
	v_sub_f32_e32 v12, v12, v16
	v_add_f32_e32 v16, v13, v15
	v_sub_f32_e32 v17, v16, v13
	v_sub_f32_e32 v35, v16, v17
	;; [unrolled: 1-line block ×5, first 2 shown]
	v_add_f32_e32 v13, v15, v13
	v_add_f32_e32 v15, v14, v12
	v_sub_f32_e32 v17, v15, v14
	v_sub_f32_e32 v35, v15, v17
	;; [unrolled: 1-line block ×4, first 2 shown]
	v_add_f32_e32 v13, v15, v13
	v_add_f32_e32 v12, v12, v14
	v_add_f32_e32 v14, v16, v13
	v_sub_f32_e32 v15, v14, v16
	v_sub_f32_e32 v13, v13, v15
	v_add_f32_e32 v12, v12, v13
	v_add_f32_e32 v12, v14, v12
	v_cmp_neq_f32_e32 vcc, s29, v6
	v_cndmask_b32_e32 v12, v28, v12, vcc
	v_cmp_lt_f32_e64 vcc, |v6|, s30
	v_cndmask_b32_e32 v6, v12, v6, vcc
	v_mul_f32_e32 v12, 0.5, v6
	v_max_f32_e64 v6, |v9|, |v9|
	v_max_f32_e64 v13, |v8|, |v8|
	v_min_f32_e32 v14, v13, v6
	v_max_f32_e32 v6, v13, v6
	v_frexp_mant_f32_e32 v13, v6
	v_rcp_f32_e32 v13, v13
	v_frexp_exp_i32_f32_e32 v6, v6
	v_frexp_exp_i32_f32_e32 v15, v14
	v_frexp_mant_f32_e32 v14, v14
	v_mul_f32_e32 v13, v14, v13
	v_sub_u32_e32 v6, v15, v6
	v_ldexp_f32 v6, v13, v6
	v_mul_f32_e32 v13, v6, v6
	v_mov_b32_e32 v14, 0xbc7a590c
	v_fmac_f32_e32 v14, 0x3b2d2a58, v13
	v_fma_f32 v14, v13, v14, v22
	v_fma_f32 v14, v13, v14, v23
	;; [unrolled: 1-line block ×6, first 2 shown]
	v_mul_f32_e32 v13, v13, v14
	v_fmac_f32_e32 v6, v6, v13
	v_sub_f32_e32 v13, 0x3fc90fdb, v6
	v_cndmask_b32_e64 v6, v6, v13, s[0:1]
	v_sub_f32_e32 v13, 0x40490fdb, v6
	v_cmp_gt_f32_e32 vcc, 0, v8
	v_cndmask_b32_e32 v6, v6, v13, vcc
	v_cndmask_b32_e64 v13, 0, v31, s[2:3]
	v_cmp_eq_f32_e64 s[2:3], 0, v9
	v_cndmask_b32_e64 v6, v6, v13, s[2:3]
	v_cmp_class_f32_e64 s[2:3], v8, s31
	v_cndmask_b32_e32 v13, v32, v33, vcc
	s_and_b64 vcc, s[2:3], s[16:17]
	v_cndmask_b32_e32 v6, v6, v13, vcc
                                        ; implicit-def: $vgpr13
.LBB174_217:                            ;   in Loop: Header=BB174_162 Depth=1
	s_andn2_saveexec_b64 s[14:15], s[14:15]
	s_cbranch_execz .LBB174_219
; %bb.218:                              ;   in Loop: Header=BB174_162 Depth=1
	v_mul_f32_e32 v6, 0.5, v13
	v_mul_f32_e32 v12, v13, v6
	v_max_f32_e64 v6, |v9|, |v9|
	v_max_f32_e64 v13, |v8|, |v8|
	v_min_f32_e32 v14, v13, v6
	v_max_f32_e32 v6, v13, v6
	v_frexp_mant_f32_e32 v13, v6
	v_rcp_f32_e32 v13, v13
	v_frexp_exp_i32_f32_e32 v6, v6
	v_frexp_exp_i32_f32_e32 v15, v14
	v_frexp_mant_f32_e32 v14, v14
	v_mul_f32_e32 v13, v14, v13
	v_sub_u32_e32 v6, v15, v6
	v_ldexp_f32 v6, v13, v6
	v_mul_f32_e32 v13, v6, v6
	v_mov_b32_e32 v14, 0xbc7a590c
	v_fmac_f32_e32 v14, 0x3b2d2a58, v13
	v_fma_f32 v14, v13, v14, v22
	v_fma_f32 v14, v13, v14, v23
	;; [unrolled: 1-line block ×6, first 2 shown]
	v_mul_f32_e32 v13, v13, v14
	v_fmac_f32_e32 v6, v6, v13
	v_sub_f32_e32 v13, 0x3fc90fdb, v6
	v_cndmask_b32_e64 v6, v6, v13, s[0:1]
	v_sub_f32_e32 v13, 0x40490fdb, v6
	v_cmp_gt_f32_e32 vcc, 0, v8
	v_cmp_gt_i32_e64 s[2:3], 0, v8
	v_cndmask_b32_e32 v6, v6, v13, vcc
	v_cndmask_b32_e64 v13, 0, v31, s[2:3]
	v_cmp_eq_f32_e64 s[2:3], 0, v9
	v_cndmask_b32_e64 v6, v6, v13, s[2:3]
	v_cmp_class_f32_e64 s[2:3], v8, s31
	v_cmp_class_f32_e64 s[16:17], v9, s31
	v_cndmask_b32_e32 v13, v32, v33, vcc
	s_and_b64 vcc, s[2:3], s[16:17]
	v_cndmask_b32_e32 v6, v6, v13, vcc
.LBB174_219:                            ;   in Loop: Header=BB174_162 Depth=1
	s_or_b64 exec, exec, s[14:15]
.LBB174_220:                            ;   in Loop: Header=BB174_162 Depth=1
	s_or_b64 exec, exec, s[12:13]
.LBB174_221:                            ;   in Loop: Header=BB174_162 Depth=1
	s_andn2_saveexec_b64 s[10:11], s[10:11]
	s_cbranch_execz .LBB174_223
; %bb.222:                              ;   in Loop: Header=BB174_162 Depth=1
	v_div_scale_f32 v6, s[2:3], s38, s38, v8
	v_div_scale_f32 v12, s[2:3], s38, s38, v9
	v_div_scale_f32 v13, vcc, v8, s38, v8
	v_div_scale_f32 v14, s[2:3], v9, s38, v9
	v_rcp_f32_e32 v15, v6
	v_rcp_f32_e32 v16, v12
	v_fma_f32 v17, -v6, v15, 1.0
	v_fmac_f32_e32 v15, v17, v15
	v_fma_f32 v35, -v12, v16, 1.0
	v_fmac_f32_e32 v16, v35, v16
	v_mul_f32_e32 v17, v13, v15
	v_mul_f32_e32 v35, v14, v16
	v_fma_f32 v36, -v6, v17, v13
	v_fma_f32 v37, -v12, v35, v14
	v_fmac_f32_e32 v17, v36, v15
	v_fmac_f32_e32 v35, v37, v16
	v_fma_f32 v6, -v6, v17, v13
	v_fma_f32 v12, -v12, v35, v14
	v_div_fmas_f32 v6, v6, v15, v17
	s_mov_b64 vcc, s[2:3]
	v_div_fmas_f32 v12, v12, v16, v35
	v_max_f32_e64 v13, |v9|, |v9|
	v_max_f32_e64 v14, |v8|, |v8|
	v_min_f32_e32 v16, v14, v13
	v_max_f32_e32 v13, v14, v13
	v_frexp_exp_i32_f32_e32 v14, v13
	v_frexp_exp_i32_f32_e32 v17, v16
	v_sub_u32_e32 v14, v17, v14
	v_frexp_mant_f32_e32 v13, v13
	v_rcp_f32_e32 v35, v13
	v_frexp_mant_f32_e32 v16, v16
	v_mov_b32_e32 v15, 0xbc7a590c
	v_cmp_class_f32_e64 s[2:3], v9, s31
	v_mul_f32_e32 v16, v16, v35
	v_div_fixup_f32 v6, v6, s38, v8
	v_ldexp_f32 v14, v16, v14
	v_div_fixup_f32 v17, v12, s38, v9
	v_max_f32_e64 v36, |v6|, |v17|
	v_cvt_f64_f32_e32 v[12:13], v36
	v_mul_f32_e32 v16, v14, v14
	v_fmac_f32_e32 v15, 0x3b2d2a58, v16
	v_cmp_neq_f32_e32 vcc, s29, v36
	v_frexp_exp_i32_f64_e32 v12, v[12:13]
	v_fma_f32 v13, v16, v15, v22
	v_fma_f32 v13, v16, v13, v23
	;; [unrolled: 1-line block ×6, first 2 shown]
	v_mul_f32_e32 v13, v16, v13
	v_sub_u32_e32 v15, 0, v12
	v_ldexp_f32 v6, |v6|, v15
	v_ldexp_f32 v15, |v17|, v15
	v_mul_f32_e32 v15, v15, v15
	v_fmac_f32_e32 v15, v6, v6
	v_sqrt_f32_e32 v6, v15
	v_fmac_f32_e32 v14, v14, v13
	v_sub_f32_e32 v13, 0x3fc90fdb, v14
	v_cndmask_b32_e64 v13, v14, v13, s[0:1]
	v_ldexp_f32 v6, v6, v12
	v_cndmask_b32_e32 v6, v28, v6, vcc
	v_cmp_gt_f32_e32 vcc, s35, v6
	v_cndmask_b32_e64 v12, 0, 32, vcc
	v_ldexp_f32 v6, v6, v12
	v_log_f32_e32 v6, v6
	v_cndmask_b32_e32 v12, 0, v34, vcc
	v_sub_f32_e32 v14, 0x40490fdb, v13
	v_cmp_gt_i32_e64 s[0:1], 0, v8
	v_mul_f32_e32 v15, 0x3f317217, v6
	v_fma_f32 v15, v6, s36, -v15
	v_fmac_f32_e32 v15, 0x3377d1cf, v6
	v_fmac_f32_e32 v15, 0x3f317217, v6
	v_cmp_lt_f32_e64 vcc, |v6|, s29
	v_cndmask_b32_e32 v6, v6, v15, vcc
	v_sub_f32_e32 v6, v6, v12
	v_cmp_gt_f32_e32 vcc, 0, v8
	v_add_f32_e32 v12, 1.0, v6
	v_cndmask_b32_e32 v6, v13, v14, vcc
	v_cndmask_b32_e64 v13, 0, v31, s[0:1]
	v_cmp_eq_f32_e64 s[0:1], 0, v9
	v_cndmask_b32_e64 v6, v6, v13, s[0:1]
	v_cmp_class_f32_e64 s[0:1], v8, s31
	v_cndmask_b32_e32 v13, v32, v33, vcc
	s_and_b64 vcc, s[0:1], s[2:3]
	v_cndmask_b32_e32 v6, v6, v13, vcc
.LBB174_223:                            ;   in Loop: Header=BB174_162 Depth=1
	s_or_b64 exec, exec, s[10:11]
.LBB174_224:                            ;   in Loop: Header=BB174_162 Depth=1
	s_andn2_saveexec_b64 s[0:1], s[8:9]
	s_cbranch_execz .LBB174_230
; %bb.225:                              ;   in Loop: Header=BB174_162 Depth=1
	v_cmp_nlt_f32_e64 s[2:3], |v8|, s39
	v_cmp_nlt_f32_e64 s[8:9], |v9|, s39
	s_or_b64 s[2:3], s[2:3], s[8:9]
                                        ; implicit-def: $vgpr6
	s_and_saveexec_b64 s[8:9], s[2:3]
	s_xor_b64 s[2:3], exec, s[8:9]
; %bb.226:                              ;   in Loop: Header=BB174_162 Depth=1
	v_mul_f32_e32 v6, v9, v9
	v_fmac_f32_e32 v6, v8, v8
; %bb.227:                              ;   in Loop: Header=BB174_162 Depth=1
	s_andn2_saveexec_b64 s[2:3], s[2:3]
; %bb.228:                              ;   in Loop: Header=BB174_162 Depth=1
	v_mul_f32_e32 v6, 4.0, v8
	v_mul_f32_e32 v8, 4.0, v9
	v_mul_f32_e32 v8, v8, v8
	v_fmac_f32_e32 v8, v6, v6
	v_mul_f32_e32 v6, 0x3d800000, v8
; %bb.229:                              ;   in Loop: Header=BB174_162 Depth=1
	s_or_b64 exec, exec, s[2:3]
	v_cmp_gt_f32_e32 vcc, s35, v6
	v_cndmask_b32_e64 v8, 0, 32, vcc
	v_ldexp_f32 v6, v6, v8
	v_log_f32_e32 v6, v6
	v_cndmask_b32_e32 v8, 0, v34, vcc
	v_mul_f32_e32 v12, 0x3f317217, v6
	v_fma_f32 v12, v6, s36, -v12
	v_fmac_f32_e32 v12, 0x3377d1cf, v6
	v_fmac_f32_e32 v12, 0x3f317217, v6
	v_cmp_lt_f32_e64 vcc, |v6|, s29
	v_cndmask_b32_e32 v6, v6, v12, vcc
	v_sub_f32_e32 v12, v6, v8
	v_mov_b32_e32 v6, 0x7fc00000
.LBB174_230:                            ;   in Loop: Header=BB174_162 Depth=1
	s_or_b64 exec, exec, s[0:1]
	s_waitcnt vmcnt(0)
	v_cmp_o_f32_e32 vcc, v3, v2
                                        ; implicit-def: $vgpr14
                                        ; implicit-def: $vgpr8
	s_and_saveexec_b64 s[0:1], vcc
	s_xor_b64 s[8:9], exec, s[0:1]
	s_cbranch_execz .LBB174_258
; %bb.231:                              ;   in Loop: Header=BB174_162 Depth=1
	v_cmp_lt_f32_e64 s[0:1], |v2|, |v3|
	v_cndmask_b32_e64 v13, |v3|, |v2|, s[0:1]
	v_cmp_nlt_f32_e32 vcc, s24, v13
                                        ; implicit-def: $vgpr14
                                        ; implicit-def: $vgpr8
	s_and_saveexec_b64 s[2:3], vcc
	s_xor_b64 s[10:11], exec, s[2:3]
	s_cbranch_execz .LBB174_255
; %bb.232:                              ;   in Loop: Header=BB174_162 Depth=1
	v_and_b32_e32 v8, 0x7fffffff, v3
	v_cndmask_b32_e64 v15, |v2|, v8, s[0:1]
	v_cmp_neq_f32_e32 vcc, 1.0, v15
                                        ; implicit-def: $vgpr14
                                        ; implicit-def: $vgpr8
	s_and_saveexec_b64 s[2:3], vcc
	s_xor_b64 s[12:13], exec, s[2:3]
	s_cbranch_execz .LBB174_248
; %bb.233:                              ;   in Loop: Header=BB174_162 Depth=1
	v_max_f32_e32 v8, v13, v13
	v_max_f32_e32 v14, v15, v15
	v_min_f32_e32 v16, v14, v8
	v_max_f32_e32 v8, v14, v8
	v_cmp_ngt_f32_e32 vcc, s25, v16
	v_cmp_nlt_f32_e64 s[2:3], s26, v8
	s_and_b64 s[2:3], s[2:3], vcc
                                        ; implicit-def: $vgpr14
                                        ; implicit-def: $vgpr8
	s_and_saveexec_b64 s[14:15], s[2:3]
	s_xor_b64 s[14:15], exec, s[14:15]
	s_cbranch_execz .LBB174_245
; %bb.234:                              ;   in Loop: Header=BB174_162 Depth=1
	v_cmp_le_f32_e32 vcc, 1.0, v15
                                        ; implicit-def: $vgpr14
                                        ; implicit-def: $vgpr8
	s_and_saveexec_b64 s[2:3], vcc
	s_xor_b64 s[16:17], exec, s[2:3]
	s_cbranch_execz .LBB174_236
; %bb.235:                              ;   in Loop: Header=BB174_162 Depth=1
	v_add_f32_e32 v8, -1.0, v15
	v_add_f32_e32 v14, 1.0, v15
	v_mul_f32_e32 v8, v8, v14
	v_fmac_f32_e32 v8, v13, v13
	v_add_f32_e32 v15, 1.0, v8
	v_cvt_f64_f32_e32 v[13:14], v15
	v_add_f32_e32 v16, -1.0, v15
	v_sub_f32_e32 v17, v16, v15
	v_sub_f32_e32 v16, v8, v16
	v_frexp_exp_i32_f64_e32 v13, v[13:14]
	v_frexp_mant_f32_e32 v14, v15
	v_cmp_gt_f32_e32 vcc, s27, v14
	v_add_f32_e32 v17, 1.0, v17
	v_add_f32_e32 v16, v16, v17
	v_cmp_gt_i32_e64 s[2:3], 0, v2
	v_cmp_class_f32_e64 s[18:19], v3, s31
	v_subbrev_co_u32_e32 v13, vcc, 0, v13, vcc
	v_sub_u32_e32 v14, 0, v13
	v_ldexp_f32 v15, v15, v14
	v_ldexp_f32 v14, v16, v14
	v_add_f32_e32 v16, -1.0, v15
	v_add_f32_e32 v36, 1.0, v15
	v_add_f32_e32 v17, 1.0, v16
	v_add_f32_e32 v37, -1.0, v36
	v_sub_f32_e32 v17, v15, v17
	v_sub_f32_e32 v15, v15, v37
	v_add_f32_e32 v17, v14, v17
	v_add_f32_e32 v14, v14, v15
	;; [unrolled: 1-line block ×3, first 2 shown]
	v_rcp_f32_e32 v37, v15
	v_add_f32_e32 v35, v16, v17
	v_sub_f32_e32 v16, v35, v16
	v_sub_f32_e32 v16, v17, v16
	;; [unrolled: 1-line block ×4, first 2 shown]
	v_mul_f32_e32 v17, v35, v37
	v_mul_f32_e32 v36, v15, v17
	v_fma_f32 v38, v17, v15, -v36
	v_fmac_f32_e32 v38, v17, v14
	v_add_f32_e32 v39, v36, v38
	v_sub_f32_e32 v40, v35, v39
	v_sub_f32_e32 v35, v35, v40
	;; [unrolled: 1-line block ×4, first 2 shown]
	v_add_f32_e32 v16, v16, v35
	v_sub_f32_e32 v35, v36, v38
	v_add_f32_e32 v16, v35, v16
	v_add_f32_e32 v35, v40, v16
	v_mul_f32_e32 v36, v37, v35
	v_mul_f32_e32 v38, v15, v36
	v_fma_f32 v15, v36, v15, -v38
	v_fmac_f32_e32 v15, v36, v14
	v_sub_f32_e32 v14, v40, v35
	v_add_f32_e32 v14, v16, v14
	v_add_f32_e32 v16, v38, v15
	v_sub_f32_e32 v39, v35, v16
	v_sub_f32_e32 v35, v35, v39
	;; [unrolled: 1-line block ×4, first 2 shown]
	v_add_f32_e32 v14, v14, v16
	v_sub_f32_e32 v15, v38, v15
	v_cvt_f32_i32_e32 v13, v13
	v_add_f32_e32 v14, v15, v14
	v_add_f32_e32 v15, v17, v36
	;; [unrolled: 1-line block ×3, first 2 shown]
	v_sub_f32_e32 v16, v15, v17
	v_mul_f32_e32 v14, v37, v14
	v_sub_f32_e32 v16, v36, v16
	v_add_f32_e32 v14, v16, v14
	v_mul_f32_e32 v36, 0x3f317218, v13
	v_add_f32_e32 v16, v15, v14
	v_fma_f32 v37, v13, s28, -v36
	v_mul_f32_e32 v17, v16, v16
	v_mov_b32_e32 v35, 0x3ecc95a3
	v_fmac_f32_e32 v37, 0xb102e308, v13
	v_sub_f32_e32 v13, v16, v15
	v_fmac_f32_e32 v35, 0x3e9b6dac, v17
	v_sub_f32_e32 v13, v14, v13
	v_add_f32_e32 v14, v36, v37
	v_fma_f32 v35, v17, v35, v21
	v_sub_f32_e32 v15, v14, v36
	v_ldexp_f32 v36, v16, 1
	v_mul_f32_e32 v16, v16, v17
	v_mul_f32_e32 v16, v16, v35
	v_add_f32_e32 v17, v36, v16
	v_sub_f32_e32 v35, v17, v36
	v_ldexp_f32 v13, v13, 1
	v_sub_f32_e32 v16, v16, v35
	v_add_f32_e32 v13, v13, v16
	v_add_f32_e32 v16, v17, v13
	v_sub_f32_e32 v17, v16, v17
	v_sub_f32_e32 v13, v13, v17
	v_add_f32_e32 v17, v14, v16
	v_sub_f32_e32 v35, v17, v14
	v_sub_f32_e32 v36, v17, v35
	;; [unrolled: 1-line block ×5, first 2 shown]
	v_add_f32_e32 v14, v16, v14
	v_add_f32_e32 v16, v15, v13
	v_sub_f32_e32 v35, v16, v15
	v_sub_f32_e32 v36, v16, v35
	;; [unrolled: 1-line block ×4, first 2 shown]
	v_add_f32_e32 v14, v16, v14
	v_add_f32_e32 v13, v13, v15
	;; [unrolled: 1-line block ×3, first 2 shown]
	v_sub_f32_e32 v16, v15, v17
	v_sub_f32_e32 v14, v14, v16
	v_add_f32_e32 v13, v13, v14
	v_add_f32_e32 v13, v15, v13
	v_cmp_neq_f32_e32 vcc, s29, v8
	v_cndmask_b32_e32 v13, v28, v13, vcc
	v_cmp_ngt_f32_e32 vcc, -1.0, v8
	v_cndmask_b32_e32 v13, v29, v13, vcc
	v_cmp_neq_f32_e32 vcc, -1.0, v8
	v_cndmask_b32_e32 v13, v30, v13, vcc
	v_cmp_lt_f32_e64 vcc, |v8|, s30
	v_cndmask_b32_e32 v8, v13, v8, vcc
	v_mul_f32_e32 v14, 0.5, v8
	v_max_f32_e64 v8, |v3|, |v3|
	v_max_f32_e64 v13, |v2|, |v2|
	v_min_f32_e32 v15, v13, v8
	v_max_f32_e32 v8, v13, v8
	v_frexp_mant_f32_e32 v13, v8
	v_rcp_f32_e32 v13, v13
	v_frexp_exp_i32_f32_e32 v8, v8
	v_frexp_exp_i32_f32_e32 v16, v15
	v_frexp_mant_f32_e32 v15, v15
	v_mul_f32_e32 v13, v15, v13
	v_sub_u32_e32 v8, v16, v8
	v_ldexp_f32 v8, v13, v8
	v_mul_f32_e32 v13, v8, v8
	v_mov_b32_e32 v15, 0xbc7a590c
	v_fmac_f32_e32 v15, 0x3b2d2a58, v13
	v_fma_f32 v15, v13, v15, v22
	v_fma_f32 v15, v13, v15, v23
	;; [unrolled: 1-line block ×6, first 2 shown]
	v_mul_f32_e32 v13, v13, v15
	v_fmac_f32_e32 v8, v8, v13
	v_sub_f32_e32 v13, 0x3fc90fdb, v8
	v_cndmask_b32_e64 v8, v8, v13, s[0:1]
	v_sub_f32_e32 v13, 0x40490fdb, v8
	v_cmp_gt_f32_e32 vcc, 0, v2
	v_cndmask_b32_e32 v8, v8, v13, vcc
	v_cndmask_b32_e64 v13, 0, v31, s[2:3]
	v_cmp_eq_f32_e64 s[2:3], 0, v3
	v_cndmask_b32_e64 v8, v8, v13, s[2:3]
	v_cmp_class_f32_e64 s[2:3], v2, s31
	v_cndmask_b32_e32 v13, v32, v33, vcc
	s_and_b64 vcc, s[2:3], s[18:19]
	v_cndmask_b32_e32 v8, v8, v13, vcc
                                        ; implicit-def: $vgpr13
                                        ; implicit-def: $vgpr15
.LBB174_236:                            ;   in Loop: Header=BB174_162 Depth=1
	s_andn2_saveexec_b64 s[16:17], s[16:17]
	s_cbranch_execz .LBB174_244
; %bb.237:                              ;   in Loop: Header=BB174_162 Depth=1
	v_mul_f32_e32 v16, v13, v13
	v_fmac_f32_e32 v16, v15, v15
	v_cmp_ge_f32_e32 vcc, s34, v16
                                        ; implicit-def: $vgpr14
                                        ; implicit-def: $vgpr8
	s_and_saveexec_b64 s[2:3], vcc
	s_xor_b64 s[18:19], exec, s[2:3]
	s_cbranch_execz .LBB174_239
; %bb.238:                              ;   in Loop: Header=BB174_162 Depth=1
	v_cmp_gt_f32_e32 vcc, s35, v16
	v_cndmask_b32_e64 v8, 0, 32, vcc
	v_ldexp_f32 v8, v16, v8
	v_log_f32_e32 v8, v8
	v_cndmask_b32_e32 v13, 0, v34, vcc
	v_cmp_gt_i32_e64 s[2:3], 0, v2
	v_cmp_class_f32_e64 s[20:21], v3, s31
	v_mul_f32_e32 v14, 0x3f317217, v8
	v_fma_f32 v14, v8, s36, -v14
	v_fmac_f32_e32 v14, 0x3377d1cf, v8
	v_fmac_f32_e32 v14, 0x3f317217, v8
	v_cmp_lt_f32_e64 vcc, |v8|, s29
	v_cndmask_b32_e32 v8, v8, v14, vcc
	v_sub_f32_e32 v8, v8, v13
	v_mul_f32_e32 v14, 0.5, v8
	v_max_f32_e64 v8, |v3|, |v3|
	v_max_f32_e64 v13, |v2|, |v2|
	v_min_f32_e32 v15, v13, v8
	v_max_f32_e32 v8, v13, v8
	v_frexp_mant_f32_e32 v13, v8
	v_rcp_f32_e32 v13, v13
	v_frexp_exp_i32_f32_e32 v8, v8
	v_frexp_exp_i32_f32_e32 v16, v15
	v_frexp_mant_f32_e32 v15, v15
	v_mul_f32_e32 v13, v15, v13
	v_sub_u32_e32 v8, v16, v8
	v_ldexp_f32 v8, v13, v8
	v_mul_f32_e32 v13, v8, v8
	v_mov_b32_e32 v15, 0xbc7a590c
	v_fmac_f32_e32 v15, 0x3b2d2a58, v13
	v_fma_f32 v15, v13, v15, v22
	v_fma_f32 v15, v13, v15, v23
	;; [unrolled: 1-line block ×6, first 2 shown]
	v_mul_f32_e32 v13, v13, v15
	v_fmac_f32_e32 v8, v8, v13
	v_sub_f32_e32 v13, 0x3fc90fdb, v8
	v_cndmask_b32_e64 v8, v8, v13, s[0:1]
	v_sub_f32_e32 v13, 0x40490fdb, v8
	v_cmp_gt_f32_e32 vcc, 0, v2
	v_cndmask_b32_e32 v8, v8, v13, vcc
	v_cndmask_b32_e64 v13, 0, v31, s[2:3]
	v_cmp_eq_f32_e64 s[2:3], 0, v3
	v_cndmask_b32_e64 v8, v8, v13, s[2:3]
	v_cmp_class_f32_e64 s[2:3], v2, s31
	v_cndmask_b32_e32 v13, v32, v33, vcc
	s_and_b64 vcc, s[2:3], s[20:21]
	v_cndmask_b32_e32 v8, v8, v13, vcc
                                        ; implicit-def: $vgpr15
                                        ; implicit-def: $vgpr13
.LBB174_239:                            ;   in Loop: Header=BB174_162 Depth=1
	s_andn2_saveexec_b64 s[18:19], s[18:19]
	s_cbranch_execz .LBB174_243
; %bb.240:                              ;   in Loop: Header=BB174_162 Depth=1
	v_and_b32_e32 v14, 0x7fff0000, v15
	v_sub_f32_e32 v8, v15, v14
	v_and_b32_e32 v37, 0xffff0000, v8
	v_and_b32_e32 v15, 0x7fff0000, v13
	v_sub_f32_e32 v39, v8, v37
	v_sub_f32_e32 v8, v13, v15
	v_and_b32_e32 v38, 0xffff0000, v8
	v_add_f32_e32 v17, v14, v14
	v_add_f32_e32 v41, v15, v15
	v_sub_f32_e32 v40, v8, v38
	v_mul_f32_e32 v8, v14, v14
	v_mul_f32_e32 v13, v15, v15
	;; [unrolled: 1-line block ×6, first 2 shown]
	v_add_f32_e32 v37, v37, v37
	v_add_f32_e32 v38, v38, v38
	v_mul_f32_e32 v35, v17, v39
	v_mul_f32_e32 v17, v41, v40
	;; [unrolled: 1-line block ×6, first 2 shown]
	s_mov_b64 s[20:21], 0
.LBB174_241:                            ;   Parent Loop BB174_162 Depth=1
                                        ; =>  This Inner Loop Header: Depth=2
	v_cmp_nlt_f32_e32 vcc, v8, v13
	v_mov_b32_e32 v41, v40
	v_cndmask_b32_e32 v40, v8, v13, vcc
	v_cmp_nlt_f32_e64 s[2:3], v40, v16
	v_cndmask_b32_e64 v42, v40, v16, s[2:3]
	v_cndmask_b32_e32 v8, v13, v8, vcc
	s_and_b64 s[40:41], vcc, s[2:3]
	v_cmp_nlt_f32_e32 vcc, v42, v15
	v_cndmask_b32_e64 v13, v16, v40, s[2:3]
	v_cndmask_b32_e32 v40, v42, v15, vcc
	v_cmp_nlt_f32_e64 s[2:3], v40, v36
	v_cndmask_b32_e32 v16, v15, v42, vcc
	v_cndmask_b32_e64 v42, v40, v36, s[2:3]
	s_and_b64 s[42:43], vcc, s[2:3]
	v_cmp_nlt_f32_e32 vcc, v42, v14
	v_cndmask_b32_e64 v15, v36, v40, s[2:3]
	v_cndmask_b32_e32 v40, v42, v14, vcc
	v_cmp_nlt_f32_e64 s[2:3], v40, v35
	v_cndmask_b32_e32 v36, v14, v42, vcc
	v_cndmask_b32_e64 v42, v40, v35, s[2:3]
	v_cndmask_b32_e64 v14, v35, v40, s[2:3]
	s_and_b64 s[2:3], vcc, s[2:3]
	v_cmp_nlt_f32_e32 vcc, v42, v17
	v_cndmask_b32_e32 v40, v42, v17, vcc
	v_cndmask_b32_e32 v35, v17, v42, vcc
	s_and_b64 s[2:3], s[2:3], vcc
	v_cmp_nlt_f32_e32 vcc, v40, v37
	v_cndmask_b32_e32 v42, v40, v37, vcc
	v_cndmask_b32_e32 v17, v37, v40, vcc
	s_and_b64 s[2:3], s[2:3], vcc
	;; [unrolled: 4-line block ×4, first 2 shown]
	v_cmp_nlt_f32_e32 vcc, v42, v41
	s_and_b64 s[2:3], s[2:3], vcc
	s_and_b64 s[2:3], s[2:3], s[42:43]
	s_and_b64 s[2:3], s[2:3], s[40:41]
	s_and_b64 s[2:3], exec, s[2:3]
	v_cndmask_b32_e32 v40, v42, v41, vcc
	s_or_b64 s[20:21], s[2:3], s[20:21]
	v_cndmask_b32_e32 v39, v41, v42, vcc
	s_andn2_b64 exec, exec, s[20:21]
	s_cbranch_execnz .LBB174_241
; %bb.242:                              ;   in Loop: Header=BB174_162 Depth=1
	s_or_b64 exec, exec, s[20:21]
	v_add_f32_e32 v8, -1.0, v8
	v_add_f32_e32 v8, v8, v13
	v_add_f32_e32 v8, v8, v16
	v_add_f32_e32 v8, v8, v15
	v_add_f32_e32 v8, v8, v36
	v_add_f32_e32 v8, v8, v14
	v_add_f32_e32 v8, v8, v35
	v_add_f32_e32 v8, v8, v17
	v_add_f32_e32 v8, v8, v37
	v_add_f32_e32 v8, v8, v38
	v_add_f32_e32 v8, v8, v39
	v_add_f32_e32 v8, v40, v8
	v_add_f32_e32 v15, 1.0, v8
	v_cvt_f64_f32_e32 v[13:14], v15
	v_add_f32_e32 v16, -1.0, v15
	v_sub_f32_e32 v17, v16, v15
	v_sub_f32_e32 v16, v8, v16
	v_frexp_exp_i32_f64_e32 v13, v[13:14]
	v_frexp_mant_f32_e32 v14, v15
	v_cmp_gt_f32_e32 vcc, s27, v14
	v_add_f32_e32 v17, 1.0, v17
	v_add_f32_e32 v16, v16, v17
	v_cmp_gt_i32_e64 s[2:3], 0, v2
	v_cmp_class_f32_e64 s[20:21], v3, s31
	v_subbrev_co_u32_e32 v13, vcc, 0, v13, vcc
	v_sub_u32_e32 v14, 0, v13
	v_ldexp_f32 v15, v15, v14
	v_ldexp_f32 v14, v16, v14
	v_add_f32_e32 v16, -1.0, v15
	v_add_f32_e32 v17, 1.0, v15
	v_add_f32_e32 v35, 1.0, v16
	v_add_f32_e32 v37, -1.0, v17
	v_sub_f32_e32 v35, v15, v35
	v_sub_f32_e32 v15, v15, v37
	v_add_f32_e32 v35, v14, v35
	v_add_f32_e32 v14, v14, v15
	;; [unrolled: 1-line block ×3, first 2 shown]
	v_rcp_f32_e32 v37, v15
	v_add_f32_e32 v36, v16, v35
	v_sub_f32_e32 v17, v15, v17
	v_sub_f32_e32 v16, v36, v16
	v_sub_f32_e32 v14, v14, v17
	v_mul_f32_e32 v17, v36, v37
	v_sub_f32_e32 v16, v35, v16
	v_mul_f32_e32 v35, v15, v17
	v_fma_f32 v38, v17, v15, -v35
	v_fmac_f32_e32 v38, v17, v14
	v_add_f32_e32 v39, v35, v38
	v_sub_f32_e32 v40, v36, v39
	v_sub_f32_e32 v36, v36, v40
	;; [unrolled: 1-line block ×4, first 2 shown]
	v_add_f32_e32 v16, v16, v36
	v_sub_f32_e32 v35, v35, v38
	v_add_f32_e32 v16, v35, v16
	v_add_f32_e32 v35, v40, v16
	v_mul_f32_e32 v36, v37, v35
	v_mul_f32_e32 v38, v15, v36
	v_fma_f32 v15, v36, v15, -v38
	v_fmac_f32_e32 v15, v36, v14
	v_sub_f32_e32 v14, v40, v35
	v_add_f32_e32 v14, v16, v14
	v_add_f32_e32 v16, v38, v15
	v_sub_f32_e32 v39, v35, v16
	v_sub_f32_e32 v35, v35, v39
	;; [unrolled: 1-line block ×4, first 2 shown]
	v_add_f32_e32 v14, v14, v16
	v_sub_f32_e32 v15, v38, v15
	v_cvt_f32_i32_e32 v13, v13
	v_add_f32_e32 v14, v15, v14
	v_add_f32_e32 v15, v17, v36
	;; [unrolled: 1-line block ×3, first 2 shown]
	v_sub_f32_e32 v16, v15, v17
	v_mul_f32_e32 v14, v37, v14
	v_sub_f32_e32 v16, v36, v16
	v_add_f32_e32 v14, v16, v14
	v_mul_f32_e32 v36, 0x3f317218, v13
	v_add_f32_e32 v16, v15, v14
	v_fma_f32 v37, v13, s28, -v36
	v_mul_f32_e32 v17, v16, v16
	v_mov_b32_e32 v35, 0x3ecc95a3
	v_fmac_f32_e32 v37, 0xb102e308, v13
	v_sub_f32_e32 v13, v16, v15
	v_fmac_f32_e32 v35, 0x3e9b6dac, v17
	v_sub_f32_e32 v13, v14, v13
	v_add_f32_e32 v14, v36, v37
	v_fma_f32 v35, v17, v35, v21
	v_sub_f32_e32 v15, v14, v36
	v_ldexp_f32 v36, v16, 1
	v_mul_f32_e32 v16, v16, v17
	v_mul_f32_e32 v16, v16, v35
	v_add_f32_e32 v17, v36, v16
	v_sub_f32_e32 v35, v17, v36
	v_ldexp_f32 v13, v13, 1
	v_sub_f32_e32 v16, v16, v35
	v_add_f32_e32 v13, v13, v16
	v_add_f32_e32 v16, v17, v13
	v_sub_f32_e32 v17, v16, v17
	v_sub_f32_e32 v13, v13, v17
	v_add_f32_e32 v17, v14, v16
	v_sub_f32_e32 v35, v17, v14
	v_sub_f32_e32 v36, v17, v35
	;; [unrolled: 1-line block ×5, first 2 shown]
	v_add_f32_e32 v14, v16, v14
	v_add_f32_e32 v16, v15, v13
	v_sub_f32_e32 v35, v16, v15
	v_sub_f32_e32 v36, v16, v35
	;; [unrolled: 1-line block ×4, first 2 shown]
	v_add_f32_e32 v14, v16, v14
	v_add_f32_e32 v13, v13, v15
	;; [unrolled: 1-line block ×3, first 2 shown]
	v_sub_f32_e32 v16, v15, v17
	v_sub_f32_e32 v14, v14, v16
	v_add_f32_e32 v13, v13, v14
	v_add_f32_e32 v13, v15, v13
	v_cmp_neq_f32_e32 vcc, s29, v8
	v_cndmask_b32_e32 v13, v28, v13, vcc
	v_cmp_ngt_f32_e32 vcc, -1.0, v8
	v_cndmask_b32_e32 v13, v29, v13, vcc
	v_cmp_neq_f32_e32 vcc, -1.0, v8
	v_cndmask_b32_e32 v13, v30, v13, vcc
	v_cmp_lt_f32_e64 vcc, |v8|, s30
	v_cndmask_b32_e32 v8, v13, v8, vcc
	v_mul_f32_e32 v14, 0.5, v8
	v_max_f32_e64 v8, |v3|, |v3|
	v_max_f32_e64 v13, |v2|, |v2|
	v_min_f32_e32 v15, v13, v8
	v_max_f32_e32 v8, v13, v8
	v_frexp_mant_f32_e32 v13, v8
	v_rcp_f32_e32 v13, v13
	v_frexp_exp_i32_f32_e32 v8, v8
	v_frexp_exp_i32_f32_e32 v16, v15
	v_frexp_mant_f32_e32 v15, v15
	v_mul_f32_e32 v13, v15, v13
	v_sub_u32_e32 v8, v16, v8
	v_ldexp_f32 v8, v13, v8
	v_mul_f32_e32 v13, v8, v8
	v_mov_b32_e32 v15, 0xbc7a590c
	v_fmac_f32_e32 v15, 0x3b2d2a58, v13
	v_fma_f32 v15, v13, v15, v22
	v_fma_f32 v15, v13, v15, v23
	;; [unrolled: 1-line block ×6, first 2 shown]
	v_mul_f32_e32 v13, v13, v15
	v_fmac_f32_e32 v8, v8, v13
	v_sub_f32_e32 v13, 0x3fc90fdb, v8
	v_cndmask_b32_e64 v8, v8, v13, s[0:1]
	v_sub_f32_e32 v13, 0x40490fdb, v8
	v_cmp_gt_f32_e32 vcc, 0, v2
	v_cndmask_b32_e32 v8, v8, v13, vcc
	v_cndmask_b32_e64 v13, 0, v31, s[2:3]
	v_cmp_eq_f32_e64 s[2:3], 0, v3
	v_cndmask_b32_e64 v8, v8, v13, s[2:3]
	v_cmp_class_f32_e64 s[2:3], v2, s31
	v_cndmask_b32_e32 v13, v32, v33, vcc
	s_and_b64 vcc, s[2:3], s[20:21]
	v_cndmask_b32_e32 v8, v8, v13, vcc
.LBB174_243:                            ;   in Loop: Header=BB174_162 Depth=1
	s_or_b64 exec, exec, s[18:19]
.LBB174_244:                            ;   in Loop: Header=BB174_162 Depth=1
	s_or_b64 exec, exec, s[16:17]
.LBB174_245:                            ;   in Loop: Header=BB174_162 Depth=1
	s_andn2_saveexec_b64 s[14:15], s[14:15]
	s_cbranch_execz .LBB174_247
; %bb.246:                              ;   in Loop: Header=BB174_162 Depth=1
	v_max_f32_e64 v8, |v3|, |v3|
	v_max_f32_e64 v15, |v2|, |v2|
	v_max_f32_e32 v16, v15, v8
	v_cvt_f64_f32_e32 v[13:14], v16
	v_min_f32_e32 v8, v15, v8
	v_frexp_mant_f32_e32 v15, v16
	v_rcp_f32_e32 v15, v15
	v_frexp_exp_i32_f64_e32 v13, v[13:14]
	v_cmp_neq_f32_e32 vcc, s29, v16
	v_frexp_exp_i32_f32_e32 v17, v8
	v_frexp_mant_f32_e32 v8, v8
	v_mul_f32_e32 v8, v8, v15
	v_frexp_exp_i32_f32_e32 v14, v16
	v_sub_u32_e32 v14, v17, v14
	v_ldexp_f32 v8, v8, v14
	v_sub_u32_e32 v35, 0, v13
	v_ldexp_f32 v36, |v2|, v35
	v_ldexp_f32 v35, |v3|, v35
	v_mul_f32_e32 v35, v35, v35
	v_fmac_f32_e32 v35, v36, v36
	v_sqrt_f32_e32 v35, v35
	v_cmp_gt_i32_e64 s[2:3], 0, v2
	v_cmp_class_f32_e64 s[16:17], v3, s31
	v_ldexp_f32 v13, v35, v13
	v_cndmask_b32_e32 v13, v28, v13, vcc
	v_cmp_gt_f32_e32 vcc, s35, v13
	v_cndmask_b32_e64 v15, 0, 32, vcc
	v_ldexp_f32 v13, v13, v15
	v_log_f32_e32 v13, v13
	v_cndmask_b32_e32 v14, 0, v34, vcc
	v_mul_f32_e32 v15, v8, v8
	v_mul_f32_e32 v16, 0x3f317217, v13
	v_fma_f32 v16, v13, s36, -v16
	v_fmac_f32_e32 v16, 0x3377d1cf, v13
	v_fmac_f32_e32 v16, 0x3f317217, v13
	v_cmp_lt_f32_e64 vcc, |v13|, s29
	v_cndmask_b32_e32 v13, v13, v16, vcc
	v_sub_f32_e32 v14, v13, v14
	v_mov_b32_e32 v13, 0xbc7a590c
	v_fmac_f32_e32 v13, 0x3b2d2a58, v15
	v_fma_f32 v13, v15, v13, v22
	v_fma_f32 v13, v15, v13, v23
	;; [unrolled: 1-line block ×6, first 2 shown]
	v_mul_f32_e32 v13, v15, v13
	v_fmac_f32_e32 v8, v8, v13
	v_sub_f32_e32 v13, 0x3fc90fdb, v8
	v_cndmask_b32_e64 v8, v8, v13, s[0:1]
	v_sub_f32_e32 v13, 0x40490fdb, v8
	v_cmp_gt_f32_e32 vcc, 0, v2
	v_cndmask_b32_e32 v8, v8, v13, vcc
	v_cndmask_b32_e64 v13, 0, v31, s[2:3]
	v_cmp_eq_f32_e64 s[2:3], 0, v3
	v_cndmask_b32_e64 v8, v8, v13, s[2:3]
	v_cmp_class_f32_e64 s[2:3], v2, s31
	v_cndmask_b32_e32 v13, v32, v33, vcc
	s_and_b64 vcc, s[2:3], s[16:17]
	v_cndmask_b32_e32 v8, v8, v13, vcc
.LBB174_247:                            ;   in Loop: Header=BB174_162 Depth=1
	s_or_b64 exec, exec, s[14:15]
                                        ; implicit-def: $vgpr13
.LBB174_248:                            ;   in Loop: Header=BB174_162 Depth=1
	s_andn2_saveexec_b64 s[12:13], s[12:13]
	s_cbranch_execz .LBB174_254
; %bb.249:                              ;   in Loop: Header=BB174_162 Depth=1
	v_cmp_ngt_f32_e32 vcc, s37, v13
                                        ; implicit-def: $vgpr14
                                        ; implicit-def: $vgpr8
	s_and_saveexec_b64 s[2:3], vcc
	s_xor_b64 s[14:15], exec, s[2:3]
	s_cbranch_execz .LBB174_251
; %bb.250:                              ;   in Loop: Header=BB174_162 Depth=1
	v_mul_f32_e32 v8, v13, v13
	v_add_f32_e32 v15, 1.0, v8
	v_cvt_f64_f32_e32 v[13:14], v15
	v_add_f32_e32 v16, -1.0, v15
	v_sub_f32_e32 v17, v16, v15
	v_sub_f32_e32 v16, v8, v16
	v_frexp_exp_i32_f64_e32 v13, v[13:14]
	v_frexp_mant_f32_e32 v14, v15
	v_cmp_gt_f32_e32 vcc, s27, v14
	v_add_f32_e32 v17, 1.0, v17
	v_add_f32_e32 v16, v16, v17
	v_cmp_gt_i32_e64 s[2:3], 0, v2
	v_cmp_class_f32_e64 s[16:17], v3, s31
	v_subbrev_co_u32_e32 v13, vcc, 0, v13, vcc
	v_sub_u32_e32 v14, 0, v13
	v_ldexp_f32 v15, v15, v14
	v_ldexp_f32 v14, v16, v14
	v_add_f32_e32 v16, -1.0, v15
	v_add_f32_e32 v17, 1.0, v15
	v_add_f32_e32 v35, 1.0, v16
	v_add_f32_e32 v37, -1.0, v17
	v_sub_f32_e32 v35, v15, v35
	v_sub_f32_e32 v15, v15, v37
	v_add_f32_e32 v35, v14, v35
	v_add_f32_e32 v14, v14, v15
	;; [unrolled: 1-line block ×3, first 2 shown]
	v_rcp_f32_e32 v37, v15
	v_add_f32_e32 v36, v16, v35
	v_sub_f32_e32 v17, v17, v15
	v_sub_f32_e32 v16, v16, v36
	v_add_f32_e32 v14, v14, v17
	v_mul_f32_e32 v17, v36, v37
	v_add_f32_e32 v16, v35, v16
	v_mul_f32_e32 v35, v15, v17
	v_fma_f32 v38, v17, v15, -v35
	v_fmac_f32_e32 v38, v17, v14
	v_add_f32_e32 v39, v35, v38
	v_sub_f32_e32 v40, v36, v39
	v_sub_f32_e32 v36, v36, v40
	;; [unrolled: 1-line block ×4, first 2 shown]
	v_add_f32_e32 v16, v16, v36
	v_sub_f32_e32 v35, v35, v38
	v_add_f32_e32 v16, v35, v16
	v_add_f32_e32 v35, v40, v16
	v_mul_f32_e32 v36, v37, v35
	v_mul_f32_e32 v38, v15, v36
	v_fma_f32 v15, v36, v15, -v38
	v_fmac_f32_e32 v15, v36, v14
	v_sub_f32_e32 v14, v40, v35
	v_add_f32_e32 v14, v16, v14
	v_add_f32_e32 v16, v38, v15
	v_sub_f32_e32 v39, v35, v16
	v_sub_f32_e32 v35, v35, v39
	;; [unrolled: 1-line block ×4, first 2 shown]
	v_add_f32_e32 v14, v14, v16
	v_sub_f32_e32 v15, v38, v15
	v_cvt_f32_i32_e32 v13, v13
	v_add_f32_e32 v14, v15, v14
	v_add_f32_e32 v15, v17, v36
	;; [unrolled: 1-line block ×3, first 2 shown]
	v_sub_f32_e32 v16, v15, v17
	v_mul_f32_e32 v14, v37, v14
	v_sub_f32_e32 v16, v36, v16
	v_add_f32_e32 v14, v16, v14
	v_mul_f32_e32 v36, 0x3f317218, v13
	v_add_f32_e32 v16, v15, v14
	v_fma_f32 v37, v13, s28, -v36
	v_mul_f32_e32 v17, v16, v16
	v_mov_b32_e32 v35, 0x3ecc95a3
	v_fmac_f32_e32 v37, 0xb102e308, v13
	v_sub_f32_e32 v13, v16, v15
	v_fmac_f32_e32 v35, 0x3e9b6dac, v17
	v_sub_f32_e32 v13, v14, v13
	v_add_f32_e32 v14, v36, v37
	v_fma_f32 v35, v17, v35, v21
	v_sub_f32_e32 v15, v14, v36
	v_ldexp_f32 v36, v16, 1
	v_mul_f32_e32 v16, v16, v17
	v_mul_f32_e32 v16, v16, v35
	v_add_f32_e32 v17, v36, v16
	v_sub_f32_e32 v35, v17, v36
	v_ldexp_f32 v13, v13, 1
	v_sub_f32_e32 v16, v16, v35
	v_add_f32_e32 v13, v13, v16
	v_add_f32_e32 v16, v17, v13
	v_sub_f32_e32 v17, v16, v17
	v_sub_f32_e32 v13, v13, v17
	v_add_f32_e32 v17, v14, v16
	v_sub_f32_e32 v35, v17, v14
	v_sub_f32_e32 v36, v17, v35
	;; [unrolled: 1-line block ×5, first 2 shown]
	v_add_f32_e32 v14, v16, v14
	v_add_f32_e32 v16, v15, v13
	v_sub_f32_e32 v35, v16, v15
	v_sub_f32_e32 v36, v16, v35
	;; [unrolled: 1-line block ×4, first 2 shown]
	v_add_f32_e32 v14, v16, v14
	v_add_f32_e32 v13, v13, v15
	;; [unrolled: 1-line block ×3, first 2 shown]
	v_sub_f32_e32 v16, v15, v17
	v_sub_f32_e32 v14, v14, v16
	v_add_f32_e32 v13, v13, v14
	v_add_f32_e32 v13, v15, v13
	v_cmp_neq_f32_e32 vcc, s29, v8
	v_cndmask_b32_e32 v13, v28, v13, vcc
	v_cmp_lt_f32_e64 vcc, |v8|, s30
	v_cndmask_b32_e32 v8, v13, v8, vcc
	v_mul_f32_e32 v14, 0.5, v8
	v_max_f32_e64 v8, |v3|, |v3|
	v_max_f32_e64 v13, |v2|, |v2|
	v_min_f32_e32 v15, v13, v8
	v_max_f32_e32 v8, v13, v8
	v_frexp_mant_f32_e32 v13, v8
	v_rcp_f32_e32 v13, v13
	v_frexp_exp_i32_f32_e32 v8, v8
	v_frexp_exp_i32_f32_e32 v16, v15
	v_frexp_mant_f32_e32 v15, v15
	v_mul_f32_e32 v13, v15, v13
	v_sub_u32_e32 v8, v16, v8
	v_ldexp_f32 v8, v13, v8
	v_mul_f32_e32 v13, v8, v8
	v_mov_b32_e32 v15, 0xbc7a590c
	v_fmac_f32_e32 v15, 0x3b2d2a58, v13
	v_fma_f32 v15, v13, v15, v22
	v_fma_f32 v15, v13, v15, v23
	;; [unrolled: 1-line block ×6, first 2 shown]
	v_mul_f32_e32 v13, v13, v15
	v_fmac_f32_e32 v8, v8, v13
	v_sub_f32_e32 v13, 0x3fc90fdb, v8
	v_cndmask_b32_e64 v8, v8, v13, s[0:1]
	v_sub_f32_e32 v13, 0x40490fdb, v8
	v_cmp_gt_f32_e32 vcc, 0, v2
	v_cndmask_b32_e32 v8, v8, v13, vcc
	v_cndmask_b32_e64 v13, 0, v31, s[2:3]
	v_cmp_eq_f32_e64 s[2:3], 0, v3
	v_cndmask_b32_e64 v8, v8, v13, s[2:3]
	v_cmp_class_f32_e64 s[2:3], v2, s31
	v_cndmask_b32_e32 v13, v32, v33, vcc
	s_and_b64 vcc, s[2:3], s[16:17]
	v_cndmask_b32_e32 v8, v8, v13, vcc
                                        ; implicit-def: $vgpr13
.LBB174_251:                            ;   in Loop: Header=BB174_162 Depth=1
	s_andn2_saveexec_b64 s[14:15], s[14:15]
	s_cbranch_execz .LBB174_253
; %bb.252:                              ;   in Loop: Header=BB174_162 Depth=1
	v_mul_f32_e32 v8, 0.5, v13
	v_mul_f32_e32 v14, v13, v8
	v_max_f32_e64 v8, |v3|, |v3|
	v_max_f32_e64 v13, |v2|, |v2|
	v_min_f32_e32 v15, v13, v8
	v_max_f32_e32 v8, v13, v8
	v_frexp_mant_f32_e32 v13, v8
	v_rcp_f32_e32 v13, v13
	v_frexp_exp_i32_f32_e32 v8, v8
	v_frexp_exp_i32_f32_e32 v16, v15
	v_frexp_mant_f32_e32 v15, v15
	v_mul_f32_e32 v13, v15, v13
	v_sub_u32_e32 v8, v16, v8
	v_ldexp_f32 v8, v13, v8
	v_mul_f32_e32 v13, v8, v8
	v_mov_b32_e32 v15, 0xbc7a590c
	v_fmac_f32_e32 v15, 0x3b2d2a58, v13
	v_fma_f32 v15, v13, v15, v22
	v_fma_f32 v15, v13, v15, v23
	;; [unrolled: 1-line block ×6, first 2 shown]
	v_mul_f32_e32 v13, v13, v15
	v_fmac_f32_e32 v8, v8, v13
	v_sub_f32_e32 v13, 0x3fc90fdb, v8
	v_cndmask_b32_e64 v8, v8, v13, s[0:1]
	v_sub_f32_e32 v13, 0x40490fdb, v8
	v_cmp_gt_f32_e32 vcc, 0, v2
	v_cmp_gt_i32_e64 s[2:3], 0, v2
	v_cndmask_b32_e32 v8, v8, v13, vcc
	v_cndmask_b32_e64 v13, 0, v31, s[2:3]
	v_cmp_eq_f32_e64 s[2:3], 0, v3
	v_cndmask_b32_e64 v8, v8, v13, s[2:3]
	v_cmp_class_f32_e64 s[2:3], v2, s31
	v_cmp_class_f32_e64 s[16:17], v3, s31
	v_cndmask_b32_e32 v13, v32, v33, vcc
	s_and_b64 vcc, s[2:3], s[16:17]
	v_cndmask_b32_e32 v8, v8, v13, vcc
.LBB174_253:                            ;   in Loop: Header=BB174_162 Depth=1
	s_or_b64 exec, exec, s[14:15]
.LBB174_254:                            ;   in Loop: Header=BB174_162 Depth=1
	s_or_b64 exec, exec, s[12:13]
.LBB174_255:                            ;   in Loop: Header=BB174_162 Depth=1
	s_andn2_saveexec_b64 s[10:11], s[10:11]
	s_cbranch_execz .LBB174_257
; %bb.256:                              ;   in Loop: Header=BB174_162 Depth=1
	v_div_scale_f32 v8, s[2:3], s38, s38, v2
	v_div_scale_f32 v13, s[2:3], s38, s38, v3
	v_div_scale_f32 v14, vcc, v2, s38, v2
	v_div_scale_f32 v15, s[2:3], v3, s38, v3
	v_rcp_f32_e32 v16, v8
	v_rcp_f32_e32 v17, v13
	v_fma_f32 v35, -v8, v16, 1.0
	v_fmac_f32_e32 v16, v35, v16
	v_fma_f32 v36, -v13, v17, 1.0
	v_fmac_f32_e32 v17, v36, v17
	v_mul_f32_e32 v35, v14, v16
	v_mul_f32_e32 v36, v15, v17
	v_fma_f32 v37, -v8, v35, v14
	v_fma_f32 v38, -v13, v36, v15
	v_fmac_f32_e32 v35, v37, v16
	v_fmac_f32_e32 v36, v38, v17
	v_fma_f32 v8, -v8, v35, v14
	v_fma_f32 v13, -v13, v36, v15
	v_div_fmas_f32 v8, v8, v16, v35
	s_mov_b64 vcc, s[2:3]
	v_div_fmas_f32 v13, v13, v17, v36
	v_max_f32_e64 v14, |v3|, |v3|
	v_max_f32_e64 v15, |v2|, |v2|
	v_min_f32_e32 v17, v15, v14
	v_max_f32_e32 v14, v15, v14
	v_frexp_exp_i32_f32_e32 v15, v14
	v_frexp_exp_i32_f32_e32 v35, v17
	v_sub_u32_e32 v15, v35, v15
	v_frexp_mant_f32_e32 v14, v14
	v_rcp_f32_e32 v36, v14
	v_frexp_mant_f32_e32 v17, v17
	v_mov_b32_e32 v16, 0xbc7a590c
	v_cmp_class_f32_e64 s[2:3], v3, s31
	v_mul_f32_e32 v17, v17, v36
	v_div_fixup_f32 v8, v8, s38, v2
	v_ldexp_f32 v15, v17, v15
	v_div_fixup_f32 v35, v13, s38, v3
	v_max_f32_e64 v37, |v8|, |v35|
	v_cvt_f64_f32_e32 v[13:14], v37
	v_mul_f32_e32 v17, v15, v15
	v_fmac_f32_e32 v16, 0x3b2d2a58, v17
	v_cmp_neq_f32_e32 vcc, s29, v37
	v_frexp_exp_i32_f64_e32 v13, v[13:14]
	v_fma_f32 v14, v17, v16, v22
	v_fma_f32 v14, v17, v14, v23
	;; [unrolled: 1-line block ×6, first 2 shown]
	v_mul_f32_e32 v14, v17, v14
	v_sub_u32_e32 v16, 0, v13
	v_ldexp_f32 v8, |v8|, v16
	v_ldexp_f32 v16, |v35|, v16
	v_mul_f32_e32 v16, v16, v16
	v_fmac_f32_e32 v16, v8, v8
	v_sqrt_f32_e32 v8, v16
	v_fmac_f32_e32 v15, v15, v14
	v_sub_f32_e32 v14, 0x3fc90fdb, v15
	v_ldexp_f32 v8, v8, v13
	v_cndmask_b32_e32 v8, v28, v8, vcc
	v_cmp_gt_f32_e32 vcc, s35, v8
	v_cndmask_b32_e64 v13, 0, 32, vcc
	v_ldexp_f32 v8, v8, v13
	v_log_f32_e32 v8, v8
	v_cndmask_b32_e64 v13, v15, v14, s[0:1]
	v_cndmask_b32_e32 v14, 0, v34, vcc
	v_sub_f32_e32 v15, 0x40490fdb, v13
	v_mul_f32_e32 v16, 0x3f317217, v8
	v_fma_f32 v16, v8, s36, -v16
	v_fmac_f32_e32 v16, 0x3377d1cf, v8
	v_fmac_f32_e32 v16, 0x3f317217, v8
	v_cmp_lt_f32_e64 vcc, |v8|, s29
	v_cndmask_b32_e32 v8, v8, v16, vcc
	v_sub_f32_e32 v8, v8, v14
	v_cmp_gt_f32_e32 vcc, 0, v2
	v_cmp_gt_i32_e64 s[0:1], 0, v2
	v_add_f32_e32 v14, 1.0, v8
	v_cndmask_b32_e32 v8, v13, v15, vcc
	v_cndmask_b32_e64 v13, 0, v31, s[0:1]
	v_cmp_eq_f32_e64 s[0:1], 0, v3
	v_cndmask_b32_e64 v8, v8, v13, s[0:1]
	v_cmp_class_f32_e64 s[0:1], v2, s31
	v_cndmask_b32_e32 v13, v32, v33, vcc
	s_and_b64 vcc, s[0:1], s[2:3]
	v_cndmask_b32_e32 v8, v8, v13, vcc
.LBB174_257:                            ;   in Loop: Header=BB174_162 Depth=1
	s_or_b64 exec, exec, s[10:11]
.LBB174_258:                            ;   in Loop: Header=BB174_162 Depth=1
	s_andn2_saveexec_b64 s[0:1], s[8:9]
	s_cbranch_execz .LBB174_264
; %bb.259:                              ;   in Loop: Header=BB174_162 Depth=1
	v_cmp_nlt_f32_e64 s[2:3], |v2|, s39
	v_cmp_nlt_f32_e64 s[8:9], |v3|, s39
	s_or_b64 s[2:3], s[2:3], s[8:9]
                                        ; implicit-def: $vgpr8
	s_and_saveexec_b64 s[8:9], s[2:3]
	s_xor_b64 s[2:3], exec, s[8:9]
; %bb.260:                              ;   in Loop: Header=BB174_162 Depth=1
	v_mul_f32_e32 v8, v3, v3
	v_fmac_f32_e32 v8, v2, v2
; %bb.261:                              ;   in Loop: Header=BB174_162 Depth=1
	s_andn2_saveexec_b64 s[2:3], s[2:3]
; %bb.262:                              ;   in Loop: Header=BB174_162 Depth=1
	v_mul_f32_e32 v8, 4.0, v3
	v_mul_f32_e32 v2, 4.0, v2
	v_mul_f32_e32 v8, v8, v8
	v_fmac_f32_e32 v8, v2, v2
	v_mul_f32_e32 v8, 0x3d800000, v8
; %bb.263:                              ;   in Loop: Header=BB174_162 Depth=1
	s_or_b64 exec, exec, s[2:3]
	v_cmp_gt_f32_e32 vcc, s35, v8
	v_cndmask_b32_e64 v2, 0, 32, vcc
	v_ldexp_f32 v2, v8, v2
	v_log_f32_e32 v2, v2
	v_cndmask_b32_e32 v8, 0, v34, vcc
	v_mul_f32_e32 v13, 0x3f317217, v2
	v_fma_f32 v13, v2, s36, -v13
	v_fmac_f32_e32 v13, 0x3377d1cf, v2
	v_fmac_f32_e32 v13, 0x3f317217, v2
	v_cmp_lt_f32_e64 vcc, |v2|, s29
	v_cndmask_b32_e32 v2, v2, v13, vcc
	v_sub_f32_e32 v14, v2, v8
	v_mov_b32_e32 v8, 0x7fc00000
.LBB174_264:                            ;   in Loop: Header=BB174_162 Depth=1
	s_or_b64 exec, exec, s[0:1]
	v_cmp_o_f32_e32 vcc, v5, v4
                                        ; implicit-def: $vgpr2
	s_and_saveexec_b64 s[0:1], vcc
	s_xor_b64 s[8:9], exec, s[0:1]
	s_cbranch_execz .LBB174_292
; %bb.265:                              ;   in Loop: Header=BB174_162 Depth=1
	v_cmp_lt_f32_e64 s[0:1], |v4|, |v5|
	v_cndmask_b32_e64 v13, |v5|, |v4|, s[0:1]
	v_cmp_nlt_f32_e32 vcc, s24, v13
                                        ; implicit-def: $vgpr2
	s_and_saveexec_b64 s[2:3], vcc
	s_xor_b64 s[10:11], exec, s[2:3]
	s_cbranch_execz .LBB174_289
; %bb.266:                              ;   in Loop: Header=BB174_162 Depth=1
	v_and_b32_e32 v2, 0x7fffffff, v5
	v_cndmask_b32_e64 v15, |v4|, v2, s[0:1]
	v_cmp_neq_f32_e32 vcc, 1.0, v15
                                        ; implicit-def: $vgpr2
	s_and_saveexec_b64 s[2:3], vcc
	s_xor_b64 s[12:13], exec, s[2:3]
	s_cbranch_execz .LBB174_282
; %bb.267:                              ;   in Loop: Header=BB174_162 Depth=1
	v_max_f32_e32 v2, v13, v13
	v_max_f32_e32 v16, v15, v15
	v_min_f32_e32 v17, v16, v2
	v_max_f32_e32 v2, v16, v2
	v_cmp_ngt_f32_e32 vcc, s25, v17
	v_cmp_nlt_f32_e64 s[2:3], s26, v2
	s_and_b64 s[2:3], s[2:3], vcc
                                        ; implicit-def: $vgpr2
	s_and_saveexec_b64 s[14:15], s[2:3]
	s_xor_b64 s[14:15], exec, s[14:15]
	s_cbranch_execz .LBB174_279
; %bb.268:                              ;   in Loop: Header=BB174_162 Depth=1
	v_cmp_le_f32_e32 vcc, 1.0, v15
                                        ; implicit-def: $vgpr2
	s_and_saveexec_b64 s[2:3], vcc
	s_xor_b64 s[16:17], exec, s[2:3]
	s_cbranch_execz .LBB174_270
; %bb.269:                              ;   in Loop: Header=BB174_162 Depth=1
	v_add_f32_e32 v2, -1.0, v15
	v_add_f32_e32 v15, 1.0, v15
	v_mul_f32_e32 v2, v2, v15
	v_fmac_f32_e32 v2, v13, v13
	v_add_f32_e32 v13, 1.0, v2
	v_cvt_f64_f32_e32 v[15:16], v13
	v_add_f32_e32 v17, -1.0, v13
	v_sub_f32_e32 v35, v17, v13
	v_sub_f32_e32 v17, v2, v17
	v_frexp_exp_i32_f64_e32 v15, v[15:16]
	v_frexp_mant_f32_e32 v16, v13
	v_cmp_gt_f32_e32 vcc, s27, v16
	v_add_f32_e32 v35, 1.0, v35
	v_add_f32_e32 v17, v17, v35
	v_cmp_gt_i32_e64 s[2:3], 0, v4
	v_cmp_class_f32_e64 s[18:19], v5, s31
	v_subbrev_co_u32_e32 v15, vcc, 0, v15, vcc
	v_sub_u32_e32 v16, 0, v15
	v_ldexp_f32 v13, v13, v16
	v_ldexp_f32 v16, v17, v16
	v_add_f32_e32 v17, -1.0, v13
	v_add_f32_e32 v37, 1.0, v13
	v_add_f32_e32 v35, 1.0, v17
	v_add_f32_e32 v38, -1.0, v37
	v_sub_f32_e32 v35, v13, v35
	v_sub_f32_e32 v13, v13, v38
	v_add_f32_e32 v13, v16, v13
	v_add_f32_e32 v35, v16, v35
	;; [unrolled: 1-line block ×3, first 2 shown]
	v_rcp_f32_e32 v38, v16
	v_add_f32_e32 v36, v17, v35
	v_sub_f32_e32 v17, v36, v17
	v_sub_f32_e32 v17, v35, v17
	;; [unrolled: 1-line block ×4, first 2 shown]
	v_mul_f32_e32 v35, v36, v38
	v_mul_f32_e32 v37, v16, v35
	v_fma_f32 v39, v35, v16, -v37
	v_fmac_f32_e32 v39, v35, v13
	v_add_f32_e32 v40, v37, v39
	v_sub_f32_e32 v41, v36, v40
	v_sub_f32_e32 v36, v36, v41
	;; [unrolled: 1-line block ×4, first 2 shown]
	v_add_f32_e32 v17, v17, v36
	v_sub_f32_e32 v36, v37, v39
	v_add_f32_e32 v17, v36, v17
	v_add_f32_e32 v36, v41, v17
	v_mul_f32_e32 v37, v38, v36
	v_mul_f32_e32 v39, v16, v37
	v_fma_f32 v16, v37, v16, -v39
	v_fmac_f32_e32 v16, v37, v13
	v_sub_f32_e32 v13, v41, v36
	v_add_f32_e32 v13, v17, v13
	v_add_f32_e32 v17, v39, v16
	v_sub_f32_e32 v40, v36, v17
	v_sub_f32_e32 v36, v36, v40
	;; [unrolled: 1-line block ×4, first 2 shown]
	v_add_f32_e32 v13, v13, v17
	v_sub_f32_e32 v16, v39, v16
	v_cvt_f32_i32_e32 v15, v15
	v_add_f32_e32 v13, v16, v13
	v_add_f32_e32 v16, v35, v37
	;; [unrolled: 1-line block ×3, first 2 shown]
	v_sub_f32_e32 v17, v16, v35
	v_mul_f32_e32 v13, v38, v13
	v_sub_f32_e32 v17, v37, v17
	v_add_f32_e32 v13, v17, v13
	v_mul_f32_e32 v37, 0x3f317218, v15
	v_add_f32_e32 v17, v16, v13
	v_fma_f32 v38, v15, s28, -v37
	v_mul_f32_e32 v35, v17, v17
	v_mov_b32_e32 v36, 0x3ecc95a3
	v_fmac_f32_e32 v38, 0xb102e308, v15
	v_sub_f32_e32 v15, v17, v16
	v_fmac_f32_e32 v36, 0x3e9b6dac, v35
	v_sub_f32_e32 v13, v13, v15
	v_add_f32_e32 v15, v37, v38
	v_fma_f32 v36, v35, v36, v21
	v_sub_f32_e32 v16, v15, v37
	v_ldexp_f32 v37, v17, 1
	v_mul_f32_e32 v17, v17, v35
	v_mul_f32_e32 v17, v17, v36
	v_add_f32_e32 v35, v37, v17
	v_sub_f32_e32 v36, v35, v37
	v_ldexp_f32 v13, v13, 1
	v_sub_f32_e32 v17, v17, v36
	v_add_f32_e32 v13, v13, v17
	v_add_f32_e32 v17, v35, v13
	v_sub_f32_e32 v35, v17, v35
	v_sub_f32_e32 v13, v13, v35
	v_add_f32_e32 v35, v15, v17
	v_sub_f32_e32 v36, v35, v15
	v_sub_f32_e32 v37, v35, v36
	;; [unrolled: 1-line block ×5, first 2 shown]
	v_add_f32_e32 v15, v17, v15
	v_add_f32_e32 v17, v16, v13
	v_sub_f32_e32 v36, v17, v16
	v_sub_f32_e32 v37, v17, v36
	;; [unrolled: 1-line block ×4, first 2 shown]
	v_add_f32_e32 v15, v17, v15
	v_add_f32_e32 v13, v13, v16
	;; [unrolled: 1-line block ×3, first 2 shown]
	v_sub_f32_e32 v17, v16, v35
	v_sub_f32_e32 v15, v15, v17
	v_add_f32_e32 v13, v13, v15
	v_add_f32_e32 v13, v16, v13
	v_cmp_neq_f32_e32 vcc, s29, v2
	v_cndmask_b32_e32 v13, v28, v13, vcc
	v_cmp_ngt_f32_e32 vcc, -1.0, v2
	v_cndmask_b32_e32 v13, v29, v13, vcc
	v_cmp_neq_f32_e32 vcc, -1.0, v2
	v_cndmask_b32_e32 v13, v30, v13, vcc
	v_cmp_lt_f32_e64 vcc, |v2|, s30
	v_cndmask_b32_e32 v2, v13, v2, vcc
	v_mul_f32_e32 v16, 0.5, v2
	v_max_f32_e64 v2, |v5|, |v5|
	v_max_f32_e64 v13, |v4|, |v4|
	v_min_f32_e32 v15, v13, v2
	v_max_f32_e32 v2, v13, v2
	v_frexp_mant_f32_e32 v13, v2
	v_rcp_f32_e32 v13, v13
	v_frexp_exp_i32_f32_e32 v2, v2
	v_frexp_exp_i32_f32_e32 v17, v15
	v_frexp_mant_f32_e32 v15, v15
	v_mul_f32_e32 v13, v15, v13
	v_sub_u32_e32 v2, v17, v2
	v_ldexp_f32 v2, v13, v2
	v_mul_f32_e32 v13, v2, v2
	v_mov_b32_e32 v15, 0xbc7a590c
	v_fmac_f32_e32 v15, 0x3b2d2a58, v13
	v_fma_f32 v15, v13, v15, v22
	v_fma_f32 v15, v13, v15, v23
	;; [unrolled: 1-line block ×6, first 2 shown]
	v_mul_f32_e32 v13, v13, v15
	v_fmac_f32_e32 v2, v2, v13
	v_sub_f32_e32 v13, 0x3fc90fdb, v2
	v_cndmask_b32_e64 v2, v2, v13, s[0:1]
	v_sub_f32_e32 v13, 0x40490fdb, v2
	v_cmp_gt_f32_e32 vcc, 0, v4
	v_cndmask_b32_e32 v2, v2, v13, vcc
	v_cndmask_b32_e64 v13, 0, v31, s[2:3]
	v_cmp_eq_f32_e64 s[2:3], 0, v5
	v_cndmask_b32_e64 v2, v2, v13, s[2:3]
	v_cmp_class_f32_e64 s[2:3], v4, s31
	v_cndmask_b32_e32 v13, v32, v33, vcc
	s_and_b64 vcc, s[2:3], s[18:19]
	v_cndmask_b32_e32 v2, v2, v13, vcc
                                        ; implicit-def: $vgpr13
                                        ; implicit-def: $vgpr15
.LBB174_270:                            ;   in Loop: Header=BB174_162 Depth=1
	s_andn2_saveexec_b64 s[16:17], s[16:17]
	s_cbranch_execz .LBB174_278
; %bb.271:                              ;   in Loop: Header=BB174_162 Depth=1
	v_mul_f32_e32 v16, v13, v13
	v_fmac_f32_e32 v16, v15, v15
	v_cmp_ge_f32_e32 vcc, s34, v16
                                        ; implicit-def: $vgpr2
	s_and_saveexec_b64 s[2:3], vcc
	s_xor_b64 s[18:19], exec, s[2:3]
	s_cbranch_execz .LBB174_273
; %bb.272:                              ;   in Loop: Header=BB174_162 Depth=1
	v_cmp_gt_f32_e32 vcc, s35, v16
	v_cndmask_b32_e64 v2, 0, 32, vcc
	v_ldexp_f32 v2, v16, v2
	v_log_f32_e32 v2, v2
	v_cndmask_b32_e32 v13, 0, v34, vcc
	v_cmp_gt_i32_e64 s[2:3], 0, v4
	v_cmp_class_f32_e64 s[20:21], v5, s31
	v_mul_f32_e32 v15, 0x3f317217, v2
	v_fma_f32 v15, v2, s36, -v15
	v_fmac_f32_e32 v15, 0x3377d1cf, v2
	v_fmac_f32_e32 v15, 0x3f317217, v2
	v_cmp_lt_f32_e64 vcc, |v2|, s29
	v_cndmask_b32_e32 v2, v2, v15, vcc
	v_sub_f32_e32 v2, v2, v13
	v_mul_f32_e32 v16, 0.5, v2
	v_max_f32_e64 v2, |v5|, |v5|
	v_max_f32_e64 v13, |v4|, |v4|
	v_min_f32_e32 v15, v13, v2
	v_max_f32_e32 v2, v13, v2
	v_frexp_mant_f32_e32 v13, v2
	v_rcp_f32_e32 v13, v13
	v_frexp_exp_i32_f32_e32 v2, v2
	v_frexp_exp_i32_f32_e32 v17, v15
	v_frexp_mant_f32_e32 v15, v15
	v_mul_f32_e32 v13, v15, v13
	v_sub_u32_e32 v2, v17, v2
	v_ldexp_f32 v2, v13, v2
	v_mul_f32_e32 v13, v2, v2
	v_mov_b32_e32 v15, 0xbc7a590c
	v_fmac_f32_e32 v15, 0x3b2d2a58, v13
	v_fma_f32 v15, v13, v15, v22
	v_fma_f32 v15, v13, v15, v23
	;; [unrolled: 1-line block ×6, first 2 shown]
	v_mul_f32_e32 v13, v13, v15
	v_fmac_f32_e32 v2, v2, v13
	v_sub_f32_e32 v13, 0x3fc90fdb, v2
	v_cndmask_b32_e64 v2, v2, v13, s[0:1]
	v_sub_f32_e32 v13, 0x40490fdb, v2
	v_cmp_gt_f32_e32 vcc, 0, v4
	v_cndmask_b32_e32 v2, v2, v13, vcc
	v_cndmask_b32_e64 v13, 0, v31, s[2:3]
	v_cmp_eq_f32_e64 s[2:3], 0, v5
	v_cndmask_b32_e64 v2, v2, v13, s[2:3]
	v_cmp_class_f32_e64 s[2:3], v4, s31
	v_cndmask_b32_e32 v13, v32, v33, vcc
	s_and_b64 vcc, s[2:3], s[20:21]
	v_cndmask_b32_e32 v2, v2, v13, vcc
                                        ; implicit-def: $vgpr15
                                        ; implicit-def: $vgpr13
.LBB174_273:                            ;   in Loop: Header=BB174_162 Depth=1
	s_andn2_saveexec_b64 s[18:19], s[18:19]
	s_cbranch_execz .LBB174_277
; %bb.274:                              ;   in Loop: Header=BB174_162 Depth=1
	v_and_b32_e32 v16, 0x7fff0000, v15
	v_sub_f32_e32 v2, v15, v16
	v_and_b32_e32 v38, 0xffff0000, v2
	v_and_b32_e32 v15, 0x7fff0000, v13
	v_sub_f32_e32 v40, v2, v38
	v_sub_f32_e32 v2, v13, v15
	v_and_b32_e32 v39, 0xffff0000, v2
	v_add_f32_e32 v35, v16, v16
	v_add_f32_e32 v42, v15, v15
	v_sub_f32_e32 v41, v2, v39
	v_mul_f32_e32 v2, v16, v16
	v_mul_f32_e32 v13, v15, v15
	;; [unrolled: 1-line block ×6, first 2 shown]
	v_add_f32_e32 v38, v38, v38
	v_add_f32_e32 v39, v39, v39
	v_mul_f32_e32 v36, v35, v40
	v_mul_f32_e32 v35, v42, v41
	;; [unrolled: 1-line block ×6, first 2 shown]
	s_mov_b64 s[20:21], 0
.LBB174_275:                            ;   Parent Loop BB174_162 Depth=1
                                        ; =>  This Inner Loop Header: Depth=2
	v_cmp_nlt_f32_e32 vcc, v2, v13
	v_mov_b32_e32 v42, v41
	v_cndmask_b32_e32 v41, v2, v13, vcc
	v_cmp_nlt_f32_e64 s[2:3], v41, v17
	v_cndmask_b32_e64 v43, v41, v17, s[2:3]
	v_cndmask_b32_e32 v2, v13, v2, vcc
	s_and_b64 s[40:41], vcc, s[2:3]
	v_cmp_nlt_f32_e32 vcc, v43, v16
	v_cndmask_b32_e64 v13, v17, v41, s[2:3]
	v_cndmask_b32_e32 v41, v43, v16, vcc
	v_cmp_nlt_f32_e64 s[2:3], v41, v37
	v_cndmask_b32_e32 v17, v16, v43, vcc
	v_cndmask_b32_e64 v43, v41, v37, s[2:3]
	s_and_b64 s[42:43], vcc, s[2:3]
	v_cmp_nlt_f32_e32 vcc, v43, v15
	v_cndmask_b32_e64 v16, v37, v41, s[2:3]
	v_cndmask_b32_e32 v41, v43, v15, vcc
	v_cmp_nlt_f32_e64 s[2:3], v41, v36
	v_cndmask_b32_e32 v37, v15, v43, vcc
	v_cndmask_b32_e64 v43, v41, v36, s[2:3]
	v_cndmask_b32_e64 v15, v36, v41, s[2:3]
	s_and_b64 s[2:3], vcc, s[2:3]
	v_cmp_nlt_f32_e32 vcc, v43, v35
	v_cndmask_b32_e32 v41, v43, v35, vcc
	v_cndmask_b32_e32 v36, v35, v43, vcc
	s_and_b64 s[2:3], s[2:3], vcc
	v_cmp_nlt_f32_e32 vcc, v41, v38
	v_cndmask_b32_e32 v43, v41, v38, vcc
	v_cndmask_b32_e32 v35, v38, v41, vcc
	s_and_b64 s[2:3], s[2:3], vcc
	;; [unrolled: 4-line block ×4, first 2 shown]
	v_cmp_nlt_f32_e32 vcc, v43, v42
	s_and_b64 s[2:3], s[2:3], vcc
	s_and_b64 s[2:3], s[2:3], s[42:43]
	s_and_b64 s[2:3], s[2:3], s[40:41]
	s_and_b64 s[2:3], exec, s[2:3]
	v_cndmask_b32_e32 v41, v43, v42, vcc
	s_or_b64 s[20:21], s[2:3], s[20:21]
	v_cndmask_b32_e32 v40, v42, v43, vcc
	s_andn2_b64 exec, exec, s[20:21]
	s_cbranch_execnz .LBB174_275
; %bb.276:                              ;   in Loop: Header=BB174_162 Depth=1
	s_or_b64 exec, exec, s[20:21]
	v_add_f32_e32 v2, -1.0, v2
	v_add_f32_e32 v2, v2, v13
	v_add_f32_e32 v2, v2, v17
	;; [unrolled: 1-line block ×11, first 2 shown]
	v_add_f32_e32 v13, 1.0, v2
	v_cvt_f64_f32_e32 v[15:16], v13
	v_add_f32_e32 v17, -1.0, v13
	v_sub_f32_e32 v35, v17, v13
	v_sub_f32_e32 v17, v2, v17
	v_frexp_exp_i32_f64_e32 v15, v[15:16]
	v_frexp_mant_f32_e32 v16, v13
	v_cmp_gt_f32_e32 vcc, s27, v16
	v_add_f32_e32 v35, 1.0, v35
	v_add_f32_e32 v17, v17, v35
	v_cmp_gt_i32_e64 s[2:3], 0, v4
	v_cmp_class_f32_e64 s[20:21], v5, s31
	v_subbrev_co_u32_e32 v15, vcc, 0, v15, vcc
	v_sub_u32_e32 v16, 0, v15
	v_ldexp_f32 v13, v13, v16
	v_ldexp_f32 v16, v17, v16
	v_add_f32_e32 v17, -1.0, v13
	v_add_f32_e32 v35, 1.0, v13
	v_add_f32_e32 v36, 1.0, v17
	v_add_f32_e32 v38, -1.0, v35
	v_sub_f32_e32 v36, v13, v36
	v_sub_f32_e32 v13, v13, v38
	v_add_f32_e32 v13, v16, v13
	v_add_f32_e32 v36, v16, v36
	;; [unrolled: 1-line block ×3, first 2 shown]
	v_rcp_f32_e32 v38, v16
	v_add_f32_e32 v37, v17, v36
	v_sub_f32_e32 v35, v16, v35
	v_sub_f32_e32 v17, v37, v17
	;; [unrolled: 1-line block ×3, first 2 shown]
	v_mul_f32_e32 v35, v37, v38
	v_sub_f32_e32 v17, v36, v17
	v_mul_f32_e32 v36, v16, v35
	v_fma_f32 v39, v35, v16, -v36
	v_fmac_f32_e32 v39, v35, v13
	v_add_f32_e32 v40, v36, v39
	v_sub_f32_e32 v41, v37, v40
	v_sub_f32_e32 v37, v37, v41
	;; [unrolled: 1-line block ×4, first 2 shown]
	v_add_f32_e32 v17, v17, v37
	v_sub_f32_e32 v36, v36, v39
	v_add_f32_e32 v17, v36, v17
	v_add_f32_e32 v36, v41, v17
	v_mul_f32_e32 v37, v38, v36
	v_mul_f32_e32 v39, v16, v37
	v_fma_f32 v16, v37, v16, -v39
	v_fmac_f32_e32 v16, v37, v13
	v_sub_f32_e32 v13, v41, v36
	v_add_f32_e32 v13, v17, v13
	v_add_f32_e32 v17, v39, v16
	v_sub_f32_e32 v40, v36, v17
	v_sub_f32_e32 v36, v36, v40
	;; [unrolled: 1-line block ×4, first 2 shown]
	v_add_f32_e32 v13, v13, v17
	v_sub_f32_e32 v16, v39, v16
	v_cvt_f32_i32_e32 v15, v15
	v_add_f32_e32 v13, v16, v13
	v_add_f32_e32 v16, v35, v37
	;; [unrolled: 1-line block ×3, first 2 shown]
	v_sub_f32_e32 v17, v16, v35
	v_mul_f32_e32 v13, v38, v13
	v_sub_f32_e32 v17, v37, v17
	v_add_f32_e32 v13, v17, v13
	v_mul_f32_e32 v37, 0x3f317218, v15
	v_add_f32_e32 v17, v16, v13
	v_fma_f32 v38, v15, s28, -v37
	v_mul_f32_e32 v35, v17, v17
	v_mov_b32_e32 v36, 0x3ecc95a3
	v_fmac_f32_e32 v38, 0xb102e308, v15
	v_sub_f32_e32 v15, v17, v16
	v_fmac_f32_e32 v36, 0x3e9b6dac, v35
	v_sub_f32_e32 v13, v13, v15
	v_add_f32_e32 v15, v37, v38
	v_fma_f32 v36, v35, v36, v21
	v_sub_f32_e32 v16, v15, v37
	v_ldexp_f32 v37, v17, 1
	v_mul_f32_e32 v17, v17, v35
	v_mul_f32_e32 v17, v17, v36
	v_add_f32_e32 v35, v37, v17
	v_sub_f32_e32 v36, v35, v37
	v_ldexp_f32 v13, v13, 1
	v_sub_f32_e32 v17, v17, v36
	v_add_f32_e32 v13, v13, v17
	v_add_f32_e32 v17, v35, v13
	v_sub_f32_e32 v35, v17, v35
	v_sub_f32_e32 v13, v13, v35
	v_add_f32_e32 v35, v15, v17
	v_sub_f32_e32 v36, v35, v15
	v_sub_f32_e32 v37, v35, v36
	;; [unrolled: 1-line block ×5, first 2 shown]
	v_add_f32_e32 v15, v17, v15
	v_add_f32_e32 v17, v16, v13
	v_sub_f32_e32 v36, v17, v16
	v_sub_f32_e32 v37, v17, v36
	;; [unrolled: 1-line block ×4, first 2 shown]
	v_add_f32_e32 v15, v17, v15
	v_add_f32_e32 v13, v13, v16
	;; [unrolled: 1-line block ×3, first 2 shown]
	v_sub_f32_e32 v17, v16, v35
	v_sub_f32_e32 v15, v15, v17
	v_add_f32_e32 v13, v13, v15
	v_add_f32_e32 v13, v16, v13
	v_cmp_neq_f32_e32 vcc, s29, v2
	v_cndmask_b32_e32 v13, v28, v13, vcc
	v_cmp_ngt_f32_e32 vcc, -1.0, v2
	v_cndmask_b32_e32 v13, v29, v13, vcc
	v_cmp_neq_f32_e32 vcc, -1.0, v2
	v_cndmask_b32_e32 v13, v30, v13, vcc
	v_cmp_lt_f32_e64 vcc, |v2|, s30
	v_cndmask_b32_e32 v2, v13, v2, vcc
	v_mul_f32_e32 v16, 0.5, v2
	v_max_f32_e64 v2, |v5|, |v5|
	v_max_f32_e64 v13, |v4|, |v4|
	v_min_f32_e32 v15, v13, v2
	v_max_f32_e32 v2, v13, v2
	v_frexp_mant_f32_e32 v13, v2
	v_rcp_f32_e32 v13, v13
	v_frexp_exp_i32_f32_e32 v2, v2
	v_frexp_exp_i32_f32_e32 v17, v15
	v_frexp_mant_f32_e32 v15, v15
	v_mul_f32_e32 v13, v15, v13
	v_sub_u32_e32 v2, v17, v2
	v_ldexp_f32 v2, v13, v2
	v_mul_f32_e32 v13, v2, v2
	v_mov_b32_e32 v15, 0xbc7a590c
	v_fmac_f32_e32 v15, 0x3b2d2a58, v13
	v_fma_f32 v15, v13, v15, v22
	v_fma_f32 v15, v13, v15, v23
	;; [unrolled: 1-line block ×6, first 2 shown]
	v_mul_f32_e32 v13, v13, v15
	v_fmac_f32_e32 v2, v2, v13
	v_sub_f32_e32 v13, 0x3fc90fdb, v2
	v_cndmask_b32_e64 v2, v2, v13, s[0:1]
	v_sub_f32_e32 v13, 0x40490fdb, v2
	v_cmp_gt_f32_e32 vcc, 0, v4
	v_cndmask_b32_e32 v2, v2, v13, vcc
	v_cndmask_b32_e64 v13, 0, v31, s[2:3]
	v_cmp_eq_f32_e64 s[2:3], 0, v5
	v_cndmask_b32_e64 v2, v2, v13, s[2:3]
	v_cmp_class_f32_e64 s[2:3], v4, s31
	v_cndmask_b32_e32 v13, v32, v33, vcc
	s_and_b64 vcc, s[2:3], s[20:21]
	v_cndmask_b32_e32 v2, v2, v13, vcc
.LBB174_277:                            ;   in Loop: Header=BB174_162 Depth=1
	s_or_b64 exec, exec, s[18:19]
.LBB174_278:                            ;   in Loop: Header=BB174_162 Depth=1
	s_or_b64 exec, exec, s[16:17]
.LBB174_279:                            ;   in Loop: Header=BB174_162 Depth=1
	s_andn2_saveexec_b64 s[14:15], s[14:15]
	s_cbranch_execz .LBB174_281
; %bb.280:                              ;   in Loop: Header=BB174_162 Depth=1
	v_max_f32_e64 v2, |v5|, |v5|
	v_max_f32_e64 v13, |v4|, |v4|
	v_max_f32_e32 v17, v13, v2
	v_cvt_f64_f32_e32 v[15:16], v17
	v_cmp_neq_f32_e32 vcc, s29, v17
	v_min_f32_e32 v2, v13, v2
	v_frexp_exp_i32_f32_e32 v35, v2
	v_frexp_exp_i32_f64_e32 v15, v[15:16]
	v_frexp_mant_f32_e32 v16, v17
	v_rcp_f32_e32 v16, v16
	v_frexp_mant_f32_e32 v2, v2
	v_frexp_exp_i32_f32_e32 v13, v17
	v_sub_u32_e32 v13, v35, v13
	v_mul_f32_e32 v2, v2, v16
	v_ldexp_f32 v2, v2, v13
	v_sub_u32_e32 v36, 0, v15
	v_ldexp_f32 v37, |v4|, v36
	v_ldexp_f32 v36, |v5|, v36
	v_mul_f32_e32 v36, v36, v36
	v_fmac_f32_e32 v36, v37, v37
	v_sqrt_f32_e32 v36, v36
	v_mul_f32_e32 v13, v2, v2
	v_cmp_gt_i32_e64 s[2:3], 0, v4
	v_cmp_class_f32_e64 s[16:17], v5, s31
	v_ldexp_f32 v15, v36, v15
	v_cndmask_b32_e32 v15, v28, v15, vcc
	v_cmp_gt_f32_e32 vcc, s35, v15
	v_cndmask_b32_e64 v16, 0, 32, vcc
	v_ldexp_f32 v15, v15, v16
	v_log_f32_e32 v15, v15
	v_cndmask_b32_e32 v16, 0, v34, vcc
	v_mul_f32_e32 v17, 0x3f317217, v15
	v_fma_f32 v17, v15, s36, -v17
	v_fmac_f32_e32 v17, 0x3377d1cf, v15
	v_fmac_f32_e32 v17, 0x3f317217, v15
	v_cmp_lt_f32_e64 vcc, |v15|, s29
	v_cndmask_b32_e32 v15, v15, v17, vcc
	v_sub_f32_e32 v16, v15, v16
	v_mov_b32_e32 v15, 0xbc7a590c
	v_fmac_f32_e32 v15, 0x3b2d2a58, v13
	v_fma_f32 v15, v13, v15, v22
	v_fma_f32 v15, v13, v15, v23
	;; [unrolled: 1-line block ×6, first 2 shown]
	v_mul_f32_e32 v13, v13, v15
	v_fmac_f32_e32 v2, v2, v13
	v_sub_f32_e32 v13, 0x3fc90fdb, v2
	v_cndmask_b32_e64 v2, v2, v13, s[0:1]
	v_sub_f32_e32 v13, 0x40490fdb, v2
	v_cmp_gt_f32_e32 vcc, 0, v4
	v_cndmask_b32_e32 v2, v2, v13, vcc
	v_cndmask_b32_e64 v13, 0, v31, s[2:3]
	v_cmp_eq_f32_e64 s[2:3], 0, v5
	v_cndmask_b32_e64 v2, v2, v13, s[2:3]
	v_cmp_class_f32_e64 s[2:3], v4, s31
	v_cndmask_b32_e32 v13, v32, v33, vcc
	s_and_b64 vcc, s[2:3], s[16:17]
	v_cndmask_b32_e32 v2, v2, v13, vcc
.LBB174_281:                            ;   in Loop: Header=BB174_162 Depth=1
	s_or_b64 exec, exec, s[14:15]
                                        ; implicit-def: $vgpr13
.LBB174_282:                            ;   in Loop: Header=BB174_162 Depth=1
	s_andn2_saveexec_b64 s[12:13], s[12:13]
	s_cbranch_execz .LBB174_288
; %bb.283:                              ;   in Loop: Header=BB174_162 Depth=1
	v_cmp_ngt_f32_e32 vcc, s37, v13
                                        ; implicit-def: $vgpr2
	s_and_saveexec_b64 s[2:3], vcc
	s_xor_b64 s[14:15], exec, s[2:3]
	s_cbranch_execz .LBB174_285
; %bb.284:                              ;   in Loop: Header=BB174_162 Depth=1
	v_mul_f32_e32 v2, v13, v13
	v_add_f32_e32 v13, 1.0, v2
	v_cvt_f64_f32_e32 v[15:16], v13
	v_add_f32_e32 v17, -1.0, v13
	v_sub_f32_e32 v35, v17, v13
	v_sub_f32_e32 v17, v2, v17
	v_frexp_exp_i32_f64_e32 v15, v[15:16]
	v_frexp_mant_f32_e32 v16, v13
	v_cmp_gt_f32_e32 vcc, s27, v16
	v_add_f32_e32 v35, 1.0, v35
	v_add_f32_e32 v17, v17, v35
	v_cmp_gt_i32_e64 s[2:3], 0, v4
	v_cmp_class_f32_e64 s[16:17], v5, s31
	v_subbrev_co_u32_e32 v15, vcc, 0, v15, vcc
	v_sub_u32_e32 v16, 0, v15
	v_ldexp_f32 v13, v13, v16
	v_ldexp_f32 v16, v17, v16
	v_add_f32_e32 v17, -1.0, v13
	v_add_f32_e32 v35, 1.0, v13
	v_add_f32_e32 v36, 1.0, v17
	v_add_f32_e32 v38, -1.0, v35
	v_sub_f32_e32 v36, v13, v36
	v_sub_f32_e32 v13, v13, v38
	v_add_f32_e32 v13, v16, v13
	v_add_f32_e32 v36, v16, v36
	;; [unrolled: 1-line block ×3, first 2 shown]
	v_rcp_f32_e32 v38, v16
	v_add_f32_e32 v37, v17, v36
	v_sub_f32_e32 v35, v35, v16
	v_sub_f32_e32 v17, v17, v37
	v_add_f32_e32 v13, v13, v35
	v_mul_f32_e32 v35, v37, v38
	v_add_f32_e32 v17, v36, v17
	v_mul_f32_e32 v36, v16, v35
	v_fma_f32 v39, v35, v16, -v36
	v_fmac_f32_e32 v39, v35, v13
	v_add_f32_e32 v40, v36, v39
	v_sub_f32_e32 v41, v37, v40
	v_sub_f32_e32 v37, v37, v41
	;; [unrolled: 1-line block ×4, first 2 shown]
	v_add_f32_e32 v17, v17, v37
	v_sub_f32_e32 v36, v36, v39
	v_add_f32_e32 v17, v36, v17
	v_add_f32_e32 v36, v41, v17
	v_mul_f32_e32 v37, v38, v36
	v_mul_f32_e32 v39, v16, v37
	v_fma_f32 v16, v37, v16, -v39
	v_fmac_f32_e32 v16, v37, v13
	v_sub_f32_e32 v13, v41, v36
	v_add_f32_e32 v13, v17, v13
	v_add_f32_e32 v17, v39, v16
	v_sub_f32_e32 v40, v36, v17
	v_sub_f32_e32 v36, v36, v40
	;; [unrolled: 1-line block ×4, first 2 shown]
	v_add_f32_e32 v13, v13, v17
	v_sub_f32_e32 v16, v39, v16
	v_cvt_f32_i32_e32 v15, v15
	v_add_f32_e32 v13, v16, v13
	v_add_f32_e32 v16, v35, v37
	;; [unrolled: 1-line block ×3, first 2 shown]
	v_sub_f32_e32 v17, v16, v35
	v_mul_f32_e32 v13, v38, v13
	v_sub_f32_e32 v17, v37, v17
	v_add_f32_e32 v13, v17, v13
	v_mul_f32_e32 v37, 0x3f317218, v15
	v_add_f32_e32 v17, v16, v13
	v_fma_f32 v38, v15, s28, -v37
	v_mul_f32_e32 v35, v17, v17
	v_mov_b32_e32 v36, 0x3ecc95a3
	v_fmac_f32_e32 v38, 0xb102e308, v15
	v_sub_f32_e32 v15, v17, v16
	v_fmac_f32_e32 v36, 0x3e9b6dac, v35
	v_sub_f32_e32 v13, v13, v15
	v_add_f32_e32 v15, v37, v38
	v_fma_f32 v36, v35, v36, v21
	v_sub_f32_e32 v16, v15, v37
	v_ldexp_f32 v37, v17, 1
	v_mul_f32_e32 v17, v17, v35
	v_mul_f32_e32 v17, v17, v36
	v_add_f32_e32 v35, v37, v17
	v_sub_f32_e32 v36, v35, v37
	v_ldexp_f32 v13, v13, 1
	v_sub_f32_e32 v17, v17, v36
	v_add_f32_e32 v13, v13, v17
	v_add_f32_e32 v17, v35, v13
	v_sub_f32_e32 v35, v17, v35
	v_sub_f32_e32 v13, v13, v35
	v_add_f32_e32 v35, v15, v17
	v_sub_f32_e32 v36, v35, v15
	v_sub_f32_e32 v37, v35, v36
	;; [unrolled: 1-line block ×5, first 2 shown]
	v_add_f32_e32 v15, v17, v15
	v_add_f32_e32 v17, v16, v13
	v_sub_f32_e32 v36, v17, v16
	v_sub_f32_e32 v37, v17, v36
	;; [unrolled: 1-line block ×4, first 2 shown]
	v_add_f32_e32 v15, v17, v15
	v_add_f32_e32 v13, v13, v16
	;; [unrolled: 1-line block ×3, first 2 shown]
	v_sub_f32_e32 v17, v16, v35
	v_sub_f32_e32 v15, v15, v17
	v_add_f32_e32 v13, v13, v15
	v_add_f32_e32 v13, v16, v13
	v_cmp_neq_f32_e32 vcc, s29, v2
	v_cndmask_b32_e32 v13, v28, v13, vcc
	v_cmp_lt_f32_e64 vcc, |v2|, s30
	v_cndmask_b32_e32 v2, v13, v2, vcc
	v_mul_f32_e32 v16, 0.5, v2
	v_max_f32_e64 v2, |v5|, |v5|
	v_max_f32_e64 v13, |v4|, |v4|
	v_min_f32_e32 v15, v13, v2
	v_max_f32_e32 v2, v13, v2
	v_frexp_mant_f32_e32 v13, v2
	v_rcp_f32_e32 v13, v13
	v_frexp_exp_i32_f32_e32 v2, v2
	v_frexp_exp_i32_f32_e32 v17, v15
	v_frexp_mant_f32_e32 v15, v15
	v_mul_f32_e32 v13, v15, v13
	v_sub_u32_e32 v2, v17, v2
	v_ldexp_f32 v2, v13, v2
	v_mul_f32_e32 v13, v2, v2
	v_mov_b32_e32 v15, 0xbc7a590c
	v_fmac_f32_e32 v15, 0x3b2d2a58, v13
	v_fma_f32 v15, v13, v15, v22
	v_fma_f32 v15, v13, v15, v23
	;; [unrolled: 1-line block ×6, first 2 shown]
	v_mul_f32_e32 v13, v13, v15
	v_fmac_f32_e32 v2, v2, v13
	v_sub_f32_e32 v13, 0x3fc90fdb, v2
	v_cndmask_b32_e64 v2, v2, v13, s[0:1]
	v_sub_f32_e32 v13, 0x40490fdb, v2
	v_cmp_gt_f32_e32 vcc, 0, v4
	v_cndmask_b32_e32 v2, v2, v13, vcc
	v_cndmask_b32_e64 v13, 0, v31, s[2:3]
	v_cmp_eq_f32_e64 s[2:3], 0, v5
	v_cndmask_b32_e64 v2, v2, v13, s[2:3]
	v_cmp_class_f32_e64 s[2:3], v4, s31
	v_cndmask_b32_e32 v13, v32, v33, vcc
	s_and_b64 vcc, s[2:3], s[16:17]
	v_cndmask_b32_e32 v2, v2, v13, vcc
                                        ; implicit-def: $vgpr13
.LBB174_285:                            ;   in Loop: Header=BB174_162 Depth=1
	s_andn2_saveexec_b64 s[14:15], s[14:15]
	s_cbranch_execz .LBB174_287
; %bb.286:                              ;   in Loop: Header=BB174_162 Depth=1
	v_mul_f32_e32 v2, 0.5, v13
	v_mul_f32_e32 v16, v13, v2
	v_max_f32_e64 v2, |v5|, |v5|
	v_max_f32_e64 v13, |v4|, |v4|
	v_min_f32_e32 v15, v13, v2
	v_max_f32_e32 v2, v13, v2
	v_frexp_mant_f32_e32 v13, v2
	v_rcp_f32_e32 v13, v13
	v_frexp_exp_i32_f32_e32 v2, v2
	v_frexp_exp_i32_f32_e32 v17, v15
	v_frexp_mant_f32_e32 v15, v15
	v_mul_f32_e32 v13, v15, v13
	v_sub_u32_e32 v2, v17, v2
	v_ldexp_f32 v2, v13, v2
	v_mul_f32_e32 v13, v2, v2
	v_mov_b32_e32 v15, 0xbc7a590c
	v_fmac_f32_e32 v15, 0x3b2d2a58, v13
	v_fma_f32 v15, v13, v15, v22
	v_fma_f32 v15, v13, v15, v23
	;; [unrolled: 1-line block ×6, first 2 shown]
	v_mul_f32_e32 v13, v13, v15
	v_fmac_f32_e32 v2, v2, v13
	v_sub_f32_e32 v13, 0x3fc90fdb, v2
	v_cndmask_b32_e64 v2, v2, v13, s[0:1]
	v_sub_f32_e32 v13, 0x40490fdb, v2
	v_cmp_gt_f32_e32 vcc, 0, v4
	v_cmp_gt_i32_e64 s[2:3], 0, v4
	v_cndmask_b32_e32 v2, v2, v13, vcc
	v_cndmask_b32_e64 v13, 0, v31, s[2:3]
	v_cmp_eq_f32_e64 s[2:3], 0, v5
	v_cndmask_b32_e64 v2, v2, v13, s[2:3]
	v_cmp_class_f32_e64 s[2:3], v4, s31
	v_cmp_class_f32_e64 s[16:17], v5, s31
	v_cndmask_b32_e32 v13, v32, v33, vcc
	s_and_b64 vcc, s[2:3], s[16:17]
	v_cndmask_b32_e32 v2, v2, v13, vcc
.LBB174_287:                            ;   in Loop: Header=BB174_162 Depth=1
	s_or_b64 exec, exec, s[14:15]
.LBB174_288:                            ;   in Loop: Header=BB174_162 Depth=1
	s_or_b64 exec, exec, s[12:13]
.LBB174_289:                            ;   in Loop: Header=BB174_162 Depth=1
	s_andn2_saveexec_b64 s[10:11], s[10:11]
	s_cbranch_execz .LBB174_291
; %bb.290:                              ;   in Loop: Header=BB174_162 Depth=1
	v_div_scale_f32 v2, s[2:3], s38, s38, v4
	v_div_scale_f32 v13, s[2:3], s38, s38, v5
	v_div_scale_f32 v15, vcc, v4, s38, v4
	v_div_scale_f32 v16, s[2:3], v5, s38, v5
	v_rcp_f32_e32 v17, v2
	v_rcp_f32_e32 v35, v13
	v_fma_f32 v36, -v2, v17, 1.0
	v_fmac_f32_e32 v17, v36, v17
	v_fma_f32 v37, -v13, v35, 1.0
	v_fmac_f32_e32 v35, v37, v35
	v_mul_f32_e32 v36, v15, v17
	v_mul_f32_e32 v37, v16, v35
	v_fma_f32 v38, -v2, v36, v15
	v_fma_f32 v39, -v13, v37, v16
	v_fmac_f32_e32 v36, v38, v17
	v_fmac_f32_e32 v37, v39, v35
	v_fma_f32 v2, -v2, v36, v15
	v_fma_f32 v13, -v13, v37, v16
	v_div_fmas_f32 v2, v2, v17, v36
	s_mov_b64 vcc, s[2:3]
	v_div_fmas_f32 v13, v13, v35, v37
	v_max_f32_e64 v15, |v5|, |v5|
	v_max_f32_e64 v16, |v4|, |v4|
	v_min_f32_e32 v35, v16, v15
	v_max_f32_e32 v15, v16, v15
	v_frexp_exp_i32_f32_e32 v16, v15
	v_frexp_mant_f32_e32 v15, v15
	v_frexp_exp_i32_f32_e32 v36, v35
	v_rcp_f32_e32 v37, v15
	v_sub_u32_e32 v36, v36, v16
	v_frexp_mant_f32_e32 v35, v35
	v_mov_b32_e32 v17, 0xbc7a590c
	v_mul_f32_e32 v35, v35, v37
	v_ldexp_f32 v35, v35, v36
	v_div_fixup_f32 v2, v2, s38, v4
	v_mul_f32_e32 v36, v35, v35
	v_div_fixup_f32 v13, v13, s38, v5
	v_max_f32_e64 v38, |v2|, |v13|
	v_cvt_f64_f32_e32 v[15:16], v38
	v_fmac_f32_e32 v17, 0x3b2d2a58, v36
	v_cmp_neq_f32_e32 vcc, s29, v38
	v_cmp_class_f32_e64 s[2:3], v5, s31
	v_frexp_exp_i32_f64_e32 v15, v[15:16]
	v_fma_f32 v16, v36, v17, v22
	v_fma_f32 v16, v36, v16, v23
	;; [unrolled: 1-line block ×6, first 2 shown]
	v_sub_u32_e32 v17, 0, v15
	v_ldexp_f32 v13, |v13|, v17
	v_ldexp_f32 v2, |v2|, v17
	v_mul_f32_e32 v13, v13, v13
	v_fmac_f32_e32 v13, v2, v2
	v_sqrt_f32_e32 v2, v13
	v_mul_f32_e32 v13, v36, v16
	v_fmac_f32_e32 v35, v35, v13
	v_sub_f32_e32 v13, 0x3fc90fdb, v35
	v_ldexp_f32 v2, v2, v15
	v_cndmask_b32_e32 v2, v28, v2, vcc
	v_cmp_gt_f32_e32 vcc, s35, v2
	v_cndmask_b32_e64 v15, 0, 32, vcc
	v_ldexp_f32 v2, v2, v15
	v_log_f32_e32 v2, v2
	v_cndmask_b32_e32 v16, 0, v34, vcc
	v_cndmask_b32_e64 v13, v35, v13, s[0:1]
	v_sub_f32_e32 v15, 0x40490fdb, v13
	v_mul_f32_e32 v17, 0x3f317217, v2
	v_fma_f32 v17, v2, s36, -v17
	v_fmac_f32_e32 v17, 0x3377d1cf, v2
	v_fmac_f32_e32 v17, 0x3f317217, v2
	v_cmp_lt_f32_e64 vcc, |v2|, s29
	v_cndmask_b32_e32 v2, v2, v17, vcc
	v_sub_f32_e32 v2, v2, v16
	v_cmp_gt_f32_e32 vcc, 0, v4
	v_cmp_gt_i32_e64 s[0:1], 0, v4
	v_add_f32_e32 v16, 1.0, v2
	v_cndmask_b32_e32 v2, v13, v15, vcc
	v_cndmask_b32_e64 v13, 0, v31, s[0:1]
	v_cmp_eq_f32_e64 s[0:1], 0, v5
	v_cndmask_b32_e64 v2, v2, v13, s[0:1]
	v_cmp_class_f32_e64 s[0:1], v4, s31
	v_cndmask_b32_e32 v13, v32, v33, vcc
	s_and_b64 vcc, s[0:1], s[2:3]
	v_cndmask_b32_e32 v2, v2, v13, vcc
.LBB174_291:                            ;   in Loop: Header=BB174_162 Depth=1
	s_or_b64 exec, exec, s[10:11]
.LBB174_292:                            ;   in Loop: Header=BB174_162 Depth=1
	s_andn2_saveexec_b64 s[0:1], s[8:9]
	s_cbranch_execz .LBB174_161
; %bb.293:                              ;   in Loop: Header=BB174_162 Depth=1
	v_cmp_nlt_f32_e64 s[2:3], |v4|, s39
	v_cmp_nlt_f32_e64 s[8:9], |v5|, s39
	s_or_b64 s[2:3], s[2:3], s[8:9]
                                        ; implicit-def: $vgpr2
	s_and_saveexec_b64 s[8:9], s[2:3]
	s_xor_b64 s[2:3], exec, s[8:9]
; %bb.294:                              ;   in Loop: Header=BB174_162 Depth=1
	v_mul_f32_e32 v2, v5, v5
	v_fmac_f32_e32 v2, v4, v4
; %bb.295:                              ;   in Loop: Header=BB174_162 Depth=1
	s_andn2_saveexec_b64 s[2:3], s[2:3]
	s_cbranch_execz .LBB174_160
; %bb.296:                              ;   in Loop: Header=BB174_162 Depth=1
	v_mul_f32_e32 v2, 4.0, v4
	v_mul_f32_e32 v4, 4.0, v5
	v_mul_f32_e32 v4, v4, v4
	v_fmac_f32_e32 v4, v2, v2
	v_mul_f32_e32 v2, 0x3d800000, v4
	s_branch .LBB174_160
.LBB174_297:
	s_endpgm
	.section	.rodata,"a",@progbits
	.p2align	6, 0x0
	.amdhsa_kernel _ZN2at6native12_GLOBAL__N_125multi_tensor_apply_kernelINS1_18TensorListMetadataILi1EEENS1_14UnaryOpFunctorIN3c107complexIfEELi1ELi1ELi0EEEJNS0_3LogIS8_EEEEEvT_T0_DpT1_
		.amdhsa_group_segment_fixed_size 0
		.amdhsa_private_segment_fixed_size 0
		.amdhsa_kernarg_size 3632
		.amdhsa_user_sgpr_count 6
		.amdhsa_user_sgpr_private_segment_buffer 1
		.amdhsa_user_sgpr_dispatch_ptr 0
		.amdhsa_user_sgpr_queue_ptr 0
		.amdhsa_user_sgpr_kernarg_segment_ptr 1
		.amdhsa_user_sgpr_dispatch_id 0
		.amdhsa_user_sgpr_flat_scratch_init 0
		.amdhsa_user_sgpr_private_segment_size 0
		.amdhsa_uses_dynamic_stack 0
		.amdhsa_system_sgpr_private_segment_wavefront_offset 0
		.amdhsa_system_sgpr_workgroup_id_x 1
		.amdhsa_system_sgpr_workgroup_id_y 0
		.amdhsa_system_sgpr_workgroup_id_z 0
		.amdhsa_system_sgpr_workgroup_info 0
		.amdhsa_system_vgpr_workitem_id 0
		.amdhsa_next_free_vgpr 48
		.amdhsa_next_free_sgpr 62
		.amdhsa_reserve_vcc 1
		.amdhsa_reserve_flat_scratch 0
		.amdhsa_float_round_mode_32 0
		.amdhsa_float_round_mode_16_64 0
		.amdhsa_float_denorm_mode_32 3
		.amdhsa_float_denorm_mode_16_64 3
		.amdhsa_dx10_clamp 1
		.amdhsa_ieee_mode 1
		.amdhsa_fp16_overflow 0
		.amdhsa_exception_fp_ieee_invalid_op 0
		.amdhsa_exception_fp_denorm_src 0
		.amdhsa_exception_fp_ieee_div_zero 0
		.amdhsa_exception_fp_ieee_overflow 0
		.amdhsa_exception_fp_ieee_underflow 0
		.amdhsa_exception_fp_ieee_inexact 0
		.amdhsa_exception_int_div_zero 0
	.end_amdhsa_kernel
	.section	.text._ZN2at6native12_GLOBAL__N_125multi_tensor_apply_kernelINS1_18TensorListMetadataILi1EEENS1_14UnaryOpFunctorIN3c107complexIfEELi1ELi1ELi0EEEJNS0_3LogIS8_EEEEEvT_T0_DpT1_,"axG",@progbits,_ZN2at6native12_GLOBAL__N_125multi_tensor_apply_kernelINS1_18TensorListMetadataILi1EEENS1_14UnaryOpFunctorIN3c107complexIfEELi1ELi1ELi0EEEJNS0_3LogIS8_EEEEEvT_T0_DpT1_,comdat
.Lfunc_end174:
	.size	_ZN2at6native12_GLOBAL__N_125multi_tensor_apply_kernelINS1_18TensorListMetadataILi1EEENS1_14UnaryOpFunctorIN3c107complexIfEELi1ELi1ELi0EEEJNS0_3LogIS8_EEEEEvT_T0_DpT1_, .Lfunc_end174-_ZN2at6native12_GLOBAL__N_125multi_tensor_apply_kernelINS1_18TensorListMetadataILi1EEENS1_14UnaryOpFunctorIN3c107complexIfEELi1ELi1ELi0EEEJNS0_3LogIS8_EEEEEvT_T0_DpT1_
                                        ; -- End function
	.set _ZN2at6native12_GLOBAL__N_125multi_tensor_apply_kernelINS1_18TensorListMetadataILi1EEENS1_14UnaryOpFunctorIN3c107complexIfEELi1ELi1ELi0EEEJNS0_3LogIS8_EEEEEvT_T0_DpT1_.num_vgpr, 48
	.set _ZN2at6native12_GLOBAL__N_125multi_tensor_apply_kernelINS1_18TensorListMetadataILi1EEENS1_14UnaryOpFunctorIN3c107complexIfEELi1ELi1ELi0EEEJNS0_3LogIS8_EEEEEvT_T0_DpT1_.num_agpr, 0
	.set _ZN2at6native12_GLOBAL__N_125multi_tensor_apply_kernelINS1_18TensorListMetadataILi1EEENS1_14UnaryOpFunctorIN3c107complexIfEELi1ELi1ELi0EEEJNS0_3LogIS8_EEEEEvT_T0_DpT1_.numbered_sgpr, 62
	.set _ZN2at6native12_GLOBAL__N_125multi_tensor_apply_kernelINS1_18TensorListMetadataILi1EEENS1_14UnaryOpFunctorIN3c107complexIfEELi1ELi1ELi0EEEJNS0_3LogIS8_EEEEEvT_T0_DpT1_.num_named_barrier, 0
	.set _ZN2at6native12_GLOBAL__N_125multi_tensor_apply_kernelINS1_18TensorListMetadataILi1EEENS1_14UnaryOpFunctorIN3c107complexIfEELi1ELi1ELi0EEEJNS0_3LogIS8_EEEEEvT_T0_DpT1_.private_seg_size, 0
	.set _ZN2at6native12_GLOBAL__N_125multi_tensor_apply_kernelINS1_18TensorListMetadataILi1EEENS1_14UnaryOpFunctorIN3c107complexIfEELi1ELi1ELi0EEEJNS0_3LogIS8_EEEEEvT_T0_DpT1_.uses_vcc, 1
	.set _ZN2at6native12_GLOBAL__N_125multi_tensor_apply_kernelINS1_18TensorListMetadataILi1EEENS1_14UnaryOpFunctorIN3c107complexIfEELi1ELi1ELi0EEEJNS0_3LogIS8_EEEEEvT_T0_DpT1_.uses_flat_scratch, 0
	.set _ZN2at6native12_GLOBAL__N_125multi_tensor_apply_kernelINS1_18TensorListMetadataILi1EEENS1_14UnaryOpFunctorIN3c107complexIfEELi1ELi1ELi0EEEJNS0_3LogIS8_EEEEEvT_T0_DpT1_.has_dyn_sized_stack, 0
	.set _ZN2at6native12_GLOBAL__N_125multi_tensor_apply_kernelINS1_18TensorListMetadataILi1EEENS1_14UnaryOpFunctorIN3c107complexIfEELi1ELi1ELi0EEEJNS0_3LogIS8_EEEEEvT_T0_DpT1_.has_recursion, 0
	.set _ZN2at6native12_GLOBAL__N_125multi_tensor_apply_kernelINS1_18TensorListMetadataILi1EEENS1_14UnaryOpFunctorIN3c107complexIfEELi1ELi1ELi0EEEJNS0_3LogIS8_EEEEEvT_T0_DpT1_.has_indirect_call, 0
	.section	.AMDGPU.csdata,"",@progbits
; Kernel info:
; codeLenInByte = 37012
; TotalNumSgprs: 66
; NumVgprs: 48
; ScratchSize: 0
; MemoryBound: 1
; FloatMode: 240
; IeeeMode: 1
; LDSByteSize: 0 bytes/workgroup (compile time only)
; SGPRBlocks: 8
; VGPRBlocks: 11
; NumSGPRsForWavesPerEU: 66
; NumVGPRsForWavesPerEU: 48
; Occupancy: 5
; WaveLimiterHint : 0
; COMPUTE_PGM_RSRC2:SCRATCH_EN: 0
; COMPUTE_PGM_RSRC2:USER_SGPR: 6
; COMPUTE_PGM_RSRC2:TRAP_HANDLER: 0
; COMPUTE_PGM_RSRC2:TGID_X_EN: 1
; COMPUTE_PGM_RSRC2:TGID_Y_EN: 0
; COMPUTE_PGM_RSRC2:TGID_Z_EN: 0
; COMPUTE_PGM_RSRC2:TIDIG_COMP_CNT: 0
	.section	.text._ZN2at6native12_GLOBAL__N_125multi_tensor_apply_kernelINS1_18TensorListMetadataILi1EEENS1_14UnaryOpFunctorIN3c104HalfELi1ELi1ELi0EEEJNS0_3LogIfEEEEEvT_T0_DpT1_,"axG",@progbits,_ZN2at6native12_GLOBAL__N_125multi_tensor_apply_kernelINS1_18TensorListMetadataILi1EEENS1_14UnaryOpFunctorIN3c104HalfELi1ELi1ELi0EEEJNS0_3LogIfEEEEEvT_T0_DpT1_,comdat
	.globl	_ZN2at6native12_GLOBAL__N_125multi_tensor_apply_kernelINS1_18TensorListMetadataILi1EEENS1_14UnaryOpFunctorIN3c104HalfELi1ELi1ELi0EEEJNS0_3LogIfEEEEEvT_T0_DpT1_ ; -- Begin function _ZN2at6native12_GLOBAL__N_125multi_tensor_apply_kernelINS1_18TensorListMetadataILi1EEENS1_14UnaryOpFunctorIN3c104HalfELi1ELi1ELi0EEEJNS0_3LogIfEEEEEvT_T0_DpT1_
	.p2align	8
	.type	_ZN2at6native12_GLOBAL__N_125multi_tensor_apply_kernelINS1_18TensorListMetadataILi1EEENS1_14UnaryOpFunctorIN3c104HalfELi1ELi1ELi0EEEJNS0_3LogIfEEEEEvT_T0_DpT1_,@function
_ZN2at6native12_GLOBAL__N_125multi_tensor_apply_kernelINS1_18TensorListMetadataILi1EEENS1_14UnaryOpFunctorIN3c104HalfELi1ELi1ELi0EEEJNS0_3LogIfEEEEEvT_T0_DpT1_: ; @_ZN2at6native12_GLOBAL__N_125multi_tensor_apply_kernelINS1_18TensorListMetadataILi1EEENS1_14UnaryOpFunctorIN3c104HalfELi1ELi1ELi0EEEJNS0_3LogIfEEEEEvT_T0_DpT1_
; %bb.0:
	v_mov_b32_e32 v1, s6
	global_load_ubyte v1, v1, s[4:5] offset:1760
	s_add_u32 s0, s4, s6
	s_mul_hi_u32 s1, s6, 3
	s_mul_i32 s6, s6, 3
	s_addc_u32 s2, s5, 0
	s_add_u32 s0, s0, s6
	s_addc_u32 s1, s2, s1
	s_load_dword s0, s[0:1], 0x820
	s_mov_b32 s7, 0
	s_waitcnt vmcnt(0)
	v_readfirstlane_b32 s1, v1
	s_lshl_b32 s1, s1, 3
	s_load_dwordx2 s[2:3], s[4:5], s1 offset:0x370
	s_load_dwordx2 s[10:11], s[4:5], s1 offset:0x0
	s_waitcnt lgkmcnt(0)
	s_ashr_i32 s1, s0, 31
	s_lshl_b64 s[12:13], s[0:1], 17
	s_lshl_b64 s[0:1], s[0:1], 16
	s_and_b32 s6, s10, 7
	s_sub_u32 s14, s2, s0
	s_subb_u32 s15, s3, s1
	s_and_b32 s0, s2, 3
	s_mov_b32 s1, s7
	s_or_b64 s[0:1], s[6:7], s[0:1]
	s_cmp_eq_u64 s[0:1], 0
	s_cbranch_scc1 .LBB175_21
; %bb.1:
	v_cmp_lt_i64_e64 s[0:1], s[14:15], 1
	s_and_b64 vcc, exec, s[0:1]
	s_cbranch_vccnz .LBB175_20
; %bb.2:
	v_mov_b32_e32 v1, 0x10000
	s_load_dword s2, s[4:5], 0xd3c
	v_mov_b32_e32 v2, 0
	v_cmp_lt_i64_e32 vcc, s[14:15], v[1:2]
	s_mov_b64 s[20:21], 0
	s_and_b64 s[0:1], vcc, exec
	v_cmp_lt_u64_e32 vcc, s[14:15], v[1:2]
	s_cselect_b32 s17, s15, 0
	s_cselect_b32 s16, s14, 0x10000
	s_waitcnt lgkmcnt(0)
	s_and_b32 s2, s2, 0xffff
	s_and_b64 s[0:1], vcc, exec
	s_cselect_b32 s19, s15, 0
	s_cselect_b32 s18, s14, 0x10000
	s_lshl_b32 s3, s2, 1
	s_lshl_b32 s24, s2, 2
	s_add_u32 s6, s10, s12
	v_lshlrev_b32_e32 v1, 1, v0
	s_addc_u32 s7, s11, s13
	v_mov_b32_e32 v2, s7
	v_add_co_u32_e32 v1, vcc, s6, v1
	s_mul_i32 s0, s2, 3
	v_addc_co_u32_e32 v2, vcc, 0, v2, vcc
	v_add_co_u32_e32 v5, vcc, s0, v0
	v_addc_co_u32_e64 v6, s[0:1], 0, 0, vcc
	v_add_co_u32_e32 v7, vcc, s3, v0
	v_addc_co_u32_e64 v8, s[0:1], 0, 0, vcc
	v_add_co_u32_e32 v9, vcc, s2, v0
	v_lshlrev_b32_e32 v3, 1, v9
	v_addc_co_u32_e64 v10, s[0:1], 0, 0, vcc
	v_mov_b32_e32 v4, s7
	v_add_co_u32_e32 v3, vcc, s6, v3
	s_lshl_b32 s25, s2, 3
	s_mul_i32 s26, s2, 6
	v_addc_co_u32_e32 v4, vcc, 0, v4, vcc
	s_mov_b32 s27, 0x800000
	s_mov_b32 s28, 0x3f317217
	;; [unrolled: 1-line block ×3, first 2 shown]
	v_mov_b32_e32 v11, 0x41b17218
	s_branch .LBB175_4
.LBB175_3:                              ;   in Loop: Header=BB175_4 Depth=1
	s_or_b64 exec, exec, s[0:1]
	s_add_u32 s20, s20, s24
	v_add_co_u32_e32 v1, vcc, s25, v1
	v_mov_b32_e32 v12, s16
	s_addc_u32 s21, s21, 0
	v_addc_co_u32_e32 v2, vcc, 0, v2, vcc
	v_mov_b32_e32 v13, s17
	v_cmp_lt_i64_e32 vcc, s[20:21], v[12:13]
	v_add_co_u32_e64 v3, s[0:1], s25, v3
	v_addc_co_u32_e64 v4, s[0:1], 0, v4, s[0:1]
	s_cbranch_vccz .LBB175_20
.LBB175_4:                              ; =>This Inner Loop Header: Depth=1
	v_mov_b32_e32 v13, s21
	v_add_co_u32_e32 v12, vcc, s20, v0
	v_addc_co_u32_e32 v13, vcc, 0, v13, vcc
	v_cmp_gt_u64_e64 s[6:7], s[18:19], v[12:13]
	v_mov_b32_e32 v15, 0
	s_and_saveexec_b64 s[0:1], s[6:7]
	s_cbranch_execz .LBB175_6
; %bb.5:                                ;   in Loop: Header=BB175_4 Depth=1
	global_load_ushort v12, v[1:2], off
	s_waitcnt vmcnt(0)
	v_cvt_f32_f16_e32 v15, v12
.LBB175_6:                              ;   in Loop: Header=BB175_4 Depth=1
	s_or_b64 exec, exec, s[0:1]
	v_mov_b32_e32 v13, s21
	v_add_co_u32_e32 v12, vcc, s20, v9
	v_addc_co_u32_e32 v13, vcc, v10, v13, vcc
	v_cmp_gt_u64_e64 s[2:3], s[18:19], v[12:13]
	v_mov_b32_e32 v12, 0
	v_mov_b32_e32 v14, 0
	s_and_saveexec_b64 s[0:1], s[2:3]
	s_cbranch_execz .LBB175_8
; %bb.7:                                ;   in Loop: Header=BB175_4 Depth=1
	global_load_ushort v13, v[3:4], off
	s_waitcnt vmcnt(0)
	v_cvt_f32_f16_e32 v14, v13
.LBB175_8:                              ;   in Loop: Header=BB175_4 Depth=1
	s_or_b64 exec, exec, s[0:1]
	v_mov_b32_e32 v13, s21
	v_add_co_u32_e32 v16, vcc, s20, v7
	v_addc_co_u32_e32 v17, vcc, v8, v13, vcc
	v_cmp_gt_u64_e64 s[0:1], s[18:19], v[16:17]
	s_and_saveexec_b64 s[8:9], s[0:1]
	s_cbranch_execz .LBB175_10
; %bb.9:                                ;   in Loop: Header=BB175_4 Depth=1
	v_add_co_u32_e32 v12, vcc, s24, v1
	v_addc_co_u32_e32 v13, vcc, 0, v2, vcc
	global_load_ushort v12, v[12:13], off
	s_waitcnt vmcnt(0)
	v_cvt_f32_f16_e32 v12, v12
.LBB175_10:                             ;   in Loop: Header=BB175_4 Depth=1
	s_or_b64 exec, exec, s[8:9]
	v_mov_b32_e32 v13, s21
	v_add_co_u32_e32 v16, vcc, s20, v5
	v_addc_co_u32_e32 v17, vcc, v6, v13, vcc
	v_cmp_gt_u64_e32 vcc, s[18:19], v[16:17]
	v_mov_b32_e32 v13, 0
	s_and_saveexec_b64 s[22:23], vcc
	s_cbranch_execnz .LBB175_15
; %bb.11:                               ;   in Loop: Header=BB175_4 Depth=1
	s_or_b64 exec, exec, s[22:23]
	s_and_saveexec_b64 s[22:23], s[6:7]
	s_cbranch_execnz .LBB175_16
.LBB175_12:                             ;   in Loop: Header=BB175_4 Depth=1
	s_or_b64 exec, exec, s[22:23]
	s_and_saveexec_b64 s[8:9], s[2:3]
	s_cbranch_execnz .LBB175_17
.LBB175_13:                             ;   in Loop: Header=BB175_4 Depth=1
	s_or_b64 exec, exec, s[8:9]
	s_and_saveexec_b64 s[2:3], s[0:1]
	s_cbranch_execnz .LBB175_18
.LBB175_14:                             ;   in Loop: Header=BB175_4 Depth=1
	s_or_b64 exec, exec, s[2:3]
	s_and_saveexec_b64 s[0:1], vcc
	s_cbranch_execz .LBB175_3
	s_branch .LBB175_19
.LBB175_15:                             ;   in Loop: Header=BB175_4 Depth=1
	v_add_co_u32_e64 v16, s[8:9], s26, v1
	v_addc_co_u32_e64 v17, s[8:9], 0, v2, s[8:9]
	global_load_ushort v13, v[16:17], off
	s_waitcnt vmcnt(0)
	v_cvt_f32_f16_e32 v13, v13
	s_or_b64 exec, exec, s[22:23]
	s_and_saveexec_b64 s[22:23], s[6:7]
	s_cbranch_execz .LBB175_12
.LBB175_16:                             ;   in Loop: Header=BB175_4 Depth=1
	v_cmp_gt_f32_e64 s[6:7], s27, v15
	v_cndmask_b32_e64 v16, 0, 32, s[6:7]
	v_ldexp_f32 v15, v15, v16
	v_log_f32_e32 v15, v15
	v_mul_f32_e32 v16, 0x3f317217, v15
	v_fma_f32 v16, v15, s28, -v16
	v_fmac_f32_e32 v16, 0x3377d1cf, v15
	v_fmac_f32_e32 v16, 0x3f317217, v15
	v_cmp_lt_f32_e64 s[8:9], |v15|, s29
	v_cndmask_b32_e64 v15, v15, v16, s[8:9]
	v_cndmask_b32_e64 v16, 0, v11, s[6:7]
	v_sub_f32_e32 v15, v15, v16
	v_cvt_f16_f32_e32 v15, v15
	global_store_short v[1:2], v15, off
	s_or_b64 exec, exec, s[22:23]
	s_and_saveexec_b64 s[8:9], s[2:3]
	s_cbranch_execz .LBB175_13
.LBB175_17:                             ;   in Loop: Header=BB175_4 Depth=1
	v_cmp_gt_f32_e64 s[2:3], s27, v14
	v_cndmask_b32_e64 v15, 0, 32, s[2:3]
	v_ldexp_f32 v14, v14, v15
	v_log_f32_e32 v14, v14
	v_mul_f32_e32 v15, 0x3f317217, v14
	v_fma_f32 v15, v14, s28, -v15
	v_fmac_f32_e32 v15, 0x3377d1cf, v14
	v_fmac_f32_e32 v15, 0x3f317217, v14
	v_cmp_lt_f32_e64 s[6:7], |v14|, s29
	v_cndmask_b32_e64 v14, v14, v15, s[6:7]
	v_cndmask_b32_e64 v15, 0, v11, s[2:3]
	v_sub_f32_e32 v14, v14, v15
	v_cvt_f16_f32_e32 v14, v14
	global_store_short v[3:4], v14, off
	s_or_b64 exec, exec, s[8:9]
	s_and_saveexec_b64 s[2:3], s[0:1]
	s_cbranch_execz .LBB175_14
.LBB175_18:                             ;   in Loop: Header=BB175_4 Depth=1
	v_cmp_gt_f32_e64 s[0:1], s27, v12
	v_cndmask_b32_e64 v14, 0, 32, s[0:1]
	v_ldexp_f32 v12, v12, v14
	v_log_f32_e32 v12, v12
	v_cndmask_b32_e64 v14, 0, v11, s[0:1]
	v_mul_f32_e32 v15, 0x3f317217, v12
	v_fma_f32 v15, v12, s28, -v15
	v_fmac_f32_e32 v15, 0x3377d1cf, v12
	v_fmac_f32_e32 v15, 0x3f317217, v12
	v_cmp_lt_f32_e64 s[0:1], |v12|, s29
	v_cndmask_b32_e64 v12, v12, v15, s[0:1]
	v_sub_f32_e32 v12, v12, v14
	v_cvt_f16_f32_e32 v12, v12
	v_add_co_u32_e64 v14, s[0:1], s24, v1
	v_addc_co_u32_e64 v15, s[0:1], 0, v2, s[0:1]
	global_store_short v[14:15], v12, off
	s_or_b64 exec, exec, s[2:3]
	s_and_saveexec_b64 s[0:1], vcc
	s_cbranch_execz .LBB175_3
.LBB175_19:                             ;   in Loop: Header=BB175_4 Depth=1
	v_cmp_gt_f32_e32 vcc, s27, v13
	v_cndmask_b32_e64 v12, 0, 32, vcc
	v_ldexp_f32 v12, v13, v12
	v_log_f32_e32 v12, v12
	v_cndmask_b32_e32 v13, 0, v11, vcc
	v_mul_f32_e32 v14, 0x3f317217, v12
	v_fma_f32 v14, v12, s28, -v14
	v_fmac_f32_e32 v14, 0x3377d1cf, v12
	v_fmac_f32_e32 v14, 0x3f317217, v12
	v_cmp_lt_f32_e64 vcc, |v12|, s29
	v_cndmask_b32_e32 v12, v12, v14, vcc
	v_sub_f32_e32 v12, v12, v13
	v_cvt_f16_f32_e32 v14, v12
	v_add_co_u32_e32 v12, vcc, s26, v1
	v_addc_co_u32_e32 v13, vcc, 0, v2, vcc
	global_store_short v[12:13], v14, off
	s_branch .LBB175_3
.LBB175_20:
	s_cbranch_execz .LBB175_22
	s_branch .LBB175_25
.LBB175_21:
.LBB175_22:
	v_mov_b32_e32 v1, 0x10000
	v_mov_b32_e32 v2, 0
	v_cmp_lt_i64_e32 vcc, s[14:15], v[1:2]
	v_mov_b32_e32 v2, 0
	s_and_b64 s[0:1], vcc, exec
	s_cselect_b32 s3, s15, 0
	s_cselect_b32 s2, s14, 0x10000
	v_lshlrev_b32_e32 v1, 2, v0
	v_cmp_gt_i64_e32 vcc, s[2:3], v[1:2]
	s_and_saveexec_b64 s[0:1], vcc
	s_cbranch_execz .LBB175_25
; %bb.23:
	s_load_dword s0, s[4:5], 0xd3c
	v_mov_b32_e32 v1, v2
	v_lshlrev_b32_e32 v2, 3, v0
	s_mov_b64 s[4:5], 0
	s_mov_b32 s8, 0x3f317217
	s_waitcnt lgkmcnt(0)
	s_and_b32 s6, s0, 0xffff
	s_add_u32 s0, s10, s12
	s_addc_u32 s1, s11, s13
	v_mov_b32_e32 v3, s1
	v_add_co_u32_e32 v2, vcc, s0, v2
	v_addc_co_u32_e32 v3, vcc, 0, v3, vcc
	v_add_co_u32_e32 v2, vcc, 4, v2
	v_addc_co_u32_e32 v3, vcc, 0, v3, vcc
	s_lshl_b32 s7, s6, 3
	s_mov_b32 s9, 0x7f800000
.LBB175_24:                             ; =>This Inner Loop Header: Depth=1
	global_load_dwordx2 v[4:5], v[2:3], off offset:-4
	v_add_co_u32_e32 v0, vcc, s6, v0
	v_addc_co_u32_e32 v1, vcc, 0, v1, vcc
	v_lshlrev_b64 v[6:7], 2, v[0:1]
	v_cmp_le_i64_e32 vcc, s[2:3], v[6:7]
	s_or_b64 s[4:5], vcc, s[4:5]
	s_waitcnt vmcnt(0)
	v_cvt_f32_f16_e32 v6, v4
	v_cvt_f32_f16_sdwa v4, v4 dst_sel:DWORD dst_unused:UNUSED_PAD src0_sel:WORD_1
	v_cvt_f32_f16_e32 v7, v5
	v_cvt_f32_f16_sdwa v5, v5 dst_sel:DWORD dst_unused:UNUSED_PAD src0_sel:WORD_1
	v_log_f32_e32 v6, v6
	v_log_f32_e32 v4, v4
	;; [unrolled: 1-line block ×4, first 2 shown]
	v_mul_f32_e32 v8, 0x3f317217, v6
	v_mul_f32_e32 v9, 0x3f317217, v4
	v_fma_f32 v8, v6, s8, -v8
	v_mul_f32_e32 v10, 0x3f317217, v7
	v_fma_f32 v9, v4, s8, -v9
	v_fmac_f32_e32 v8, 0x3377d1cf, v6
	v_mul_f32_e32 v11, 0x3f317217, v5
	v_fma_f32 v10, v7, s8, -v10
	v_fmac_f32_e32 v9, 0x3377d1cf, v4
	v_fmac_f32_e32 v8, 0x3f317217, v6
	v_cmp_lt_f32_e64 s[0:1], |v6|, s9
	v_fma_f32 v11, v5, s8, -v11
	v_fmac_f32_e32 v10, 0x3377d1cf, v7
	v_fmac_f32_e32 v9, 0x3f317217, v4
	v_cndmask_b32_e64 v6, v6, v8, s[0:1]
	v_cmp_lt_f32_e64 s[0:1], |v4|, s9
	v_fmac_f32_e32 v11, 0x3377d1cf, v5
	v_fmac_f32_e32 v10, 0x3f317217, v7
	v_cndmask_b32_e64 v4, v4, v9, s[0:1]
	v_cmp_lt_f32_e64 s[0:1], |v7|, s9
	v_fmac_f32_e32 v11, 0x3f317217, v5
	v_cndmask_b32_e64 v7, v7, v10, s[0:1]
	v_cmp_lt_f32_e64 s[0:1], |v5|, s9
	v_cndmask_b32_e64 v5, v5, v11, s[0:1]
	v_cvt_f16_f32_e32 v6, v6
	v_cvt_f16_f32_e32 v7, v7
	;; [unrolled: 1-line block ×4, first 2 shown]
	v_pack_b32_f16 v5, v7, v5
	v_pack_b32_f16 v4, v6, v4
	global_store_dwordx2 v[2:3], v[4:5], off offset:-4
	v_add_co_u32_e32 v2, vcc, s7, v2
	v_addc_co_u32_e32 v3, vcc, 0, v3, vcc
	s_andn2_b64 exec, exec, s[4:5]
	s_cbranch_execnz .LBB175_24
.LBB175_25:
	s_endpgm
	.section	.rodata,"a",@progbits
	.p2align	6, 0x0
	.amdhsa_kernel _ZN2at6native12_GLOBAL__N_125multi_tensor_apply_kernelINS1_18TensorListMetadataILi1EEENS1_14UnaryOpFunctorIN3c104HalfELi1ELi1ELi0EEEJNS0_3LogIfEEEEEvT_T0_DpT1_
		.amdhsa_group_segment_fixed_size 0
		.amdhsa_private_segment_fixed_size 0
		.amdhsa_kernarg_size 3632
		.amdhsa_user_sgpr_count 6
		.amdhsa_user_sgpr_private_segment_buffer 1
		.amdhsa_user_sgpr_dispatch_ptr 0
		.amdhsa_user_sgpr_queue_ptr 0
		.amdhsa_user_sgpr_kernarg_segment_ptr 1
		.amdhsa_user_sgpr_dispatch_id 0
		.amdhsa_user_sgpr_flat_scratch_init 0
		.amdhsa_user_sgpr_private_segment_size 0
		.amdhsa_uses_dynamic_stack 0
		.amdhsa_system_sgpr_private_segment_wavefront_offset 0
		.amdhsa_system_sgpr_workgroup_id_x 1
		.amdhsa_system_sgpr_workgroup_id_y 0
		.amdhsa_system_sgpr_workgroup_id_z 0
		.amdhsa_system_sgpr_workgroup_info 0
		.amdhsa_system_vgpr_workitem_id 0
		.amdhsa_next_free_vgpr 18
		.amdhsa_next_free_sgpr 30
		.amdhsa_reserve_vcc 1
		.amdhsa_reserve_flat_scratch 0
		.amdhsa_float_round_mode_32 0
		.amdhsa_float_round_mode_16_64 0
		.amdhsa_float_denorm_mode_32 3
		.amdhsa_float_denorm_mode_16_64 3
		.amdhsa_dx10_clamp 1
		.amdhsa_ieee_mode 1
		.amdhsa_fp16_overflow 0
		.amdhsa_exception_fp_ieee_invalid_op 0
		.amdhsa_exception_fp_denorm_src 0
		.amdhsa_exception_fp_ieee_div_zero 0
		.amdhsa_exception_fp_ieee_overflow 0
		.amdhsa_exception_fp_ieee_underflow 0
		.amdhsa_exception_fp_ieee_inexact 0
		.amdhsa_exception_int_div_zero 0
	.end_amdhsa_kernel
	.section	.text._ZN2at6native12_GLOBAL__N_125multi_tensor_apply_kernelINS1_18TensorListMetadataILi1EEENS1_14UnaryOpFunctorIN3c104HalfELi1ELi1ELi0EEEJNS0_3LogIfEEEEEvT_T0_DpT1_,"axG",@progbits,_ZN2at6native12_GLOBAL__N_125multi_tensor_apply_kernelINS1_18TensorListMetadataILi1EEENS1_14UnaryOpFunctorIN3c104HalfELi1ELi1ELi0EEEJNS0_3LogIfEEEEEvT_T0_DpT1_,comdat
.Lfunc_end175:
	.size	_ZN2at6native12_GLOBAL__N_125multi_tensor_apply_kernelINS1_18TensorListMetadataILi1EEENS1_14UnaryOpFunctorIN3c104HalfELi1ELi1ELi0EEEJNS0_3LogIfEEEEEvT_T0_DpT1_, .Lfunc_end175-_ZN2at6native12_GLOBAL__N_125multi_tensor_apply_kernelINS1_18TensorListMetadataILi1EEENS1_14UnaryOpFunctorIN3c104HalfELi1ELi1ELi0EEEJNS0_3LogIfEEEEEvT_T0_DpT1_
                                        ; -- End function
	.set _ZN2at6native12_GLOBAL__N_125multi_tensor_apply_kernelINS1_18TensorListMetadataILi1EEENS1_14UnaryOpFunctorIN3c104HalfELi1ELi1ELi0EEEJNS0_3LogIfEEEEEvT_T0_DpT1_.num_vgpr, 18
	.set _ZN2at6native12_GLOBAL__N_125multi_tensor_apply_kernelINS1_18TensorListMetadataILi1EEENS1_14UnaryOpFunctorIN3c104HalfELi1ELi1ELi0EEEJNS0_3LogIfEEEEEvT_T0_DpT1_.num_agpr, 0
	.set _ZN2at6native12_GLOBAL__N_125multi_tensor_apply_kernelINS1_18TensorListMetadataILi1EEENS1_14UnaryOpFunctorIN3c104HalfELi1ELi1ELi0EEEJNS0_3LogIfEEEEEvT_T0_DpT1_.numbered_sgpr, 30
	.set _ZN2at6native12_GLOBAL__N_125multi_tensor_apply_kernelINS1_18TensorListMetadataILi1EEENS1_14UnaryOpFunctorIN3c104HalfELi1ELi1ELi0EEEJNS0_3LogIfEEEEEvT_T0_DpT1_.num_named_barrier, 0
	.set _ZN2at6native12_GLOBAL__N_125multi_tensor_apply_kernelINS1_18TensorListMetadataILi1EEENS1_14UnaryOpFunctorIN3c104HalfELi1ELi1ELi0EEEJNS0_3LogIfEEEEEvT_T0_DpT1_.private_seg_size, 0
	.set _ZN2at6native12_GLOBAL__N_125multi_tensor_apply_kernelINS1_18TensorListMetadataILi1EEENS1_14UnaryOpFunctorIN3c104HalfELi1ELi1ELi0EEEJNS0_3LogIfEEEEEvT_T0_DpT1_.uses_vcc, 1
	.set _ZN2at6native12_GLOBAL__N_125multi_tensor_apply_kernelINS1_18TensorListMetadataILi1EEENS1_14UnaryOpFunctorIN3c104HalfELi1ELi1ELi0EEEJNS0_3LogIfEEEEEvT_T0_DpT1_.uses_flat_scratch, 0
	.set _ZN2at6native12_GLOBAL__N_125multi_tensor_apply_kernelINS1_18TensorListMetadataILi1EEENS1_14UnaryOpFunctorIN3c104HalfELi1ELi1ELi0EEEJNS0_3LogIfEEEEEvT_T0_DpT1_.has_dyn_sized_stack, 0
	.set _ZN2at6native12_GLOBAL__N_125multi_tensor_apply_kernelINS1_18TensorListMetadataILi1EEENS1_14UnaryOpFunctorIN3c104HalfELi1ELi1ELi0EEEJNS0_3LogIfEEEEEvT_T0_DpT1_.has_recursion, 0
	.set _ZN2at6native12_GLOBAL__N_125multi_tensor_apply_kernelINS1_18TensorListMetadataILi1EEENS1_14UnaryOpFunctorIN3c104HalfELi1ELi1ELi0EEEJNS0_3LogIfEEEEEvT_T0_DpT1_.has_indirect_call, 0
	.section	.AMDGPU.csdata,"",@progbits
; Kernel info:
; codeLenInByte = 1608
; TotalNumSgprs: 34
; NumVgprs: 18
; ScratchSize: 0
; MemoryBound: 0
; FloatMode: 240
; IeeeMode: 1
; LDSByteSize: 0 bytes/workgroup (compile time only)
; SGPRBlocks: 4
; VGPRBlocks: 4
; NumSGPRsForWavesPerEU: 34
; NumVGPRsForWavesPerEU: 18
; Occupancy: 10
; WaveLimiterHint : 0
; COMPUTE_PGM_RSRC2:SCRATCH_EN: 0
; COMPUTE_PGM_RSRC2:USER_SGPR: 6
; COMPUTE_PGM_RSRC2:TRAP_HANDLER: 0
; COMPUTE_PGM_RSRC2:TGID_X_EN: 1
; COMPUTE_PGM_RSRC2:TGID_Y_EN: 0
; COMPUTE_PGM_RSRC2:TGID_Z_EN: 0
; COMPUTE_PGM_RSRC2:TIDIG_COMP_CNT: 0
	.section	.text._ZN2at6native12_GLOBAL__N_125multi_tensor_apply_kernelINS1_18TensorListMetadataILi1EEENS1_14UnaryOpFunctorIN3c108BFloat16ELi1ELi1ELi0EEEJNS0_3LogIfEEEEEvT_T0_DpT1_,"axG",@progbits,_ZN2at6native12_GLOBAL__N_125multi_tensor_apply_kernelINS1_18TensorListMetadataILi1EEENS1_14UnaryOpFunctorIN3c108BFloat16ELi1ELi1ELi0EEEJNS0_3LogIfEEEEEvT_T0_DpT1_,comdat
	.globl	_ZN2at6native12_GLOBAL__N_125multi_tensor_apply_kernelINS1_18TensorListMetadataILi1EEENS1_14UnaryOpFunctorIN3c108BFloat16ELi1ELi1ELi0EEEJNS0_3LogIfEEEEEvT_T0_DpT1_ ; -- Begin function _ZN2at6native12_GLOBAL__N_125multi_tensor_apply_kernelINS1_18TensorListMetadataILi1EEENS1_14UnaryOpFunctorIN3c108BFloat16ELi1ELi1ELi0EEEJNS0_3LogIfEEEEEvT_T0_DpT1_
	.p2align	8
	.type	_ZN2at6native12_GLOBAL__N_125multi_tensor_apply_kernelINS1_18TensorListMetadataILi1EEENS1_14UnaryOpFunctorIN3c108BFloat16ELi1ELi1ELi0EEEJNS0_3LogIfEEEEEvT_T0_DpT1_,@function
_ZN2at6native12_GLOBAL__N_125multi_tensor_apply_kernelINS1_18TensorListMetadataILi1EEENS1_14UnaryOpFunctorIN3c108BFloat16ELi1ELi1ELi0EEEJNS0_3LogIfEEEEEvT_T0_DpT1_: ; @_ZN2at6native12_GLOBAL__N_125multi_tensor_apply_kernelINS1_18TensorListMetadataILi1EEENS1_14UnaryOpFunctorIN3c108BFloat16ELi1ELi1ELi0EEEJNS0_3LogIfEEEEEvT_T0_DpT1_
; %bb.0:
	v_mov_b32_e32 v1, s6
	global_load_ubyte v1, v1, s[4:5] offset:1760
	s_add_u32 s0, s4, s6
	s_mul_hi_u32 s1, s6, 3
	s_mul_i32 s6, s6, 3
	s_addc_u32 s2, s5, 0
	s_add_u32 s0, s0, s6
	s_addc_u32 s1, s2, s1
	s_load_dword s0, s[0:1], 0x820
	s_mov_b32 s7, 0
	s_waitcnt vmcnt(0)
	v_readfirstlane_b32 s1, v1
	s_lshl_b32 s1, s1, 3
	s_load_dwordx2 s[2:3], s[4:5], s1 offset:0x370
	s_load_dwordx2 s[10:11], s[4:5], s1 offset:0x0
	s_waitcnt lgkmcnt(0)
	s_ashr_i32 s1, s0, 31
	s_lshl_b64 s[12:13], s[0:1], 17
	s_lshl_b64 s[0:1], s[0:1], 16
	s_and_b32 s6, s10, 7
	s_sub_u32 s14, s2, s0
	s_subb_u32 s15, s3, s1
	s_and_b32 s0, s2, 3
	s_mov_b32 s1, s7
	s_or_b64 s[0:1], s[6:7], s[0:1]
	s_cmp_eq_u64 s[0:1], 0
	s_cbranch_scc1 .LBB176_21
; %bb.1:
	v_cmp_lt_i64_e64 s[0:1], s[14:15], 1
	s_and_b64 vcc, exec, s[0:1]
	s_cbranch_vccnz .LBB176_20
; %bb.2:
	v_mov_b32_e32 v1, 0x10000
	s_load_dword s2, s[4:5], 0xd3c
	v_mov_b32_e32 v2, 0
	v_cmp_lt_i64_e32 vcc, s[14:15], v[1:2]
	s_mov_b64 s[20:21], 0
	s_and_b64 s[0:1], vcc, exec
	v_cmp_lt_u64_e32 vcc, s[14:15], v[1:2]
	s_cselect_b32 s17, s15, 0
	s_cselect_b32 s16, s14, 0x10000
	s_waitcnt lgkmcnt(0)
	s_and_b32 s2, s2, 0xffff
	s_and_b64 s[0:1], vcc, exec
	s_cselect_b32 s19, s15, 0
	s_cselect_b32 s18, s14, 0x10000
	s_lshl_b32 s3, s2, 1
	s_lshl_b32 s24, s2, 2
	s_add_u32 s6, s10, s12
	v_lshlrev_b32_e32 v1, 1, v0
	s_addc_u32 s7, s11, s13
	v_mov_b32_e32 v2, s7
	v_add_co_u32_e32 v1, vcc, s6, v1
	s_mul_i32 s0, s2, 3
	v_addc_co_u32_e32 v2, vcc, 0, v2, vcc
	v_add_co_u32_e32 v5, vcc, s0, v0
	v_addc_co_u32_e64 v6, s[0:1], 0, 0, vcc
	v_add_co_u32_e32 v7, vcc, s3, v0
	v_addc_co_u32_e64 v8, s[0:1], 0, 0, vcc
	v_add_co_u32_e32 v9, vcc, s2, v0
	v_lshlrev_b32_e32 v3, 1, v9
	v_addc_co_u32_e64 v10, s[0:1], 0, 0, vcc
	v_mov_b32_e32 v4, s7
	v_add_co_u32_e32 v3, vcc, s6, v3
	s_lshl_b32 s25, s2, 3
	s_mul_i32 s26, s2, 6
	v_addc_co_u32_e32 v4, vcc, 0, v4, vcc
	s_mov_b32 s27, 0x800000
	s_mov_b32 s28, 0x3f317217
	;; [unrolled: 1-line block ×3, first 2 shown]
	s_movk_i32 s30, 0x7fff
	v_mov_b32_e32 v11, 0x41b17218
	v_mov_b32_e32 v12, 0x7fc0
	s_branch .LBB176_4
.LBB176_3:                              ;   in Loop: Header=BB176_4 Depth=1
	s_or_b64 exec, exec, s[2:3]
	s_add_u32 s20, s20, s24
	v_add_co_u32_e32 v1, vcc, s25, v1
	v_mov_b32_e32 v13, s16
	s_addc_u32 s21, s21, 0
	v_addc_co_u32_e32 v2, vcc, 0, v2, vcc
	v_mov_b32_e32 v14, s17
	v_cmp_lt_i64_e32 vcc, s[20:21], v[13:14]
	v_add_co_u32_e64 v3, s[0:1], s25, v3
	v_addc_co_u32_e64 v4, s[0:1], 0, v4, s[0:1]
	s_cbranch_vccz .LBB176_20
.LBB176_4:                              ; =>This Inner Loop Header: Depth=1
	v_mov_b32_e32 v14, s21
	v_add_co_u32_e32 v13, vcc, s20, v0
	v_addc_co_u32_e32 v14, vcc, 0, v14, vcc
	v_cmp_gt_u64_e32 vcc, s[18:19], v[13:14]
	v_mov_b32_e32 v16, 0
	s_and_saveexec_b64 s[0:1], vcc
	s_cbranch_execz .LBB176_6
; %bb.5:                                ;   in Loop: Header=BB176_4 Depth=1
	global_load_ushort v13, v[1:2], off
	s_waitcnt vmcnt(0)
	v_lshlrev_b32_e32 v16, 16, v13
.LBB176_6:                              ;   in Loop: Header=BB176_4 Depth=1
	s_or_b64 exec, exec, s[0:1]
	v_mov_b32_e32 v14, s21
	v_add_co_u32_e64 v13, s[0:1], s20, v9
	v_addc_co_u32_e64 v14, s[0:1], v10, v14, s[0:1]
	v_cmp_gt_u64_e64 s[6:7], s[18:19], v[13:14]
	v_mov_b32_e32 v13, 0
	v_mov_b32_e32 v15, 0
	s_and_saveexec_b64 s[0:1], s[6:7]
	s_cbranch_execz .LBB176_8
; %bb.7:                                ;   in Loop: Header=BB176_4 Depth=1
	global_load_ushort v14, v[3:4], off
	s_waitcnt vmcnt(0)
	v_lshlrev_b32_e32 v15, 16, v14
.LBB176_8:                              ;   in Loop: Header=BB176_4 Depth=1
	s_or_b64 exec, exec, s[0:1]
	v_mov_b32_e32 v14, s21
	v_add_co_u32_e64 v17, s[0:1], s20, v7
	v_addc_co_u32_e64 v18, s[0:1], v8, v14, s[0:1]
	v_cmp_gt_u64_e64 s[2:3], s[18:19], v[17:18]
	s_and_saveexec_b64 s[8:9], s[2:3]
	s_cbranch_execz .LBB176_10
; %bb.9:                                ;   in Loop: Header=BB176_4 Depth=1
	v_add_co_u32_e64 v13, s[0:1], s24, v1
	v_addc_co_u32_e64 v14, s[0:1], 0, v2, s[0:1]
	global_load_ushort v13, v[13:14], off
	s_waitcnt vmcnt(0)
	v_lshlrev_b32_e32 v13, 16, v13
.LBB176_10:                             ;   in Loop: Header=BB176_4 Depth=1
	s_or_b64 exec, exec, s[8:9]
	v_mov_b32_e32 v14, s21
	v_add_co_u32_e64 v17, s[0:1], s20, v5
	v_addc_co_u32_e64 v18, s[0:1], v6, v14, s[0:1]
	v_cmp_gt_u64_e64 s[0:1], s[18:19], v[17:18]
	v_mov_b32_e32 v14, 0
	s_and_saveexec_b64 s[22:23], s[0:1]
	s_cbranch_execnz .LBB176_15
; %bb.11:                               ;   in Loop: Header=BB176_4 Depth=1
	s_or_b64 exec, exec, s[22:23]
	s_and_saveexec_b64 s[8:9], vcc
	s_cbranch_execnz .LBB176_16
.LBB176_12:                             ;   in Loop: Header=BB176_4 Depth=1
	s_or_b64 exec, exec, s[8:9]
	s_and_saveexec_b64 s[8:9], s[6:7]
	s_cbranch_execnz .LBB176_17
.LBB176_13:                             ;   in Loop: Header=BB176_4 Depth=1
	s_or_b64 exec, exec, s[8:9]
	s_and_saveexec_b64 s[6:7], s[2:3]
	s_cbranch_execnz .LBB176_18
.LBB176_14:                             ;   in Loop: Header=BB176_4 Depth=1
	s_or_b64 exec, exec, s[6:7]
	s_and_saveexec_b64 s[2:3], s[0:1]
	s_cbranch_execz .LBB176_3
	s_branch .LBB176_19
.LBB176_15:                             ;   in Loop: Header=BB176_4 Depth=1
	v_add_co_u32_e64 v17, s[8:9], s26, v1
	v_addc_co_u32_e64 v18, s[8:9], 0, v2, s[8:9]
	global_load_ushort v14, v[17:18], off
	s_waitcnt vmcnt(0)
	v_lshlrev_b32_e32 v14, 16, v14
	s_or_b64 exec, exec, s[22:23]
	s_and_saveexec_b64 s[8:9], vcc
	s_cbranch_execz .LBB176_12
.LBB176_16:                             ;   in Loop: Header=BB176_4 Depth=1
	v_cmp_gt_f32_e32 vcc, s27, v16
	v_cndmask_b32_e64 v17, 0, 32, vcc
	v_ldexp_f32 v16, v16, v17
	v_log_f32_e32 v16, v16
	v_cndmask_b32_e32 v17, 0, v11, vcc
	v_mul_f32_e32 v18, 0x3f317217, v16
	v_fma_f32 v18, v16, s28, -v18
	v_fmac_f32_e32 v18, 0x3377d1cf, v16
	v_fmac_f32_e32 v18, 0x3f317217, v16
	v_cmp_lt_f32_e64 vcc, |v16|, s29
	v_cndmask_b32_e32 v16, v16, v18, vcc
	v_sub_f32_e32 v16, v16, v17
	v_bfe_u32 v17, v16, 16, 1
	v_add3_u32 v17, v16, v17, s30
	v_cmp_o_f32_e32 vcc, v16, v16
	v_cndmask_b32_sdwa v16, v12, v17, vcc dst_sel:DWORD dst_unused:UNUSED_PAD src0_sel:DWORD src1_sel:WORD_1
	global_store_short v[1:2], v16, off
	s_or_b64 exec, exec, s[8:9]
	s_and_saveexec_b64 s[8:9], s[6:7]
	s_cbranch_execz .LBB176_13
.LBB176_17:                             ;   in Loop: Header=BB176_4 Depth=1
	v_cmp_gt_f32_e32 vcc, s27, v15
	v_cndmask_b32_e64 v16, 0, 32, vcc
	v_ldexp_f32 v15, v15, v16
	v_log_f32_e32 v15, v15
	v_cndmask_b32_e32 v16, 0, v11, vcc
	v_mul_f32_e32 v17, 0x3f317217, v15
	v_fma_f32 v17, v15, s28, -v17
	v_fmac_f32_e32 v17, 0x3377d1cf, v15
	v_fmac_f32_e32 v17, 0x3f317217, v15
	v_cmp_lt_f32_e64 vcc, |v15|, s29
	v_cndmask_b32_e32 v15, v15, v17, vcc
	v_sub_f32_e32 v15, v15, v16
	v_bfe_u32 v16, v15, 16, 1
	v_add3_u32 v16, v15, v16, s30
	v_cmp_o_f32_e32 vcc, v15, v15
	v_cndmask_b32_sdwa v15, v12, v16, vcc dst_sel:DWORD dst_unused:UNUSED_PAD src0_sel:DWORD src1_sel:WORD_1
	global_store_short v[3:4], v15, off
	s_or_b64 exec, exec, s[8:9]
	s_and_saveexec_b64 s[6:7], s[2:3]
	s_cbranch_execz .LBB176_14
.LBB176_18:                             ;   in Loop: Header=BB176_4 Depth=1
	v_cmp_gt_f32_e32 vcc, s27, v13
	v_cndmask_b32_e64 v15, 0, 32, vcc
	v_ldexp_f32 v13, v13, v15
	v_log_f32_e32 v13, v13
	v_cndmask_b32_e32 v15, 0, v11, vcc
	v_mul_f32_e32 v16, 0x3f317217, v13
	v_fma_f32 v16, v13, s28, -v16
	v_fmac_f32_e32 v16, 0x3377d1cf, v13
	v_fmac_f32_e32 v16, 0x3f317217, v13
	v_cmp_lt_f32_e64 vcc, |v13|, s29
	v_cndmask_b32_e32 v13, v13, v16, vcc
	v_sub_f32_e32 v13, v13, v15
	v_bfe_u32 v15, v13, 16, 1
	v_add3_u32 v15, v13, v15, s30
	v_cmp_o_f32_e32 vcc, v13, v13
	v_cndmask_b32_sdwa v13, v12, v15, vcc dst_sel:DWORD dst_unused:UNUSED_PAD src0_sel:DWORD src1_sel:WORD_1
	v_add_co_u32_e32 v15, vcc, s24, v1
	v_addc_co_u32_e32 v16, vcc, 0, v2, vcc
	global_store_short v[15:16], v13, off
	s_or_b64 exec, exec, s[6:7]
	s_and_saveexec_b64 s[2:3], s[0:1]
	s_cbranch_execz .LBB176_3
.LBB176_19:                             ;   in Loop: Header=BB176_4 Depth=1
	v_cmp_gt_f32_e32 vcc, s27, v14
	v_cndmask_b32_e64 v13, 0, 32, vcc
	v_ldexp_f32 v13, v14, v13
	v_log_f32_e32 v13, v13
	v_cndmask_b32_e32 v14, 0, v11, vcc
	v_mul_f32_e32 v15, 0x3f317217, v13
	v_fma_f32 v15, v13, s28, -v15
	v_fmac_f32_e32 v15, 0x3377d1cf, v13
	v_fmac_f32_e32 v15, 0x3f317217, v13
	v_cmp_lt_f32_e64 vcc, |v13|, s29
	v_cndmask_b32_e32 v13, v13, v15, vcc
	v_sub_f32_e32 v13, v13, v14
	v_bfe_u32 v14, v13, 16, 1
	v_add3_u32 v14, v13, v14, s30
	v_cmp_o_f32_e32 vcc, v13, v13
	v_cndmask_b32_sdwa v15, v12, v14, vcc dst_sel:DWORD dst_unused:UNUSED_PAD src0_sel:DWORD src1_sel:WORD_1
	v_add_co_u32_e32 v13, vcc, s26, v1
	v_addc_co_u32_e32 v14, vcc, 0, v2, vcc
	global_store_short v[13:14], v15, off
	s_branch .LBB176_3
.LBB176_20:
	s_cbranch_execz .LBB176_22
	s_branch .LBB176_25
.LBB176_21:
.LBB176_22:
	v_mov_b32_e32 v1, 0x10000
	v_mov_b32_e32 v2, 0
	v_cmp_lt_i64_e32 vcc, s[14:15], v[1:2]
	v_mov_b32_e32 v2, 0
	s_and_b64 s[0:1], vcc, exec
	s_cselect_b32 s7, s15, 0
	s_cselect_b32 s6, s14, 0x10000
	v_lshlrev_b32_e32 v1, 2, v0
	v_cmp_gt_i64_e32 vcc, s[6:7], v[1:2]
	s_and_saveexec_b64 s[0:1], vcc
	s_cbranch_execz .LBB176_25
; %bb.23:
	s_load_dword s0, s[4:5], 0xd3c
	v_mov_b32_e32 v1, v2
	v_lshlrev_b32_e32 v2, 3, v0
	s_mov_b64 s[4:5], 0
	v_mov_b32_e32 v4, 0x41b17218
	s_waitcnt lgkmcnt(0)
	s_and_b32 s8, s0, 0xffff
	s_add_u32 s0, s10, s12
	s_addc_u32 s1, s11, s13
	v_mov_b32_e32 v3, s1
	v_add_co_u32_e32 v2, vcc, s0, v2
	v_addc_co_u32_e32 v3, vcc, 0, v3, vcc
	s_lshl_b32 s9, s8, 3
	s_mov_b32 s10, 0x800000
	s_mov_b32 s11, 0x3f317217
	s_mov_b32 s12, 0x7f800000
	s_movk_i32 s13, 0x7fff
	v_mov_b32_e32 v5, 0x7fc00000
	v_mov_b32_e32 v6, 0x7fc0
.LBB176_24:                             ; =>This Inner Loop Header: Depth=1
	global_load_dwordx2 v[7:8], v[2:3], off
	v_add_co_u32_e32 v0, vcc, s8, v0
	v_addc_co_u32_e32 v1, vcc, 0, v1, vcc
	v_lshlrev_b64 v[9:10], 2, v[0:1]
	v_cmp_le_i64_e32 vcc, s[6:7], v[9:10]
	s_or_b64 s[4:5], vcc, s[4:5]
	s_waitcnt vmcnt(0)
	v_lshlrev_b32_e32 v10, 16, v7
	v_and_b32_e32 v9, 0xffff0000, v7
	v_cmp_gt_f32_e32 vcc, s10, v10
	v_alignbit_b32 v7, v8, v7, 16
	v_and_b32_e32 v8, 0xffff0000, v8
	v_cndmask_b32_e64 v11, 0, 32, vcc
	v_cmp_gt_f32_e64 s[0:1], s10, v9
	v_cndmask_b32_e64 v12, 0, 32, s[0:1]
	v_cmp_gt_f32_e64 s[2:3], s10, v8
	v_ldexp_f32 v10, v10, v11
	v_cndmask_b32_e64 v13, 0, 32, s[2:3]
	v_ldexp_f32 v9, v9, v12
	v_log_f32_e32 v10, v10
	v_and_b32_e32 v7, 0xffff0000, v7
	v_ldexp_f32 v8, v8, v13
	v_log_f32_e32 v9, v9
	v_cndmask_b32_e32 v11, 0, v4, vcc
	v_cmp_gt_f32_e32 vcc, s10, v7
	v_log_f32_e32 v8, v8
	v_cndmask_b32_e64 v14, 0, 32, vcc
	v_ldexp_f32 v7, v7, v14
	v_mul_f32_e32 v15, 0x3f317217, v10
	v_log_f32_e32 v7, v7
	v_mul_f32_e32 v16, 0x3f317217, v9
	v_fma_f32 v15, v10, s11, -v15
	v_mul_f32_e32 v17, 0x3f317217, v8
	v_fma_f32 v16, v9, s11, -v16
	v_fmac_f32_e32 v15, 0x3377d1cf, v10
	v_cndmask_b32_e32 v14, 0, v4, vcc
	v_fma_f32 v17, v8, s11, -v17
	v_fmac_f32_e32 v16, 0x3377d1cf, v9
	v_fmac_f32_e32 v15, 0x3f317217, v10
	v_cmp_lt_f32_e64 vcc, |v10|, s12
	v_fmac_f32_e32 v17, 0x3377d1cf, v8
	v_fmac_f32_e32 v16, 0x3f317217, v9
	v_cndmask_b32_e32 v10, v10, v15, vcc
	v_cmp_lt_f32_e64 vcc, |v9|, s12
	v_mul_f32_e32 v18, 0x3f317217, v7
	v_fmac_f32_e32 v17, 0x3f317217, v8
	v_cndmask_b32_e32 v9, v9, v16, vcc
	v_cmp_lt_f32_e64 vcc, |v8|, s12
	v_cndmask_b32_e64 v13, 0, v4, s[2:3]
	v_fma_f32 v18, v7, s11, -v18
	v_cndmask_b32_e32 v8, v8, v17, vcc
	v_cndmask_b32_e64 v12, 0, v4, s[0:1]
	v_fmac_f32_e32 v18, 0x3377d1cf, v7
	v_sub_f32_e32 v8, v8, v13
	v_fmac_f32_e32 v18, 0x3f317217, v7
	v_sub_f32_e32 v9, v9, v12
	v_cmp_lt_f32_e64 vcc, |v7|, s12
	v_bfe_u32 v13, v8, 16, 1
	v_sub_f32_e32 v10, v10, v11
	v_cndmask_b32_e32 v7, v7, v18, vcc
	v_bfe_u32 v12, v9, 16, 1
	v_add3_u32 v13, v8, v13, s13
	v_bfe_u32 v11, v10, 16, 1
	v_sub_f32_e32 v7, v7, v14
	v_add3_u32 v12, v9, v12, s13
	v_and_b32_e32 v13, 0xffff0000, v13
	v_cmp_o_f32_e32 vcc, v8, v8
	v_add3_u32 v11, v10, v11, s13
	v_bfe_u32 v14, v7, 16, 1
	v_and_b32_e32 v12, 0xffff0000, v12
	v_cndmask_b32_e32 v8, v5, v13, vcc
	v_cmp_o_f32_e32 vcc, v9, v9
	v_lshrrev_b32_e32 v11, 16, v11
	v_add3_u32 v14, v7, v14, s13
	v_cndmask_b32_e32 v9, v5, v12, vcc
	v_cmp_o_f32_e32 vcc, v10, v10
	v_lshrrev_b32_e32 v14, 16, v14
	v_cndmask_b32_e32 v10, v6, v11, vcc
	v_cmp_o_f32_e32 vcc, v7, v7
	v_cndmask_b32_e32 v7, v6, v14, vcc
	v_or_b32_e32 v9, v10, v9
	v_or3_b32 v8, 0, v7, v8
	v_or3_b32 v7, v9, 0, 0
	global_store_dwordx2 v[2:3], v[7:8], off
	v_add_co_u32_e32 v2, vcc, s9, v2
	v_addc_co_u32_e32 v3, vcc, 0, v3, vcc
	s_andn2_b64 exec, exec, s[4:5]
	s_cbranch_execnz .LBB176_24
.LBB176_25:
	s_endpgm
	.section	.rodata,"a",@progbits
	.p2align	6, 0x0
	.amdhsa_kernel _ZN2at6native12_GLOBAL__N_125multi_tensor_apply_kernelINS1_18TensorListMetadataILi1EEENS1_14UnaryOpFunctorIN3c108BFloat16ELi1ELi1ELi0EEEJNS0_3LogIfEEEEEvT_T0_DpT1_
		.amdhsa_group_segment_fixed_size 0
		.amdhsa_private_segment_fixed_size 0
		.amdhsa_kernarg_size 3632
		.amdhsa_user_sgpr_count 6
		.amdhsa_user_sgpr_private_segment_buffer 1
		.amdhsa_user_sgpr_dispatch_ptr 0
		.amdhsa_user_sgpr_queue_ptr 0
		.amdhsa_user_sgpr_kernarg_segment_ptr 1
		.amdhsa_user_sgpr_dispatch_id 0
		.amdhsa_user_sgpr_flat_scratch_init 0
		.amdhsa_user_sgpr_private_segment_size 0
		.amdhsa_uses_dynamic_stack 0
		.amdhsa_system_sgpr_private_segment_wavefront_offset 0
		.amdhsa_system_sgpr_workgroup_id_x 1
		.amdhsa_system_sgpr_workgroup_id_y 0
		.amdhsa_system_sgpr_workgroup_id_z 0
		.amdhsa_system_sgpr_workgroup_info 0
		.amdhsa_system_vgpr_workitem_id 0
		.amdhsa_next_free_vgpr 19
		.amdhsa_next_free_sgpr 31
		.amdhsa_reserve_vcc 1
		.amdhsa_reserve_flat_scratch 0
		.amdhsa_float_round_mode_32 0
		.amdhsa_float_round_mode_16_64 0
		.amdhsa_float_denorm_mode_32 3
		.amdhsa_float_denorm_mode_16_64 3
		.amdhsa_dx10_clamp 1
		.amdhsa_ieee_mode 1
		.amdhsa_fp16_overflow 0
		.amdhsa_exception_fp_ieee_invalid_op 0
		.amdhsa_exception_fp_denorm_src 0
		.amdhsa_exception_fp_ieee_div_zero 0
		.amdhsa_exception_fp_ieee_overflow 0
		.amdhsa_exception_fp_ieee_underflow 0
		.amdhsa_exception_fp_ieee_inexact 0
		.amdhsa_exception_int_div_zero 0
	.end_amdhsa_kernel
	.section	.text._ZN2at6native12_GLOBAL__N_125multi_tensor_apply_kernelINS1_18TensorListMetadataILi1EEENS1_14UnaryOpFunctorIN3c108BFloat16ELi1ELi1ELi0EEEJNS0_3LogIfEEEEEvT_T0_DpT1_,"axG",@progbits,_ZN2at6native12_GLOBAL__N_125multi_tensor_apply_kernelINS1_18TensorListMetadataILi1EEENS1_14UnaryOpFunctorIN3c108BFloat16ELi1ELi1ELi0EEEJNS0_3LogIfEEEEEvT_T0_DpT1_,comdat
.Lfunc_end176:
	.size	_ZN2at6native12_GLOBAL__N_125multi_tensor_apply_kernelINS1_18TensorListMetadataILi1EEENS1_14UnaryOpFunctorIN3c108BFloat16ELi1ELi1ELi0EEEJNS0_3LogIfEEEEEvT_T0_DpT1_, .Lfunc_end176-_ZN2at6native12_GLOBAL__N_125multi_tensor_apply_kernelINS1_18TensorListMetadataILi1EEENS1_14UnaryOpFunctorIN3c108BFloat16ELi1ELi1ELi0EEEJNS0_3LogIfEEEEEvT_T0_DpT1_
                                        ; -- End function
	.set _ZN2at6native12_GLOBAL__N_125multi_tensor_apply_kernelINS1_18TensorListMetadataILi1EEENS1_14UnaryOpFunctorIN3c108BFloat16ELi1ELi1ELi0EEEJNS0_3LogIfEEEEEvT_T0_DpT1_.num_vgpr, 19
	.set _ZN2at6native12_GLOBAL__N_125multi_tensor_apply_kernelINS1_18TensorListMetadataILi1EEENS1_14UnaryOpFunctorIN3c108BFloat16ELi1ELi1ELi0EEEJNS0_3LogIfEEEEEvT_T0_DpT1_.num_agpr, 0
	.set _ZN2at6native12_GLOBAL__N_125multi_tensor_apply_kernelINS1_18TensorListMetadataILi1EEENS1_14UnaryOpFunctorIN3c108BFloat16ELi1ELi1ELi0EEEJNS0_3LogIfEEEEEvT_T0_DpT1_.numbered_sgpr, 31
	.set _ZN2at6native12_GLOBAL__N_125multi_tensor_apply_kernelINS1_18TensorListMetadataILi1EEENS1_14UnaryOpFunctorIN3c108BFloat16ELi1ELi1ELi0EEEJNS0_3LogIfEEEEEvT_T0_DpT1_.num_named_barrier, 0
	.set _ZN2at6native12_GLOBAL__N_125multi_tensor_apply_kernelINS1_18TensorListMetadataILi1EEENS1_14UnaryOpFunctorIN3c108BFloat16ELi1ELi1ELi0EEEJNS0_3LogIfEEEEEvT_T0_DpT1_.private_seg_size, 0
	.set _ZN2at6native12_GLOBAL__N_125multi_tensor_apply_kernelINS1_18TensorListMetadataILi1EEENS1_14UnaryOpFunctorIN3c108BFloat16ELi1ELi1ELi0EEEJNS0_3LogIfEEEEEvT_T0_DpT1_.uses_vcc, 1
	.set _ZN2at6native12_GLOBAL__N_125multi_tensor_apply_kernelINS1_18TensorListMetadataILi1EEENS1_14UnaryOpFunctorIN3c108BFloat16ELi1ELi1ELi0EEEJNS0_3LogIfEEEEEvT_T0_DpT1_.uses_flat_scratch, 0
	.set _ZN2at6native12_GLOBAL__N_125multi_tensor_apply_kernelINS1_18TensorListMetadataILi1EEENS1_14UnaryOpFunctorIN3c108BFloat16ELi1ELi1ELi0EEEJNS0_3LogIfEEEEEvT_T0_DpT1_.has_dyn_sized_stack, 0
	.set _ZN2at6native12_GLOBAL__N_125multi_tensor_apply_kernelINS1_18TensorListMetadataILi1EEENS1_14UnaryOpFunctorIN3c108BFloat16ELi1ELi1ELi0EEEJNS0_3LogIfEEEEEvT_T0_DpT1_.has_recursion, 0
	.set _ZN2at6native12_GLOBAL__N_125multi_tensor_apply_kernelINS1_18TensorListMetadataILi1EEENS1_14UnaryOpFunctorIN3c108BFloat16ELi1ELi1ELi0EEEJNS0_3LogIfEEEEEvT_T0_DpT1_.has_indirect_call, 0
	.section	.AMDGPU.csdata,"",@progbits
; Kernel info:
; codeLenInByte = 1964
; TotalNumSgprs: 35
; NumVgprs: 19
; ScratchSize: 0
; MemoryBound: 0
; FloatMode: 240
; IeeeMode: 1
; LDSByteSize: 0 bytes/workgroup (compile time only)
; SGPRBlocks: 4
; VGPRBlocks: 4
; NumSGPRsForWavesPerEU: 35
; NumVGPRsForWavesPerEU: 19
; Occupancy: 10
; WaveLimiterHint : 0
; COMPUTE_PGM_RSRC2:SCRATCH_EN: 0
; COMPUTE_PGM_RSRC2:USER_SGPR: 6
; COMPUTE_PGM_RSRC2:TRAP_HANDLER: 0
; COMPUTE_PGM_RSRC2:TGID_X_EN: 1
; COMPUTE_PGM_RSRC2:TGID_Y_EN: 0
; COMPUTE_PGM_RSRC2:TGID_Z_EN: 0
; COMPUTE_PGM_RSRC2:TIDIG_COMP_CNT: 0
	.section	.text._ZN2at6native12_GLOBAL__N_125multi_tensor_apply_kernelINS1_18TensorListMetadataILi2EEENS1_14UnaryOpFunctorIdLi2ELi1ELi1EEEJNS0_5Log10IdEEEEEvT_T0_DpT1_,"axG",@progbits,_ZN2at6native12_GLOBAL__N_125multi_tensor_apply_kernelINS1_18TensorListMetadataILi2EEENS1_14UnaryOpFunctorIdLi2ELi1ELi1EEEJNS0_5Log10IdEEEEEvT_T0_DpT1_,comdat
	.globl	_ZN2at6native12_GLOBAL__N_125multi_tensor_apply_kernelINS1_18TensorListMetadataILi2EEENS1_14UnaryOpFunctorIdLi2ELi1ELi1EEEJNS0_5Log10IdEEEEEvT_T0_DpT1_ ; -- Begin function _ZN2at6native12_GLOBAL__N_125multi_tensor_apply_kernelINS1_18TensorListMetadataILi2EEENS1_14UnaryOpFunctorIdLi2ELi1ELi1EEEJNS0_5Log10IdEEEEEvT_T0_DpT1_
	.p2align	8
	.type	_ZN2at6native12_GLOBAL__N_125multi_tensor_apply_kernelINS1_18TensorListMetadataILi2EEENS1_14UnaryOpFunctorIdLi2ELi1ELi1EEEJNS0_5Log10IdEEEEEvT_T0_DpT1_,@function
_ZN2at6native12_GLOBAL__N_125multi_tensor_apply_kernelINS1_18TensorListMetadataILi2EEENS1_14UnaryOpFunctorIdLi2ELi1ELi1EEEJNS0_5Log10IdEEEEEvT_T0_DpT1_: ; @_ZN2at6native12_GLOBAL__N_125multi_tensor_apply_kernelINS1_18TensorListMetadataILi2EEENS1_14UnaryOpFunctorIdLi2ELi1ELi1EEEJNS0_5Log10IdEEEEEvT_T0_DpT1_
; %bb.0:
	v_mov_b32_e32 v1, s6
	global_load_ubyte v1, v1, s[4:5] offset:1536
	s_add_u32 s0, s4, s6
	s_mul_hi_u32 s1, s6, 3
	s_mul_i32 s6, s6, 3
	s_addc_u32 s2, s5, 0
	s_add_u32 s0, s0, s6
	s_addc_u32 s1, s2, s1
	s_load_dword s6, s[0:1], 0x740
	s_mov_b32 s9, 0
	s_mov_b32 s11, s9
	s_waitcnt vmcnt(0)
	v_readfirstlane_b32 s0, v1
	s_lshl_b32 s7, s0, 3
	s_load_dwordx2 s[12:13], s[4:5], s7 offset:0x400
	s_load_dwordx2 s[2:3], s[4:5], s7 offset:0x0
	;; [unrolled: 1-line block ×3, first 2 shown]
	s_waitcnt lgkmcnt(0)
	s_ashr_i32 s7, s6, 31
	s_lshl_b64 s[14:15], s[6:7], 19
	s_lshl_b64 s[6:7], s[6:7], 16
	s_add_u32 s8, s2, s14
	s_and_b32 s10, s0, 31
	s_and_b32 s8, s8, 31
	s_sub_u32 s6, s12, s6
	s_subb_u32 s7, s13, s7
	s_and_b32 s12, s12, 3
	s_mov_b32 s13, s9
	s_or_b64 s[10:11], s[10:11], s[12:13]
	s_or_b64 s[8:9], s[10:11], s[8:9]
	s_cmp_eq_u64 s[8:9], 0
	s_mov_b64 s[8:9], -1
	s_cbranch_scc0 .LBB177_5
; %bb.1:
	v_mov_b32_e32 v1, 0x10000
	v_mov_b32_e32 v2, 0
	v_cmp_lt_i64_e32 vcc, s[6:7], v[1:2]
	v_mov_b32_e32 v2, 0
	s_and_b64 s[8:9], vcc, exec
	s_cselect_b32 s9, s7, 0
	s_cselect_b32 s8, s6, 0x10000
	v_lshlrev_b32_e32 v1, 2, v0
	v_cmp_gt_i64_e32 vcc, s[8:9], v[1:2]
	s_and_saveexec_b64 s[10:11], vcc
	s_cbranch_execz .LBB177_4
; %bb.2:
	s_load_dword s12, s[4:5], 0xc5c
	s_mov_b32 s20, 0x6b47b09a
	v_mov_b32_e32 v1, v2
	v_lshlrev_b32_e32 v2, 5, v0
	s_mov_b32 s16, 0x55555555
	s_mov_b32 s21, 0x3fc38538
	v_mov_b32_e32 v9, s20
	v_mov_b32_e32 v3, s15
	s_waitcnt lgkmcnt(0)
	s_and_b32 s33, s12, 0xffff
	v_add_co_u32_e32 v13, vcc, s14, v2
	s_mov_b32 s17, 0x3fe55555
	s_mov_b32 s18, 0xbf559e2b
	v_mov_b32_e32 v10, s21
	s_mov_b32 s20, 0xd7f4df2e
	s_mov_b32 s22, 0x16291751
	;; [unrolled: 1-line block ×8, first 2 shown]
	v_mov_b32_e32 v12, v1
	v_addc_co_u32_e32 v14, vcc, 0, v3, vcc
	s_lshl_b32 s40, s33, 5
	s_mov_b64 s[12:13], 0
	v_mov_b32_e32 v15, s3
	s_mov_b32 s19, 0x3fc3ab76
	s_mov_b32 s21, 0x3fc7474d
	s_mov_b32 s23, 0x3fcc71c0
	s_mov_b32 s25, 0x3fd24924
	s_mov_b32 s27, 0x3fd99999
	s_mov_b32 s28, 0x55555780
	s_mov_b32 s29, s17
	s_mov_b32 s31, 0x3fd34413
	s_mov_b32 s35, 0xbc49dc1d
	s_mov_b32 s37, 0x3fdbcb7b
	s_mov_b32 s39, 0x3c695355
	s_movk_i32 s41, 0x204
	v_mov_b32_e32 v16, 0x7ff80000
	v_mov_b32_e32 v17, 0xfff00000
	v_mov_b32_e32 v18, s1
	v_mov_b32_e32 v11, v0
.LBB177_3:                              ; =>This Inner Loop Header: Depth=1
	v_add_co_u32_e32 v5, vcc, s2, v13
	v_addc_co_u32_e32 v6, vcc, v15, v14, vcc
	global_load_dwordx4 v[1:4], v[5:6], off offset:16
	global_load_dwordx4 v[19:22], v[5:6], off
	s_waitcnt vmcnt(0)
	v_frexp_mant_f64_e32 v[5:6], v[19:20]
	v_frexp_exp_i32_f64_e32 v7, v[19:20]
	v_cmp_gt_f64_e32 vcc, s[16:17], v[5:6]
	v_cndmask_b32_e64 v8, 0, 1, vcc
	v_ldexp_f64 v[5:6], v[5:6], v8
	v_subbrev_co_u32_e32 v33, vcc, 0, v7, vcc
	v_cmp_class_f64_e64 vcc, v[19:20], s41
	v_add_f64 v[23:24], v[5:6], 1.0
	v_add_f64 v[7:8], v[5:6], -1.0
	v_add_f64 v[25:26], v[23:24], -1.0
	v_add_f64 v[5:6], v[5:6], -v[25:26]
	v_rcp_f64_e32 v[25:26], v[23:24]
	v_fma_f64 v[27:28], -v[23:24], v[25:26], 1.0
	v_fma_f64 v[25:26], v[27:28], v[25:26], v[25:26]
	v_fma_f64 v[27:28], -v[23:24], v[25:26], 1.0
	v_fma_f64 v[25:26], v[27:28], v[25:26], v[25:26]
	v_mul_f64 v[27:28], v[7:8], v[25:26]
	v_mul_f64 v[29:30], v[23:24], v[27:28]
	v_fma_f64 v[23:24], v[27:28], v[23:24], -v[29:30]
	v_fma_f64 v[5:6], v[27:28], v[5:6], v[23:24]
	v_add_f64 v[23:24], v[29:30], v[5:6]
	v_add_f64 v[31:32], v[7:8], -v[23:24]
	v_add_f64 v[29:30], v[23:24], -v[29:30]
	;; [unrolled: 1-line block ×5, first 2 shown]
	v_add_f64 v[5:6], v[5:6], v[7:8]
	v_add_f64 v[5:6], v[31:32], v[5:6]
	v_mul_f64 v[5:6], v[25:26], v[5:6]
	v_add_f64 v[7:8], v[27:28], v[5:6]
	v_add_f64 v[23:24], v[7:8], -v[27:28]
	v_ldexp_f64 v[27:28], v[7:8], 1
	v_add_f64 v[5:6], v[5:6], -v[23:24]
	v_mul_f64 v[23:24], v[7:8], v[7:8]
	v_ldexp_f64 v[5:6], v[5:6], 1
	v_fma_f64 v[25:26], v[23:24], s[18:19], v[9:10]
	v_mul_f64 v[7:8], v[7:8], v[23:24]
	v_fma_f64 v[25:26], v[23:24], v[25:26], s[20:21]
	v_fma_f64 v[25:26], v[23:24], v[25:26], s[22:23]
	;; [unrolled: 1-line block ×5, first 2 shown]
	v_mul_f64 v[7:8], v[7:8], v[25:26]
	v_add_f64 v[23:24], v[27:28], v[7:8]
	v_add_f64 v[25:26], v[23:24], -v[27:28]
	v_add_f64 v[7:8], v[7:8], -v[25:26]
	v_add_f64 v[5:6], v[5:6], v[7:8]
	v_add_f64 v[7:8], v[23:24], v[5:6]
	v_add_f64 v[23:24], v[7:8], -v[23:24]
	v_add_f64 v[5:6], v[5:6], -v[23:24]
	v_cvt_f64_i32_e32 v[23:24], v33
	v_mul_f64 v[25:26], v[23:24], s[30:31]
	v_fma_f64 v[27:28], v[23:24], s[30:31], -v[25:26]
	v_fma_f64 v[23:24], v[23:24], s[34:35], v[27:28]
	v_add_f64 v[27:28], v[25:26], v[23:24]
	v_add_f64 v[25:26], v[27:28], -v[25:26]
	v_add_f64 v[23:24], v[23:24], -v[25:26]
	v_mul_f64 v[25:26], v[7:8], s[36:37]
	v_fma_f64 v[29:30], v[7:8], s[36:37], -v[25:26]
	v_fma_f64 v[5:6], v[5:6], s[36:37], v[29:30]
	v_fma_f64 v[5:6], v[7:8], s[38:39], v[5:6]
	v_add_f64 v[7:8], v[25:26], v[5:6]
	v_add_f64 v[25:26], v[7:8], -v[25:26]
	v_add_f64 v[5:6], v[5:6], -v[25:26]
	v_add_f64 v[25:26], v[27:28], v[7:8]
	v_add_f64 v[29:30], v[25:26], -v[27:28]
	v_add_f64 v[31:32], v[25:26], -v[29:30]
	;; [unrolled: 1-line block ×4, first 2 shown]
	v_add_f64 v[7:8], v[7:8], v[27:28]
	v_add_f64 v[27:28], v[23:24], v[5:6]
	v_add_f64 v[29:30], v[27:28], -v[23:24]
	v_add_f64 v[7:8], v[27:28], v[7:8]
	v_add_f64 v[31:32], v[27:28], -v[29:30]
	v_add_f64 v[5:6], v[5:6], -v[29:30]
	;; [unrolled: 1-line block ×3, first 2 shown]
	v_add_f64 v[5:6], v[5:6], v[23:24]
	v_add_f64 v[23:24], v[25:26], v[7:8]
	v_add_f64 v[25:26], v[23:24], -v[25:26]
	v_add_f64 v[7:8], v[7:8], -v[25:26]
	v_add_f64 v[5:6], v[5:6], v[7:8]
	v_frexp_mant_f64_e32 v[7:8], v[21:22]
	v_add_f64 v[5:6], v[23:24], v[5:6]
	v_cndmask_b32_e32 v5, v5, v19, vcc
	v_cndmask_b32_e32 v6, v6, v20, vcc
	v_cmp_ngt_f64_e32 vcc, 0, v[19:20]
	v_cndmask_b32_e32 v6, v16, v6, vcc
	v_cmp_nge_f64_e32 vcc, 0, v[19:20]
	v_cndmask_b32_e32 v5, 0, v5, vcc
	v_cmp_neq_f64_e32 vcc, 0, v[19:20]
	v_frexp_exp_i32_f64_e32 v19, v[21:22]
	v_cndmask_b32_e32 v6, v17, v6, vcc
	v_cmp_gt_f64_e32 vcc, s[16:17], v[7:8]
	v_cndmask_b32_e64 v20, 0, 1, vcc
	v_ldexp_f64 v[7:8], v[7:8], v20
	v_subbrev_co_u32_e32 v33, vcc, 0, v19, vcc
	v_cmp_class_f64_e64 vcc, v[21:22], s41
	v_add_f64 v[23:24], v[7:8], 1.0
	v_add_f64 v[19:20], v[7:8], -1.0
	v_add_f64 v[25:26], v[23:24], -1.0
	v_add_f64 v[7:8], v[7:8], -v[25:26]
	v_rcp_f64_e32 v[25:26], v[23:24]
	v_fma_f64 v[27:28], -v[23:24], v[25:26], 1.0
	v_fma_f64 v[25:26], v[27:28], v[25:26], v[25:26]
	v_fma_f64 v[27:28], -v[23:24], v[25:26], 1.0
	v_fma_f64 v[25:26], v[27:28], v[25:26], v[25:26]
	v_mul_f64 v[27:28], v[19:20], v[25:26]
	v_mul_f64 v[29:30], v[23:24], v[27:28]
	v_fma_f64 v[23:24], v[27:28], v[23:24], -v[29:30]
	v_fma_f64 v[7:8], v[27:28], v[7:8], v[23:24]
	v_add_f64 v[23:24], v[29:30], v[7:8]
	v_add_f64 v[31:32], v[19:20], -v[23:24]
	v_add_f64 v[29:30], v[23:24], -v[29:30]
	;; [unrolled: 1-line block ×5, first 2 shown]
	v_add_f64 v[7:8], v[7:8], v[19:20]
	v_add_f64 v[7:8], v[31:32], v[7:8]
	v_mul_f64 v[7:8], v[25:26], v[7:8]
	v_add_f64 v[19:20], v[27:28], v[7:8]
	v_add_f64 v[23:24], v[19:20], -v[27:28]
	v_ldexp_f64 v[27:28], v[19:20], 1
	v_add_f64 v[7:8], v[7:8], -v[23:24]
	v_mul_f64 v[23:24], v[19:20], v[19:20]
	v_ldexp_f64 v[7:8], v[7:8], 1
	v_fma_f64 v[25:26], v[23:24], s[18:19], v[9:10]
	v_mul_f64 v[19:20], v[19:20], v[23:24]
	v_fma_f64 v[25:26], v[23:24], v[25:26], s[20:21]
	v_fma_f64 v[25:26], v[23:24], v[25:26], s[22:23]
	;; [unrolled: 1-line block ×5, first 2 shown]
	v_mul_f64 v[19:20], v[19:20], v[25:26]
	v_add_f64 v[23:24], v[27:28], v[19:20]
	v_add_f64 v[25:26], v[23:24], -v[27:28]
	v_add_f64 v[19:20], v[19:20], -v[25:26]
	v_add_f64 v[7:8], v[7:8], v[19:20]
	v_add_f64 v[19:20], v[23:24], v[7:8]
	v_add_f64 v[23:24], v[19:20], -v[23:24]
	v_add_f64 v[7:8], v[7:8], -v[23:24]
	v_cvt_f64_i32_e32 v[23:24], v33
	v_mul_f64 v[25:26], v[23:24], s[30:31]
	v_fma_f64 v[27:28], v[23:24], s[30:31], -v[25:26]
	v_fma_f64 v[23:24], v[23:24], s[34:35], v[27:28]
	v_add_f64 v[27:28], v[25:26], v[23:24]
	v_add_f64 v[25:26], v[27:28], -v[25:26]
	v_add_f64 v[23:24], v[23:24], -v[25:26]
	v_mul_f64 v[25:26], v[19:20], s[36:37]
	v_fma_f64 v[29:30], v[19:20], s[36:37], -v[25:26]
	v_fma_f64 v[7:8], v[7:8], s[36:37], v[29:30]
	v_fma_f64 v[7:8], v[19:20], s[38:39], v[7:8]
	v_add_f64 v[19:20], v[25:26], v[7:8]
	v_add_f64 v[25:26], v[19:20], -v[25:26]
	v_add_f64 v[7:8], v[7:8], -v[25:26]
	v_add_f64 v[25:26], v[27:28], v[19:20]
	v_add_f64 v[29:30], v[25:26], -v[27:28]
	v_add_f64 v[31:32], v[25:26], -v[29:30]
	;; [unrolled: 1-line block ×4, first 2 shown]
	v_add_f64 v[19:20], v[19:20], v[27:28]
	v_add_f64 v[27:28], v[23:24], v[7:8]
	v_add_f64 v[29:30], v[27:28], -v[23:24]
	v_add_f64 v[19:20], v[27:28], v[19:20]
	v_add_f64 v[31:32], v[27:28], -v[29:30]
	v_add_f64 v[7:8], v[7:8], -v[29:30]
	;; [unrolled: 1-line block ×3, first 2 shown]
	v_add_f64 v[7:8], v[7:8], v[23:24]
	v_add_f64 v[23:24], v[25:26], v[19:20]
	v_add_f64 v[25:26], v[23:24], -v[25:26]
	v_add_f64 v[19:20], v[19:20], -v[25:26]
	v_add_f64 v[7:8], v[7:8], v[19:20]
	v_frexp_mant_f64_e32 v[19:20], v[1:2]
	v_add_f64 v[7:8], v[23:24], v[7:8]
	v_cndmask_b32_e32 v7, v7, v21, vcc
	v_cndmask_b32_e32 v8, v8, v22, vcc
	v_cmp_ngt_f64_e32 vcc, 0, v[21:22]
	v_cndmask_b32_e32 v8, v16, v8, vcc
	v_cmp_nge_f64_e32 vcc, 0, v[21:22]
	v_cndmask_b32_e32 v7, 0, v7, vcc
	v_cmp_neq_f64_e32 vcc, 0, v[21:22]
	v_frexp_exp_i32_f64_e32 v21, v[1:2]
	v_cndmask_b32_e32 v8, v17, v8, vcc
	v_cmp_gt_f64_e32 vcc, s[16:17], v[19:20]
	v_cndmask_b32_e64 v22, 0, 1, vcc
	v_ldexp_f64 v[19:20], v[19:20], v22
	v_subbrev_co_u32_e32 v33, vcc, 0, v21, vcc
	v_cmp_class_f64_e64 vcc, v[1:2], s41
	v_add_f64 v[23:24], v[19:20], 1.0
	v_add_f64 v[21:22], v[19:20], -1.0
	v_add_f64 v[25:26], v[23:24], -1.0
	v_add_f64 v[19:20], v[19:20], -v[25:26]
	v_rcp_f64_e32 v[25:26], v[23:24]
	v_fma_f64 v[27:28], -v[23:24], v[25:26], 1.0
	v_fma_f64 v[25:26], v[27:28], v[25:26], v[25:26]
	v_fma_f64 v[27:28], -v[23:24], v[25:26], 1.0
	v_fma_f64 v[25:26], v[27:28], v[25:26], v[25:26]
	v_mul_f64 v[27:28], v[21:22], v[25:26]
	v_mul_f64 v[29:30], v[23:24], v[27:28]
	v_fma_f64 v[23:24], v[27:28], v[23:24], -v[29:30]
	v_fma_f64 v[19:20], v[27:28], v[19:20], v[23:24]
	v_add_f64 v[23:24], v[29:30], v[19:20]
	v_add_f64 v[31:32], v[21:22], -v[23:24]
	v_add_f64 v[29:30], v[23:24], -v[29:30]
	;; [unrolled: 1-line block ×5, first 2 shown]
	v_add_f64 v[19:20], v[19:20], v[21:22]
	v_add_f64 v[19:20], v[31:32], v[19:20]
	v_mul_f64 v[19:20], v[25:26], v[19:20]
	v_add_f64 v[21:22], v[27:28], v[19:20]
	v_add_f64 v[23:24], v[21:22], -v[27:28]
	v_ldexp_f64 v[27:28], v[21:22], 1
	v_add_f64 v[19:20], v[19:20], -v[23:24]
	v_mul_f64 v[23:24], v[21:22], v[21:22]
	v_ldexp_f64 v[19:20], v[19:20], 1
	v_fma_f64 v[25:26], v[23:24], s[18:19], v[9:10]
	v_mul_f64 v[21:22], v[21:22], v[23:24]
	v_fma_f64 v[25:26], v[23:24], v[25:26], s[20:21]
	v_fma_f64 v[25:26], v[23:24], v[25:26], s[22:23]
	;; [unrolled: 1-line block ×5, first 2 shown]
	v_mul_f64 v[21:22], v[21:22], v[25:26]
	v_add_f64 v[23:24], v[27:28], v[21:22]
	v_add_f64 v[25:26], v[23:24], -v[27:28]
	v_add_f64 v[21:22], v[21:22], -v[25:26]
	v_add_f64 v[19:20], v[19:20], v[21:22]
	v_add_f64 v[21:22], v[23:24], v[19:20]
	v_add_f64 v[23:24], v[21:22], -v[23:24]
	v_add_f64 v[19:20], v[19:20], -v[23:24]
	v_cvt_f64_i32_e32 v[23:24], v33
	v_mul_f64 v[25:26], v[23:24], s[30:31]
	v_fma_f64 v[27:28], v[23:24], s[30:31], -v[25:26]
	v_fma_f64 v[23:24], v[23:24], s[34:35], v[27:28]
	v_add_f64 v[27:28], v[25:26], v[23:24]
	v_add_f64 v[25:26], v[27:28], -v[25:26]
	v_add_f64 v[23:24], v[23:24], -v[25:26]
	v_mul_f64 v[25:26], v[21:22], s[36:37]
	v_fma_f64 v[29:30], v[21:22], s[36:37], -v[25:26]
	v_fma_f64 v[19:20], v[19:20], s[36:37], v[29:30]
	v_fma_f64 v[19:20], v[21:22], s[38:39], v[19:20]
	v_add_f64 v[21:22], v[25:26], v[19:20]
	v_add_f64 v[25:26], v[21:22], -v[25:26]
	v_add_f64 v[19:20], v[19:20], -v[25:26]
	v_add_f64 v[25:26], v[27:28], v[21:22]
	v_add_f64 v[29:30], v[25:26], -v[27:28]
	v_add_f64 v[31:32], v[25:26], -v[29:30]
	;; [unrolled: 1-line block ×4, first 2 shown]
	v_add_f64 v[21:22], v[21:22], v[27:28]
	v_add_f64 v[27:28], v[23:24], v[19:20]
	v_add_f64 v[29:30], v[27:28], -v[23:24]
	v_add_f64 v[21:22], v[27:28], v[21:22]
	v_add_f64 v[31:32], v[27:28], -v[29:30]
	v_add_f64 v[19:20], v[19:20], -v[29:30]
	;; [unrolled: 1-line block ×3, first 2 shown]
	v_add_f64 v[19:20], v[19:20], v[23:24]
	v_add_f64 v[23:24], v[25:26], v[21:22]
	v_add_f64 v[25:26], v[23:24], -v[25:26]
	v_add_f64 v[21:22], v[21:22], -v[25:26]
	v_add_f64 v[19:20], v[19:20], v[21:22]
	v_frexp_exp_i32_f64_e32 v21, v[3:4]
	v_add_f64 v[19:20], v[23:24], v[19:20]
	v_cndmask_b32_e32 v19, v19, v1, vcc
	v_cndmask_b32_e32 v20, v20, v2, vcc
	v_cmp_ngt_f64_e32 vcc, 0, v[1:2]
	v_cndmask_b32_e32 v20, v16, v20, vcc
	v_cmp_nge_f64_e32 vcc, 0, v[1:2]
	v_cndmask_b32_e32 v19, 0, v19, vcc
	v_cmp_neq_f64_e32 vcc, 0, v[1:2]
	v_frexp_mant_f64_e32 v[1:2], v[3:4]
	v_cndmask_b32_e32 v20, v17, v20, vcc
	v_cmp_gt_f64_e32 vcc, s[16:17], v[1:2]
	v_cndmask_b32_e64 v22, 0, 1, vcc
	v_ldexp_f64 v[1:2], v[1:2], v22
	v_subbrev_co_u32_e32 v33, vcc, 0, v21, vcc
	v_cmp_class_f64_e64 vcc, v[3:4], s41
	v_add_f64 v[23:24], v[1:2], 1.0
	v_add_f64 v[21:22], v[1:2], -1.0
	v_add_f64 v[25:26], v[23:24], -1.0
	v_add_f64 v[1:2], v[1:2], -v[25:26]
	v_rcp_f64_e32 v[25:26], v[23:24]
	v_fma_f64 v[27:28], -v[23:24], v[25:26], 1.0
	v_fma_f64 v[25:26], v[27:28], v[25:26], v[25:26]
	v_fma_f64 v[27:28], -v[23:24], v[25:26], 1.0
	v_fma_f64 v[25:26], v[27:28], v[25:26], v[25:26]
	v_mul_f64 v[27:28], v[21:22], v[25:26]
	v_mul_f64 v[29:30], v[23:24], v[27:28]
	v_fma_f64 v[23:24], v[27:28], v[23:24], -v[29:30]
	v_fma_f64 v[1:2], v[27:28], v[1:2], v[23:24]
	v_add_f64 v[23:24], v[29:30], v[1:2]
	v_add_f64 v[31:32], v[21:22], -v[23:24]
	v_add_f64 v[29:30], v[23:24], -v[29:30]
	v_add_f64 v[21:22], v[21:22], -v[31:32]
	v_add_f64 v[1:2], v[29:30], -v[1:2]
	v_add_f64 v[21:22], v[21:22], -v[23:24]
	v_add_f64 v[1:2], v[1:2], v[21:22]
	v_add_f64 v[1:2], v[31:32], v[1:2]
	v_mul_f64 v[1:2], v[25:26], v[1:2]
	v_add_f64 v[21:22], v[27:28], v[1:2]
	v_add_f64 v[23:24], v[21:22], -v[27:28]
	v_ldexp_f64 v[27:28], v[21:22], 1
	v_add_f64 v[1:2], v[1:2], -v[23:24]
	v_mul_f64 v[23:24], v[21:22], v[21:22]
	v_ldexp_f64 v[1:2], v[1:2], 1
	v_fma_f64 v[25:26], v[23:24], s[18:19], v[9:10]
	v_mul_f64 v[21:22], v[21:22], v[23:24]
	v_fma_f64 v[25:26], v[23:24], v[25:26], s[20:21]
	v_fma_f64 v[25:26], v[23:24], v[25:26], s[22:23]
	;; [unrolled: 1-line block ×5, first 2 shown]
	v_mul_f64 v[21:22], v[21:22], v[25:26]
	v_add_f64 v[23:24], v[27:28], v[21:22]
	v_add_f64 v[25:26], v[23:24], -v[27:28]
	v_add_f64 v[21:22], v[21:22], -v[25:26]
	v_add_f64 v[1:2], v[1:2], v[21:22]
	v_add_f64 v[21:22], v[23:24], v[1:2]
	v_add_f64 v[23:24], v[21:22], -v[23:24]
	v_add_f64 v[1:2], v[1:2], -v[23:24]
	v_cvt_f64_i32_e32 v[23:24], v33
	v_mul_f64 v[25:26], v[23:24], s[30:31]
	v_fma_f64 v[27:28], v[23:24], s[30:31], -v[25:26]
	v_fma_f64 v[23:24], v[23:24], s[34:35], v[27:28]
	v_add_f64 v[27:28], v[25:26], v[23:24]
	v_add_f64 v[25:26], v[27:28], -v[25:26]
	v_add_f64 v[23:24], v[23:24], -v[25:26]
	v_mul_f64 v[25:26], v[21:22], s[36:37]
	v_fma_f64 v[29:30], v[21:22], s[36:37], -v[25:26]
	v_fma_f64 v[1:2], v[1:2], s[36:37], v[29:30]
	v_fma_f64 v[1:2], v[21:22], s[38:39], v[1:2]
	v_add_f64 v[21:22], v[25:26], v[1:2]
	v_add_f64 v[25:26], v[21:22], -v[25:26]
	v_add_f64 v[1:2], v[1:2], -v[25:26]
	v_add_f64 v[25:26], v[27:28], v[21:22]
	v_add_f64 v[29:30], v[25:26], -v[27:28]
	v_add_f64 v[31:32], v[25:26], -v[29:30]
	;; [unrolled: 1-line block ×4, first 2 shown]
	v_add_f64 v[21:22], v[21:22], v[27:28]
	v_add_f64 v[27:28], v[23:24], v[1:2]
	v_add_f64 v[29:30], v[27:28], -v[23:24]
	v_add_f64 v[21:22], v[27:28], v[21:22]
	v_add_f64 v[31:32], v[27:28], -v[29:30]
	v_add_f64 v[1:2], v[1:2], -v[29:30]
	;; [unrolled: 1-line block ×3, first 2 shown]
	v_add_f64 v[1:2], v[1:2], v[23:24]
	v_add_f64 v[23:24], v[25:26], v[21:22]
	v_add_f64 v[25:26], v[23:24], -v[25:26]
	v_add_f64 v[21:22], v[21:22], -v[25:26]
	v_add_f64 v[1:2], v[1:2], v[21:22]
	v_add_f64 v[1:2], v[23:24], v[1:2]
	v_cndmask_b32_e32 v1, v1, v3, vcc
	v_cndmask_b32_e32 v2, v2, v4, vcc
	v_cmp_ngt_f64_e32 vcc, 0, v[3:4]
	v_cndmask_b32_e32 v2, v16, v2, vcc
	v_cmp_nge_f64_e32 vcc, 0, v[3:4]
	v_cndmask_b32_e32 v21, 0, v1, vcc
	v_cmp_neq_f64_e32 vcc, 0, v[3:4]
	v_cndmask_b32_e32 v22, v17, v2, vcc
	v_add_co_u32_e32 v1, vcc, s0, v13
	v_addc_co_u32_e32 v2, vcc, v18, v14, vcc
	v_add_co_u32_e32 v11, vcc, s33, v11
	v_addc_co_u32_e32 v12, vcc, 0, v12, vcc
	global_store_dwordx4 v[1:2], v[5:8], off
	global_store_dwordx4 v[1:2], v[19:22], off offset:16
	v_lshlrev_b64 v[1:2], 2, v[11:12]
	v_add_co_u32_e32 v13, vcc, s40, v13
	v_addc_co_u32_e32 v14, vcc, 0, v14, vcc
	v_cmp_le_i64_e32 vcc, s[8:9], v[1:2]
	s_or_b64 s[12:13], vcc, s[12:13]
	s_andn2_b64 exec, exec, s[12:13]
	s_cbranch_execnz .LBB177_3
.LBB177_4:
	s_or_b64 exec, exec, s[10:11]
	s_mov_b64 s[8:9], 0
.LBB177_5:
	s_andn2_b64 vcc, exec, s[8:9]
	s_cbranch_vccnz .LBB177_25
; %bb.6:
	v_cmp_lt_i64_e64 s[8:9], s[6:7], 1
	s_and_b64 vcc, exec, s[8:9]
	s_cbranch_vccnz .LBB177_25
; %bb.7:
	v_mov_b32_e32 v1, 0x10000
	s_load_dword s8, s[4:5], 0xc5c
	v_mov_b32_e32 v2, 0
	v_cmp_lt_i64_e32 vcc, s[6:7], v[1:2]
	v_mov_b32_e32 v3, 0
	s_and_b64 s[4:5], vcc, exec
	v_cmp_lt_u64_e32 vcc, s[6:7], v[1:2]
	s_cselect_b32 s17, s7, 0
	s_cselect_b32 s16, s6, 0x10000
	s_waitcnt lgkmcnt(0)
	s_and_b32 s8, s8, 0xffff
	v_lshlrev_b32_e32 v2, 3, v0
	s_and_b64 s[4:5], vcc, exec
	v_mov_b32_e32 v1, s3
	v_add_co_u32_e32 v11, vcc, s2, v2
	v_mad_u64_u32 v[3:4], s[4:5], s8, 24, v[2:3]
	v_addc_co_u32_e32 v12, vcc, 0, v1, vcc
	v_mov_b32_e32 v1, s1
	v_add_co_u32_e32 v13, vcc, s0, v2
	v_addc_co_u32_e32 v14, vcc, 0, v1, vcc
	v_mov_b32_e32 v1, s3
	v_add_co_u32_e32 v15, vcc, s2, v3
	;; [unrolled: 3-line block ×3, first 2 shown]
	s_cselect_b32 s19, s7, 0
	s_cselect_b32 s18, s6, 0x10000
	v_addc_co_u32_e32 v18, vcc, v1, v4, vcc
	s_lshl_b32 s4, s8, 4
	v_add_co_u32_e32 v1, vcc, s4, v2
	v_addc_co_u32_e64 v2, s[4:5], 0, 0, vcc
	v_mov_b32_e32 v3, s3
	v_add_co_u32_e32 v19, vcc, s2, v1
	v_addc_co_u32_e32 v20, vcc, v3, v2, vcc
	v_mov_b32_e32 v3, s1
	v_add_co_u32_e32 v21, vcc, s0, v1
	v_addc_co_u32_e32 v22, vcc, v3, v2, vcc
	v_add_co_u32_e32 v23, vcc, s8, v0
	v_lshlrev_b32_e32 v1, 3, v23
	v_addc_co_u32_e64 v24, s[4:5], 0, 0, vcc
	v_mov_b32_e32 v2, s3
	v_add_co_u32_e32 v25, vcc, s2, v1
	v_addc_co_u32_e32 v26, vcc, 0, v2, vcc
	v_mov_b32_e32 v2, s1
	v_add_co_u32_e32 v27, vcc, s0, v1
	s_mul_i32 s7, s8, 3
	v_addc_co_u32_e32 v28, vcc, 0, v2, vcc
	s_lshl_b32 s6, s8, 1
	v_add_co_u32_e32 v29, vcc, s7, v0
	s_mov_b32 s22, 0x55555555
	s_mov_b32 s24, 0x509f79ff
	;; [unrolled: 1-line block ×10, first 2 shown]
	v_addc_co_u32_e64 v30, s[0:1], 0, 0, vcc
	v_add_co_u32_e32 v31, vcc, s6, v0
	s_lshl_b32 s33, s8, 2
	s_lshl_b32 s48, s8, 5
	s_mov_b64 s[20:21], 0
	s_movk_i32 s49, 0x204
	s_mov_b32 s23, 0x3fe55555
	s_mov_b32 s25, 0x3fd34413
	;; [unrolled: 1-line block ×11, first 2 shown]
	v_mov_b32_e32 v1, 0x6b47b09a
	v_mov_b32_e32 v2, 0x3fc38538
	v_addc_co_u32_e64 v32, s[0:1], 0, 0, vcc
	v_mov_b32_e32 v33, 0x7ff80000
	v_mov_b32_e32 v34, 0xfff00000
	s_branch .LBB177_9
.LBB177_8:                              ;   in Loop: Header=BB177_9 Depth=1
	s_or_b64 exec, exec, s[0:1]
	v_add_co_u32_e32 v11, vcc, s48, v11
	v_addc_co_u32_e32 v12, vcc, 0, v12, vcc
	v_add_co_u32_e32 v13, vcc, s48, v13
	v_addc_co_u32_e32 v14, vcc, 0, v14, vcc
	;; [unrolled: 2-line block ×6, first 2 shown]
	s_add_u32 s20, s20, s33
	v_add_co_u32_e32 v25, vcc, s48, v25
	s_waitcnt vmcnt(0)
	v_mov_b32_e32 v3, s16
	s_addc_u32 s21, s21, 0
	v_addc_co_u32_e32 v26, vcc, 0, v26, vcc
	v_mov_b32_e32 v4, s17
	v_cmp_ge_i64_e32 vcc, s[20:21], v[3:4]
	v_add_co_u32_e64 v27, s[0:1], s48, v27
	v_addc_co_u32_e64 v28, s[0:1], 0, v28, s[0:1]
	s_cbranch_vccnz .LBB177_25
.LBB177_9:                              ; =>This Inner Loop Header: Depth=1
	v_mov_b32_e32 v4, s21
	v_add_co_u32_e32 v3, vcc, s20, v0
	v_addc_co_u32_e32 v4, vcc, 0, v4, vcc
	v_cmp_gt_u64_e64 s[4:5], s[18:19], v[3:4]
	v_mov_b32_e32 v7, 0
	v_mov_b32_e32 v9, 0
	v_mov_b32_e32 v8, 0
	v_mov_b32_e32 v10, 0
	s_and_saveexec_b64 s[0:1], s[4:5]
	s_cbranch_execz .LBB177_11
; %bb.10:                               ;   in Loop: Header=BB177_9 Depth=1
	v_mov_b32_e32 v4, s15
	v_add_co_u32_e32 v3, vcc, s14, v11
	v_addc_co_u32_e32 v4, vcc, v12, v4, vcc
	global_load_dwordx2 v[9:10], v[3:4], off
.LBB177_11:                             ;   in Loop: Header=BB177_9 Depth=1
	s_or_b64 exec, exec, s[0:1]
	v_mov_b32_e32 v4, s21
	v_add_co_u32_e32 v3, vcc, s20, v23
	v_addc_co_u32_e32 v4, vcc, v24, v4, vcc
	v_cmp_gt_u64_e64 s[2:3], s[18:19], v[3:4]
	s_and_saveexec_b64 s[0:1], s[2:3]
	s_cbranch_execz .LBB177_13
; %bb.12:                               ;   in Loop: Header=BB177_9 Depth=1
	v_mov_b32_e32 v4, s15
	v_add_co_u32_e32 v3, vcc, s14, v25
	v_addc_co_u32_e32 v4, vcc, v26, v4, vcc
	global_load_dwordx2 v[7:8], v[3:4], off
.LBB177_13:                             ;   in Loop: Header=BB177_9 Depth=1
	s_or_b64 exec, exec, s[0:1]
	v_mov_b32_e32 v4, s21
	v_add_co_u32_e32 v3, vcc, s20, v31
	v_addc_co_u32_e32 v4, vcc, v32, v4, vcc
	v_cmp_gt_u64_e64 s[0:1], s[18:19], v[3:4]
	v_mov_b32_e32 v3, 0
	v_mov_b32_e32 v5, 0
	;; [unrolled: 1-line block ×4, first 2 shown]
	s_and_saveexec_b64 s[6:7], s[0:1]
	s_cbranch_execz .LBB177_15
; %bb.14:                               ;   in Loop: Header=BB177_9 Depth=1
	v_mov_b32_e32 v6, s15
	v_add_co_u32_e32 v5, vcc, s14, v19
	v_addc_co_u32_e32 v6, vcc, v20, v6, vcc
	global_load_dwordx2 v[5:6], v[5:6], off
.LBB177_15:                             ;   in Loop: Header=BB177_9 Depth=1
	s_or_b64 exec, exec, s[6:7]
	v_mov_b32_e32 v36, s21
	v_add_co_u32_e32 v35, vcc, s20, v29
	v_addc_co_u32_e32 v36, vcc, v30, v36, vcc
	v_cmp_gt_u64_e32 vcc, s[18:19], v[35:36]
	s_and_saveexec_b64 s[8:9], vcc
	s_cbranch_execnz .LBB177_20
; %bb.16:                               ;   in Loop: Header=BB177_9 Depth=1
	s_or_b64 exec, exec, s[8:9]
	s_and_saveexec_b64 s[46:47], s[4:5]
	s_cbranch_execnz .LBB177_21
.LBB177_17:                             ;   in Loop: Header=BB177_9 Depth=1
	s_or_b64 exec, exec, s[46:47]
	s_and_saveexec_b64 s[4:5], s[2:3]
	s_cbranch_execnz .LBB177_22
.LBB177_18:                             ;   in Loop: Header=BB177_9 Depth=1
	s_or_b64 exec, exec, s[4:5]
	s_and_saveexec_b64 s[2:3], s[0:1]
	s_cbranch_execnz .LBB177_23
.LBB177_19:                             ;   in Loop: Header=BB177_9 Depth=1
	s_or_b64 exec, exec, s[2:3]
	s_and_saveexec_b64 s[0:1], vcc
	s_cbranch_execz .LBB177_8
	s_branch .LBB177_24
.LBB177_20:                             ;   in Loop: Header=BB177_9 Depth=1
	v_mov_b32_e32 v4, s15
	v_add_co_u32_e64 v3, s[6:7], s14, v15
	v_addc_co_u32_e64 v4, s[6:7], v16, v4, s[6:7]
	global_load_dwordx2 v[3:4], v[3:4], off
	s_or_b64 exec, exec, s[8:9]
	s_and_saveexec_b64 s[46:47], s[4:5]
	s_cbranch_execz .LBB177_17
.LBB177_21:                             ;   in Loop: Header=BB177_9 Depth=1
	s_waitcnt vmcnt(0)
	v_frexp_mant_f64_e32 v[35:36], v[9:10]
	s_mov_b32 s41, s23
	v_cmp_ngt_f64_e64 s[6:7], 0, v[9:10]
	v_cmp_nge_f64_e64 s[8:9], 0, v[9:10]
	v_cmp_neq_f64_e64 s[10:11], 0, v[9:10]
	v_cmp_gt_f64_e64 s[4:5], s[22:23], v[35:36]
	v_cndmask_b32_e64 v37, 0, 1, s[4:5]
	v_ldexp_f64 v[35:36], v[35:36], v37
	v_add_f64 v[37:38], v[35:36], 1.0
	v_add_f64 v[43:44], v[35:36], -1.0
	v_rcp_f64_e32 v[39:40], v[37:38]
	v_add_f64 v[45:46], v[37:38], -1.0
	v_add_f64 v[35:36], v[35:36], -v[45:46]
	v_fma_f64 v[41:42], -v[37:38], v[39:40], 1.0
	v_fma_f64 v[39:40], v[41:42], v[39:40], v[39:40]
	v_fma_f64 v[41:42], -v[37:38], v[39:40], 1.0
	v_fma_f64 v[39:40], v[41:42], v[39:40], v[39:40]
	v_mul_f64 v[41:42], v[43:44], v[39:40]
	v_mul_f64 v[47:48], v[37:38], v[41:42]
	v_fma_f64 v[37:38], v[41:42], v[37:38], -v[47:48]
	v_fma_f64 v[35:36], v[41:42], v[35:36], v[37:38]
	v_add_f64 v[37:38], v[47:48], v[35:36]
	v_add_f64 v[45:46], v[43:44], -v[37:38]
	v_add_f64 v[47:48], v[37:38], -v[47:48]
	;; [unrolled: 1-line block ×5, first 2 shown]
	v_add_f64 v[35:36], v[35:36], v[37:38]
	v_add_f64 v[35:36], v[45:46], v[35:36]
	v_mul_f64 v[35:36], v[39:40], v[35:36]
	v_add_f64 v[37:38], v[41:42], v[35:36]
	v_mul_f64 v[39:40], v[37:38], v[37:38]
	v_fma_f64 v[43:44], v[39:40], s[28:29], v[1:2]
	v_mul_f64 v[45:46], v[37:38], v[39:40]
	v_fma_f64 v[43:44], v[39:40], v[43:44], s[30:31]
	v_fma_f64 v[43:44], v[39:40], v[43:44], s[34:35]
	;; [unrolled: 1-line block ×5, first 2 shown]
	v_ldexp_f64 v[43:44], v[37:38], 1
	v_add_f64 v[37:38], v[37:38], -v[41:42]
	v_mul_f64 v[39:40], v[45:46], v[39:40]
	v_add_f64 v[35:36], v[35:36], -v[37:38]
	v_add_f64 v[41:42], v[43:44], v[39:40]
	v_ldexp_f64 v[35:36], v[35:36], 1
	v_add_f64 v[37:38], v[41:42], -v[43:44]
	v_frexp_exp_i32_f64_e32 v43, v[9:10]
	v_add_f64 v[37:38], v[39:40], -v[37:38]
	v_subbrev_co_u32_e64 v43, s[4:5], 0, v43, s[4:5]
	v_cvt_f64_i32_e32 v[43:44], v43
	v_cmp_class_f64_e64 s[4:5], v[9:10], s49
	v_mul_f64 v[45:46], v[43:44], s[24:25]
	v_add_f64 v[35:36], v[35:36], v[37:38]
	v_fma_f64 v[47:48], v[43:44], s[24:25], -v[45:46]
	v_add_f64 v[37:38], v[41:42], v[35:36]
	v_add_f64 v[39:40], v[37:38], -v[41:42]
	v_mul_f64 v[41:42], v[37:38], s[42:43]
	v_add_f64 v[35:36], v[35:36], -v[39:40]
	v_fma_f64 v[39:40], v[37:38], s[42:43], -v[41:42]
	v_fma_f64 v[35:36], v[35:36], s[42:43], v[39:40]
	v_fma_f64 v[39:40], v[43:44], s[26:27], v[47:48]
	;; [unrolled: 1-line block ×3, first 2 shown]
	v_add_f64 v[37:38], v[45:46], v[39:40]
	v_add_f64 v[43:44], v[41:42], v[35:36]
	v_add_f64 v[45:46], v[37:38], -v[45:46]
	v_add_f64 v[47:48], v[37:38], v[43:44]
	v_add_f64 v[41:42], v[43:44], -v[41:42]
	v_add_f64 v[39:40], v[39:40], -v[45:46]
	;; [unrolled: 1-line block ×6, first 2 shown]
	v_add_f64 v[43:44], v[39:40], v[35:36]
	v_add_f64 v[37:38], v[37:38], -v[51:52]
	v_add_f64 v[37:38], v[41:42], v[37:38]
	v_add_f64 v[41:42], v[43:44], -v[39:40]
	;; [unrolled: 2-line block ×3, first 2 shown]
	v_add_f64 v[35:36], v[35:36], -v[41:42]
	v_add_f64 v[45:46], v[47:48], v[37:38]
	v_add_f64 v[39:40], v[39:40], -v[43:44]
	v_add_f64 v[41:42], v[45:46], -v[47:48]
	v_add_f64 v[35:36], v[35:36], v[39:40]
	v_add_f64 v[37:38], v[37:38], -v[41:42]
	v_add_f64 v[35:36], v[35:36], v[37:38]
	v_mov_b32_e32 v38, s15
	v_add_co_u32_e64 v37, s[12:13], s14, v13
	v_add_f64 v[35:36], v[45:46], v[35:36]
	v_cndmask_b32_e64 v10, v36, v10, s[4:5]
	v_cndmask_b32_e64 v9, v35, v9, s[4:5]
	;; [unrolled: 1-line block ×5, first 2 shown]
	v_addc_co_u32_e64 v38, s[4:5], v14, v38, s[12:13]
	global_store_dwordx2 v[37:38], v[9:10], off
	s_or_b64 exec, exec, s[46:47]
	s_and_saveexec_b64 s[4:5], s[2:3]
	s_cbranch_execz .LBB177_18
.LBB177_22:                             ;   in Loop: Header=BB177_9 Depth=1
	s_waitcnt vmcnt(0)
	v_frexp_mant_f64_e32 v[9:10], v[7:8]
	s_mov_b32 s41, s23
	v_cmp_gt_f64_e64 s[2:3], s[22:23], v[9:10]
	v_cndmask_b32_e64 v35, 0, 1, s[2:3]
	v_ldexp_f64 v[9:10], v[9:10], v35
	v_add_f64 v[35:36], v[9:10], 1.0
	v_add_f64 v[41:42], v[9:10], -1.0
	v_rcp_f64_e32 v[37:38], v[35:36]
	v_add_f64 v[43:44], v[35:36], -1.0
	v_add_f64 v[9:10], v[9:10], -v[43:44]
	v_fma_f64 v[39:40], -v[35:36], v[37:38], 1.0
	v_fma_f64 v[37:38], v[39:40], v[37:38], v[37:38]
	v_fma_f64 v[39:40], -v[35:36], v[37:38], 1.0
	v_fma_f64 v[37:38], v[39:40], v[37:38], v[37:38]
	v_mul_f64 v[39:40], v[41:42], v[37:38]
	v_mul_f64 v[45:46], v[35:36], v[39:40]
	v_fma_f64 v[35:36], v[39:40], v[35:36], -v[45:46]
	v_fma_f64 v[9:10], v[39:40], v[9:10], v[35:36]
	v_add_f64 v[35:36], v[45:46], v[9:10]
	v_add_f64 v[43:44], v[41:42], -v[35:36]
	v_add_f64 v[45:46], v[35:36], -v[45:46]
	;; [unrolled: 1-line block ×5, first 2 shown]
	v_add_f64 v[9:10], v[9:10], v[35:36]
	v_add_f64 v[9:10], v[43:44], v[9:10]
	v_mul_f64 v[9:10], v[37:38], v[9:10]
	v_add_f64 v[35:36], v[39:40], v[9:10]
	v_mul_f64 v[37:38], v[35:36], v[35:36]
	v_fma_f64 v[41:42], v[37:38], s[28:29], v[1:2]
	v_mul_f64 v[43:44], v[35:36], v[37:38]
	v_fma_f64 v[41:42], v[37:38], v[41:42], s[30:31]
	v_fma_f64 v[41:42], v[37:38], v[41:42], s[34:35]
	;; [unrolled: 1-line block ×5, first 2 shown]
	v_ldexp_f64 v[41:42], v[35:36], 1
	v_add_f64 v[35:36], v[35:36], -v[39:40]
	v_mul_f64 v[37:38], v[43:44], v[37:38]
	v_add_f64 v[9:10], v[9:10], -v[35:36]
	v_add_f64 v[39:40], v[41:42], v[37:38]
	v_ldexp_f64 v[9:10], v[9:10], 1
	v_add_f64 v[35:36], v[39:40], -v[41:42]
	v_frexp_exp_i32_f64_e32 v41, v[7:8]
	v_add_f64 v[35:36], v[37:38], -v[35:36]
	v_subbrev_co_u32_e64 v41, s[2:3], 0, v41, s[2:3]
	v_cvt_f64_i32_e32 v[41:42], v41
	v_cmp_class_f64_e64 s[2:3], v[7:8], s49
	v_mul_f64 v[43:44], v[41:42], s[24:25]
	v_add_f64 v[9:10], v[9:10], v[35:36]
	v_fma_f64 v[45:46], v[41:42], s[24:25], -v[43:44]
	v_add_f64 v[35:36], v[39:40], v[9:10]
	v_add_f64 v[37:38], v[35:36], -v[39:40]
	v_mul_f64 v[39:40], v[35:36], s[42:43]
	v_add_f64 v[9:10], v[9:10], -v[37:38]
	v_fma_f64 v[37:38], v[35:36], s[42:43], -v[39:40]
	v_fma_f64 v[9:10], v[9:10], s[42:43], v[37:38]
	v_fma_f64 v[37:38], v[41:42], s[26:27], v[45:46]
	;; [unrolled: 1-line block ×3, first 2 shown]
	v_add_f64 v[35:36], v[43:44], v[37:38]
	v_add_f64 v[41:42], v[39:40], v[9:10]
	v_add_f64 v[43:44], v[35:36], -v[43:44]
	v_add_f64 v[45:46], v[35:36], v[41:42]
	v_add_f64 v[39:40], v[41:42], -v[39:40]
	v_add_f64 v[37:38], v[37:38], -v[43:44]
	;; [unrolled: 1-line block ×6, first 2 shown]
	v_add_f64 v[41:42], v[37:38], v[9:10]
	v_add_f64 v[35:36], v[35:36], -v[49:50]
	v_add_f64 v[35:36], v[39:40], v[35:36]
	v_add_f64 v[39:40], v[41:42], -v[37:38]
	;; [unrolled: 2-line block ×3, first 2 shown]
	v_add_f64 v[9:10], v[9:10], -v[39:40]
	v_add_f64 v[43:44], v[45:46], v[35:36]
	v_add_f64 v[37:38], v[37:38], -v[41:42]
	v_add_f64 v[39:40], v[43:44], -v[45:46]
	v_add_f64 v[9:10], v[9:10], v[37:38]
	v_add_f64 v[35:36], v[35:36], -v[39:40]
	v_add_f64 v[9:10], v[9:10], v[35:36]
	v_mov_b32_e32 v35, s15
	v_add_f64 v[9:10], v[43:44], v[9:10]
	v_cndmask_b32_e64 v9, v9, v7, s[2:3]
	v_cndmask_b32_e64 v10, v10, v8, s[2:3]
	v_cmp_ngt_f64_e64 s[2:3], 0, v[7:8]
	v_cndmask_b32_e64 v10, v33, v10, s[2:3]
	v_cmp_nge_f64_e64 s[2:3], 0, v[7:8]
	v_cndmask_b32_e64 v9, 0, v9, s[2:3]
	v_cmp_neq_f64_e64 s[2:3], 0, v[7:8]
	v_cndmask_b32_e64 v10, v34, v10, s[2:3]
	v_add_co_u32_e64 v7, s[2:3], s14, v27
	v_addc_co_u32_e64 v8, s[2:3], v28, v35, s[2:3]
	global_store_dwordx2 v[7:8], v[9:10], off
	s_or_b64 exec, exec, s[4:5]
	s_and_saveexec_b64 s[2:3], s[0:1]
	s_cbranch_execz .LBB177_19
.LBB177_23:                             ;   in Loop: Header=BB177_9 Depth=1
	s_waitcnt vmcnt(0)
	v_frexp_mant_f64_e32 v[7:8], v[5:6]
	s_mov_b32 s41, s23
	v_cmp_gt_f64_e64 s[0:1], s[22:23], v[7:8]
	v_cndmask_b32_e64 v9, 0, 1, s[0:1]
	v_ldexp_f64 v[7:8], v[7:8], v9
	v_add_f64 v[9:10], v[7:8], 1.0
	v_add_f64 v[39:40], v[7:8], -1.0
	v_rcp_f64_e32 v[35:36], v[9:10]
	v_add_f64 v[41:42], v[9:10], -1.0
	v_add_f64 v[7:8], v[7:8], -v[41:42]
	v_fma_f64 v[37:38], -v[9:10], v[35:36], 1.0
	v_fma_f64 v[35:36], v[37:38], v[35:36], v[35:36]
	v_fma_f64 v[37:38], -v[9:10], v[35:36], 1.0
	v_fma_f64 v[35:36], v[37:38], v[35:36], v[35:36]
	v_mul_f64 v[37:38], v[39:40], v[35:36]
	v_mul_f64 v[43:44], v[9:10], v[37:38]
	v_fma_f64 v[9:10], v[37:38], v[9:10], -v[43:44]
	v_fma_f64 v[7:8], v[37:38], v[7:8], v[9:10]
	v_add_f64 v[9:10], v[43:44], v[7:8]
	v_add_f64 v[41:42], v[39:40], -v[9:10]
	v_add_f64 v[43:44], v[9:10], -v[43:44]
	;; [unrolled: 1-line block ×5, first 2 shown]
	v_add_f64 v[7:8], v[7:8], v[9:10]
	v_add_f64 v[7:8], v[41:42], v[7:8]
	v_mul_f64 v[7:8], v[35:36], v[7:8]
	v_add_f64 v[9:10], v[37:38], v[7:8]
	v_mul_f64 v[35:36], v[9:10], v[9:10]
	v_fma_f64 v[39:40], v[35:36], s[28:29], v[1:2]
	v_mul_f64 v[41:42], v[9:10], v[35:36]
	v_fma_f64 v[39:40], v[35:36], v[39:40], s[30:31]
	v_fma_f64 v[39:40], v[35:36], v[39:40], s[34:35]
	;; [unrolled: 1-line block ×5, first 2 shown]
	v_ldexp_f64 v[39:40], v[9:10], 1
	v_add_f64 v[9:10], v[9:10], -v[37:38]
	v_mul_f64 v[35:36], v[41:42], v[35:36]
	v_add_f64 v[7:8], v[7:8], -v[9:10]
	v_add_f64 v[37:38], v[39:40], v[35:36]
	v_ldexp_f64 v[7:8], v[7:8], 1
	v_add_f64 v[9:10], v[37:38], -v[39:40]
	v_frexp_exp_i32_f64_e32 v39, v[5:6]
	v_add_f64 v[9:10], v[35:36], -v[9:10]
	v_subbrev_co_u32_e64 v39, s[0:1], 0, v39, s[0:1]
	v_cvt_f64_i32_e32 v[39:40], v39
	v_cmp_class_f64_e64 s[0:1], v[5:6], s49
	v_mul_f64 v[41:42], v[39:40], s[24:25]
	v_add_f64 v[7:8], v[7:8], v[9:10]
	v_fma_f64 v[43:44], v[39:40], s[24:25], -v[41:42]
	v_add_f64 v[9:10], v[37:38], v[7:8]
	v_add_f64 v[35:36], v[9:10], -v[37:38]
	v_mul_f64 v[37:38], v[9:10], s[42:43]
	v_add_f64 v[7:8], v[7:8], -v[35:36]
	v_fma_f64 v[35:36], v[9:10], s[42:43], -v[37:38]
	v_fma_f64 v[7:8], v[7:8], s[42:43], v[35:36]
	v_fma_f64 v[35:36], v[39:40], s[26:27], v[43:44]
	v_fma_f64 v[7:8], v[9:10], s[44:45], v[7:8]
	v_add_f64 v[9:10], v[41:42], v[35:36]
	v_add_f64 v[39:40], v[37:38], v[7:8]
	v_add_f64 v[41:42], v[9:10], -v[41:42]
	v_add_f64 v[43:44], v[9:10], v[39:40]
	v_add_f64 v[37:38], v[39:40], -v[37:38]
	v_add_f64 v[35:36], v[35:36], -v[41:42]
	;; [unrolled: 1-line block ×6, first 2 shown]
	v_add_f64 v[39:40], v[35:36], v[7:8]
	v_add_f64 v[9:10], v[9:10], -v[47:48]
	v_add_f64 v[9:10], v[37:38], v[9:10]
	v_add_f64 v[37:38], v[39:40], -v[35:36]
	;; [unrolled: 2-line block ×3, first 2 shown]
	v_add_f64 v[7:8], v[7:8], -v[37:38]
	v_add_f64 v[41:42], v[43:44], v[9:10]
	v_add_f64 v[35:36], v[35:36], -v[39:40]
	v_add_f64 v[37:38], v[41:42], -v[43:44]
	v_add_f64 v[7:8], v[7:8], v[35:36]
	v_add_f64 v[9:10], v[9:10], -v[37:38]
	v_add_f64 v[7:8], v[7:8], v[9:10]
	v_mov_b32_e32 v9, s15
	v_add_f64 v[7:8], v[41:42], v[7:8]
	v_cndmask_b32_e64 v7, v7, v5, s[0:1]
	v_cndmask_b32_e64 v8, v8, v6, s[0:1]
	v_cmp_ngt_f64_e64 s[0:1], 0, v[5:6]
	v_cndmask_b32_e64 v8, v33, v8, s[0:1]
	v_cmp_nge_f64_e64 s[0:1], 0, v[5:6]
	v_cndmask_b32_e64 v7, 0, v7, s[0:1]
	v_cmp_neq_f64_e64 s[0:1], 0, v[5:6]
	v_cndmask_b32_e64 v8, v34, v8, s[0:1]
	v_add_co_u32_e64 v5, s[0:1], s14, v21
	v_addc_co_u32_e64 v6, s[0:1], v22, v9, s[0:1]
	global_store_dwordx2 v[5:6], v[7:8], off
	s_or_b64 exec, exec, s[2:3]
	s_and_saveexec_b64 s[0:1], vcc
	s_cbranch_execz .LBB177_8
.LBB177_24:                             ;   in Loop: Header=BB177_9 Depth=1
	s_waitcnt vmcnt(0)
	v_frexp_mant_f64_e32 v[5:6], v[3:4]
	s_mov_b32 s41, s23
	v_cmp_gt_f64_e32 vcc, s[22:23], v[5:6]
	v_cndmask_b32_e64 v7, 0, 1, vcc
	v_ldexp_f64 v[5:6], v[5:6], v7
	v_add_f64 v[7:8], v[5:6], 1.0
	v_add_f64 v[37:38], v[5:6], -1.0
	v_rcp_f64_e32 v[9:10], v[7:8]
	v_add_f64 v[39:40], v[7:8], -1.0
	v_add_f64 v[5:6], v[5:6], -v[39:40]
	v_fma_f64 v[35:36], -v[7:8], v[9:10], 1.0
	v_fma_f64 v[9:10], v[35:36], v[9:10], v[9:10]
	v_fma_f64 v[35:36], -v[7:8], v[9:10], 1.0
	v_fma_f64 v[9:10], v[35:36], v[9:10], v[9:10]
	v_mul_f64 v[35:36], v[37:38], v[9:10]
	v_mul_f64 v[41:42], v[7:8], v[35:36]
	v_fma_f64 v[7:8], v[35:36], v[7:8], -v[41:42]
	v_fma_f64 v[5:6], v[35:36], v[5:6], v[7:8]
	v_add_f64 v[7:8], v[41:42], v[5:6]
	v_add_f64 v[39:40], v[37:38], -v[7:8]
	v_add_f64 v[41:42], v[7:8], -v[41:42]
	;; [unrolled: 1-line block ×5, first 2 shown]
	v_add_f64 v[5:6], v[5:6], v[7:8]
	v_add_f64 v[5:6], v[39:40], v[5:6]
	v_mul_f64 v[5:6], v[9:10], v[5:6]
	v_add_f64 v[7:8], v[35:36], v[5:6]
	v_mul_f64 v[9:10], v[7:8], v[7:8]
	v_fma_f64 v[37:38], v[9:10], s[28:29], v[1:2]
	v_mul_f64 v[39:40], v[7:8], v[9:10]
	v_fma_f64 v[37:38], v[9:10], v[37:38], s[30:31]
	v_fma_f64 v[37:38], v[9:10], v[37:38], s[34:35]
	;; [unrolled: 1-line block ×5, first 2 shown]
	v_ldexp_f64 v[37:38], v[7:8], 1
	v_add_f64 v[7:8], v[7:8], -v[35:36]
	v_mul_f64 v[9:10], v[39:40], v[9:10]
	v_add_f64 v[5:6], v[5:6], -v[7:8]
	v_add_f64 v[35:36], v[37:38], v[9:10]
	v_ldexp_f64 v[5:6], v[5:6], 1
	v_add_f64 v[7:8], v[35:36], -v[37:38]
	v_frexp_exp_i32_f64_e32 v37, v[3:4]
	v_add_f64 v[7:8], v[9:10], -v[7:8]
	v_subbrev_co_u32_e32 v37, vcc, 0, v37, vcc
	v_cvt_f64_i32_e32 v[37:38], v37
	v_cmp_class_f64_e64 vcc, v[3:4], s49
	v_mul_f64 v[39:40], v[37:38], s[24:25]
	v_add_f64 v[5:6], v[5:6], v[7:8]
	v_fma_f64 v[41:42], v[37:38], s[24:25], -v[39:40]
	v_add_f64 v[7:8], v[35:36], v[5:6]
	v_add_f64 v[9:10], v[7:8], -v[35:36]
	v_mul_f64 v[35:36], v[7:8], s[42:43]
	v_add_f64 v[5:6], v[5:6], -v[9:10]
	v_fma_f64 v[9:10], v[7:8], s[42:43], -v[35:36]
	v_fma_f64 v[5:6], v[5:6], s[42:43], v[9:10]
	v_fma_f64 v[9:10], v[37:38], s[26:27], v[41:42]
	;; [unrolled: 1-line block ×3, first 2 shown]
	v_add_f64 v[7:8], v[39:40], v[9:10]
	v_add_f64 v[37:38], v[35:36], v[5:6]
	v_add_f64 v[39:40], v[7:8], -v[39:40]
	v_add_f64 v[41:42], v[7:8], v[37:38]
	v_add_f64 v[35:36], v[37:38], -v[35:36]
	v_add_f64 v[9:10], v[9:10], -v[39:40]
	v_add_f64 v[43:44], v[41:42], -v[7:8]
	v_add_f64 v[5:6], v[5:6], -v[35:36]
	v_add_f64 v[45:46], v[41:42], -v[43:44]
	v_add_f64 v[35:36], v[37:38], -v[43:44]
	v_add_f64 v[37:38], v[9:10], v[5:6]
	v_add_f64 v[7:8], v[7:8], -v[45:46]
	v_add_f64 v[7:8], v[35:36], v[7:8]
	v_add_f64 v[35:36], v[37:38], -v[9:10]
	;; [unrolled: 2-line block ×3, first 2 shown]
	v_add_f64 v[5:6], v[5:6], -v[35:36]
	v_add_f64 v[39:40], v[41:42], v[7:8]
	v_add_f64 v[9:10], v[9:10], -v[37:38]
	v_add_f64 v[35:36], v[39:40], -v[41:42]
	v_add_f64 v[5:6], v[5:6], v[9:10]
	v_add_f64 v[7:8], v[7:8], -v[35:36]
	v_add_f64 v[5:6], v[5:6], v[7:8]
	v_mov_b32_e32 v7, s15
	v_add_f64 v[5:6], v[39:40], v[5:6]
	v_cndmask_b32_e32 v5, v5, v3, vcc
	v_cndmask_b32_e32 v6, v6, v4, vcc
	v_cmp_ngt_f64_e32 vcc, 0, v[3:4]
	v_cndmask_b32_e32 v6, v33, v6, vcc
	v_cmp_nge_f64_e32 vcc, 0, v[3:4]
	v_cndmask_b32_e32 v5, 0, v5, vcc
	v_cmp_neq_f64_e32 vcc, 0, v[3:4]
	v_cndmask_b32_e32 v6, v34, v6, vcc
	v_add_co_u32_e32 v3, vcc, s14, v17
	v_addc_co_u32_e32 v4, vcc, v18, v7, vcc
	global_store_dwordx2 v[3:4], v[5:6], off
	s_branch .LBB177_8
.LBB177_25:
	s_endpgm
	.section	.rodata,"a",@progbits
	.p2align	6, 0x0
	.amdhsa_kernel _ZN2at6native12_GLOBAL__N_125multi_tensor_apply_kernelINS1_18TensorListMetadataILi2EEENS1_14UnaryOpFunctorIdLi2ELi1ELi1EEEJNS0_5Log10IdEEEEEvT_T0_DpT1_
		.amdhsa_group_segment_fixed_size 0
		.amdhsa_private_segment_fixed_size 0
		.amdhsa_kernarg_size 3408
		.amdhsa_user_sgpr_count 6
		.amdhsa_user_sgpr_private_segment_buffer 1
		.amdhsa_user_sgpr_dispatch_ptr 0
		.amdhsa_user_sgpr_queue_ptr 0
		.amdhsa_user_sgpr_kernarg_segment_ptr 1
		.amdhsa_user_sgpr_dispatch_id 0
		.amdhsa_user_sgpr_flat_scratch_init 0
		.amdhsa_user_sgpr_private_segment_size 0
		.amdhsa_uses_dynamic_stack 0
		.amdhsa_system_sgpr_private_segment_wavefront_offset 0
		.amdhsa_system_sgpr_workgroup_id_x 1
		.amdhsa_system_sgpr_workgroup_id_y 0
		.amdhsa_system_sgpr_workgroup_id_z 0
		.amdhsa_system_sgpr_workgroup_info 0
		.amdhsa_system_vgpr_workitem_id 0
		.amdhsa_next_free_vgpr 53
		.amdhsa_next_free_sgpr 50
		.amdhsa_reserve_vcc 1
		.amdhsa_reserve_flat_scratch 0
		.amdhsa_float_round_mode_32 0
		.amdhsa_float_round_mode_16_64 0
		.amdhsa_float_denorm_mode_32 3
		.amdhsa_float_denorm_mode_16_64 3
		.amdhsa_dx10_clamp 1
		.amdhsa_ieee_mode 1
		.amdhsa_fp16_overflow 0
		.amdhsa_exception_fp_ieee_invalid_op 0
		.amdhsa_exception_fp_denorm_src 0
		.amdhsa_exception_fp_ieee_div_zero 0
		.amdhsa_exception_fp_ieee_overflow 0
		.amdhsa_exception_fp_ieee_underflow 0
		.amdhsa_exception_fp_ieee_inexact 0
		.amdhsa_exception_int_div_zero 0
	.end_amdhsa_kernel
	.section	.text._ZN2at6native12_GLOBAL__N_125multi_tensor_apply_kernelINS1_18TensorListMetadataILi2EEENS1_14UnaryOpFunctorIdLi2ELi1ELi1EEEJNS0_5Log10IdEEEEEvT_T0_DpT1_,"axG",@progbits,_ZN2at6native12_GLOBAL__N_125multi_tensor_apply_kernelINS1_18TensorListMetadataILi2EEENS1_14UnaryOpFunctorIdLi2ELi1ELi1EEEJNS0_5Log10IdEEEEEvT_T0_DpT1_,comdat
.Lfunc_end177:
	.size	_ZN2at6native12_GLOBAL__N_125multi_tensor_apply_kernelINS1_18TensorListMetadataILi2EEENS1_14UnaryOpFunctorIdLi2ELi1ELi1EEEJNS0_5Log10IdEEEEEvT_T0_DpT1_, .Lfunc_end177-_ZN2at6native12_GLOBAL__N_125multi_tensor_apply_kernelINS1_18TensorListMetadataILi2EEENS1_14UnaryOpFunctorIdLi2ELi1ELi1EEEJNS0_5Log10IdEEEEEvT_T0_DpT1_
                                        ; -- End function
	.set _ZN2at6native12_GLOBAL__N_125multi_tensor_apply_kernelINS1_18TensorListMetadataILi2EEENS1_14UnaryOpFunctorIdLi2ELi1ELi1EEEJNS0_5Log10IdEEEEEvT_T0_DpT1_.num_vgpr, 53
	.set _ZN2at6native12_GLOBAL__N_125multi_tensor_apply_kernelINS1_18TensorListMetadataILi2EEENS1_14UnaryOpFunctorIdLi2ELi1ELi1EEEJNS0_5Log10IdEEEEEvT_T0_DpT1_.num_agpr, 0
	.set _ZN2at6native12_GLOBAL__N_125multi_tensor_apply_kernelINS1_18TensorListMetadataILi2EEENS1_14UnaryOpFunctorIdLi2ELi1ELi1EEEJNS0_5Log10IdEEEEEvT_T0_DpT1_.numbered_sgpr, 50
	.set _ZN2at6native12_GLOBAL__N_125multi_tensor_apply_kernelINS1_18TensorListMetadataILi2EEENS1_14UnaryOpFunctorIdLi2ELi1ELi1EEEJNS0_5Log10IdEEEEEvT_T0_DpT1_.num_named_barrier, 0
	.set _ZN2at6native12_GLOBAL__N_125multi_tensor_apply_kernelINS1_18TensorListMetadataILi2EEENS1_14UnaryOpFunctorIdLi2ELi1ELi1EEEJNS0_5Log10IdEEEEEvT_T0_DpT1_.private_seg_size, 0
	.set _ZN2at6native12_GLOBAL__N_125multi_tensor_apply_kernelINS1_18TensorListMetadataILi2EEENS1_14UnaryOpFunctorIdLi2ELi1ELi1EEEJNS0_5Log10IdEEEEEvT_T0_DpT1_.uses_vcc, 1
	.set _ZN2at6native12_GLOBAL__N_125multi_tensor_apply_kernelINS1_18TensorListMetadataILi2EEENS1_14UnaryOpFunctorIdLi2ELi1ELi1EEEJNS0_5Log10IdEEEEEvT_T0_DpT1_.uses_flat_scratch, 0
	.set _ZN2at6native12_GLOBAL__N_125multi_tensor_apply_kernelINS1_18TensorListMetadataILi2EEENS1_14UnaryOpFunctorIdLi2ELi1ELi1EEEJNS0_5Log10IdEEEEEvT_T0_DpT1_.has_dyn_sized_stack, 0
	.set _ZN2at6native12_GLOBAL__N_125multi_tensor_apply_kernelINS1_18TensorListMetadataILi2EEENS1_14UnaryOpFunctorIdLi2ELi1ELi1EEEJNS0_5Log10IdEEEEEvT_T0_DpT1_.has_recursion, 0
	.set _ZN2at6native12_GLOBAL__N_125multi_tensor_apply_kernelINS1_18TensorListMetadataILi2EEENS1_14UnaryOpFunctorIdLi2ELi1ELi1EEEJNS0_5Log10IdEEEEEvT_T0_DpT1_.has_indirect_call, 0
	.section	.AMDGPU.csdata,"",@progbits
; Kernel info:
; codeLenInByte = 7096
; TotalNumSgprs: 54
; NumVgprs: 53
; ScratchSize: 0
; MemoryBound: 0
; FloatMode: 240
; IeeeMode: 1
; LDSByteSize: 0 bytes/workgroup (compile time only)
; SGPRBlocks: 6
; VGPRBlocks: 13
; NumSGPRsForWavesPerEU: 54
; NumVGPRsForWavesPerEU: 53
; Occupancy: 4
; WaveLimiterHint : 0
; COMPUTE_PGM_RSRC2:SCRATCH_EN: 0
; COMPUTE_PGM_RSRC2:USER_SGPR: 6
; COMPUTE_PGM_RSRC2:TRAP_HANDLER: 0
; COMPUTE_PGM_RSRC2:TGID_X_EN: 1
; COMPUTE_PGM_RSRC2:TGID_Y_EN: 0
; COMPUTE_PGM_RSRC2:TGID_Z_EN: 0
; COMPUTE_PGM_RSRC2:TIDIG_COMP_CNT: 0
	.section	.text._ZN2at6native12_GLOBAL__N_125multi_tensor_apply_kernelINS1_18TensorListMetadataILi2EEENS1_14UnaryOpFunctorIfLi2ELi1ELi1EEEJNS0_5Log10IfEEEEEvT_T0_DpT1_,"axG",@progbits,_ZN2at6native12_GLOBAL__N_125multi_tensor_apply_kernelINS1_18TensorListMetadataILi2EEENS1_14UnaryOpFunctorIfLi2ELi1ELi1EEEJNS0_5Log10IfEEEEEvT_T0_DpT1_,comdat
	.globl	_ZN2at6native12_GLOBAL__N_125multi_tensor_apply_kernelINS1_18TensorListMetadataILi2EEENS1_14UnaryOpFunctorIfLi2ELi1ELi1EEEJNS0_5Log10IfEEEEEvT_T0_DpT1_ ; -- Begin function _ZN2at6native12_GLOBAL__N_125multi_tensor_apply_kernelINS1_18TensorListMetadataILi2EEENS1_14UnaryOpFunctorIfLi2ELi1ELi1EEEJNS0_5Log10IfEEEEEvT_T0_DpT1_
	.p2align	8
	.type	_ZN2at6native12_GLOBAL__N_125multi_tensor_apply_kernelINS1_18TensorListMetadataILi2EEENS1_14UnaryOpFunctorIfLi2ELi1ELi1EEEJNS0_5Log10IfEEEEEvT_T0_DpT1_,@function
_ZN2at6native12_GLOBAL__N_125multi_tensor_apply_kernelINS1_18TensorListMetadataILi2EEENS1_14UnaryOpFunctorIfLi2ELi1ELi1EEEJNS0_5Log10IfEEEEEvT_T0_DpT1_: ; @_ZN2at6native12_GLOBAL__N_125multi_tensor_apply_kernelINS1_18TensorListMetadataILi2EEENS1_14UnaryOpFunctorIfLi2ELi1ELi1EEEJNS0_5Log10IfEEEEEvT_T0_DpT1_
; %bb.0:
	v_mov_b32_e32 v1, s6
	global_load_ubyte v1, v1, s[4:5] offset:1536
	s_add_u32 s0, s4, s6
	s_mul_hi_u32 s2, s6, 3
	s_mul_i32 s6, s6, 3
	s_addc_u32 s7, s5, 0
	s_add_u32 s6, s0, s6
	s_addc_u32 s7, s7, s2
	s_load_dword s6, s[6:7], 0x740
	s_mov_b32 s1, 0
	s_mov_b32 s3, s1
	s_waitcnt lgkmcnt(0)
	s_ashr_i32 s7, s6, 31
	s_lshl_b64 s[8:9], s[6:7], 18
	s_lshl_b64 s[6:7], s[6:7], 16
	s_waitcnt vmcnt(0)
	v_readfirstlane_b32 s0, v1
	s_lshl_b32 s0, s0, 3
	s_load_dwordx2 s[10:11], s[4:5], s0 offset:0x400
	s_load_dwordx2 s[16:17], s[4:5], s0 offset:0x0
	s_load_dwordx2 s[14:15], s[4:5], s0 offset:0x200
	s_waitcnt lgkmcnt(0)
	s_add_u32 s0, s16, s8
	s_and_b32 s2, s14, 15
	s_and_b32 s0, s0, 15
	s_sub_u32 s12, s10, s6
	s_subb_u32 s13, s11, s7
	s_and_b32 s6, s10, 3
	s_mov_b32 s7, s1
	s_or_b64 s[2:3], s[2:3], s[6:7]
	s_or_b64 s[0:1], s[2:3], s[0:1]
	s_cmp_eq_u64 s[0:1], 0
	s_mov_b64 s[0:1], -1
	s_cbranch_scc0 .LBB178_5
; %bb.1:
	v_mov_b32_e32 v1, 0x10000
	v_mov_b32_e32 v2, 0
	v_cmp_lt_i64_e32 vcc, s[12:13], v[1:2]
	v_mov_b32_e32 v2, 0
	s_and_b64 s[0:1], vcc, exec
	s_cselect_b32 s11, s13, 0
	s_cselect_b32 s10, s12, 0x10000
	v_lshlrev_b32_e32 v1, 2, v0
	v_cmp_gt_i64_e32 vcc, s[10:11], v[1:2]
	s_and_saveexec_b64 s[18:19], vcc
	s_cbranch_execz .LBB178_4
; %bb.2:
	s_load_dword s0, s[4:5], 0xc5c
	v_mov_b32_e32 v1, v2
	v_lshlrev_b32_e32 v2, 4, v0
	v_mov_b32_e32 v4, s9
	v_add_co_u32_e32 v3, vcc, s8, v2
	s_waitcnt lgkmcnt(0)
	s_and_b32 s22, s0, 0xffff
	v_mov_b32_e32 v2, v1
	v_addc_co_u32_e32 v4, vcc, 0, v4, vcc
	s_lshl_b32 s23, s22, 4
	s_mov_b64 s[20:21], 0
	v_mov_b32_e32 v5, s17
	s_mov_b32 s24, 0x800000
	s_mov_b32 s25, 0x3e9a209a
	;; [unrolled: 1-line block ×3, first 2 shown]
	v_mov_b32_e32 v6, 0x411a209b
	v_mov_b32_e32 v7, s15
	;; [unrolled: 1-line block ×3, first 2 shown]
.LBB178_3:                              ; =>This Inner Loop Header: Depth=1
	v_add_co_u32_e32 v8, vcc, s16, v3
	v_addc_co_u32_e32 v9, vcc, v5, v4, vcc
	global_load_dwordx4 v[8:11], v[8:9], off
	v_add_co_u32_e32 v12, vcc, s14, v3
	v_addc_co_u32_e32 v13, vcc, v7, v4, vcc
	v_add_co_u32_e32 v1, vcc, s22, v1
	v_addc_co_u32_e32 v2, vcc, 0, v2, vcc
	v_add_co_u32_e32 v3, vcc, s23, v3
	v_lshlrev_b64 v[14:15], 2, v[1:2]
	v_addc_co_u32_e32 v4, vcc, 0, v4, vcc
	v_cmp_le_i64_e32 vcc, s[10:11], v[14:15]
	s_or_b64 s[20:21], vcc, s[20:21]
	s_waitcnt vmcnt(0)
	v_cmp_gt_f32_e32 vcc, s24, v8
	v_cmp_gt_f32_e64 s[0:1], s24, v9
	v_cmp_gt_f32_e64 s[2:3], s24, v10
	;; [unrolled: 1-line block ×3, first 2 shown]
	v_cndmask_b32_e64 v14, 0, 32, vcc
	v_cndmask_b32_e64 v15, 0, 32, s[0:1]
	v_cndmask_b32_e64 v16, 0, 32, s[2:3]
	v_cndmask_b32_e64 v17, 0, 32, s[6:7]
	v_ldexp_f32 v8, v8, v14
	v_ldexp_f32 v9, v9, v15
	;; [unrolled: 1-line block ×4, first 2 shown]
	v_log_f32_e32 v8, v8
	v_log_f32_e32 v9, v9
	;; [unrolled: 1-line block ×4, first 2 shown]
	v_mul_f32_e32 v18, 0x3e9a209a, v8
	v_mul_f32_e32 v19, 0x3e9a209a, v9
	;; [unrolled: 1-line block ×4, first 2 shown]
	v_fma_f32 v18, v8, s25, -v18
	v_fma_f32 v19, v9, s25, -v19
	;; [unrolled: 1-line block ×4, first 2 shown]
	v_fmac_f32_e32 v18, 0x3284fbcf, v8
	v_fmac_f32_e32 v19, 0x3284fbcf, v9
	;; [unrolled: 1-line block ×4, first 2 shown]
	v_cndmask_b32_e32 v14, 0, v6, vcc
	v_cndmask_b32_e64 v15, 0, v6, s[0:1]
	v_cndmask_b32_e64 v16, 0, v6, s[2:3]
	;; [unrolled: 1-line block ×3, first 2 shown]
	v_fmac_f32_e32 v18, 0x3e9a209a, v8
	v_fmac_f32_e32 v19, 0x3e9a209a, v9
	;; [unrolled: 1-line block ×3, first 2 shown]
	v_cmp_lt_f32_e64 vcc, |v10|, s26
	v_fmac_f32_e32 v21, 0x3e9a209a, v11
	v_cmp_lt_f32_e64 s[0:1], |v11|, s26
	v_cmp_lt_f32_e64 s[2:3], |v9|, s26
	;; [unrolled: 1-line block ×3, first 2 shown]
	v_cndmask_b32_e64 v8, v8, v18, s[6:7]
	v_cndmask_b32_e64 v9, v9, v19, s[2:3]
	v_cndmask_b32_e32 v10, v10, v20, vcc
	v_cndmask_b32_e64 v11, v11, v21, s[0:1]
	v_sub_f32_e32 v8, v8, v14
	v_sub_f32_e32 v9, v9, v15
	;; [unrolled: 1-line block ×4, first 2 shown]
	global_store_dwordx4 v[12:13], v[8:11], off
	s_andn2_b64 exec, exec, s[20:21]
	s_cbranch_execnz .LBB178_3
.LBB178_4:
	s_or_b64 exec, exec, s[18:19]
	s_mov_b64 s[0:1], 0
.LBB178_5:
	s_andn2_b64 vcc, exec, s[0:1]
	s_cbranch_vccnz .LBB178_25
; %bb.6:
	v_cmp_lt_i64_e64 s[0:1], s[12:13], 1
	s_and_b64 vcc, exec, s[0:1]
	s_cbranch_vccnz .LBB178_25
; %bb.7:
	v_mov_b32_e32 v1, 0x10000
	s_load_dword s2, s[4:5], 0xc5c
	v_mov_b32_e32 v2, 0
	v_cmp_lt_i64_e32 vcc, s[12:13], v[1:2]
	v_mov_b32_e32 v10, 0
	s_and_b64 s[0:1], vcc, exec
	v_cmp_lt_u64_e32 vcc, s[12:13], v[1:2]
	s_cselect_b32 s11, s13, 0
	s_cselect_b32 s10, s12, 0x10000
	s_waitcnt lgkmcnt(0)
	s_and_b32 s2, s2, 0xffff
	v_lshlrev_b32_e32 v9, 2, v0
	s_and_b64 s[0:1], vcc, exec
	v_mov_b32_e32 v2, s17
	v_add_co_u32_e32 v1, vcc, s16, v9
	v_mad_u64_u32 v[7:8], s[0:1], s2, 12, v[9:10]
	v_addc_co_u32_e32 v2, vcc, 0, v2, vcc
	v_mov_b32_e32 v4, s15
	v_add_co_u32_e32 v3, vcc, s14, v9
	v_addc_co_u32_e32 v4, vcc, 0, v4, vcc
	v_mov_b32_e32 v6, s17
	v_add_co_u32_e32 v5, vcc, s16, v7
	;; [unrolled: 3-line block ×3, first 2 shown]
	s_cselect_b32 s13, s13, 0
	s_cselect_b32 s12, s12, 0x10000
	v_addc_co_u32_e32 v8, vcc, v10, v8, vcc
	s_lshl_b32 s0, s2, 3
	v_add_co_u32_e32 v11, vcc, s0, v9
	v_addc_co_u32_e64 v12, s[0:1], 0, 0, vcc
	v_mov_b32_e32 v10, s17
	v_add_co_u32_e32 v9, vcc, s16, v11
	v_addc_co_u32_e32 v10, vcc, v10, v12, vcc
	v_mov_b32_e32 v13, s15
	v_add_co_u32_e32 v11, vcc, s14, v11
	v_addc_co_u32_e32 v12, vcc, v13, v12, vcc
	v_add_co_u32_e32 v13, vcc, s2, v0
	v_lshlrev_b32_e32 v17, 2, v13
	v_addc_co_u32_e64 v14, s[0:1], 0, 0, vcc
	v_mov_b32_e32 v16, s17
	v_add_co_u32_e32 v15, vcc, s16, v17
	v_addc_co_u32_e32 v16, vcc, 0, v16, vcc
	v_mov_b32_e32 v18, s15
	v_add_co_u32_e32 v17, vcc, s14, v17
	s_mul_i32 s4, s2, 3
	v_addc_co_u32_e32 v18, vcc, 0, v18, vcc
	s_lshl_b32 s3, s2, 1
	v_add_co_u32_e32 v19, vcc, s4, v0
	v_addc_co_u32_e64 v20, s[0:1], 0, 0, vcc
	v_add_co_u32_e32 v21, vcc, s3, v0
	s_lshl_b32 s18, s2, 2
	s_lshl_b32 s19, s2, 4
	s_mov_b64 s[14:15], 0
	s_mov_b32 s20, 0x800000
	s_mov_b32 s21, 0x3e9a209a
	;; [unrolled: 1-line block ×3, first 2 shown]
	v_addc_co_u32_e64 v22, s[0:1], 0, 0, vcc
	v_mov_b32_e32 v23, 0x411a209b
	s_branch .LBB178_9
.LBB178_8:                              ;   in Loop: Header=BB178_9 Depth=1
	s_or_b64 exec, exec, s[0:1]
	v_add_co_u32_e32 v1, vcc, s19, v1
	v_addc_co_u32_e32 v2, vcc, 0, v2, vcc
	v_add_co_u32_e32 v3, vcc, s19, v3
	v_addc_co_u32_e32 v4, vcc, 0, v4, vcc
	v_add_co_u32_e32 v5, vcc, s19, v5
	v_addc_co_u32_e32 v6, vcc, 0, v6, vcc
	v_add_co_u32_e32 v7, vcc, s19, v7
	v_addc_co_u32_e32 v8, vcc, 0, v8, vcc
	v_add_co_u32_e32 v9, vcc, s19, v9
	v_addc_co_u32_e32 v10, vcc, 0, v10, vcc
	v_add_co_u32_e32 v11, vcc, s19, v11
	v_addc_co_u32_e32 v12, vcc, 0, v12, vcc
	s_add_u32 s14, s14, s18
	v_add_co_u32_e32 v15, vcc, s19, v15
	s_waitcnt vmcnt(0)
	v_mov_b32_e32 v25, s11
	s_addc_u32 s15, s15, 0
	v_addc_co_u32_e32 v16, vcc, 0, v16, vcc
	v_mov_b32_e32 v24, s10
	v_cmp_ge_i64_e32 vcc, s[14:15], v[24:25]
	v_add_co_u32_e64 v17, s[0:1], s19, v17
	v_addc_co_u32_e64 v18, s[0:1], 0, v18, s[0:1]
	s_cbranch_vccnz .LBB178_25
.LBB178_9:                              ; =>This Inner Loop Header: Depth=1
	v_mov_b32_e32 v25, s15
	v_add_co_u32_e32 v24, vcc, s14, v0
	v_addc_co_u32_e32 v25, vcc, 0, v25, vcc
	v_cmp_gt_u64_e64 s[4:5], s[12:13], v[24:25]
	v_mov_b32_e32 v26, 0
	s_and_saveexec_b64 s[0:1], s[4:5]
	s_cbranch_execz .LBB178_11
; %bb.10:                               ;   in Loop: Header=BB178_9 Depth=1
	v_mov_b32_e32 v25, s9
	v_add_co_u32_e32 v24, vcc, s8, v1
	v_addc_co_u32_e32 v25, vcc, v2, v25, vcc
	global_load_dword v26, v[24:25], off
.LBB178_11:                             ;   in Loop: Header=BB178_9 Depth=1
	s_or_b64 exec, exec, s[0:1]
	v_mov_b32_e32 v25, s15
	v_add_co_u32_e32 v24, vcc, s14, v13
	v_addc_co_u32_e32 v25, vcc, v14, v25, vcc
	v_cmp_gt_u64_e64 s[2:3], s[12:13], v[24:25]
	v_mov_b32_e32 v24, 0
	v_mov_b32_e32 v27, 0
	s_and_saveexec_b64 s[0:1], s[2:3]
	s_cbranch_execz .LBB178_13
; %bb.12:                               ;   in Loop: Header=BB178_9 Depth=1
	v_mov_b32_e32 v25, s9
	v_add_co_u32_e32 v27, vcc, s8, v15
	v_addc_co_u32_e32 v28, vcc, v16, v25, vcc
	global_load_dword v27, v[27:28], off
.LBB178_13:                             ;   in Loop: Header=BB178_9 Depth=1
	s_or_b64 exec, exec, s[0:1]
	v_mov_b32_e32 v25, s15
	v_add_co_u32_e32 v28, vcc, s14, v21
	v_addc_co_u32_e32 v29, vcc, v22, v25, vcc
	v_cmp_gt_u64_e64 s[0:1], s[12:13], v[28:29]
	s_and_saveexec_b64 s[6:7], s[0:1]
	s_cbranch_execz .LBB178_15
; %bb.14:                               ;   in Loop: Header=BB178_9 Depth=1
	v_mov_b32_e32 v25, s9
	v_add_co_u32_e32 v24, vcc, s8, v9
	v_addc_co_u32_e32 v25, vcc, v10, v25, vcc
	global_load_dword v24, v[24:25], off
.LBB178_15:                             ;   in Loop: Header=BB178_9 Depth=1
	s_or_b64 exec, exec, s[6:7]
	v_mov_b32_e32 v25, s15
	v_add_co_u32_e32 v28, vcc, s14, v19
	v_addc_co_u32_e32 v29, vcc, v20, v25, vcc
	v_cmp_gt_u64_e32 vcc, s[12:13], v[28:29]
	v_mov_b32_e32 v25, 0
	s_and_saveexec_b64 s[16:17], vcc
	s_cbranch_execnz .LBB178_20
; %bb.16:                               ;   in Loop: Header=BB178_9 Depth=1
	s_or_b64 exec, exec, s[16:17]
	s_and_saveexec_b64 s[16:17], s[4:5]
	s_cbranch_execnz .LBB178_21
.LBB178_17:                             ;   in Loop: Header=BB178_9 Depth=1
	s_or_b64 exec, exec, s[16:17]
	s_and_saveexec_b64 s[4:5], s[2:3]
	s_cbranch_execnz .LBB178_22
.LBB178_18:                             ;   in Loop: Header=BB178_9 Depth=1
	s_or_b64 exec, exec, s[4:5]
	s_and_saveexec_b64 s[2:3], s[0:1]
	s_cbranch_execnz .LBB178_23
.LBB178_19:                             ;   in Loop: Header=BB178_9 Depth=1
	s_or_b64 exec, exec, s[2:3]
	s_and_saveexec_b64 s[0:1], vcc
	s_cbranch_execz .LBB178_8
	s_branch .LBB178_24
.LBB178_20:                             ;   in Loop: Header=BB178_9 Depth=1
	v_mov_b32_e32 v25, s9
	v_add_co_u32_e64 v28, s[6:7], s8, v5
	v_addc_co_u32_e64 v29, s[6:7], v6, v25, s[6:7]
	global_load_dword v25, v[28:29], off
	s_or_b64 exec, exec, s[16:17]
	s_and_saveexec_b64 s[16:17], s[4:5]
	s_cbranch_execz .LBB178_17
.LBB178_21:                             ;   in Loop: Header=BB178_9 Depth=1
	s_waitcnt vmcnt(0)
	v_cmp_gt_f32_e64 s[4:5], s20, v26
	v_cndmask_b32_e64 v28, 0, 32, s[4:5]
	v_ldexp_f32 v26, v26, v28
	v_log_f32_e32 v26, v26
	v_mov_b32_e32 v29, s9
	v_add_co_u32_e64 v28, s[6:7], s8, v3
	v_mul_f32_e32 v30, 0x3e9a209a, v26
	v_fma_f32 v30, v26, s21, -v30
	v_addc_co_u32_e64 v29, s[6:7], v4, v29, s[6:7]
	v_fmac_f32_e32 v30, 0x3284fbcf, v26
	v_fmac_f32_e32 v30, 0x3e9a209a, v26
	v_cmp_lt_f32_e64 s[6:7], |v26|, s22
	v_cndmask_b32_e64 v26, v26, v30, s[6:7]
	v_cndmask_b32_e64 v30, 0, v23, s[4:5]
	v_sub_f32_e32 v26, v26, v30
	global_store_dword v[28:29], v26, off
	s_or_b64 exec, exec, s[16:17]
	s_and_saveexec_b64 s[4:5], s[2:3]
	s_cbranch_execz .LBB178_18
.LBB178_22:                             ;   in Loop: Header=BB178_9 Depth=1
	s_waitcnt vmcnt(0)
	v_cmp_gt_f32_e64 s[2:3], s20, v27
	v_cndmask_b32_e64 v26, 0, 32, s[2:3]
	v_ldexp_f32 v26, v27, v26
	v_log_f32_e32 v26, v26
	v_cndmask_b32_e64 v27, 0, v23, s[2:3]
	v_mul_f32_e32 v28, 0x3e9a209a, v26
	v_fma_f32 v28, v26, s21, -v28
	v_fmac_f32_e32 v28, 0x3284fbcf, v26
	v_fmac_f32_e32 v28, 0x3e9a209a, v26
	v_cmp_lt_f32_e64 s[2:3], |v26|, s22
	v_cndmask_b32_e64 v26, v26, v28, s[2:3]
	v_sub_f32_e32 v28, v26, v27
	v_mov_b32_e32 v27, s9
	v_add_co_u32_e64 v26, s[2:3], s8, v17
	v_addc_co_u32_e64 v27, s[2:3], v18, v27, s[2:3]
	global_store_dword v[26:27], v28, off
	s_or_b64 exec, exec, s[4:5]
	s_and_saveexec_b64 s[2:3], s[0:1]
	s_cbranch_execz .LBB178_19
.LBB178_23:                             ;   in Loop: Header=BB178_9 Depth=1
	s_waitcnt vmcnt(0)
	v_cmp_gt_f32_e64 s[0:1], s20, v24
	v_cndmask_b32_e64 v26, 0, 32, s[0:1]
	v_ldexp_f32 v24, v24, v26
	v_log_f32_e32 v24, v24
	v_cndmask_b32_e64 v26, 0, v23, s[0:1]
	v_mul_f32_e32 v27, 0x3e9a209a, v24
	v_fma_f32 v27, v24, s21, -v27
	v_fmac_f32_e32 v27, 0x3284fbcf, v24
	v_fmac_f32_e32 v27, 0x3e9a209a, v24
	v_cmp_lt_f32_e64 s[0:1], |v24|, s22
	v_cndmask_b32_e64 v24, v24, v27, s[0:1]
	v_sub_f32_e32 v24, v24, v26
	v_mov_b32_e32 v27, s9
	v_add_co_u32_e64 v26, s[0:1], s8, v11
	v_addc_co_u32_e64 v27, s[0:1], v12, v27, s[0:1]
	global_store_dword v[26:27], v24, off
	s_or_b64 exec, exec, s[2:3]
	s_and_saveexec_b64 s[0:1], vcc
	s_cbranch_execz .LBB178_8
.LBB178_24:                             ;   in Loop: Header=BB178_9 Depth=1
	s_waitcnt vmcnt(0)
	v_cmp_gt_f32_e32 vcc, s20, v25
	v_cndmask_b32_e64 v24, 0, 32, vcc
	v_ldexp_f32 v24, v25, v24
	v_log_f32_e32 v24, v24
	v_cndmask_b32_e32 v25, 0, v23, vcc
	v_mul_f32_e32 v26, 0x3e9a209a, v24
	v_fma_f32 v26, v24, s21, -v26
	v_fmac_f32_e32 v26, 0x3284fbcf, v24
	v_fmac_f32_e32 v26, 0x3e9a209a, v24
	v_cmp_lt_f32_e64 vcc, |v24|, s22
	v_cndmask_b32_e32 v24, v24, v26, vcc
	v_sub_f32_e32 v26, v24, v25
	v_mov_b32_e32 v25, s9
	v_add_co_u32_e32 v24, vcc, s8, v7
	v_addc_co_u32_e32 v25, vcc, v8, v25, vcc
	global_store_dword v[24:25], v26, off
	s_branch .LBB178_8
.LBB178_25:
	s_endpgm
	.section	.rodata,"a",@progbits
	.p2align	6, 0x0
	.amdhsa_kernel _ZN2at6native12_GLOBAL__N_125multi_tensor_apply_kernelINS1_18TensorListMetadataILi2EEENS1_14UnaryOpFunctorIfLi2ELi1ELi1EEEJNS0_5Log10IfEEEEEvT_T0_DpT1_
		.amdhsa_group_segment_fixed_size 0
		.amdhsa_private_segment_fixed_size 0
		.amdhsa_kernarg_size 3408
		.amdhsa_user_sgpr_count 6
		.amdhsa_user_sgpr_private_segment_buffer 1
		.amdhsa_user_sgpr_dispatch_ptr 0
		.amdhsa_user_sgpr_queue_ptr 0
		.amdhsa_user_sgpr_kernarg_segment_ptr 1
		.amdhsa_user_sgpr_dispatch_id 0
		.amdhsa_user_sgpr_flat_scratch_init 0
		.amdhsa_user_sgpr_private_segment_size 0
		.amdhsa_uses_dynamic_stack 0
		.amdhsa_system_sgpr_private_segment_wavefront_offset 0
		.amdhsa_system_sgpr_workgroup_id_x 1
		.amdhsa_system_sgpr_workgroup_id_y 0
		.amdhsa_system_sgpr_workgroup_id_z 0
		.amdhsa_system_sgpr_workgroup_info 0
		.amdhsa_system_vgpr_workitem_id 0
		.amdhsa_next_free_vgpr 31
		.amdhsa_next_free_sgpr 27
		.amdhsa_reserve_vcc 1
		.amdhsa_reserve_flat_scratch 0
		.amdhsa_float_round_mode_32 0
		.amdhsa_float_round_mode_16_64 0
		.amdhsa_float_denorm_mode_32 3
		.amdhsa_float_denorm_mode_16_64 3
		.amdhsa_dx10_clamp 1
		.amdhsa_ieee_mode 1
		.amdhsa_fp16_overflow 0
		.amdhsa_exception_fp_ieee_invalid_op 0
		.amdhsa_exception_fp_denorm_src 0
		.amdhsa_exception_fp_ieee_div_zero 0
		.amdhsa_exception_fp_ieee_overflow 0
		.amdhsa_exception_fp_ieee_underflow 0
		.amdhsa_exception_fp_ieee_inexact 0
		.amdhsa_exception_int_div_zero 0
	.end_amdhsa_kernel
	.section	.text._ZN2at6native12_GLOBAL__N_125multi_tensor_apply_kernelINS1_18TensorListMetadataILi2EEENS1_14UnaryOpFunctorIfLi2ELi1ELi1EEEJNS0_5Log10IfEEEEEvT_T0_DpT1_,"axG",@progbits,_ZN2at6native12_GLOBAL__N_125multi_tensor_apply_kernelINS1_18TensorListMetadataILi2EEENS1_14UnaryOpFunctorIfLi2ELi1ELi1EEEJNS0_5Log10IfEEEEEvT_T0_DpT1_,comdat
.Lfunc_end178:
	.size	_ZN2at6native12_GLOBAL__N_125multi_tensor_apply_kernelINS1_18TensorListMetadataILi2EEENS1_14UnaryOpFunctorIfLi2ELi1ELi1EEEJNS0_5Log10IfEEEEEvT_T0_DpT1_, .Lfunc_end178-_ZN2at6native12_GLOBAL__N_125multi_tensor_apply_kernelINS1_18TensorListMetadataILi2EEENS1_14UnaryOpFunctorIfLi2ELi1ELi1EEEJNS0_5Log10IfEEEEEvT_T0_DpT1_
                                        ; -- End function
	.set _ZN2at6native12_GLOBAL__N_125multi_tensor_apply_kernelINS1_18TensorListMetadataILi2EEENS1_14UnaryOpFunctorIfLi2ELi1ELi1EEEJNS0_5Log10IfEEEEEvT_T0_DpT1_.num_vgpr, 31
	.set _ZN2at6native12_GLOBAL__N_125multi_tensor_apply_kernelINS1_18TensorListMetadataILi2EEENS1_14UnaryOpFunctorIfLi2ELi1ELi1EEEJNS0_5Log10IfEEEEEvT_T0_DpT1_.num_agpr, 0
	.set _ZN2at6native12_GLOBAL__N_125multi_tensor_apply_kernelINS1_18TensorListMetadataILi2EEENS1_14UnaryOpFunctorIfLi2ELi1ELi1EEEJNS0_5Log10IfEEEEEvT_T0_DpT1_.numbered_sgpr, 27
	.set _ZN2at6native12_GLOBAL__N_125multi_tensor_apply_kernelINS1_18TensorListMetadataILi2EEENS1_14UnaryOpFunctorIfLi2ELi1ELi1EEEJNS0_5Log10IfEEEEEvT_T0_DpT1_.num_named_barrier, 0
	.set _ZN2at6native12_GLOBAL__N_125multi_tensor_apply_kernelINS1_18TensorListMetadataILi2EEENS1_14UnaryOpFunctorIfLi2ELi1ELi1EEEJNS0_5Log10IfEEEEEvT_T0_DpT1_.private_seg_size, 0
	.set _ZN2at6native12_GLOBAL__N_125multi_tensor_apply_kernelINS1_18TensorListMetadataILi2EEENS1_14UnaryOpFunctorIfLi2ELi1ELi1EEEJNS0_5Log10IfEEEEEvT_T0_DpT1_.uses_vcc, 1
	.set _ZN2at6native12_GLOBAL__N_125multi_tensor_apply_kernelINS1_18TensorListMetadataILi2EEENS1_14UnaryOpFunctorIfLi2ELi1ELi1EEEJNS0_5Log10IfEEEEEvT_T0_DpT1_.uses_flat_scratch, 0
	.set _ZN2at6native12_GLOBAL__N_125multi_tensor_apply_kernelINS1_18TensorListMetadataILi2EEENS1_14UnaryOpFunctorIfLi2ELi1ELi1EEEJNS0_5Log10IfEEEEEvT_T0_DpT1_.has_dyn_sized_stack, 0
	.set _ZN2at6native12_GLOBAL__N_125multi_tensor_apply_kernelINS1_18TensorListMetadataILi2EEENS1_14UnaryOpFunctorIfLi2ELi1ELi1EEEJNS0_5Log10IfEEEEEvT_T0_DpT1_.has_recursion, 0
	.set _ZN2at6native12_GLOBAL__N_125multi_tensor_apply_kernelINS1_18TensorListMetadataILi2EEENS1_14UnaryOpFunctorIfLi2ELi1ELi1EEEJNS0_5Log10IfEEEEEvT_T0_DpT1_.has_indirect_call, 0
	.section	.AMDGPU.csdata,"",@progbits
; Kernel info:
; codeLenInByte = 1944
; TotalNumSgprs: 31
; NumVgprs: 31
; ScratchSize: 0
; MemoryBound: 0
; FloatMode: 240
; IeeeMode: 1
; LDSByteSize: 0 bytes/workgroup (compile time only)
; SGPRBlocks: 3
; VGPRBlocks: 7
; NumSGPRsForWavesPerEU: 31
; NumVGPRsForWavesPerEU: 31
; Occupancy: 8
; WaveLimiterHint : 0
; COMPUTE_PGM_RSRC2:SCRATCH_EN: 0
; COMPUTE_PGM_RSRC2:USER_SGPR: 6
; COMPUTE_PGM_RSRC2:TRAP_HANDLER: 0
; COMPUTE_PGM_RSRC2:TGID_X_EN: 1
; COMPUTE_PGM_RSRC2:TGID_Y_EN: 0
; COMPUTE_PGM_RSRC2:TGID_Z_EN: 0
; COMPUTE_PGM_RSRC2:TIDIG_COMP_CNT: 0
	.section	.text._ZN2at6native12_GLOBAL__N_125multi_tensor_apply_kernelINS1_18TensorListMetadataILi2EEENS1_14UnaryOpFunctorIN3c107complexIdEELi2ELi1ELi1EEEJNS0_5Log10IS8_EEEEEvT_T0_DpT1_,"axG",@progbits,_ZN2at6native12_GLOBAL__N_125multi_tensor_apply_kernelINS1_18TensorListMetadataILi2EEENS1_14UnaryOpFunctorIN3c107complexIdEELi2ELi1ELi1EEEJNS0_5Log10IS8_EEEEEvT_T0_DpT1_,comdat
	.globl	_ZN2at6native12_GLOBAL__N_125multi_tensor_apply_kernelINS1_18TensorListMetadataILi2EEENS1_14UnaryOpFunctorIN3c107complexIdEELi2ELi1ELi1EEEJNS0_5Log10IS8_EEEEEvT_T0_DpT1_ ; -- Begin function _ZN2at6native12_GLOBAL__N_125multi_tensor_apply_kernelINS1_18TensorListMetadataILi2EEENS1_14UnaryOpFunctorIN3c107complexIdEELi2ELi1ELi1EEEJNS0_5Log10IS8_EEEEEvT_T0_DpT1_
	.p2align	8
	.type	_ZN2at6native12_GLOBAL__N_125multi_tensor_apply_kernelINS1_18TensorListMetadataILi2EEENS1_14UnaryOpFunctorIN3c107complexIdEELi2ELi1ELi1EEEJNS0_5Log10IS8_EEEEEvT_T0_DpT1_,@function
_ZN2at6native12_GLOBAL__N_125multi_tensor_apply_kernelINS1_18TensorListMetadataILi2EEENS1_14UnaryOpFunctorIN3c107complexIdEELi2ELi1ELi1EEEJNS0_5Log10IS8_EEEEEvT_T0_DpT1_: ; @_ZN2at6native12_GLOBAL__N_125multi_tensor_apply_kernelINS1_18TensorListMetadataILi2EEENS1_14UnaryOpFunctorIN3c107complexIdEELi2ELi1ELi1EEEJNS0_5Log10IS8_EEEEEvT_T0_DpT1_
; %bb.0:
	v_mov_b32_e32 v1, s6
	global_load_ubyte v1, v1, s[4:5] offset:1536
	s_add_u32 s0, s4, s6
	s_mul_hi_u32 s2, s6, 3
	s_mul_i32 s6, s6, 3
	s_addc_u32 s7, s5, 0
	s_add_u32 s6, s0, s6
	s_addc_u32 s7, s7, s2
	s_load_dword s14, s[6:7], 0x740
	s_mov_b32 s1, 0
	s_mov_b32 s3, s1
	s_waitcnt lgkmcnt(0)
	s_ashr_i32 s15, s14, 31
	s_lshl_b64 s[12:13], s[14:15], 20
	s_waitcnt vmcnt(0)
	v_readfirstlane_b32 s0, v1
	s_lshl_b32 s0, s0, 3
	s_load_dwordx2 s[6:7], s[4:5], s0 offset:0x0
	s_load_dwordx2 s[8:9], s[4:5], s0 offset:0x400
	;; [unrolled: 1-line block ×3, first 2 shown]
	s_waitcnt lgkmcnt(0)
	s_add_u32 s33, s6, s12
	s_addc_u32 s61, s7, s13
	s_and_b32 s0, s33, 63
	s_add_u32 s54, s10, s12
	s_addc_u32 s55, s11, s13
	s_lshl_b64 s[6:7], s[14:15], 16
	s_and_b32 s2, s54, 63
	s_sub_u32 s10, s8, s6
	s_subb_u32 s11, s9, s7
	s_and_b32 s6, s8, 3
	s_mov_b32 s7, s1
	s_or_b64 s[2:3], s[2:3], s[6:7]
	s_or_b64 s[0:1], s[2:3], s[0:1]
	s_cmp_eq_u64 s[0:1], 0
	s_mov_b64 s[0:1], -1
	s_cbranch_scc0 .LBB179_141
; %bb.1:
	v_mov_b32_e32 v1, 0x10000
	v_mov_b32_e32 v2, 0
                                        ; implicit-def: $vgpr80 : SGPR spill to VGPR lane
	v_cmp_lt_i64_e32 vcc, s[10:11], v[1:2]
	v_writelane_b32 v80, s4, 0
	v_writelane_b32 v80, s5, 1
	v_mov_b32_e32 v17, 0
	s_and_b64 s[0:1], vcc, exec
	s_mov_b32 s45, s61
	s_cselect_b32 s13, s11, 0
	v_writelane_b32 v80, s10, 2
	s_cselect_b32 s12, s10, 0x10000
	v_lshlrev_b32_e32 v1, 2, v0
	v_mov_b32_e32 v2, v17
	v_writelane_b32 v80, s11, 3
	v_cmp_gt_i64_e32 vcc, s[12:13], v[1:2]
	s_mov_b64 s[0:1], exec
	v_writelane_b32 v80, s0, 4
	v_writelane_b32 v80, s1, 5
	s_and_b64 s[0:1], s[0:1], vcc
	s_mov_b64 exec, s[0:1]
	s_cbranch_execz .LBB179_140
; %bb.2:
	v_readlane_b32 s0, v80, 0
	v_readlane_b32 s1, v80, 1
	s_load_dword s0, s[0:1], 0xc5c
	v_mov_b32_e32 v1, v17
	s_mov_b32 s22, 0x55555555
	s_mov_b32 s24, 0xbf559e2b
	;; [unrolled: 1-line block ×29, first 2 shown]
	v_mov_b32_e32 v24, v1
	s_mov_b32 s94, 0
	v_mov_b32_e32 v59, s45
	s_brev_b32 s42, -2
	s_waitcnt lgkmcnt(0)
	s_and_b32 s43, s0, 0xffff
	s_mov_b32 s23, 0x3fe55555
	s_mov_b32 s25, 0x3fc3ab76
	;; [unrolled: 1-line block ×26, first 2 shown]
	s_movk_i32 s44, 0x204
	s_mov_b32 s81, 0x3ff921fb
	s_mov_b32 s85, 0x4005bf0a
	;; [unrolled: 1-line block ×3, first 2 shown]
	v_mov_b32_e32 v19, 0x6b47b09a
	v_mov_b32_e32 v20, 0x3fc38538
	;; [unrolled: 1-line block ×12, first 2 shown]
	s_mov_b64 s[88:89], 0
	s_mov_b32 s90, 0x55555780
	s_brev_b32 s95, 4
	s_mov_b32 s79, 0x400921fb
	s_branch .LBB179_5
.LBB179_3:                              ;   in Loop: Header=BB179_5 Depth=1
	s_or_b64 exec, exec, s[2:3]
	v_frexp_mant_f64_e32 v[1:2], v[13:14]
	s_mov_b32 s91, s23
	v_cmp_gt_f64_e32 vcc, s[22:23], v[1:2]
	v_cndmask_b32_e64 v3, 0, 1, vcc
	v_ldexp_f64 v[1:2], v[1:2], v3
	v_frexp_exp_i32_f64_e32 v3, v[13:14]
	v_add_f64 v[35:36], v[1:2], 1.0
	v_add_f64 v[41:42], v[1:2], -1.0
	v_subbrev_co_u32_e32 v3, vcc, 0, v3, vcc
	v_cmp_class_f64_e64 vcc, v[13:14], s44
	v_rcp_f64_e32 v[37:38], v[35:36]
	v_add_f64 v[43:44], v[35:36], -1.0
	v_add_f64 v[1:2], v[1:2], -v[43:44]
	v_fma_f64 v[39:40], -v[35:36], v[37:38], 1.0
	v_fma_f64 v[37:38], v[39:40], v[37:38], v[37:38]
	v_fma_f64 v[39:40], -v[35:36], v[37:38], 1.0
	v_fma_f64 v[37:38], v[39:40], v[37:38], v[37:38]
	v_mul_f64 v[39:40], v[41:42], v[37:38]
	v_mul_f64 v[45:46], v[35:36], v[39:40]
	v_fma_f64 v[35:36], v[39:40], v[35:36], -v[45:46]
	v_fma_f64 v[1:2], v[39:40], v[1:2], v[35:36]
	v_add_f64 v[35:36], v[45:46], v[1:2]
	v_add_f64 v[43:44], v[41:42], -v[35:36]
	v_add_f64 v[45:46], v[35:36], -v[45:46]
	;; [unrolled: 1-line block ×5, first 2 shown]
	v_add_f64 v[1:2], v[1:2], v[35:36]
	v_add_f64 v[1:2], v[43:44], v[1:2]
	v_mul_f64 v[1:2], v[37:38], v[1:2]
	v_add_f64 v[35:36], v[39:40], v[1:2]
	v_mul_f64 v[37:38], v[35:36], v[35:36]
	v_fma_f64 v[41:42], v[37:38], s[24:25], v[19:20]
	v_mul_f64 v[43:44], v[35:36], v[37:38]
	v_fma_f64 v[41:42], v[37:38], v[41:42], s[26:27]
	v_fma_f64 v[41:42], v[37:38], v[41:42], s[28:29]
	;; [unrolled: 1-line block ×5, first 2 shown]
	v_ldexp_f64 v[41:42], v[35:36], 1
	v_add_f64 v[35:36], v[35:36], -v[39:40]
	v_mul_f64 v[37:38], v[43:44], v[37:38]
	v_cvt_f64_i32_e32 v[43:44], v3
	v_add_f64 v[1:2], v[1:2], -v[35:36]
	v_mul_f64 v[45:46], v[43:44], s[36:37]
	v_add_f64 v[39:40], v[41:42], v[37:38]
	v_ldexp_f64 v[1:2], v[1:2], 1
	v_add_f64 v[35:36], v[39:40], -v[41:42]
	v_fma_f64 v[41:42], v[43:44], s[36:37], -v[45:46]
	v_add_f64 v[35:36], v[37:38], -v[35:36]
	v_fma_f64 v[37:38], v[43:44], s[38:39], v[41:42]
	v_add_f64 v[1:2], v[1:2], v[35:36]
	v_add_f64 v[35:36], v[45:46], v[37:38]
	;; [unrolled: 1-line block ×3, first 2 shown]
	v_add_f64 v[45:46], v[35:36], -v[45:46]
	v_add_f64 v[43:44], v[35:36], v[41:42]
	v_add_f64 v[39:40], v[41:42], -v[39:40]
	v_add_f64 v[37:38], v[37:38], -v[45:46]
	;; [unrolled: 1-line block ×6, first 2 shown]
	v_add_f64 v[41:42], v[37:38], v[1:2]
	v_add_f64 v[35:36], v[35:36], -v[49:50]
	v_add_f64 v[35:36], v[39:40], v[35:36]
	v_add_f64 v[39:40], v[41:42], -v[37:38]
	;; [unrolled: 2-line block ×3, first 2 shown]
	v_add_f64 v[1:2], v[1:2], -v[39:40]
	v_add_f64 v[45:46], v[43:44], v[35:36]
	v_add_f64 v[37:38], v[37:38], -v[41:42]
	v_add_f64 v[39:40], v[45:46], -v[43:44]
	v_add_f64 v[1:2], v[1:2], v[37:38]
	v_add_f64 v[35:36], v[35:36], -v[39:40]
	v_add_f64 v[1:2], v[1:2], v[35:36]
	v_mov_b32_e32 v35, 0
	v_mov_b32_e32 v36, 0x7ff80000
	v_add_f64 v[1:2], v[45:46], v[1:2]
	v_cndmask_b32_e32 v1, v1, v13, vcc
	v_cndmask_b32_e32 v2, v2, v14, vcc
	v_cmp_ngt_f64_e32 vcc, 0, v[13:14]
	v_cndmask_b32_e32 v2, v61, v2, vcc
	v_cmp_nge_f64_e32 vcc, 0, v[13:14]
	v_cndmask_b32_e32 v37, 0, v1, vcc
	v_cmp_neq_f64_e32 vcc, 0, v[13:14]
	v_cndmask_b32_e32 v38, v62, v2, vcc
.LBB179_4:                              ;   in Loop: Header=BB179_5 Depth=1
	s_or_b64 exec, exec, s[0:1]
	v_div_scale_f64 v[1:2], s[0:1], s[86:87], s[86:87], v[33:34]
	v_bfi_b32 v10, s42, v10, v16
	v_bfi_b32 v6, s42, v6, v12
	;; [unrolled: 1-line block ×4, first 2 shown]
	v_mov_b32_e32 v18, s55
	v_rcp_f64_e32 v[13:14], v[1:2]
	v_fma_f64 v[15:16], -v[1:2], v[13:14], 1.0
	v_fma_f64 v[13:14], v[13:14], v[15:16], v[13:14]
	v_fma_f64 v[15:16], -v[1:2], v[13:14], 1.0
	v_fma_f64 v[13:14], v[13:14], v[15:16], v[13:14]
	v_div_scale_f64 v[15:16], vcc, v[33:34], s[86:87], v[33:34]
	v_mul_f64 v[39:40], v[15:16], v[13:14]
	v_fma_f64 v[1:2], -v[1:2], v[39:40], v[15:16]
	s_nop 1
	v_div_fmas_f64 v[1:2], v[1:2], v[13:14], v[39:40]
	v_div_fixup_f64 v[13:14], v[1:2], s[86:87], v[33:34]
	v_div_scale_f64 v[1:2], s[0:1], s[86:87], s[86:87], v[9:10]
	v_rcp_f64_e32 v[15:16], v[1:2]
	v_fma_f64 v[33:34], -v[1:2], v[15:16], 1.0
	v_fma_f64 v[15:16], v[15:16], v[33:34], v[15:16]
	v_fma_f64 v[33:34], -v[1:2], v[15:16], 1.0
	v_fma_f64 v[15:16], v[15:16], v[33:34], v[15:16]
	v_div_scale_f64 v[33:34], vcc, v[9:10], s[86:87], v[9:10]
	v_mul_f64 v[39:40], v[33:34], v[15:16]
	v_fma_f64 v[1:2], -v[1:2], v[39:40], v[33:34]
	s_nop 1
	v_div_fmas_f64 v[1:2], v[1:2], v[15:16], v[39:40]
	v_div_fixup_f64 v[15:16], v[1:2], s[86:87], v[9:10]
	v_div_scale_f64 v[1:2], s[0:1], s[86:87], s[86:87], v[31:32]
	;; [unrolled: 12-line block ×6, first 2 shown]
	v_rcp_f64_e32 v[3:4], v[1:2]
	v_fma_f64 v[27:28], -v[1:2], v[3:4], 1.0
	v_fma_f64 v[3:4], v[3:4], v[27:28], v[3:4]
	v_fma_f64 v[27:28], -v[1:2], v[3:4], 1.0
	v_fma_f64 v[3:4], v[3:4], v[27:28], v[3:4]
	v_div_scale_f64 v[27:28], vcc, v[37:38], s[86:87], v[37:38]
	v_mul_f64 v[29:30], v[27:28], v[3:4]
	v_fma_f64 v[1:2], -v[1:2], v[29:30], v[27:28]
	s_nop 1
	v_div_fmas_f64 v[1:2], v[1:2], v[3:4], v[29:30]
	v_div_scale_f64 v[3:4], s[0:1], s[86:87], s[86:87], v[35:36]
	v_div_fixup_f64 v[1:2], v[1:2], s[86:87], v[37:38]
	v_rcp_f64_e32 v[27:28], v[3:4]
	v_fma_f64 v[29:30], -v[3:4], v[27:28], 1.0
	v_fma_f64 v[27:28], v[27:28], v[29:30], v[27:28]
	v_fma_f64 v[29:30], -v[3:4], v[27:28], 1.0
	v_fma_f64 v[27:28], v[27:28], v[29:30], v[27:28]
	v_div_scale_f64 v[29:30], vcc, v[35:36], s[86:87], v[35:36]
	v_mul_f64 v[31:32], v[29:30], v[27:28]
	v_fma_f64 v[3:4], -v[3:4], v[31:32], v[29:30]
	s_nop 1
	v_div_fmas_f64 v[3:4], v[3:4], v[27:28], v[31:32]
	v_add_co_u32_e32 v25, vcc, s54, v25
	v_addc_co_u32_e32 v26, vcc, v18, v26, vcc
	v_add_co_u32_e32 v23, vcc, s43, v23
	v_addc_co_u32_e32 v24, vcc, 0, v24, vcc
	v_div_fixup_f64 v[3:4], v[3:4], s[86:87], v[35:36]
	global_store_dwordx4 v[25:26], v[5:8], off
	global_store_dwordx4 v[25:26], v[9:12], off offset:16
	global_store_dwordx4 v[25:26], v[13:16], off offset:32
	;; [unrolled: 1-line block ×3, first 2 shown]
	s_nop 0
	v_lshlrev_b64 v[1:2], 2, v[23:24]
	v_cmp_le_i64_e32 vcc, s[12:13], v[1:2]
	s_or_b64 s[88:89], vcc, s[88:89]
	s_andn2_b64 exec, exec, s[88:89]
	s_cbranch_execz .LBB179_140
.LBB179_5:                              ; =>This Loop Header: Depth=1
                                        ;     Child Loop BB179_16 Depth 2
                                        ;     Child Loop BB179_50 Depth 2
	;; [unrolled: 1-line block ×4, first 2 shown]
	v_lshlrev_b64 v[25:26], 6, v[23:24]
                                        ; implicit-def: $vgpr29_vgpr30
                                        ; implicit-def: $vgpr27_vgpr28
	v_add_co_u32_e32 v13, vcc, s33, v25
	v_addc_co_u32_e32 v14, vcc, v59, v26, vcc
	global_load_dwordx4 v[5:8], v[13:14], off
	global_load_dwordx4 v[9:12], v[13:14], off offset:16
	global_load_dwordx4 v[1:4], v[13:14], off offset:48
	s_nop 0
	global_load_dwordx4 v[13:16], v[13:14], off offset:32
	s_waitcnt vmcnt(3)
	v_cmp_o_f64_e32 vcc, v[5:6], v[7:8]
	s_and_saveexec_b64 s[0:1], vcc
	s_xor_b64 s[14:15], exec, s[0:1]
	s_cbranch_execz .LBB179_33
; %bb.6:                                ;   in Loop: Header=BB179_5 Depth=1
	v_cmp_lt_f64_e64 s[0:1], |v[5:6]|, |v[7:8]|
	v_and_b32_e32 v18, 0x7fffffff, v6
	v_and_b32_e32 v31, 0x7fffffff, v8
	s_mov_b32 s2, 0x85ebc8a0
	s_mov_b32 s3, 0x7fd1ccf3
	v_mov_b32_e32 v32, v7
                                        ; implicit-def: $vgpr29_vgpr30
                                        ; implicit-def: $vgpr27_vgpr28
	v_cndmask_b32_e64 v34, v31, v18, s[0:1]
	v_cndmask_b32_e64 v33, v7, v5, s[0:1]
	v_cmp_nlt_f64_e32 vcc, s[2:3], v[33:34]
	s_and_saveexec_b64 s[2:3], vcc
	s_xor_b64 s[92:93], exec, s[2:3]
	s_cbranch_execz .LBB179_30
; %bb.7:                                ;   in Loop: Header=BB179_5 Depth=1
	v_cndmask_b32_e64 v36, v18, v31, s[0:1]
	v_cndmask_b32_e64 v35, v5, v32, s[0:1]
	v_cmp_neq_f64_e32 vcc, 1.0, v[35:36]
                                        ; implicit-def: $vgpr29_vgpr30
                                        ; implicit-def: $vgpr27_vgpr28
	s_and_saveexec_b64 s[2:3], vcc
	s_xor_b64 s[18:19], exec, s[2:3]
	s_cbranch_execz .LBB179_23
; %bb.8:                                ;   in Loop: Header=BB179_5 Depth=1
	v_max_f64 v[27:28], v[33:34], v[33:34]
	v_max_f64 v[29:30], v[35:36], v[35:36]
	s_mov_b32 s2, 0x4ad4b81f
	s_mov_b32 s3, 0x358dee7a
	v_min_f64 v[31:32], v[29:30], v[27:28]
	v_max_f64 v[27:28], v[29:30], v[27:28]
                                        ; implicit-def: $vgpr29_vgpr30
	v_cmp_ngt_f64_e32 vcc, s[2:3], v[31:32]
	s_mov_b32 s2, 0xc57e649a
	s_mov_b32 s3, 0x4a511b0e
	v_cmp_nlt_f64_e64 s[2:3], s[2:3], v[27:28]
                                        ; implicit-def: $vgpr27_vgpr28
	s_and_b64 s[2:3], s[2:3], vcc
	s_and_saveexec_b64 s[4:5], s[2:3]
	s_xor_b64 s[20:21], exec, s[4:5]
	s_cbranch_execz .LBB179_20
; %bb.9:                                ;   in Loop: Header=BB179_5 Depth=1
	v_cmp_le_f64_e32 vcc, 1.0, v[35:36]
                                        ; implicit-def: $vgpr29_vgpr30
                                        ; implicit-def: $vgpr27_vgpr28
	s_and_saveexec_b64 s[2:3], vcc
	s_xor_b64 s[10:11], exec, s[2:3]
	s_cbranch_execz .LBB179_11
; %bb.10:                               ;   in Loop: Header=BB179_5 Depth=1
	v_add_f64 v[27:28], v[35:36], -1.0
	v_add_f64 v[29:30], v[35:36], 1.0
	s_mov_b32 s91, s23
	s_mov_b32 s78, s80
	;; [unrolled: 1-line block ×4, first 2 shown]
	v_cmp_class_f64_e64 s[4:5], v[7:8], s44
	v_mul_f64 v[27:28], v[27:28], v[29:30]
	v_fma_f64 v[30:31], v[33:34], v[33:34], v[27:28]
	v_add_f64 v[27:28], v[30:31], 1.0
	v_cmp_nge_f64_e64 s[6:7], -1.0, v[30:31]
	v_cmp_neq_f64_e64 s[8:9], s[8:9], v[30:31]
	v_frexp_mant_f64_e32 v[34:35], v[27:28]
	v_frexp_exp_i32_f64_e32 v18, v[27:28]
	v_add_f64 v[32:33], v[27:28], -1.0
	v_cmp_gt_f64_e32 vcc, s[22:23], v[34:35]
	v_add_f64 v[36:37], v[32:33], -v[27:28]
	v_add_f64 v[32:33], v[30:31], -v[32:33]
	v_subbrev_co_u32_e32 v18, vcc, 0, v18, vcc
	v_sub_u32_e32 v29, 0, v18
	v_ldexp_f64 v[27:28], v[27:28], v29
	v_add_f64 v[34:35], v[36:37], 1.0
	v_add_f64 v[36:37], v[27:28], 1.0
	v_add_f64 v[32:33], v[32:33], v[34:35]
	v_add_f64 v[42:43], v[27:28], -1.0
	v_add_f64 v[34:35], v[36:37], -1.0
	v_ldexp_f64 v[32:33], v[32:33], v29
	v_add_f64 v[44:45], v[42:43], 1.0
	v_add_f64 v[34:35], v[27:28], -v[34:35]
	v_add_f64 v[27:28], v[27:28], -v[44:45]
	v_add_f64 v[38:39], v[32:33], v[34:35]
	v_add_f64 v[44:45], v[32:33], v[27:28]
	;; [unrolled: 1-line block ×3, first 2 shown]
	v_rcp_f64_e32 v[40:41], v[34:35]
	v_add_f64 v[36:37], v[34:35], -v[36:37]
	v_add_f64 v[38:39], v[38:39], -v[36:37]
	v_fma_f64 v[46:47], -v[34:35], v[40:41], 1.0
	v_fma_f64 v[40:41], v[46:47], v[40:41], v[40:41]
	v_add_f64 v[46:47], v[42:43], v[44:45]
	v_fma_f64 v[27:28], -v[34:35], v[40:41], 1.0
	v_add_f64 v[42:43], v[46:47], -v[42:43]
	v_fma_f64 v[27:28], v[27:28], v[40:41], v[40:41]
	v_add_f64 v[42:43], v[44:45], -v[42:43]
	v_mul_f64 v[32:33], v[46:47], v[27:28]
	v_mul_f64 v[40:41], v[34:35], v[32:33]
	v_fma_f64 v[36:37], v[32:33], v[34:35], -v[40:41]
	v_fma_f64 v[48:49], v[32:33], v[38:39], v[36:37]
	v_add_f64 v[50:51], v[40:41], v[48:49]
	v_add_f64 v[36:37], v[46:47], -v[50:51]
	v_add_f64 v[40:41], v[50:51], -v[40:41]
	;; [unrolled: 1-line block ×5, first 2 shown]
	v_add_f64 v[42:43], v[42:43], v[44:45]
	v_max_f64 v[44:45], |v[5:6]|, |v[5:6]|
	v_add_f64 v[40:41], v[40:41], v[42:43]
	v_max_f64 v[42:43], |v[7:8]|, |v[7:8]|
	v_add_f64 v[46:47], v[36:37], v[40:41]
	v_max_f64 v[48:49], v[44:45], v[42:43]
	v_min_f64 v[42:43], v[44:45], v[42:43]
	v_mul_f64 v[44:45], v[27:28], v[46:47]
	v_add_f64 v[36:37], v[36:37], -v[46:47]
	v_div_scale_f64 v[50:51], s[2:3], v[48:49], v[48:49], v[42:43]
	s_mov_b32 s2, 0x69efb384
	s_mov_b32 s3, 0x3f4b2bb0
	v_mul_f64 v[52:53], v[34:35], v[44:45]
	v_add_f64 v[36:37], v[40:41], v[36:37]
	v_fma_f64 v[34:35], v[44:45], v[34:35], -v[52:53]
	v_rcp_f64_e32 v[54:55], v[50:51]
	v_fma_f64 v[34:35], v[44:45], v[38:39], v[34:35]
	v_add_f64 v[38:39], v[52:53], v[34:35]
	v_fma_f64 v[56:57], -v[50:51], v[54:55], 1.0
	v_add_f64 v[67:68], v[46:47], -v[38:39]
	v_add_f64 v[40:41], v[38:39], -v[52:53]
	v_fma_f64 v[54:55], v[54:55], v[56:57], v[54:55]
	v_div_scale_f64 v[56:57], vcc, v[42:43], v[48:49], v[42:43]
	v_add_f64 v[46:47], v[46:47], -v[67:68]
	v_add_f64 v[34:35], v[40:41], -v[34:35]
	v_fma_f64 v[69:70], -v[50:51], v[54:55], 1.0
	v_add_f64 v[40:41], v[32:33], v[44:45]
	v_add_f64 v[38:39], v[46:47], -v[38:39]
	v_fma_f64 v[46:47], v[54:55], v[69:70], v[54:55]
	v_add_f64 v[32:33], v[40:41], -v[32:33]
	v_add_f64 v[36:37], v[36:37], v[38:39]
	v_mul_f64 v[38:39], v[56:57], v[46:47]
	v_add_f64 v[32:33], v[44:45], -v[32:33]
	v_add_f64 v[34:35], v[34:35], v[36:37]
	v_fma_f64 v[36:37], -v[50:51], v[38:39], v[56:57]
	v_add_f64 v[34:35], v[67:68], v[34:35]
	v_div_fmas_f64 v[36:37], v[36:37], v[46:47], v[38:39]
	v_cmp_gt_i32_e32 vcc, 0, v6
	v_cndmask_b32_e32 v29, v65, v66, vcc
	v_mul_f64 v[27:28], v[27:28], v[34:35]
	v_add_f64 v[27:28], v[32:33], v[27:28]
	v_div_fixup_f64 v[32:33], v[36:37], v[48:49], v[42:43]
	v_add_f64 v[34:35], v[40:41], v[27:28]
	v_mul_f64 v[36:37], v[32:33], v[32:33]
	v_mul_f64 v[38:39], v[34:35], v[34:35]
	v_fma_f64 v[42:43], v[36:37], s[16:17], v[21:22]
	v_cmp_class_f64_e64 s[16:17], v[5:6], s44
	v_ashrrev_i32_e32 v5, 31, v6
	v_fma_f64 v[44:45], v[38:39], s[24:25], v[19:20]
	v_mul_f64 v[46:47], v[34:35], v[38:39]
	v_fma_f64 v[42:43], v[36:37], v[42:43], s[2:3]
	s_mov_b32 s2, 0xaf56de9b
	s_mov_b32 s3, 0xbf67952d
	v_fma_f64 v[44:45], v[38:39], v[44:45], s[26:27]
	v_fma_f64 v[42:43], v[36:37], v[42:43], s[2:3]
	v_cmp_eq_f64_e64 s[2:3], 0, v[7:8]
	v_fma_f64 v[44:45], v[38:39], v[44:45], s[28:29]
	v_fma_f64 v[42:43], v[36:37], v[42:43], s[46:47]
	v_fma_f64 v[44:45], v[38:39], v[44:45], s[30:31]
	v_fma_f64 v[42:43], v[36:37], v[42:43], s[48:49]
	v_fma_f64 v[44:45], v[38:39], v[44:45], s[34:35]
	v_fma_f64 v[42:43], v[36:37], v[42:43], s[50:51]
	v_fma_f64 v[38:39], v[38:39], v[44:45], s[90:91]
	v_ldexp_f64 v[44:45], v[34:35], 1
	v_fma_f64 v[42:43], v[36:37], v[42:43], s[52:53]
	v_add_f64 v[34:35], v[34:35], -v[40:41]
	v_mul_f64 v[38:39], v[46:47], v[38:39]
	v_cvt_f64_i32_e32 v[46:47], v18
	v_fma_f64 v[42:43], v[36:37], v[42:43], s[40:41]
	v_add_f64 v[27:28], v[27:28], -v[34:35]
	v_cndmask_b32_e32 v18, v63, v64, vcc
	v_mul_f64 v[48:49], v[46:47], s[36:37]
	v_add_f64 v[40:41], v[44:45], v[38:39]
	v_fma_f64 v[42:43], v[36:37], v[42:43], s[56:57]
	v_ldexp_f64 v[27:28], v[27:28], 1
	v_add_f64 v[34:35], v[40:41], -v[44:45]
	v_fma_f64 v[44:45], v[46:47], s[36:37], -v[48:49]
	v_fma_f64 v[42:43], v[36:37], v[42:43], s[58:59]
	v_add_f64 v[34:35], v[38:39], -v[34:35]
	v_fma_f64 v[38:39], v[36:37], v[42:43], s[60:61]
	v_fma_f64 v[42:43], v[46:47], s[38:39], v[44:45]
	v_add_f64 v[27:28], v[27:28], v[34:35]
	v_fma_f64 v[34:35], v[36:37], v[38:39], s[62:63]
	v_add_f64 v[38:39], v[48:49], v[42:43]
	v_add_f64 v[44:45], v[40:41], v[27:28]
	v_fma_f64 v[34:35], v[36:37], v[34:35], s[64:65]
	v_add_f64 v[48:49], v[38:39], -v[48:49]
	v_add_f64 v[46:47], v[38:39], v[44:45]
	v_add_f64 v[40:41], v[44:45], -v[40:41]
	v_fma_f64 v[34:35], v[36:37], v[34:35], s[66:67]
	v_add_f64 v[42:43], v[42:43], -v[48:49]
	v_add_f64 v[50:51], v[46:47], -v[38:39]
	;; [unrolled: 1-line block ×3, first 2 shown]
	v_fma_f64 v[34:35], v[36:37], v[34:35], s[68:69]
	v_add_f64 v[52:53], v[46:47], -v[50:51]
	v_add_f64 v[40:41], v[44:45], -v[50:51]
	v_fma_f64 v[34:35], v[36:37], v[34:35], s[70:71]
	v_add_f64 v[44:45], v[42:43], v[27:28]
	v_add_f64 v[38:39], v[38:39], -v[52:53]
	v_fma_f64 v[34:35], v[36:37], v[34:35], s[72:73]
	v_add_f64 v[38:39], v[40:41], v[38:39]
	v_add_f64 v[40:41], v[44:45], -v[42:43]
	v_fma_f64 v[34:35], v[36:37], v[34:35], s[74:75]
	v_add_f64 v[38:39], v[44:45], v[38:39]
	v_add_f64 v[44:45], v[44:45], -v[40:41]
	v_fma_f64 v[34:35], v[36:37], v[34:35], s[76:77]
	v_add_f64 v[27:28], v[27:28], -v[40:41]
	v_add_f64 v[48:49], v[46:47], v[38:39]
	v_mul_f64 v[34:35], v[36:37], v[34:35]
	v_add_f64 v[36:37], v[42:43], -v[44:45]
	v_add_f64 v[40:41], v[48:49], -v[46:47]
	v_fma_f64 v[32:33], v[32:33], v[34:35], v[32:33]
	v_add_f64 v[27:28], v[27:28], v[36:37]
	v_add_f64 v[34:35], v[38:39], -v[40:41]
	v_add_f64 v[36:37], -v[32:33], s[80:81]
	v_add_f64 v[27:28], v[27:28], v[34:35]
	v_cndmask_b32_e64 v33, v33, v37, s[0:1]
	v_cndmask_b32_e64 v32, v32, v36, s[0:1]
	v_add_f64 v[34:35], -v[32:33], s[78:79]
	v_and_b32_e32 v36, 0x54442d18, v5
	v_add_f64 v[27:28], v[48:49], v[27:28]
	v_cndmask_b32_e32 v32, v32, v34, vcc
	v_and_b32_e32 v34, 0x400921fb, v5
	v_cndmask_b32_e64 v32, v32, v36, s[2:3]
	v_mul_f64 v[5:6], v[27:28], 0.5
	v_cndmask_b32_e32 v28, v33, v35, vcc
	v_cndmask_b32_e64 v28, v28, v34, s[2:3]
	s_and_b64 s[2:3], s[6:7], s[8:9]
	v_bfi_b32 v27, s42, v29, v8
	s_and_b64 vcc, s[16:17], s[4:5]
	s_mov_b32 s16, 0xb5e68a13
	s_mov_b32 s17, 0x3eeba404
	v_cndmask_b32_e64 v29, 0, v5, s[2:3]
	v_cmp_ngt_f64_e64 s[2:3], -1.0, v[30:31]
	v_cndmask_b32_e64 v6, v60, v6, s[8:9]
	v_cndmask_b32_e32 v28, v28, v27, vcc
	v_cndmask_b32_e32 v27, v32, v18, vcc
                                        ; implicit-def: $vgpr33_vgpr34
                                        ; implicit-def: $vgpr35_vgpr36
	v_cndmask_b32_e64 v5, v61, v6, s[2:3]
	v_cmp_neq_f64_e64 s[2:3], -1.0, v[30:31]
	v_cndmask_b32_e64 v30, v62, v5, s[2:3]
.LBB179_11:                             ;   in Loop: Header=BB179_5 Depth=1
	s_andn2_saveexec_b64 s[82:83], s[10:11]
	s_cbranch_execz .LBB179_19
; %bb.12:                               ;   in Loop: Header=BB179_5 Depth=1
	v_mul_f64 v[27:28], v[33:34], v[33:34]
	s_mov_b32 s2, 0x66666666
	s_mov_b32 s3, 0x3fe66666
                                        ; implicit-def: $vgpr29_vgpr30
	v_fma_f64 v[31:32], v[35:36], v[35:36], v[27:28]
                                        ; implicit-def: $vgpr27_vgpr28
	v_cmp_ge_f64_e32 vcc, s[2:3], v[31:32]
	s_and_saveexec_b64 s[2:3], vcc
	s_xor_b64 s[8:9], exec, s[2:3]
	s_cbranch_execz .LBB179_14
; %bb.13:                               ;   in Loop: Header=BB179_5 Depth=1
	v_frexp_mant_f64_e32 v[27:28], v[31:32]
	v_max_f64 v[37:38], |v[7:8]|, |v[7:8]|
	v_max_f64 v[39:40], |v[5:6]|, |v[5:6]|
	s_mov_b32 s91, s23
	s_mov_b32 s78, s80
	v_cmp_class_f64_e64 s[10:11], v[5:6], s44
	v_ashrrev_i32_e32 v5, 31, v6
	v_cmp_neq_f64_e64 s[6:7], 0, v[31:32]
	v_cmp_gt_f64_e64 s[2:3], s[22:23], v[27:28]
	v_cndmask_b32_e64 v18, 0, 1, s[2:3]
	v_ldexp_f64 v[27:28], v[27:28], v18
	v_frexp_exp_i32_f64_e32 v18, v[31:32]
	v_add_f64 v[29:30], v[27:28], 1.0
	v_add_f64 v[43:44], v[27:28], -1.0
	v_rcp_f64_e32 v[33:34], v[29:30]
	v_add_f64 v[47:48], v[29:30], -1.0
	v_add_f64 v[27:28], v[27:28], -v[47:48]
	v_fma_f64 v[35:36], -v[29:30], v[33:34], 1.0
	v_fma_f64 v[33:34], v[35:36], v[33:34], v[33:34]
	v_max_f64 v[35:36], v[39:40], v[37:38]
	v_min_f64 v[37:38], v[39:40], v[37:38]
	v_fma_f64 v[39:40], -v[29:30], v[33:34], 1.0
	v_div_scale_f64 v[41:42], s[4:5], v[35:36], v[35:36], v[37:38]
	s_mov_b32 s4, 0x69efb384
	s_mov_b32 s5, 0x3f4b2bb0
	v_fma_f64 v[33:34], v[39:40], v[33:34], v[33:34]
	v_mul_f64 v[39:40], v[43:44], v[33:34]
	v_rcp_f64_e32 v[45:46], v[41:42]
	v_mul_f64 v[49:50], v[29:30], v[39:40]
	v_fma_f64 v[29:30], v[39:40], v[29:30], -v[49:50]
	v_fma_f64 v[47:48], -v[41:42], v[45:46], 1.0
	v_fma_f64 v[27:28], v[39:40], v[27:28], v[29:30]
	v_fma_f64 v[29:30], v[45:46], v[47:48], v[45:46]
	v_div_scale_f64 v[47:48], vcc, v[37:38], v[35:36], v[37:38]
	v_add_f64 v[45:46], v[49:50], v[27:28]
	v_fma_f64 v[51:52], -v[41:42], v[29:30], 1.0
	v_add_f64 v[53:54], v[43:44], -v[45:46]
	v_add_f64 v[49:50], v[45:46], -v[49:50]
	v_fma_f64 v[29:30], v[29:30], v[51:52], v[29:30]
	v_add_f64 v[43:44], v[43:44], -v[53:54]
	v_add_f64 v[27:28], v[49:50], -v[27:28]
	v_mul_f64 v[51:52], v[47:48], v[29:30]
	v_add_f64 v[43:44], v[43:44], -v[45:46]
	v_fma_f64 v[41:42], -v[41:42], v[51:52], v[47:48]
	v_add_f64 v[27:28], v[27:28], v[43:44]
	v_div_fmas_f64 v[29:30], v[41:42], v[29:30], v[51:52]
	v_subbrev_co_u32_e64 v18, vcc, 0, v18, s[2:3]
	v_cmp_eq_f64_e64 s[2:3], 0, v[7:8]
	v_cmp_gt_i32_e32 vcc, 0, v6
	v_add_f64 v[27:28], v[53:54], v[27:28]
	v_mul_f64 v[27:28], v[33:34], v[27:28]
	v_div_fixup_f64 v[29:30], v[29:30], v[35:36], v[37:38]
	v_add_f64 v[33:34], v[39:40], v[27:28]
	v_mul_f64 v[35:36], v[29:30], v[29:30]
	v_mul_f64 v[37:38], v[33:34], v[33:34]
	v_fma_f64 v[41:42], v[35:36], s[16:17], v[21:22]
	v_fma_f64 v[43:44], v[37:38], s[24:25], v[19:20]
	v_mul_f64 v[45:46], v[33:34], v[37:38]
	v_fma_f64 v[41:42], v[35:36], v[41:42], s[4:5]
	s_mov_b32 s4, 0xaf56de9b
	s_mov_b32 s5, 0xbf67952d
	v_fma_f64 v[43:44], v[37:38], v[43:44], s[26:27]
	v_fma_f64 v[41:42], v[35:36], v[41:42], s[4:5]
	v_cmp_class_f64_e64 s[4:5], v[7:8], s44
	v_fma_f64 v[43:44], v[37:38], v[43:44], s[28:29]
	v_fma_f64 v[41:42], v[35:36], v[41:42], s[46:47]
	;; [unrolled: 1-line block ×7, first 2 shown]
	v_ldexp_f64 v[43:44], v[33:34], 1
	v_fma_f64 v[41:42], v[35:36], v[41:42], s[52:53]
	v_add_f64 v[33:34], v[33:34], -v[39:40]
	v_mul_f64 v[37:38], v[45:46], v[37:38]
	v_cvt_f64_i32_e32 v[45:46], v18
	v_fma_f64 v[41:42], v[35:36], v[41:42], s[40:41]
	v_add_f64 v[27:28], v[27:28], -v[33:34]
	v_cndmask_b32_e32 v18, v63, v64, vcc
	v_mul_f64 v[47:48], v[45:46], s[36:37]
	v_add_f64 v[39:40], v[43:44], v[37:38]
	v_fma_f64 v[41:42], v[35:36], v[41:42], s[56:57]
	v_ldexp_f64 v[27:28], v[27:28], 1
	v_add_f64 v[33:34], v[39:40], -v[43:44]
	v_fma_f64 v[43:44], v[45:46], s[36:37], -v[47:48]
	v_fma_f64 v[41:42], v[35:36], v[41:42], s[58:59]
	v_add_f64 v[33:34], v[37:38], -v[33:34]
	v_fma_f64 v[37:38], v[35:36], v[41:42], s[60:61]
	v_fma_f64 v[41:42], v[45:46], s[38:39], v[43:44]
	v_add_f64 v[27:28], v[27:28], v[33:34]
	v_fma_f64 v[33:34], v[35:36], v[37:38], s[62:63]
	v_add_f64 v[37:38], v[47:48], v[41:42]
	v_add_f64 v[43:44], v[39:40], v[27:28]
	v_fma_f64 v[33:34], v[35:36], v[33:34], s[64:65]
	v_add_f64 v[47:48], v[37:38], -v[47:48]
	v_add_f64 v[45:46], v[37:38], v[43:44]
	v_add_f64 v[39:40], v[43:44], -v[39:40]
	v_fma_f64 v[33:34], v[35:36], v[33:34], s[66:67]
	v_add_f64 v[41:42], v[41:42], -v[47:48]
	v_add_f64 v[49:50], v[45:46], -v[37:38]
	;; [unrolled: 1-line block ×3, first 2 shown]
	v_fma_f64 v[33:34], v[35:36], v[33:34], s[68:69]
	v_add_f64 v[51:52], v[45:46], -v[49:50]
	v_add_f64 v[39:40], v[43:44], -v[49:50]
	v_fma_f64 v[33:34], v[35:36], v[33:34], s[70:71]
	v_add_f64 v[43:44], v[41:42], v[27:28]
	v_add_f64 v[37:38], v[37:38], -v[51:52]
	v_fma_f64 v[33:34], v[35:36], v[33:34], s[72:73]
	v_add_f64 v[37:38], v[39:40], v[37:38]
	;; [unrolled: 3-line block ×3, first 2 shown]
	v_add_f64 v[43:44], v[43:44], -v[39:40]
	v_fma_f64 v[33:34], v[35:36], v[33:34], s[76:77]
	v_add_f64 v[27:28], v[27:28], -v[39:40]
	v_add_f64 v[47:48], v[45:46], v[37:38]
	v_mul_f64 v[33:34], v[35:36], v[33:34]
	v_add_f64 v[35:36], v[41:42], -v[43:44]
	v_add_f64 v[39:40], v[47:48], -v[45:46]
	v_fma_f64 v[29:30], v[29:30], v[33:34], v[29:30]
	v_add_f64 v[27:28], v[27:28], v[35:36]
	v_add_f64 v[33:34], v[37:38], -v[39:40]
	v_add_f64 v[35:36], -v[29:30], s[80:81]
	v_add_f64 v[27:28], v[27:28], v[33:34]
	v_cndmask_b32_e64 v30, v30, v36, s[0:1]
	v_cndmask_b32_e64 v29, v29, v35, s[0:1]
	v_add_f64 v[33:34], -v[29:30], s[78:79]
	v_and_b32_e32 v35, 0x54442d18, v5
	v_and_b32_e32 v36, 0x400921fb, v5
	v_add_f64 v[27:28], v[47:48], v[27:28]
	v_cndmask_b32_e32 v29, v29, v33, vcc
	v_cndmask_b32_e32 v33, v65, v66, vcc
	v_cndmask_b32_e64 v31, v29, v35, s[2:3]
	v_mul_f64 v[5:6], v[27:28], 0.5
	v_cndmask_b32_e32 v28, v30, v34, vcc
	v_bfi_b32 v27, s42, v33, v8
	v_cndmask_b32_e64 v28, v28, v36, s[2:3]
	s_and_b64 vcc, s[10:11], s[4:5]
	v_cndmask_b32_e32 v28, v28, v27, vcc
	v_cndmask_b32_e32 v27, v31, v18, vcc
                                        ; implicit-def: $vgpr35_vgpr36
                                        ; implicit-def: $vgpr33_vgpr34
	v_cndmask_b32_e64 v30, v62, v6, s[6:7]
	v_cndmask_b32_e64 v29, 0, v5, s[6:7]
.LBB179_14:                             ;   in Loop: Header=BB179_5 Depth=1
	s_andn2_saveexec_b64 s[10:11], s[8:9]
	s_cbranch_execz .LBB179_18
; %bb.15:                               ;   in Loop: Header=BB179_5 Depth=1
	v_and_b32_e32 v18, 0x7ffffff8, v36
	v_and_b32_e32 v30, 0x7ffffff8, v34
	v_mov_b32_e32 v29, v17
	v_add_f64 v[27:28], v[35:36], -v[17:18]
	v_add_f64 v[31:32], v[33:34], -v[29:30]
	v_mov_b32_e32 v35, v17
	v_mov_b32_e32 v43, v17
	v_add_f64 v[39:40], v[17:18], v[17:18]
	v_add_f64 v[41:42], v[29:30], v[29:30]
	v_mul_f64 v[29:30], v[29:30], v[29:30]
	s_mov_b64 s[16:17], 0
	v_and_b32_e32 v36, -8, v28
	v_and_b32_e32 v44, -8, v32
	v_add_f64 v[49:50], v[27:28], -v[35:36]
	v_add_f64 v[51:52], v[31:32], -v[43:44]
	v_add_f64 v[53:54], v[35:36], v[35:36]
	v_add_f64 v[55:56], v[43:44], v[43:44]
	v_mul_f64 v[27:28], v[17:18], v[17:18]
	v_mul_f64 v[33:34], v[39:40], v[35:36]
	v_mul_f64 v[31:32], v[41:42], v[43:44]
	v_mul_f64 v[37:38], v[35:36], v[35:36]
	v_mul_f64 v[43:44], v[43:44], v[43:44]
	v_mul_f64 v[47:48], v[39:40], v[49:50]
	v_mul_f64 v[45:46], v[41:42], v[51:52]
	v_mul_f64 v[41:42], v[53:54], v[49:50]
	v_mul_f64 v[39:40], v[55:56], v[51:52]
	v_mul_f64 v[35:36], v[49:50], v[49:50]
	v_mul_f64 v[49:50], v[51:52], v[51:52]
.LBB179_16:                             ;   Parent Loop BB179_5 Depth=1
                                        ; =>  This Inner Loop Header: Depth=2
	v_cmp_nlt_f64_e32 vcc, v[27:28], v[29:30]
	v_cndmask_b32_e32 v52, v28, v30, vcc
	v_cndmask_b32_e32 v51, v27, v29, vcc
	v_cmp_nlt_f64_e64 s[2:3], v[51:52], v[33:34]
	v_cndmask_b32_e32 v28, v30, v28, vcc
	v_cndmask_b32_e32 v27, v29, v27, vcc
	v_cndmask_b32_e64 v54, v52, v34, s[2:3]
	v_cndmask_b32_e64 v53, v51, v33, s[2:3]
	v_cmp_nlt_f64_e64 s[6:7], v[53:54], v[31:32]
	v_cndmask_b32_e64 v30, v34, v52, s[2:3]
	v_cndmask_b32_e64 v29, v33, v51, s[2:3]
	s_and_b64 s[4:5], vcc, s[2:3]
	v_cndmask_b32_e64 v56, v54, v32, s[6:7]
	v_cndmask_b32_e64 v55, v53, v31, s[6:7]
	v_cmp_nlt_f64_e64 s[8:9], v[55:56], v[37:38]
	v_cndmask_b32_e64 v34, v32, v54, s[6:7]
	v_cndmask_b32_e64 v33, v31, v53, s[6:7]
	v_cndmask_b32_e64 v52, v56, v38, s[8:9]
	v_cndmask_b32_e64 v51, v55, v37, s[8:9]
	v_cmp_nlt_f64_e32 vcc, v[51:52], v[43:44]
	v_cndmask_b32_e64 v32, v38, v56, s[8:9]
	v_cndmask_b32_e64 v31, v37, v55, s[8:9]
	s_and_b64 s[8:9], s[6:7], s[8:9]
	v_cndmask_b32_e32 v54, v52, v44, vcc
	v_cndmask_b32_e32 v53, v51, v43, vcc
	v_cmp_nlt_f64_e64 s[2:3], v[53:54], v[47:48]
	v_cndmask_b32_e32 v38, v44, v52, vcc
	v_cndmask_b32_e32 v37, v43, v51, vcc
	v_cndmask_b32_e64 v52, v54, v48, s[2:3]
	v_cndmask_b32_e64 v51, v53, v47, s[2:3]
	v_cmp_nlt_f64_e64 s[6:7], v[51:52], v[45:46]
	v_cndmask_b32_e64 v44, v48, v54, s[2:3]
	v_cndmask_b32_e64 v43, v47, v53, s[2:3]
	s_and_b64 s[2:3], vcc, s[2:3]
	v_cndmask_b32_e64 v54, v52, v46, s[6:7]
	v_cndmask_b32_e64 v53, v51, v45, s[6:7]
	v_cmp_nlt_f64_e32 vcc, v[53:54], v[41:42]
	v_cndmask_b32_e64 v48, v46, v52, s[6:7]
	v_cndmask_b32_e64 v47, v45, v51, s[6:7]
	s_and_b64 s[6:7], s[2:3], s[6:7]
	v_cndmask_b32_e32 v52, v54, v42, vcc
	v_cndmask_b32_e32 v51, v53, v41, vcc
	v_cmp_nlt_f64_e64 s[2:3], v[51:52], v[39:40]
	v_cndmask_b32_e32 v46, v42, v54, vcc
	v_cndmask_b32_e32 v45, v41, v53, vcc
	s_and_b64 s[6:7], s[6:7], vcc
	v_cndmask_b32_e64 v54, v52, v40, s[2:3]
	v_cndmask_b32_e64 v53, v51, v39, s[2:3]
	v_cmp_nlt_f64_e32 vcc, v[53:54], v[35:36]
	v_cndmask_b32_e64 v42, v40, v52, s[2:3]
	v_cndmask_b32_e64 v41, v39, v51, s[2:3]
	s_and_b64 s[6:7], s[6:7], s[2:3]
	v_cndmask_b32_e32 v56, v54, v36, vcc
	v_cndmask_b32_e32 v55, v53, v35, vcc
	v_cmp_nlt_f64_e64 s[2:3], v[55:56], v[49:50]
	s_and_b64 s[6:7], s[6:7], vcc
	v_cndmask_b32_e32 v40, v36, v54, vcc
	v_cndmask_b32_e32 v39, v35, v53, vcc
	v_cndmask_b32_e64 v52, v56, v50, s[2:3]
	v_cndmask_b32_e64 v51, v55, v49, s[2:3]
	;; [unrolled: 1-line block ×4, first 2 shown]
	s_and_b64 s[2:3], s[6:7], s[2:3]
	s_and_b64 s[2:3], s[2:3], s[8:9]
	;; [unrolled: 1-line block ×3, first 2 shown]
	s_and_b64 s[2:3], exec, s[2:3]
	v_mov_b32_e32 v49, v51
	s_or_b64 s[16:17], s[2:3], s[16:17]
	v_mov_b32_e32 v50, v52
	s_andn2_b64 exec, exec, s[16:17]
	s_cbranch_execnz .LBB179_16
; %bb.17:                               ;   in Loop: Header=BB179_5 Depth=1
	s_or_b64 exec, exec, s[16:17]
	v_add_f64 v[27:28], v[27:28], -1.0
	s_mov_b32 s91, s23
	s_mov_b32 s78, s80
	;; [unrolled: 1-line block ×4, first 2 shown]
	v_cmp_class_f64_e64 s[16:17], v[5:6], s44
	v_cmp_class_f64_e64 s[4:5], v[7:8], s44
	v_add_f64 v[27:28], v[27:28], v[29:30]
	v_add_f64 v[27:28], v[27:28], v[33:34]
	;; [unrolled: 1-line block ×11, first 2 shown]
	v_add_f64 v[27:28], v[30:31], 1.0
	v_cmp_nge_f64_e64 s[6:7], -1.0, v[30:31]
	v_cmp_neq_f64_e64 s[8:9], s[8:9], v[30:31]
	v_frexp_mant_f64_e32 v[34:35], v[27:28]
	v_frexp_exp_i32_f64_e32 v18, v[27:28]
	v_add_f64 v[32:33], v[27:28], -1.0
	v_cmp_gt_f64_e32 vcc, s[22:23], v[34:35]
	v_add_f64 v[36:37], v[32:33], -v[27:28]
	v_add_f64 v[32:33], v[30:31], -v[32:33]
	v_subbrev_co_u32_e32 v18, vcc, 0, v18, vcc
	v_sub_u32_e32 v29, 0, v18
	v_ldexp_f64 v[27:28], v[27:28], v29
	v_add_f64 v[34:35], v[36:37], 1.0
	v_add_f64 v[36:37], v[27:28], 1.0
	v_add_f64 v[32:33], v[32:33], v[34:35]
	v_add_f64 v[42:43], v[27:28], -1.0
	v_add_f64 v[34:35], v[36:37], -1.0
	v_ldexp_f64 v[32:33], v[32:33], v29
	v_add_f64 v[44:45], v[42:43], 1.0
	v_add_f64 v[34:35], v[27:28], -v[34:35]
	v_add_f64 v[27:28], v[27:28], -v[44:45]
	v_add_f64 v[38:39], v[32:33], v[34:35]
	v_add_f64 v[44:45], v[32:33], v[27:28]
	;; [unrolled: 1-line block ×3, first 2 shown]
	v_rcp_f64_e32 v[40:41], v[34:35]
	v_add_f64 v[36:37], v[34:35], -v[36:37]
	v_add_f64 v[38:39], v[38:39], -v[36:37]
	v_fma_f64 v[46:47], -v[34:35], v[40:41], 1.0
	v_fma_f64 v[40:41], v[46:47], v[40:41], v[40:41]
	v_add_f64 v[46:47], v[42:43], v[44:45]
	v_fma_f64 v[27:28], -v[34:35], v[40:41], 1.0
	v_add_f64 v[42:43], v[46:47], -v[42:43]
	v_fma_f64 v[27:28], v[27:28], v[40:41], v[40:41]
	v_add_f64 v[42:43], v[44:45], -v[42:43]
	v_mul_f64 v[32:33], v[46:47], v[27:28]
	v_mul_f64 v[40:41], v[34:35], v[32:33]
	v_fma_f64 v[36:37], v[32:33], v[34:35], -v[40:41]
	v_fma_f64 v[48:49], v[32:33], v[38:39], v[36:37]
	v_add_f64 v[50:51], v[40:41], v[48:49]
	v_add_f64 v[36:37], v[46:47], -v[50:51]
	v_add_f64 v[40:41], v[50:51], -v[40:41]
	;; [unrolled: 1-line block ×5, first 2 shown]
	v_add_f64 v[42:43], v[42:43], v[44:45]
	v_max_f64 v[44:45], |v[5:6]|, |v[5:6]|
	v_ashrrev_i32_e32 v5, 31, v6
	v_add_f64 v[40:41], v[40:41], v[42:43]
	v_max_f64 v[42:43], |v[7:8]|, |v[7:8]|
	v_add_f64 v[46:47], v[36:37], v[40:41]
	v_max_f64 v[48:49], v[44:45], v[42:43]
	v_min_f64 v[42:43], v[44:45], v[42:43]
	v_mul_f64 v[44:45], v[27:28], v[46:47]
	v_add_f64 v[36:37], v[36:37], -v[46:47]
	v_div_scale_f64 v[50:51], s[2:3], v[48:49], v[48:49], v[42:43]
	s_mov_b32 s2, 0xb5e68a13
	s_mov_b32 s3, 0x3eeba404
	v_mul_f64 v[52:53], v[34:35], v[44:45]
	v_add_f64 v[36:37], v[40:41], v[36:37]
	v_fma_f64 v[34:35], v[44:45], v[34:35], -v[52:53]
	v_rcp_f64_e32 v[54:55], v[50:51]
	v_fma_f64 v[34:35], v[44:45], v[38:39], v[34:35]
	v_add_f64 v[38:39], v[52:53], v[34:35]
	v_fma_f64 v[56:57], -v[50:51], v[54:55], 1.0
	v_add_f64 v[67:68], v[46:47], -v[38:39]
	v_add_f64 v[40:41], v[38:39], -v[52:53]
	v_fma_f64 v[54:55], v[54:55], v[56:57], v[54:55]
	v_div_scale_f64 v[56:57], vcc, v[42:43], v[48:49], v[42:43]
	v_add_f64 v[46:47], v[46:47], -v[67:68]
	v_add_f64 v[34:35], v[40:41], -v[34:35]
	v_fma_f64 v[69:70], -v[50:51], v[54:55], 1.0
	v_add_f64 v[40:41], v[32:33], v[44:45]
	v_add_f64 v[38:39], v[46:47], -v[38:39]
	v_fma_f64 v[46:47], v[54:55], v[69:70], v[54:55]
	v_add_f64 v[32:33], v[40:41], -v[32:33]
	v_add_f64 v[36:37], v[36:37], v[38:39]
	v_mul_f64 v[38:39], v[56:57], v[46:47]
	v_add_f64 v[32:33], v[44:45], -v[32:33]
	v_add_f64 v[34:35], v[34:35], v[36:37]
	v_fma_f64 v[36:37], -v[50:51], v[38:39], v[56:57]
	v_add_f64 v[34:35], v[67:68], v[34:35]
	v_div_fmas_f64 v[36:37], v[36:37], v[46:47], v[38:39]
	v_cmp_gt_i32_e32 vcc, 0, v6
	v_cndmask_b32_e32 v29, v65, v66, vcc
	v_mul_f64 v[27:28], v[27:28], v[34:35]
	v_add_f64 v[27:28], v[32:33], v[27:28]
	v_div_fixup_f64 v[32:33], v[36:37], v[48:49], v[42:43]
	v_add_f64 v[34:35], v[40:41], v[27:28]
	v_mul_f64 v[36:37], v[32:33], v[32:33]
	v_mul_f64 v[38:39], v[34:35], v[34:35]
	v_fma_f64 v[42:43], v[36:37], s[2:3], v[21:22]
	s_mov_b32 s2, 0x69efb384
	s_mov_b32 s3, 0x3f4b2bb0
	v_fma_f64 v[44:45], v[38:39], s[24:25], v[19:20]
	v_mul_f64 v[46:47], v[34:35], v[38:39]
	v_fma_f64 v[42:43], v[36:37], v[42:43], s[2:3]
	s_mov_b32 s2, 0xaf56de9b
	s_mov_b32 s3, 0xbf67952d
	v_fma_f64 v[44:45], v[38:39], v[44:45], s[26:27]
	v_fma_f64 v[42:43], v[36:37], v[42:43], s[2:3]
	v_cmp_eq_f64_e64 s[2:3], 0, v[7:8]
	v_fma_f64 v[44:45], v[38:39], v[44:45], s[28:29]
	v_fma_f64 v[42:43], v[36:37], v[42:43], s[46:47]
	;; [unrolled: 1-line block ×7, first 2 shown]
	v_ldexp_f64 v[44:45], v[34:35], 1
	v_fma_f64 v[42:43], v[36:37], v[42:43], s[52:53]
	v_add_f64 v[34:35], v[34:35], -v[40:41]
	v_mul_f64 v[38:39], v[46:47], v[38:39]
	v_cvt_f64_i32_e32 v[46:47], v18
	v_fma_f64 v[42:43], v[36:37], v[42:43], s[40:41]
	v_add_f64 v[27:28], v[27:28], -v[34:35]
	v_cndmask_b32_e32 v18, v63, v64, vcc
	v_mul_f64 v[48:49], v[46:47], s[36:37]
	v_add_f64 v[40:41], v[44:45], v[38:39]
	v_fma_f64 v[42:43], v[36:37], v[42:43], s[56:57]
	v_ldexp_f64 v[27:28], v[27:28], 1
	v_add_f64 v[34:35], v[40:41], -v[44:45]
	v_fma_f64 v[44:45], v[46:47], s[36:37], -v[48:49]
	v_fma_f64 v[42:43], v[36:37], v[42:43], s[58:59]
	v_add_f64 v[34:35], v[38:39], -v[34:35]
	v_fma_f64 v[38:39], v[36:37], v[42:43], s[60:61]
	v_fma_f64 v[42:43], v[46:47], s[38:39], v[44:45]
	v_add_f64 v[27:28], v[27:28], v[34:35]
	v_fma_f64 v[34:35], v[36:37], v[38:39], s[62:63]
	v_add_f64 v[38:39], v[48:49], v[42:43]
	v_add_f64 v[44:45], v[40:41], v[27:28]
	v_fma_f64 v[34:35], v[36:37], v[34:35], s[64:65]
	v_add_f64 v[48:49], v[38:39], -v[48:49]
	v_add_f64 v[46:47], v[38:39], v[44:45]
	v_add_f64 v[40:41], v[44:45], -v[40:41]
	v_fma_f64 v[34:35], v[36:37], v[34:35], s[66:67]
	v_add_f64 v[42:43], v[42:43], -v[48:49]
	v_add_f64 v[50:51], v[46:47], -v[38:39]
	;; [unrolled: 1-line block ×3, first 2 shown]
	v_fma_f64 v[34:35], v[36:37], v[34:35], s[68:69]
	v_add_f64 v[52:53], v[46:47], -v[50:51]
	v_add_f64 v[40:41], v[44:45], -v[50:51]
	v_fma_f64 v[34:35], v[36:37], v[34:35], s[70:71]
	v_add_f64 v[44:45], v[42:43], v[27:28]
	v_add_f64 v[38:39], v[38:39], -v[52:53]
	v_fma_f64 v[34:35], v[36:37], v[34:35], s[72:73]
	v_add_f64 v[38:39], v[40:41], v[38:39]
	;; [unrolled: 3-line block ×3, first 2 shown]
	v_add_f64 v[44:45], v[44:45], -v[40:41]
	v_fma_f64 v[34:35], v[36:37], v[34:35], s[76:77]
	v_add_f64 v[27:28], v[27:28], -v[40:41]
	v_add_f64 v[48:49], v[46:47], v[38:39]
	v_mul_f64 v[34:35], v[36:37], v[34:35]
	v_add_f64 v[36:37], v[42:43], -v[44:45]
	v_add_f64 v[40:41], v[48:49], -v[46:47]
	v_fma_f64 v[32:33], v[32:33], v[34:35], v[32:33]
	v_add_f64 v[27:28], v[27:28], v[36:37]
	v_add_f64 v[34:35], v[38:39], -v[40:41]
	v_add_f64 v[36:37], -v[32:33], s[80:81]
	v_add_f64 v[27:28], v[27:28], v[34:35]
	v_cndmask_b32_e64 v33, v33, v37, s[0:1]
	v_cndmask_b32_e64 v32, v32, v36, s[0:1]
	v_add_f64 v[34:35], -v[32:33], s[78:79]
	v_and_b32_e32 v36, 0x54442d18, v5
	v_add_f64 v[27:28], v[48:49], v[27:28]
	v_cndmask_b32_e32 v32, v32, v34, vcc
	v_and_b32_e32 v34, 0x400921fb, v5
	v_cndmask_b32_e64 v32, v32, v36, s[2:3]
	v_mul_f64 v[5:6], v[27:28], 0.5
	v_cndmask_b32_e32 v28, v33, v35, vcc
	v_cndmask_b32_e64 v28, v28, v34, s[2:3]
	s_and_b64 s[2:3], s[6:7], s[8:9]
	v_bfi_b32 v27, s42, v29, v8
	s_and_b64 vcc, s[16:17], s[4:5]
	s_mov_b32 s16, 0xb5e68a13
	s_mov_b32 s17, 0x3eeba404
	v_cndmask_b32_e64 v29, 0, v5, s[2:3]
	v_cmp_ngt_f64_e64 s[2:3], -1.0, v[30:31]
	v_cndmask_b32_e64 v6, v60, v6, s[8:9]
	v_cndmask_b32_e32 v28, v28, v27, vcc
	v_cndmask_b32_e32 v27, v32, v18, vcc
	v_cndmask_b32_e64 v5, v61, v6, s[2:3]
	v_cmp_neq_f64_e64 s[2:3], -1.0, v[30:31]
	v_cndmask_b32_e64 v30, v62, v5, s[2:3]
.LBB179_18:                             ;   in Loop: Header=BB179_5 Depth=1
	s_or_b64 exec, exec, s[10:11]
.LBB179_19:                             ;   in Loop: Header=BB179_5 Depth=1
	s_or_b64 exec, exec, s[82:83]
.LBB179_20:                             ;   in Loop: Header=BB179_5 Depth=1
	s_andn2_saveexec_b64 s[8:9], s[20:21]
	s_cbranch_execz .LBB179_22
; %bb.21:                               ;   in Loop: Header=BB179_5 Depth=1
	v_max_f64 v[27:28], |v[7:8]|, |v[7:8]|
	v_max_f64 v[32:33], |v[5:6]|, |v[5:6]|
	v_cmp_class_f64_e64 s[10:11], v[5:6], s44
	v_cmp_class_f64_e64 s[20:21], v[7:8], s44
	s_mov_b32 s91, s23
	s_mov_b32 s78, s80
	v_max_f64 v[34:35], v[32:33], v[27:28]
	v_min_f64 v[27:28], v[32:33], v[27:28]
	v_frexp_exp_i32_f64_e32 v18, v[34:35]
	v_sub_u32_e32 v31, 0, v18
	v_ldexp_f64 v[29:30], |v[7:8]|, v31
	v_ldexp_f64 v[36:37], |v[5:6]|, v31
	v_mul_f64 v[29:30], v[29:30], v[29:30]
	v_fma_f64 v[29:30], v[36:37], v[36:37], v[29:30]
	v_rsq_f64_e32 v[36:37], v[29:30]
	v_cmp_eq_f64_e32 vcc, 0, v[29:30]
	v_mul_f64 v[38:39], v[29:30], v[36:37]
	v_mul_f64 v[36:37], v[36:37], 0.5
	v_fma_f64 v[40:41], -v[36:37], v[38:39], 0.5
	v_fma_f64 v[38:39], v[38:39], v[40:41], v[38:39]
	v_fma_f64 v[36:37], v[36:37], v[40:41], v[36:37]
	v_fma_f64 v[40:41], -v[38:39], v[38:39], v[29:30]
	v_fma_f64 v[36:37], v[40:41], v[36:37], v[38:39]
	v_cndmask_b32_e32 v30, v37, v30, vcc
	v_cndmask_b32_e32 v29, v36, v29, vcc
	v_ldexp_f64 v[29:30], v[29:30], v18
	s_or_b64 vcc, s[10:11], s[20:21]
	v_cndmask_b32_e32 v31, v30, v60, vcc
	v_cndmask_b32_e64 v30, v29, 0, vcc
	v_frexp_mant_f64_e32 v[36:37], v[30:31]
	v_cmp_class_f64_e64 s[6:7], v[30:31], s44
	v_cmp_gt_f64_e64 s[2:3], s[22:23], v[36:37]
	v_cndmask_b32_e64 v5, 0, 1, s[2:3]
	v_ldexp_f64 v[36:37], v[36:37], v5
	v_frexp_exp_i32_f64_e32 v5, v[30:31]
	v_add_f64 v[38:39], v[36:37], 1.0
	v_add_f64 v[44:45], v[36:37], -1.0
	v_rcp_f64_e32 v[40:41], v[38:39]
	v_add_f64 v[48:49], v[38:39], -1.0
	v_add_f64 v[36:37], v[36:37], -v[48:49]
	v_fma_f64 v[42:43], -v[38:39], v[40:41], 1.0
	v_fma_f64 v[32:33], v[42:43], v[40:41], v[40:41]
	v_div_scale_f64 v[40:41], s[4:5], v[34:35], v[34:35], v[27:28]
	s_mov_b32 s4, 0x69efb384
	s_mov_b32 s5, 0x3f4b2bb0
	v_fma_f64 v[42:43], -v[38:39], v[32:33], 1.0
	v_fma_f64 v[32:33], v[42:43], v[32:33], v[32:33]
	v_rcp_f64_e32 v[42:43], v[40:41]
	v_mul_f64 v[46:47], v[44:45], v[32:33]
	v_mul_f64 v[50:51], v[38:39], v[46:47]
	v_fma_f64 v[52:53], -v[40:41], v[42:43], 1.0
	v_fma_f64 v[38:39], v[46:47], v[38:39], -v[50:51]
	v_fma_f64 v[42:43], v[42:43], v[52:53], v[42:43]
	v_fma_f64 v[36:37], v[46:47], v[36:37], v[38:39]
	v_div_scale_f64 v[38:39], vcc, v[27:28], v[34:35], v[27:28]
	v_fma_f64 v[48:49], -v[40:41], v[42:43], 1.0
	v_add_f64 v[52:53], v[50:51], v[36:37]
	v_fma_f64 v[42:43], v[42:43], v[48:49], v[42:43]
	v_add_f64 v[48:49], v[44:45], -v[52:53]
	v_add_f64 v[50:51], v[52:53], -v[50:51]
	v_mul_f64 v[54:55], v[38:39], v[42:43]
	v_add_f64 v[44:45], v[44:45], -v[48:49]
	v_add_f64 v[36:37], v[50:51], -v[36:37]
	v_fma_f64 v[38:39], -v[40:41], v[54:55], v[38:39]
	v_add_f64 v[40:41], v[44:45], -v[52:53]
	v_div_fmas_f64 v[38:39], v[38:39], v[42:43], v[54:55]
	v_subbrev_co_u32_e64 v5, vcc, 0, v5, s[2:3]
	v_cmp_eq_f64_e64 s[2:3], 0, v[7:8]
	v_cmp_gt_i32_e32 vcc, 0, v6
	v_add_f64 v[36:37], v[36:37], v[40:41]
	v_cndmask_b32_e32 v18, v63, v64, vcc
	v_add_f64 v[36:37], v[48:49], v[36:37]
	v_div_fixup_f64 v[27:28], v[38:39], v[34:35], v[27:28]
	v_mul_f64 v[32:33], v[32:33], v[36:37]
	v_mul_f64 v[34:35], v[27:28], v[27:28]
	v_add_f64 v[36:37], v[46:47], v[32:33]
	v_fma_f64 v[38:39], v[34:35], s[16:17], v[21:22]
	v_mul_f64 v[40:41], v[36:37], v[36:37]
	v_fma_f64 v[38:39], v[34:35], v[38:39], s[4:5]
	s_mov_b32 s4, 0xaf56de9b
	s_mov_b32 s5, 0xbf67952d
	v_fma_f64 v[42:43], v[40:41], s[24:25], v[19:20]
	v_mul_f64 v[44:45], v[36:37], v[40:41]
	v_fma_f64 v[38:39], v[34:35], v[38:39], s[4:5]
	v_fma_f64 v[42:43], v[40:41], v[42:43], s[26:27]
	;; [unrolled: 1-line block ×10, first 2 shown]
	v_ldexp_f64 v[42:43], v[36:37], 1
	v_add_f64 v[36:37], v[36:37], -v[46:47]
	v_fma_f64 v[38:39], v[34:35], v[38:39], s[40:41]
	v_cvt_f64_i32_e32 v[46:47], v5
	v_ashrrev_i32_e32 v5, 31, v6
	v_and_b32_e32 v29, 0x54442d18, v5
	v_mul_f64 v[40:41], v[44:45], v[40:41]
	v_mul_f64 v[48:49], v[46:47], s[36:37]
	v_add_f64 v[32:33], v[32:33], -v[36:37]
	v_fma_f64 v[38:39], v[34:35], v[38:39], s[56:57]
	v_add_f64 v[44:45], v[42:43], v[40:41]
	v_ldexp_f64 v[32:33], v[32:33], 1
	v_fma_f64 v[38:39], v[34:35], v[38:39], s[58:59]
	v_add_f64 v[36:37], v[44:45], -v[42:43]
	v_fma_f64 v[42:43], v[46:47], s[36:37], -v[48:49]
	v_fma_f64 v[38:39], v[34:35], v[38:39], s[60:61]
	v_add_f64 v[36:37], v[40:41], -v[36:37]
	v_fma_f64 v[40:41], v[46:47], s[38:39], v[42:43]
	v_fma_f64 v[38:39], v[34:35], v[38:39], s[62:63]
	v_add_f64 v[32:33], v[32:33], v[36:37]
	v_fma_f64 v[36:37], v[34:35], v[38:39], s[64:65]
	v_add_f64 v[38:39], v[48:49], v[40:41]
	v_add_f64 v[42:43], v[44:45], v[32:33]
	v_fma_f64 v[36:37], v[34:35], v[36:37], s[66:67]
	v_add_f64 v[48:49], v[38:39], -v[48:49]
	v_add_f64 v[46:47], v[38:39], v[42:43]
	v_add_f64 v[44:45], v[42:43], -v[44:45]
	v_fma_f64 v[36:37], v[34:35], v[36:37], s[68:69]
	v_add_f64 v[40:41], v[40:41], -v[48:49]
	v_add_f64 v[50:51], v[46:47], -v[38:39]
	;; [unrolled: 1-line block ×3, first 2 shown]
	v_fma_f64 v[36:37], v[34:35], v[36:37], s[70:71]
	v_add_f64 v[52:53], v[46:47], -v[50:51]
	v_add_f64 v[42:43], v[42:43], -v[50:51]
	v_add_f64 v[44:45], v[40:41], v[32:33]
	v_fma_f64 v[36:37], v[34:35], v[36:37], s[72:73]
	v_add_f64 v[38:39], v[38:39], -v[52:53]
	v_fma_f64 v[36:37], v[34:35], v[36:37], s[74:75]
	v_add_f64 v[38:39], v[42:43], v[38:39]
	v_add_f64 v[42:43], v[44:45], -v[40:41]
	v_fma_f64 v[36:37], v[34:35], v[36:37], s[76:77]
	v_add_f64 v[38:39], v[44:45], v[38:39]
	v_add_f64 v[32:33], v[32:33], -v[42:43]
	v_mul_f64 v[34:35], v[34:35], v[36:37]
	v_add_f64 v[36:37], v[44:45], -v[42:43]
	v_add_f64 v[44:45], v[46:47], v[38:39]
	v_fma_f64 v[27:28], v[27:28], v[34:35], v[27:28]
	v_add_f64 v[34:35], v[40:41], -v[36:37]
	v_add_f64 v[36:37], v[44:45], -v[46:47]
	v_add_f64 v[40:41], -v[27:28], s[80:81]
	v_add_f64 v[32:33], v[32:33], v[34:35]
	v_add_f64 v[34:35], v[38:39], -v[36:37]
	v_cndmask_b32_e64 v28, v28, v41, s[0:1]
	v_cndmask_b32_e64 v27, v27, v40, s[0:1]
	v_add_f64 v[36:37], -v[27:28], s[78:79]
	v_add_f64 v[32:33], v[32:33], v[34:35]
	v_and_b32_e32 v35, 0x400921fb, v5
	v_cndmask_b32_e32 v34, v65, v66, vcc
	v_cndmask_b32_e32 v27, v27, v36, vcc
	;; [unrolled: 1-line block ×3, first 2 shown]
	v_cndmask_b32_e64 v27, v27, v29, s[2:3]
	v_add_f64 v[5:6], v[44:45], v[32:33]
	v_cndmask_b32_e64 v28, v28, v35, s[2:3]
	v_cmp_ngt_f64_e64 s[2:3], 0, v[30:31]
	v_bfi_b32 v32, s42, v34, v8
	s_and_b64 vcc, s[10:11], s[20:21]
	v_cndmask_b32_e32 v28, v28, v32, vcc
	v_cndmask_b32_e32 v27, v27, v18, vcc
	v_cndmask_b32_e64 v6, v6, v31, s[6:7]
	v_cndmask_b32_e64 v5, v5, v30, s[6:7]
	;; [unrolled: 1-line block ×3, first 2 shown]
	v_cmp_nge_f64_e64 s[2:3], 0, v[30:31]
	v_cndmask_b32_e64 v29, 0, v5, s[2:3]
	v_cmp_neq_f64_e64 s[2:3], 0, v[30:31]
	v_cndmask_b32_e64 v30, v62, v6, s[2:3]
.LBB179_22:                             ;   in Loop: Header=BB179_5 Depth=1
	s_or_b64 exec, exec, s[8:9]
	s_mov_b32 s20, 0x69efb384
                                        ; implicit-def: $vgpr33_vgpr34
	s_mov_b32 s21, 0x3f4b2bb0
.LBB179_23:                             ;   in Loop: Header=BB179_5 Depth=1
	s_andn2_saveexec_b64 s[8:9], s[18:19]
	s_cbranch_execz .LBB179_29
; %bb.24:                               ;   in Loop: Header=BB179_5 Depth=1
	s_mov_b32 s2, 0x6a3f9475
	s_mov_b32 s3, 0x20ca2fe7
	v_cmp_ngt_f64_e32 vcc, s[2:3], v[33:34]
                                        ; implicit-def: $vgpr29_vgpr30
                                        ; implicit-def: $vgpr27_vgpr28
	s_and_saveexec_b64 s[2:3], vcc
	s_xor_b64 s[10:11], exec, s[2:3]
	s_cbranch_execz .LBB179_26
; %bb.25:                               ;   in Loop: Header=BB179_5 Depth=1
	v_mul_f64 v[27:28], v[33:34], v[33:34]
	s_mov_b32 s91, s23
	s_mov_b32 s78, s80
	;; [unrolled: 1-line block ×3, first 2 shown]
	v_cmp_class_f64_e64 s[4:5], v[7:8], s44
	s_mov_b32 s7, 0x7ff00000
	v_add_f64 v[29:30], v[27:28], 1.0
	v_cmp_neq_f64_e64 s[6:7], s[6:7], v[27:28]
	v_frexp_mant_f64_e32 v[33:34], v[29:30]
	v_frexp_exp_i32_f64_e32 v18, v[29:30]
	v_add_f64 v[31:32], v[29:30], -1.0
	v_cmp_gt_f64_e32 vcc, s[22:23], v[33:34]
	v_add_f64 v[35:36], v[31:32], -v[29:30]
	v_add_f64 v[31:32], v[27:28], -v[31:32]
	v_subbrev_co_u32_e32 v18, vcc, 0, v18, vcc
	v_sub_u32_e32 v37, 0, v18
	v_ldexp_f64 v[29:30], v[29:30], v37
	v_add_f64 v[33:34], v[35:36], 1.0
	v_add_f64 v[35:36], v[29:30], 1.0
	v_add_f64 v[31:32], v[31:32], v[33:34]
	v_add_f64 v[41:42], v[29:30], -1.0
	v_add_f64 v[33:34], v[35:36], -1.0
	v_ldexp_f64 v[31:32], v[31:32], v37
	v_add_f64 v[43:44], v[41:42], 1.0
	v_add_f64 v[33:34], v[29:30], -v[33:34]
	v_add_f64 v[29:30], v[29:30], -v[43:44]
	v_add_f64 v[37:38], v[31:32], v[33:34]
	v_add_f64 v[43:44], v[31:32], v[29:30]
	;; [unrolled: 1-line block ×3, first 2 shown]
	v_rcp_f64_e32 v[39:40], v[33:34]
	v_add_f64 v[35:36], v[35:36], -v[33:34]
	v_add_f64 v[37:38], v[37:38], v[35:36]
	v_fma_f64 v[45:46], -v[33:34], v[39:40], 1.0
	v_fma_f64 v[39:40], v[45:46], v[39:40], v[39:40]
	v_add_f64 v[45:46], v[41:42], v[43:44]
	v_fma_f64 v[29:30], -v[33:34], v[39:40], 1.0
	v_add_f64 v[41:42], v[41:42], -v[45:46]
	v_fma_f64 v[29:30], v[29:30], v[39:40], v[39:40]
	v_add_f64 v[41:42], v[43:44], v[41:42]
	v_mul_f64 v[31:32], v[45:46], v[29:30]
	v_mul_f64 v[39:40], v[33:34], v[31:32]
	v_fma_f64 v[35:36], v[31:32], v[33:34], -v[39:40]
	v_fma_f64 v[47:48], v[31:32], v[37:38], v[35:36]
	v_add_f64 v[49:50], v[39:40], v[47:48]
	v_add_f64 v[35:36], v[45:46], -v[49:50]
	v_add_f64 v[39:40], v[49:50], -v[39:40]
	;; [unrolled: 1-line block ×5, first 2 shown]
	v_add_f64 v[41:42], v[41:42], v[43:44]
	v_max_f64 v[43:44], |v[5:6]|, |v[5:6]|
	v_add_f64 v[39:40], v[39:40], v[41:42]
	v_max_f64 v[41:42], |v[7:8]|, |v[7:8]|
	v_add_f64 v[45:46], v[35:36], v[39:40]
	v_max_f64 v[47:48], v[43:44], v[41:42]
	v_min_f64 v[41:42], v[43:44], v[41:42]
	v_mul_f64 v[43:44], v[29:30], v[45:46]
	v_add_f64 v[35:36], v[35:36], -v[45:46]
	v_div_scale_f64 v[49:50], s[2:3], v[47:48], v[47:48], v[41:42]
	s_mov_b32 s2, 0xaf56de9b
	s_mov_b32 s3, 0xbf67952d
	v_mul_f64 v[51:52], v[33:34], v[43:44]
	v_add_f64 v[35:36], v[39:40], v[35:36]
	v_fma_f64 v[33:34], v[43:44], v[33:34], -v[51:52]
	v_rcp_f64_e32 v[53:54], v[49:50]
	v_fma_f64 v[33:34], v[43:44], v[37:38], v[33:34]
	v_add_f64 v[37:38], v[51:52], v[33:34]
	v_fma_f64 v[55:56], -v[49:50], v[53:54], 1.0
	v_add_f64 v[57:58], v[45:46], -v[37:38]
	v_add_f64 v[39:40], v[37:38], -v[51:52]
	v_fma_f64 v[53:54], v[53:54], v[55:56], v[53:54]
	v_div_scale_f64 v[55:56], vcc, v[41:42], v[47:48], v[41:42]
	v_add_f64 v[45:46], v[45:46], -v[57:58]
	v_add_f64 v[33:34], v[39:40], -v[33:34]
	v_fma_f64 v[67:68], -v[49:50], v[53:54], 1.0
	v_add_f64 v[39:40], v[31:32], v[43:44]
	v_add_f64 v[37:38], v[45:46], -v[37:38]
	v_fma_f64 v[45:46], v[53:54], v[67:68], v[53:54]
	v_add_f64 v[31:32], v[39:40], -v[31:32]
	v_add_f64 v[35:36], v[35:36], v[37:38]
	v_mul_f64 v[37:38], v[55:56], v[45:46]
	v_add_f64 v[31:32], v[43:44], -v[31:32]
	v_add_f64 v[33:34], v[33:34], v[35:36]
	v_fma_f64 v[35:36], -v[49:50], v[37:38], v[55:56]
	v_add_f64 v[33:34], v[57:58], v[33:34]
	v_div_fmas_f64 v[35:36], v[35:36], v[45:46], v[37:38]
	v_cmp_gt_i32_e32 vcc, 0, v6
	v_mul_f64 v[29:30], v[29:30], v[33:34]
	v_add_f64 v[29:30], v[31:32], v[29:30]
	v_div_fixup_f64 v[31:32], v[35:36], v[47:48], v[41:42]
	v_add_f64 v[33:34], v[39:40], v[29:30]
	v_mul_f64 v[35:36], v[31:32], v[31:32]
	v_mul_f64 v[37:38], v[33:34], v[33:34]
	v_fma_f64 v[41:42], v[35:36], s[16:17], v[21:22]
	v_cmp_class_f64_e64 s[16:17], v[5:6], s44
	v_ashrrev_i32_e32 v5, 31, v6
	v_fma_f64 v[43:44], v[37:38], s[24:25], v[19:20]
	v_mul_f64 v[45:46], v[33:34], v[37:38]
	v_fma_f64 v[41:42], v[35:36], v[41:42], s[20:21]
	v_fma_f64 v[43:44], v[37:38], v[43:44], s[26:27]
	;; [unrolled: 1-line block ×3, first 2 shown]
	v_cmp_eq_f64_e64 s[2:3], 0, v[7:8]
	v_fma_f64 v[43:44], v[37:38], v[43:44], s[28:29]
	v_fma_f64 v[41:42], v[35:36], v[41:42], s[46:47]
	;; [unrolled: 1-line block ×7, first 2 shown]
	v_ldexp_f64 v[43:44], v[33:34], 1
	v_fma_f64 v[41:42], v[35:36], v[41:42], s[52:53]
	v_add_f64 v[33:34], v[33:34], -v[39:40]
	v_mul_f64 v[37:38], v[45:46], v[37:38]
	v_cvt_f64_i32_e32 v[45:46], v18
	v_fma_f64 v[41:42], v[35:36], v[41:42], s[40:41]
	v_add_f64 v[29:30], v[29:30], -v[33:34]
	v_cndmask_b32_e32 v18, v63, v64, vcc
	v_mul_f64 v[47:48], v[45:46], s[36:37]
	v_add_f64 v[39:40], v[43:44], v[37:38]
	v_fma_f64 v[41:42], v[35:36], v[41:42], s[56:57]
	v_ldexp_f64 v[29:30], v[29:30], 1
	v_add_f64 v[33:34], v[39:40], -v[43:44]
	v_fma_f64 v[43:44], v[45:46], s[36:37], -v[47:48]
	v_fma_f64 v[41:42], v[35:36], v[41:42], s[58:59]
	v_add_f64 v[33:34], v[37:38], -v[33:34]
	v_fma_f64 v[37:38], v[35:36], v[41:42], s[60:61]
	v_fma_f64 v[41:42], v[45:46], s[38:39], v[43:44]
	v_add_f64 v[29:30], v[29:30], v[33:34]
	v_fma_f64 v[33:34], v[35:36], v[37:38], s[62:63]
	v_add_f64 v[37:38], v[47:48], v[41:42]
	v_add_f64 v[43:44], v[39:40], v[29:30]
	v_fma_f64 v[33:34], v[35:36], v[33:34], s[64:65]
	v_add_f64 v[47:48], v[37:38], -v[47:48]
	v_add_f64 v[45:46], v[37:38], v[43:44]
	v_add_f64 v[39:40], v[43:44], -v[39:40]
	v_fma_f64 v[33:34], v[35:36], v[33:34], s[66:67]
	v_add_f64 v[41:42], v[41:42], -v[47:48]
	v_add_f64 v[49:50], v[45:46], -v[37:38]
	;; [unrolled: 1-line block ×3, first 2 shown]
	v_fma_f64 v[33:34], v[35:36], v[33:34], s[68:69]
	v_add_f64 v[51:52], v[45:46], -v[49:50]
	v_add_f64 v[39:40], v[43:44], -v[49:50]
	v_fma_f64 v[33:34], v[35:36], v[33:34], s[70:71]
	v_add_f64 v[43:44], v[41:42], v[29:30]
	v_add_f64 v[37:38], v[37:38], -v[51:52]
	v_fma_f64 v[33:34], v[35:36], v[33:34], s[72:73]
	v_add_f64 v[37:38], v[39:40], v[37:38]
	;; [unrolled: 3-line block ×3, first 2 shown]
	v_add_f64 v[43:44], v[43:44], -v[39:40]
	v_fma_f64 v[33:34], v[35:36], v[33:34], s[76:77]
	v_add_f64 v[29:30], v[29:30], -v[39:40]
	v_add_f64 v[47:48], v[45:46], v[37:38]
	v_mul_f64 v[33:34], v[35:36], v[33:34]
	v_add_f64 v[35:36], v[41:42], -v[43:44]
	v_add_f64 v[39:40], v[47:48], -v[45:46]
	v_fma_f64 v[31:32], v[31:32], v[33:34], v[31:32]
	v_add_f64 v[29:30], v[29:30], v[35:36]
	v_add_f64 v[33:34], v[37:38], -v[39:40]
	v_add_f64 v[35:36], -v[31:32], s[80:81]
	v_add_f64 v[29:30], v[29:30], v[33:34]
	v_cndmask_b32_e64 v32, v32, v36, s[0:1]
	v_cndmask_b32_e64 v31, v31, v35, s[0:1]
	v_add_f64 v[33:34], -v[31:32], s[78:79]
	v_and_b32_e32 v35, 0x54442d18, v5
	v_and_b32_e32 v36, 0x400921fb, v5
	v_add_f64 v[29:30], v[47:48], v[29:30]
	v_cndmask_b32_e32 v31, v31, v33, vcc
	v_cndmask_b32_e32 v33, v65, v66, vcc
	;; [unrolled: 1-line block ×3, first 2 shown]
	v_bfi_b32 v27, s42, v33, v8
	v_mul_f64 v[5:6], v[29:30], 0.5
	v_cndmask_b32_e64 v31, v31, v35, s[2:3]
	v_cndmask_b32_e64 v28, v28, v36, s[2:3]
	s_and_b64 vcc, s[16:17], s[4:5]
	s_mov_b32 s16, 0xb5e68a13
	s_mov_b32 s17, 0x3eeba404
	v_cndmask_b32_e32 v28, v28, v27, vcc
	v_cndmask_b32_e32 v27, v31, v18, vcc
	v_cndmask_b32_e64 v30, v60, v6, s[6:7]
	v_cndmask_b32_e64 v29, 0, v5, s[6:7]
                                        ; implicit-def: $vgpr33_vgpr34
.LBB179_26:                             ;   in Loop: Header=BB179_5 Depth=1
	s_andn2_saveexec_b64 s[6:7], s[10:11]
	s_cbranch_execz .LBB179_28
; %bb.27:                               ;   in Loop: Header=BB179_5 Depth=1
	v_max_f64 v[27:28], |v[7:8]|, |v[7:8]|
	v_max_f64 v[29:30], |v[5:6]|, |v[5:6]|
	s_mov_b32 s78, s80
	v_cmp_class_f64_e64 s[4:5], v[7:8], s44
	v_cmp_class_f64_e64 s[10:11], v[5:6], s44
	v_ashrrev_i32_e32 v18, 31, v6
	v_max_f64 v[31:32], v[29:30], v[27:28]
	v_min_f64 v[27:28], v[29:30], v[27:28]
	v_div_scale_f64 v[29:30], s[2:3], v[31:32], v[31:32], v[27:28]
	s_mov_b32 s2, 0xaf56de9b
	s_mov_b32 s3, 0xbf67952d
	v_rcp_f64_e32 v[35:36], v[29:30]
	v_fma_f64 v[37:38], -v[29:30], v[35:36], 1.0
	v_fma_f64 v[35:36], v[35:36], v[37:38], v[35:36]
	v_div_scale_f64 v[37:38], vcc, v[27:28], v[31:32], v[27:28]
	v_fma_f64 v[39:40], -v[29:30], v[35:36], 1.0
	v_fma_f64 v[35:36], v[35:36], v[39:40], v[35:36]
	v_mul_f64 v[39:40], v[37:38], v[35:36]
	v_fma_f64 v[29:30], -v[29:30], v[39:40], v[37:38]
	v_and_b32_e32 v37, 0x54442d18, v18
	v_div_fmas_f64 v[29:30], v[29:30], v[35:36], v[39:40]
	v_mul_f64 v[35:36], v[33:34], 0.5
	v_cmp_gt_i32_e32 vcc, 0, v6
	v_cndmask_b32_e32 v5, v65, v66, vcc
	v_and_b32_e32 v6, 0x400921fb, v18
	v_bfi_b32 v5, s42, v5, v8
	v_div_fixup_f64 v[27:28], v[29:30], v[31:32], v[27:28]
	v_mul_f64 v[29:30], v[27:28], v[27:28]
	v_fma_f64 v[31:32], v[29:30], s[16:17], v[21:22]
	v_fma_f64 v[31:32], v[29:30], v[31:32], s[20:21]
	v_fma_f64 v[31:32], v[29:30], v[31:32], s[2:3]
	v_cmp_eq_f64_e64 s[2:3], 0, v[7:8]
	v_fma_f64 v[31:32], v[29:30], v[31:32], s[46:47]
	v_fma_f64 v[31:32], v[29:30], v[31:32], s[48:49]
	;; [unrolled: 1-line block ×16, first 2 shown]
	v_mul_f64 v[29:30], v[29:30], v[31:32]
	v_cndmask_b32_e32 v32, v63, v64, vcc
	v_fma_f64 v[27:28], v[27:28], v[29:30], v[27:28]
	v_add_f64 v[29:30], -v[27:28], s[80:81]
	v_cndmask_b32_e64 v28, v28, v30, s[0:1]
	v_cndmask_b32_e64 v27, v27, v29, s[0:1]
	v_add_f64 v[30:31], -v[27:28], s[78:79]
	v_cndmask_b32_e32 v27, v27, v30, vcc
	v_mul_f64 v[29:30], v[33:34], v[35:36]
	v_cndmask_b32_e32 v18, v28, v31, vcc
	v_cndmask_b32_e64 v27, v27, v37, s[2:3]
	v_cndmask_b32_e64 v6, v18, v6, s[2:3]
	s_and_b64 vcc, s[10:11], s[4:5]
	v_cndmask_b32_e32 v28, v6, v5, vcc
	v_cndmask_b32_e32 v27, v27, v32, vcc
.LBB179_28:                             ;   in Loop: Header=BB179_5 Depth=1
	s_or_b64 exec, exec, s[6:7]
.LBB179_29:                             ;   in Loop: Header=BB179_5 Depth=1
	s_or_b64 exec, exec, s[8:9]
.LBB179_30:                             ;   in Loop: Header=BB179_5 Depth=1
	s_andn2_saveexec_b64 s[6:7], s[92:93]
	s_cbranch_execz .LBB179_32
; %bb.31:                               ;   in Loop: Header=BB179_5 Depth=1
	v_div_scale_f64 v[27:28], s[2:3], s[84:85], s[84:85], v[5:6]
	v_div_scale_f64 v[29:30], s[2:3], s[84:85], s[84:85], v[7:8]
	;; [unrolled: 1-line block ×3, first 2 shown]
	s_mov_b32 s91, s23
	s_mov_b32 s78, s80
	v_cmp_class_f64_e64 s[8:9], v[5:6], s44
	v_rcp_f64_e32 v[31:32], v[27:28]
	v_rcp_f64_e32 v[33:34], v[29:30]
	v_fma_f64 v[35:36], -v[27:28], v[31:32], 1.0
	v_fma_f64 v[37:38], -v[29:30], v[33:34], 1.0
	v_fma_f64 v[31:32], v[31:32], v[35:36], v[31:32]
	v_div_scale_f64 v[35:36], vcc, v[5:6], s[84:85], v[5:6]
	v_fma_f64 v[33:34], v[33:34], v[37:38], v[33:34]
	v_fma_f64 v[37:38], -v[27:28], v[31:32], 1.0
	v_fma_f64 v[41:42], -v[29:30], v[33:34], 1.0
	v_fma_f64 v[31:32], v[31:32], v[37:38], v[31:32]
	v_fma_f64 v[33:34], v[33:34], v[41:42], v[33:34]
	v_mul_f64 v[37:38], v[35:36], v[31:32]
	v_mul_f64 v[41:42], v[39:40], v[33:34]
	v_fma_f64 v[27:28], -v[27:28], v[37:38], v[35:36]
	v_fma_f64 v[29:30], -v[29:30], v[41:42], v[39:40]
	v_div_fmas_f64 v[27:28], v[27:28], v[31:32], v[37:38]
	s_mov_b64 vcc, s[2:3]
	v_div_fmas_f64 v[29:30], v[29:30], v[33:34], v[41:42]
	v_max_f64 v[40:41], |v[5:6]|, |v[5:6]|
	v_div_fixup_f64 v[27:28], v[27:28], s[84:85], v[5:6]
	v_ashrrev_i32_e32 v5, 31, v6
	v_div_fixup_f64 v[29:30], v[29:30], s[84:85], v[7:8]
	v_cmp_class_f64_e64 s[2:3], v[27:28], s44
	v_max_f64 v[31:32], |v[27:28]|, |v[29:30]|
	v_cmp_class_f64_e64 s[4:5], v[29:30], s44
	v_frexp_exp_i32_f64_e32 v18, v[31:32]
	v_sub_u32_e32 v33, 0, v18
	v_ldexp_f64 v[31:32], |v[29:30]|, v33
	v_ldexp_f64 v[33:34], |v[27:28]|, v33
	v_mul_f64 v[31:32], v[31:32], v[31:32]
	v_fma_f64 v[31:32], v[33:34], v[33:34], v[31:32]
	v_rsq_f64_e32 v[33:34], v[31:32]
	v_cmp_eq_f64_e32 vcc, 0, v[31:32]
	v_mul_f64 v[35:36], v[31:32], v[33:34]
	v_mul_f64 v[33:34], v[33:34], 0.5
	v_fma_f64 v[37:38], -v[33:34], v[35:36], 0.5
	v_fma_f64 v[35:36], v[35:36], v[37:38], v[35:36]
	v_fma_f64 v[33:34], v[33:34], v[37:38], v[33:34]
	v_fma_f64 v[37:38], -v[35:36], v[35:36], v[31:32]
	v_fma_f64 v[33:34], v[37:38], v[33:34], v[35:36]
	v_max_f64 v[38:39], |v[7:8]|, |v[7:8]|
	v_cndmask_b32_e32 v32, v34, v32, vcc
	v_cndmask_b32_e32 v31, v33, v31, vcc
	v_ldexp_f64 v[31:32], v[31:32], v18
	v_cmp_o_f64_e32 vcc, v[27:28], v[29:30]
	v_cndmask_b32_e32 v18, 0, v31, vcc
	v_cndmask_b32_e32 v27, v61, v32, vcc
	s_or_b64 vcc, s[2:3], s[4:5]
	v_cndmask_b32_e32 v31, v27, v60, vcc
	v_cndmask_b32_e64 v30, v18, 0, vcc
	v_frexp_mant_f64_e32 v[27:28], v[30:31]
	v_cmp_gt_f64_e64 s[2:3], s[22:23], v[27:28]
	v_cndmask_b32_e64 v18, 0, 1, s[2:3]
	v_ldexp_f64 v[27:28], v[27:28], v18
	v_frexp_exp_i32_f64_e32 v18, v[30:31]
	v_add_f64 v[32:33], v[27:28], 1.0
	v_add_f64 v[44:45], v[27:28], -1.0
	v_rcp_f64_e32 v[34:35], v[32:33]
	v_add_f64 v[48:49], v[32:33], -1.0
	v_add_f64 v[27:28], v[27:28], -v[48:49]
	v_fma_f64 v[36:37], -v[32:33], v[34:35], 1.0
	v_fma_f64 v[34:35], v[36:37], v[34:35], v[34:35]
	v_max_f64 v[36:37], v[40:41], v[38:39]
	v_min_f64 v[38:39], v[40:41], v[38:39]
	v_fma_f64 v[40:41], -v[32:33], v[34:35], 1.0
	v_div_scale_f64 v[42:43], s[4:5], v[36:37], v[36:37], v[38:39]
	s_mov_b32 s4, 0xaf56de9b
	s_mov_b32 s5, 0xbf67952d
	v_fma_f64 v[34:35], v[40:41], v[34:35], v[34:35]
	v_mul_f64 v[40:41], v[44:45], v[34:35]
	v_rcp_f64_e32 v[46:47], v[42:43]
	v_mul_f64 v[50:51], v[32:33], v[40:41]
	v_fma_f64 v[32:33], v[40:41], v[32:33], -v[50:51]
	v_fma_f64 v[48:49], -v[42:43], v[46:47], 1.0
	v_fma_f64 v[27:28], v[40:41], v[27:28], v[32:33]
	v_fma_f64 v[32:33], v[46:47], v[48:49], v[46:47]
	v_div_scale_f64 v[48:49], vcc, v[38:39], v[36:37], v[38:39]
	v_add_f64 v[46:47], v[50:51], v[27:28]
	v_fma_f64 v[52:53], -v[42:43], v[32:33], 1.0
	v_add_f64 v[54:55], v[44:45], -v[46:47]
	v_add_f64 v[50:51], v[46:47], -v[50:51]
	v_fma_f64 v[32:33], v[32:33], v[52:53], v[32:33]
	v_add_f64 v[44:45], v[44:45], -v[54:55]
	v_add_f64 v[27:28], v[50:51], -v[27:28]
	v_mul_f64 v[52:53], v[48:49], v[32:33]
	v_add_f64 v[44:45], v[44:45], -v[46:47]
	v_fma_f64 v[42:43], -v[42:43], v[52:53], v[48:49]
	v_add_f64 v[27:28], v[27:28], v[44:45]
	v_div_fmas_f64 v[32:33], v[42:43], v[32:33], v[52:53]
	v_subbrev_co_u32_e64 v18, vcc, 0, v18, s[2:3]
	v_cmp_class_f64_e64 vcc, v[30:31], s44
	v_cmp_eq_f64_e64 s[2:3], 0, v[7:8]
	v_add_f64 v[27:28], v[54:55], v[27:28]
	v_mul_f64 v[27:28], v[34:35], v[27:28]
	v_div_fixup_f64 v[32:33], v[32:33], v[36:37], v[38:39]
	v_add_f64 v[34:35], v[40:41], v[27:28]
	v_mul_f64 v[36:37], v[32:33], v[32:33]
	v_mul_f64 v[38:39], v[34:35], v[34:35]
	v_fma_f64 v[42:43], v[36:37], s[16:17], v[21:22]
	v_fma_f64 v[44:45], v[38:39], s[24:25], v[19:20]
	v_mul_f64 v[46:47], v[34:35], v[38:39]
	v_fma_f64 v[42:43], v[36:37], v[42:43], s[20:21]
	v_fma_f64 v[44:45], v[38:39], v[44:45], s[26:27]
	;; [unrolled: 1-line block ×3, first 2 shown]
	v_cmp_class_f64_e64 s[4:5], v[7:8], s44
	v_fma_f64 v[44:45], v[38:39], v[44:45], s[28:29]
	v_fma_f64 v[42:43], v[36:37], v[42:43], s[46:47]
	;; [unrolled: 1-line block ×7, first 2 shown]
	v_ldexp_f64 v[44:45], v[34:35], 1
	v_fma_f64 v[42:43], v[36:37], v[42:43], s[52:53]
	v_add_f64 v[34:35], v[34:35], -v[40:41]
	v_mul_f64 v[38:39], v[46:47], v[38:39]
	v_cvt_f64_i32_e32 v[46:47], v18
	v_fma_f64 v[42:43], v[36:37], v[42:43], s[40:41]
	v_add_f64 v[27:28], v[27:28], -v[34:35]
	v_mul_f64 v[48:49], v[46:47], s[36:37]
	v_add_f64 v[40:41], v[44:45], v[38:39]
	v_fma_f64 v[42:43], v[36:37], v[42:43], s[56:57]
	v_ldexp_f64 v[27:28], v[27:28], 1
	v_add_f64 v[34:35], v[40:41], -v[44:45]
	v_fma_f64 v[44:45], v[46:47], s[36:37], -v[48:49]
	v_fma_f64 v[42:43], v[36:37], v[42:43], s[58:59]
	v_add_f64 v[34:35], v[38:39], -v[34:35]
	v_fma_f64 v[38:39], v[36:37], v[42:43], s[60:61]
	v_fma_f64 v[42:43], v[46:47], s[38:39], v[44:45]
	v_add_f64 v[27:28], v[27:28], v[34:35]
	v_fma_f64 v[34:35], v[36:37], v[38:39], s[62:63]
	v_add_f64 v[38:39], v[48:49], v[42:43]
	v_add_f64 v[44:45], v[40:41], v[27:28]
	v_fma_f64 v[34:35], v[36:37], v[34:35], s[64:65]
	v_add_f64 v[48:49], v[38:39], -v[48:49]
	v_add_f64 v[46:47], v[38:39], v[44:45]
	v_add_f64 v[40:41], v[44:45], -v[40:41]
	v_fma_f64 v[34:35], v[36:37], v[34:35], s[66:67]
	v_add_f64 v[42:43], v[42:43], -v[48:49]
	v_add_f64 v[50:51], v[46:47], -v[38:39]
	;; [unrolled: 1-line block ×3, first 2 shown]
	v_fma_f64 v[34:35], v[36:37], v[34:35], s[68:69]
	v_add_f64 v[52:53], v[46:47], -v[50:51]
	v_add_f64 v[40:41], v[44:45], -v[50:51]
	v_fma_f64 v[34:35], v[36:37], v[34:35], s[70:71]
	v_add_f64 v[44:45], v[42:43], v[27:28]
	v_add_f64 v[38:39], v[38:39], -v[52:53]
	v_fma_f64 v[34:35], v[36:37], v[34:35], s[72:73]
	v_add_f64 v[38:39], v[40:41], v[38:39]
	;; [unrolled: 3-line block ×3, first 2 shown]
	v_add_f64 v[44:45], v[44:45], -v[40:41]
	v_fma_f64 v[34:35], v[36:37], v[34:35], s[76:77]
	v_add_f64 v[27:28], v[27:28], -v[40:41]
	v_add_f64 v[48:49], v[46:47], v[38:39]
	v_mul_f64 v[34:35], v[36:37], v[34:35]
	v_add_f64 v[36:37], v[42:43], -v[44:45]
	v_add_f64 v[40:41], v[48:49], -v[46:47]
	v_fma_f64 v[32:33], v[32:33], v[34:35], v[32:33]
	v_add_f64 v[27:28], v[27:28], v[36:37]
	v_add_f64 v[34:35], v[38:39], -v[40:41]
	v_add_f64 v[36:37], -v[32:33], s[80:81]
	v_add_f64 v[27:28], v[27:28], v[34:35]
	v_cndmask_b32_e64 v33, v33, v37, s[0:1]
	v_cndmask_b32_e64 v32, v32, v36, s[0:1]
	v_add_f64 v[34:35], -v[32:33], s[78:79]
	v_cmp_gt_i32_e64 s[0:1], 0, v6
	v_and_b32_e32 v36, 0x54442d18, v5
	v_cndmask_b32_e64 v18, v63, v64, s[0:1]
	v_add_f64 v[27:28], v[48:49], v[27:28]
	v_cndmask_b32_e64 v29, v65, v66, s[0:1]
	v_cndmask_b32_e64 v32, v32, v34, s[0:1]
	v_and_b32_e32 v34, 0x400921fb, v5
	v_cndmask_b32_e64 v32, v32, v36, s[2:3]
	v_cndmask_b32_e32 v6, v28, v31, vcc
	v_cndmask_b32_e32 v5, v27, v30, vcc
	v_add_f64 v[5:6], v[5:6], 1.0
	v_cndmask_b32_e64 v28, v33, v35, s[0:1]
	v_cmp_ngt_f64_e64 s[0:1], 0, v[30:31]
	v_bfi_b32 v27, s42, v29, v8
	v_cndmask_b32_e64 v28, v28, v34, s[2:3]
	s_and_b64 vcc, s[8:9], s[4:5]
	v_cndmask_b32_e32 v28, v28, v27, vcc
	v_cndmask_b32_e32 v27, v32, v18, vcc
	v_cndmask_b32_e64 v6, v61, v6, s[0:1]
	v_cmp_nge_f64_e64 s[0:1], 0, v[30:31]
	v_cndmask_b32_e64 v29, 0, v5, s[0:1]
	v_cmp_neq_f64_e64 s[0:1], 0, v[30:31]
	v_cndmask_b32_e64 v30, v62, v6, s[0:1]
.LBB179_32:                             ;   in Loop: Header=BB179_5 Depth=1
	s_or_b64 exec, exec, s[6:7]
.LBB179_33:                             ;   in Loop: Header=BB179_5 Depth=1
	s_andn2_saveexec_b64 s[0:1], s[14:15]
	s_cbranch_execz .LBB179_39
; %bb.34:                               ;   in Loop: Header=BB179_5 Depth=1
	v_cmp_nlt_f64_e64 s[2:3], |v[5:6]|, s[94:95]
	v_cmp_nlt_f64_e64 s[4:5], |v[7:8]|, s[94:95]
                                        ; implicit-def: $vgpr30_vgpr31
	s_or_b64 s[2:3], s[2:3], s[4:5]
	s_and_saveexec_b64 s[4:5], s[2:3]
	s_xor_b64 s[2:3], exec, s[4:5]
	s_cbranch_execz .LBB179_36
; %bb.35:                               ;   in Loop: Header=BB179_5 Depth=1
	v_mul_f64 v[27:28], v[7:8], v[7:8]
	v_fma_f64 v[30:31], v[5:6], v[5:6], v[27:28]
.LBB179_36:                             ;   in Loop: Header=BB179_5 Depth=1
	s_andn2_saveexec_b64 s[2:3], s[2:3]
	s_cbranch_execz .LBB179_38
; %bb.37:                               ;   in Loop: Header=BB179_5 Depth=1
	v_mul_f64 v[27:28], v[7:8], 4.0
	v_mul_f64 v[5:6], v[5:6], 4.0
	v_mul_f64 v[27:28], v[27:28], v[27:28]
	v_fma_f64 v[5:6], v[5:6], v[5:6], v[27:28]
	v_ldexp_f64 v[30:31], v[5:6], -4
.LBB179_38:                             ;   in Loop: Header=BB179_5 Depth=1
	s_or_b64 exec, exec, s[2:3]
	v_frexp_mant_f64_e32 v[5:6], v[30:31]
	s_mov_b32 s91, s23
	v_cmp_gt_f64_e32 vcc, s[22:23], v[5:6]
	v_cndmask_b32_e64 v7, 0, 1, vcc
	v_ldexp_f64 v[5:6], v[5:6], v7
	v_frexp_exp_i32_f64_e32 v7, v[30:31]
	v_add_f64 v[27:28], v[5:6], 1.0
	v_add_f64 v[36:37], v[5:6], -1.0
	v_subbrev_co_u32_e32 v7, vcc, 0, v7, vcc
	v_cmp_class_f64_e64 vcc, v[30:31], s44
	v_rcp_f64_e32 v[32:33], v[27:28]
	v_add_f64 v[38:39], v[27:28], -1.0
	v_add_f64 v[5:6], v[5:6], -v[38:39]
	v_fma_f64 v[34:35], -v[27:28], v[32:33], 1.0
	v_fma_f64 v[32:33], v[34:35], v[32:33], v[32:33]
	v_fma_f64 v[34:35], -v[27:28], v[32:33], 1.0
	v_fma_f64 v[32:33], v[34:35], v[32:33], v[32:33]
	v_mul_f64 v[34:35], v[36:37], v[32:33]
	v_mul_f64 v[40:41], v[27:28], v[34:35]
	v_fma_f64 v[27:28], v[34:35], v[27:28], -v[40:41]
	v_fma_f64 v[5:6], v[34:35], v[5:6], v[27:28]
	v_add_f64 v[27:28], v[40:41], v[5:6]
	v_add_f64 v[38:39], v[36:37], -v[27:28]
	v_add_f64 v[40:41], v[27:28], -v[40:41]
	;; [unrolled: 1-line block ×5, first 2 shown]
	v_add_f64 v[5:6], v[5:6], v[27:28]
	v_add_f64 v[5:6], v[38:39], v[5:6]
	v_mul_f64 v[5:6], v[32:33], v[5:6]
	v_add_f64 v[27:28], v[34:35], v[5:6]
	v_mul_f64 v[32:33], v[27:28], v[27:28]
	v_fma_f64 v[36:37], v[32:33], s[24:25], v[19:20]
	v_mul_f64 v[38:39], v[27:28], v[32:33]
	v_fma_f64 v[36:37], v[32:33], v[36:37], s[26:27]
	v_fma_f64 v[36:37], v[32:33], v[36:37], s[28:29]
	;; [unrolled: 1-line block ×5, first 2 shown]
	v_ldexp_f64 v[36:37], v[27:28], 1
	v_add_f64 v[27:28], v[27:28], -v[34:35]
	v_mul_f64 v[32:33], v[38:39], v[32:33]
	v_cvt_f64_i32_e32 v[38:39], v7
	v_add_f64 v[5:6], v[5:6], -v[27:28]
	v_mul_f64 v[40:41], v[38:39], s[36:37]
	v_add_f64 v[34:35], v[36:37], v[32:33]
	v_ldexp_f64 v[5:6], v[5:6], 1
	v_add_f64 v[27:28], v[34:35], -v[36:37]
	v_fma_f64 v[36:37], v[38:39], s[36:37], -v[40:41]
	v_add_f64 v[27:28], v[32:33], -v[27:28]
	v_fma_f64 v[32:33], v[38:39], s[38:39], v[36:37]
	v_add_f64 v[5:6], v[5:6], v[27:28]
	v_add_f64 v[27:28], v[40:41], v[32:33]
	;; [unrolled: 1-line block ×3, first 2 shown]
	v_add_f64 v[40:41], v[27:28], -v[40:41]
	v_add_f64 v[38:39], v[27:28], v[36:37]
	v_add_f64 v[34:35], v[36:37], -v[34:35]
	v_add_f64 v[32:33], v[32:33], -v[40:41]
	;; [unrolled: 1-line block ×6, first 2 shown]
	v_add_f64 v[36:37], v[32:33], v[5:6]
	v_add_f64 v[27:28], v[27:28], -v[44:45]
	v_add_f64 v[27:28], v[34:35], v[27:28]
	v_add_f64 v[34:35], v[36:37], -v[32:33]
	;; [unrolled: 2-line block ×3, first 2 shown]
	v_add_f64 v[5:6], v[5:6], -v[34:35]
	v_add_f64 v[40:41], v[38:39], v[27:28]
	v_add_f64 v[32:33], v[32:33], -v[36:37]
	v_add_f64 v[34:35], v[40:41], -v[38:39]
	v_add_f64 v[5:6], v[5:6], v[32:33]
	v_add_f64 v[27:28], v[27:28], -v[34:35]
	v_add_f64 v[5:6], v[5:6], v[27:28]
	v_mov_b32_e32 v27, 0
	v_mov_b32_e32 v28, 0x7ff80000
	v_add_f64 v[5:6], v[40:41], v[5:6]
	v_cndmask_b32_e32 v5, v5, v30, vcc
	v_cndmask_b32_e32 v6, v6, v31, vcc
	v_cmp_ngt_f64_e32 vcc, 0, v[30:31]
	v_cndmask_b32_e32 v6, v61, v6, vcc
	v_cmp_nge_f64_e32 vcc, 0, v[30:31]
	v_cndmask_b32_e32 v29, 0, v5, vcc
	v_cmp_neq_f64_e32 vcc, 0, v[30:31]
	v_cndmask_b32_e32 v30, v62, v6, vcc
.LBB179_39:                             ;   in Loop: Header=BB179_5 Depth=1
	s_or_b64 exec, exec, s[0:1]
	s_waitcnt vmcnt(2)
	v_cmp_o_f64_e32 vcc, v[9:10], v[11:12]
                                        ; implicit-def: $vgpr31_vgpr32
                                        ; implicit-def: $vgpr5_vgpr6
	s_and_saveexec_b64 s[0:1], vcc
	s_xor_b64 s[14:15], exec, s[0:1]
	s_cbranch_execz .LBB179_67
; %bb.40:                               ;   in Loop: Header=BB179_5 Depth=1
	v_cmp_lt_f64_e64 s[0:1], |v[9:10]|, |v[11:12]|
	v_and_b32_e32 v7, 0x7fffffff, v10
	v_and_b32_e32 v18, 0x7fffffff, v12
	s_mov_b32 s2, 0x85ebc8a0
	s_mov_b32 s3, 0x7fd1ccf3
	v_mov_b32_e32 v33, v11
                                        ; implicit-def: $vgpr31_vgpr32
                                        ; implicit-def: $vgpr5_vgpr6
	v_cndmask_b32_e64 v36, v18, v7, s[0:1]
	v_cndmask_b32_e64 v35, v11, v9, s[0:1]
	v_cmp_nlt_f64_e32 vcc, s[2:3], v[35:36]
	s_and_saveexec_b64 s[2:3], vcc
	s_xor_b64 s[92:93], exec, s[2:3]
	s_cbranch_execz .LBB179_64
; %bb.41:                               ;   in Loop: Header=BB179_5 Depth=1
	v_cndmask_b32_e64 v38, v7, v18, s[0:1]
	v_cndmask_b32_e64 v37, v9, v33, s[0:1]
	v_cmp_neq_f64_e32 vcc, 1.0, v[37:38]
                                        ; implicit-def: $vgpr31_vgpr32
                                        ; implicit-def: $vgpr5_vgpr6
	s_and_saveexec_b64 s[2:3], vcc
	s_xor_b64 s[18:19], exec, s[2:3]
	s_cbranch_execz .LBB179_57
; %bb.42:                               ;   in Loop: Header=BB179_5 Depth=1
	v_max_f64 v[5:6], v[35:36], v[35:36]
	v_max_f64 v[31:32], v[37:38], v[37:38]
	s_mov_b32 s2, 0x4ad4b81f
	s_mov_b32 s3, 0x358dee7a
	v_min_f64 v[33:34], v[31:32], v[5:6]
	v_max_f64 v[5:6], v[31:32], v[5:6]
                                        ; implicit-def: $vgpr31_vgpr32
	v_cmp_ngt_f64_e32 vcc, s[2:3], v[33:34]
	s_mov_b32 s2, 0xc57e649a
	s_mov_b32 s3, 0x4a511b0e
	v_cmp_nlt_f64_e64 s[2:3], s[2:3], v[5:6]
                                        ; implicit-def: $vgpr5_vgpr6
	s_and_b64 s[2:3], s[2:3], vcc
	s_and_saveexec_b64 s[4:5], s[2:3]
	s_xor_b64 s[20:21], exec, s[4:5]
	s_cbranch_execz .LBB179_54
; %bb.43:                               ;   in Loop: Header=BB179_5 Depth=1
	v_cmp_le_f64_e32 vcc, 1.0, v[37:38]
                                        ; implicit-def: $vgpr31_vgpr32
                                        ; implicit-def: $vgpr5_vgpr6
	s_and_saveexec_b64 s[2:3], vcc
	s_xor_b64 s[10:11], exec, s[2:3]
	s_cbranch_execz .LBB179_45
; %bb.44:                               ;   in Loop: Header=BB179_5 Depth=1
	v_add_f64 v[5:6], v[37:38], -1.0
	v_add_f64 v[31:32], v[37:38], 1.0
	s_mov_b32 s91, s23
	s_mov_b32 s78, s80
	;; [unrolled: 1-line block ×4, first 2 shown]
	v_cmp_class_f64_e64 s[4:5], v[11:12], s44
	v_mul_f64 v[5:6], v[5:6], v[31:32]
	v_fma_f64 v[32:33], v[35:36], v[35:36], v[5:6]
	v_add_f64 v[5:6], v[32:33], 1.0
	v_cmp_nge_f64_e64 s[6:7], -1.0, v[32:33]
	v_cmp_neq_f64_e64 s[8:9], s[8:9], v[32:33]
	v_frexp_mant_f64_e32 v[36:37], v[5:6]
	v_frexp_exp_i32_f64_e32 v7, v[5:6]
	v_add_f64 v[34:35], v[5:6], -1.0
	v_cmp_gt_f64_e32 vcc, s[22:23], v[36:37]
	v_add_f64 v[38:39], v[34:35], -v[5:6]
	v_add_f64 v[34:35], v[32:33], -v[34:35]
	v_subbrev_co_u32_e32 v7, vcc, 0, v7, vcc
	v_sub_u32_e32 v18, 0, v7
	v_ldexp_f64 v[5:6], v[5:6], v18
	v_add_f64 v[36:37], v[38:39], 1.0
	v_add_f64 v[38:39], v[5:6], 1.0
	v_add_f64 v[34:35], v[34:35], v[36:37]
	v_add_f64 v[44:45], v[5:6], -1.0
	v_add_f64 v[36:37], v[38:39], -1.0
	v_ldexp_f64 v[34:35], v[34:35], v18
	v_add_f64 v[46:47], v[44:45], 1.0
	v_add_f64 v[36:37], v[5:6], -v[36:37]
	v_add_f64 v[5:6], v[5:6], -v[46:47]
	v_add_f64 v[40:41], v[34:35], v[36:37]
	v_add_f64 v[46:47], v[34:35], v[5:6]
	;; [unrolled: 1-line block ×3, first 2 shown]
	v_rcp_f64_e32 v[42:43], v[36:37]
	v_add_f64 v[38:39], v[36:37], -v[38:39]
	v_add_f64 v[40:41], v[40:41], -v[38:39]
	v_fma_f64 v[48:49], -v[36:37], v[42:43], 1.0
	v_fma_f64 v[42:43], v[48:49], v[42:43], v[42:43]
	v_add_f64 v[48:49], v[44:45], v[46:47]
	v_fma_f64 v[5:6], -v[36:37], v[42:43], 1.0
	v_add_f64 v[44:45], v[48:49], -v[44:45]
	v_fma_f64 v[5:6], v[5:6], v[42:43], v[42:43]
	v_add_f64 v[44:45], v[46:47], -v[44:45]
	v_mul_f64 v[34:35], v[48:49], v[5:6]
	v_mul_f64 v[42:43], v[36:37], v[34:35]
	v_fma_f64 v[38:39], v[34:35], v[36:37], -v[42:43]
	v_fma_f64 v[50:51], v[34:35], v[40:41], v[38:39]
	v_add_f64 v[52:53], v[42:43], v[50:51]
	v_add_f64 v[38:39], v[48:49], -v[52:53]
	v_add_f64 v[42:43], v[52:53], -v[42:43]
	;; [unrolled: 1-line block ×5, first 2 shown]
	v_add_f64 v[44:45], v[44:45], v[46:47]
	v_max_f64 v[46:47], |v[9:10]|, |v[9:10]|
	v_add_f64 v[42:43], v[42:43], v[44:45]
	v_max_f64 v[44:45], |v[11:12]|, |v[11:12]|
	v_add_f64 v[48:49], v[38:39], v[42:43]
	v_max_f64 v[50:51], v[46:47], v[44:45]
	v_min_f64 v[44:45], v[46:47], v[44:45]
	v_mul_f64 v[46:47], v[5:6], v[48:49]
	v_add_f64 v[38:39], v[38:39], -v[48:49]
	v_div_scale_f64 v[52:53], s[2:3], v[50:51], v[50:51], v[44:45]
	s_mov_b32 s2, 0x69efb384
	s_mov_b32 s3, 0x3f4b2bb0
	v_mul_f64 v[54:55], v[36:37], v[46:47]
	v_add_f64 v[38:39], v[42:43], v[38:39]
	v_fma_f64 v[36:37], v[46:47], v[36:37], -v[54:55]
	v_rcp_f64_e32 v[56:57], v[52:53]
	v_fma_f64 v[36:37], v[46:47], v[40:41], v[36:37]
	v_add_f64 v[40:41], v[54:55], v[36:37]
	v_fma_f64 v[67:68], -v[52:53], v[56:57], 1.0
	v_add_f64 v[69:70], v[48:49], -v[40:41]
	v_add_f64 v[42:43], v[40:41], -v[54:55]
	v_fma_f64 v[56:57], v[56:57], v[67:68], v[56:57]
	v_div_scale_f64 v[67:68], vcc, v[44:45], v[50:51], v[44:45]
	v_add_f64 v[48:49], v[48:49], -v[69:70]
	v_add_f64 v[36:37], v[42:43], -v[36:37]
	v_fma_f64 v[71:72], -v[52:53], v[56:57], 1.0
	v_add_f64 v[42:43], v[34:35], v[46:47]
	v_add_f64 v[40:41], v[48:49], -v[40:41]
	v_fma_f64 v[48:49], v[56:57], v[71:72], v[56:57]
	v_add_f64 v[34:35], v[42:43], -v[34:35]
	v_add_f64 v[38:39], v[38:39], v[40:41]
	v_mul_f64 v[40:41], v[67:68], v[48:49]
	v_add_f64 v[34:35], v[46:47], -v[34:35]
	v_add_f64 v[36:37], v[36:37], v[38:39]
	v_fma_f64 v[38:39], -v[52:53], v[40:41], v[67:68]
	v_add_f64 v[36:37], v[69:70], v[36:37]
	v_div_fmas_f64 v[38:39], v[38:39], v[48:49], v[40:41]
	v_cmp_gt_i32_e32 vcc, 0, v10
	v_cndmask_b32_e32 v18, v65, v66, vcc
	v_mul_f64 v[5:6], v[5:6], v[36:37]
	v_add_f64 v[5:6], v[34:35], v[5:6]
	v_div_fixup_f64 v[34:35], v[38:39], v[50:51], v[44:45]
	v_add_f64 v[36:37], v[42:43], v[5:6]
	v_mul_f64 v[38:39], v[34:35], v[34:35]
	v_mul_f64 v[40:41], v[36:37], v[36:37]
	v_fma_f64 v[44:45], v[38:39], s[16:17], v[21:22]
	v_cmp_class_f64_e64 s[16:17], v[9:10], s44
	v_ashrrev_i32_e32 v9, 31, v10
	v_and_b32_e32 v31, 0x54442d18, v9
	v_fma_f64 v[46:47], v[40:41], s[24:25], v[19:20]
	v_mul_f64 v[48:49], v[36:37], v[40:41]
	v_fma_f64 v[44:45], v[38:39], v[44:45], s[2:3]
	s_mov_b32 s2, 0xaf56de9b
	s_mov_b32 s3, 0xbf67952d
	v_fma_f64 v[46:47], v[40:41], v[46:47], s[26:27]
	v_fma_f64 v[44:45], v[38:39], v[44:45], s[2:3]
	v_cmp_eq_f64_e64 s[2:3], 0, v[11:12]
	v_fma_f64 v[46:47], v[40:41], v[46:47], s[28:29]
	v_fma_f64 v[44:45], v[38:39], v[44:45], s[46:47]
	;; [unrolled: 1-line block ×7, first 2 shown]
	v_ldexp_f64 v[46:47], v[36:37], 1
	v_fma_f64 v[44:45], v[38:39], v[44:45], s[52:53]
	v_add_f64 v[36:37], v[36:37], -v[42:43]
	v_mul_f64 v[40:41], v[48:49], v[40:41]
	v_cvt_f64_i32_e32 v[48:49], v7
	v_fma_f64 v[44:45], v[38:39], v[44:45], s[40:41]
	v_add_f64 v[5:6], v[5:6], -v[36:37]
	v_cndmask_b32_e32 v7, v63, v64, vcc
	v_mul_f64 v[50:51], v[48:49], s[36:37]
	v_add_f64 v[42:43], v[46:47], v[40:41]
	v_fma_f64 v[44:45], v[38:39], v[44:45], s[56:57]
	v_ldexp_f64 v[5:6], v[5:6], 1
	v_add_f64 v[36:37], v[42:43], -v[46:47]
	v_fma_f64 v[46:47], v[48:49], s[36:37], -v[50:51]
	v_fma_f64 v[44:45], v[38:39], v[44:45], s[58:59]
	v_add_f64 v[36:37], v[40:41], -v[36:37]
	v_fma_f64 v[40:41], v[38:39], v[44:45], s[60:61]
	v_fma_f64 v[44:45], v[48:49], s[38:39], v[46:47]
	v_add_f64 v[5:6], v[5:6], v[36:37]
	v_fma_f64 v[36:37], v[38:39], v[40:41], s[62:63]
	v_add_f64 v[40:41], v[50:51], v[44:45]
	v_add_f64 v[46:47], v[42:43], v[5:6]
	v_fma_f64 v[36:37], v[38:39], v[36:37], s[64:65]
	v_add_f64 v[50:51], v[40:41], -v[50:51]
	v_add_f64 v[48:49], v[40:41], v[46:47]
	v_add_f64 v[42:43], v[46:47], -v[42:43]
	v_fma_f64 v[36:37], v[38:39], v[36:37], s[66:67]
	v_add_f64 v[44:45], v[44:45], -v[50:51]
	v_add_f64 v[52:53], v[48:49], -v[40:41]
	;; [unrolled: 1-line block ×3, first 2 shown]
	v_fma_f64 v[36:37], v[38:39], v[36:37], s[68:69]
	v_add_f64 v[54:55], v[48:49], -v[52:53]
	v_add_f64 v[42:43], v[46:47], -v[52:53]
	v_fma_f64 v[36:37], v[38:39], v[36:37], s[70:71]
	v_add_f64 v[46:47], v[44:45], v[5:6]
	v_add_f64 v[40:41], v[40:41], -v[54:55]
	v_fma_f64 v[36:37], v[38:39], v[36:37], s[72:73]
	v_add_f64 v[40:41], v[42:43], v[40:41]
	;; [unrolled: 3-line block ×3, first 2 shown]
	v_add_f64 v[46:47], v[46:47], -v[42:43]
	v_fma_f64 v[36:37], v[38:39], v[36:37], s[76:77]
	v_add_f64 v[5:6], v[5:6], -v[42:43]
	v_add_f64 v[50:51], v[48:49], v[40:41]
	v_mul_f64 v[36:37], v[38:39], v[36:37]
	v_add_f64 v[38:39], v[44:45], -v[46:47]
	v_add_f64 v[42:43], v[50:51], -v[48:49]
	v_fma_f64 v[34:35], v[34:35], v[36:37], v[34:35]
	v_add_f64 v[5:6], v[5:6], v[38:39]
	v_add_f64 v[36:37], v[40:41], -v[42:43]
	v_add_f64 v[38:39], -v[34:35], s[80:81]
	v_add_f64 v[5:6], v[5:6], v[36:37]
	v_cndmask_b32_e64 v35, v35, v39, s[0:1]
	v_cndmask_b32_e64 v34, v34, v38, s[0:1]
	v_add_f64 v[36:37], -v[34:35], s[78:79]
	v_add_f64 v[5:6], v[50:51], v[5:6]
	v_cndmask_b32_e32 v34, v34, v36, vcc
	v_and_b32_e32 v36, 0x400921fb, v9
	v_mul_f64 v[9:10], v[5:6], 0.5
	v_cndmask_b32_e32 v6, v35, v37, vcc
	v_bfi_b32 v5, s42, v18, v12
	v_cndmask_b32_e64 v18, v34, v31, s[2:3]
	v_cndmask_b32_e64 v6, v6, v36, s[2:3]
	s_and_b64 s[2:3], s[6:7], s[8:9]
	s_and_b64 vcc, s[16:17], s[4:5]
	v_cndmask_b32_e32 v6, v6, v5, vcc
	v_cndmask_b32_e64 v31, 0, v9, s[2:3]
	v_cmp_ngt_f64_e64 s[2:3], -1.0, v[32:33]
	v_cndmask_b32_e64 v5, v60, v10, s[8:9]
	s_mov_b32 s16, 0xb5e68a13
	s_mov_b32 s17, 0x3eeba404
                                        ; implicit-def: $vgpr35_vgpr36
                                        ; implicit-def: $vgpr37_vgpr38
	v_cndmask_b32_e64 v5, v61, v5, s[2:3]
	v_cmp_neq_f64_e64 s[2:3], -1.0, v[32:33]
	v_cndmask_b32_e64 v32, v62, v5, s[2:3]
	v_cndmask_b32_e32 v5, v18, v7, vcc
.LBB179_45:                             ;   in Loop: Header=BB179_5 Depth=1
	s_andn2_saveexec_b64 s[82:83], s[10:11]
	s_cbranch_execz .LBB179_53
; %bb.46:                               ;   in Loop: Header=BB179_5 Depth=1
	v_mul_f64 v[5:6], v[35:36], v[35:36]
	s_mov_b32 s2, 0x66666666
	s_mov_b32 s3, 0x3fe66666
                                        ; implicit-def: $vgpr31_vgpr32
	v_fma_f64 v[33:34], v[37:38], v[37:38], v[5:6]
                                        ; implicit-def: $vgpr5_vgpr6
	v_cmp_ge_f64_e32 vcc, s[2:3], v[33:34]
	s_and_saveexec_b64 s[2:3], vcc
	s_xor_b64 s[8:9], exec, s[2:3]
	s_cbranch_execz .LBB179_48
; %bb.47:                               ;   in Loop: Header=BB179_5 Depth=1
	v_frexp_mant_f64_e32 v[5:6], v[33:34]
	v_max_f64 v[39:40], |v[11:12]|, |v[11:12]|
	v_max_f64 v[41:42], |v[9:10]|, |v[9:10]|
	s_mov_b32 s91, s23
	s_mov_b32 s78, s80
	v_cmp_class_f64_e64 s[10:11], v[9:10], s44
	v_ashrrev_i32_e32 v9, 31, v10
	v_and_b32_e32 v18, 0x54442d18, v9
	v_cmp_gt_f64_e64 s[2:3], s[22:23], v[5:6]
	v_cmp_neq_f64_e64 s[6:7], 0, v[33:34]
	v_cndmask_b32_e64 v7, 0, 1, s[2:3]
	v_ldexp_f64 v[5:6], v[5:6], v7
	v_frexp_exp_i32_f64_e32 v7, v[33:34]
	v_add_f64 v[31:32], v[5:6], 1.0
	v_add_f64 v[45:46], v[5:6], -1.0
	v_rcp_f64_e32 v[35:36], v[31:32]
	v_add_f64 v[49:50], v[31:32], -1.0
	v_add_f64 v[5:6], v[5:6], -v[49:50]
	v_fma_f64 v[37:38], -v[31:32], v[35:36], 1.0
	v_fma_f64 v[35:36], v[37:38], v[35:36], v[35:36]
	v_max_f64 v[37:38], v[41:42], v[39:40]
	v_min_f64 v[39:40], v[41:42], v[39:40]
	v_fma_f64 v[41:42], -v[31:32], v[35:36], 1.0
	v_div_scale_f64 v[43:44], s[4:5], v[37:38], v[37:38], v[39:40]
	s_mov_b32 s4, 0x69efb384
	s_mov_b32 s5, 0x3f4b2bb0
	v_fma_f64 v[35:36], v[41:42], v[35:36], v[35:36]
	v_mul_f64 v[41:42], v[45:46], v[35:36]
	v_rcp_f64_e32 v[47:48], v[43:44]
	v_mul_f64 v[51:52], v[31:32], v[41:42]
	v_fma_f64 v[31:32], v[41:42], v[31:32], -v[51:52]
	v_fma_f64 v[49:50], -v[43:44], v[47:48], 1.0
	v_fma_f64 v[5:6], v[41:42], v[5:6], v[31:32]
	v_fma_f64 v[31:32], v[47:48], v[49:50], v[47:48]
	v_div_scale_f64 v[49:50], vcc, v[39:40], v[37:38], v[39:40]
	v_add_f64 v[47:48], v[51:52], v[5:6]
	v_fma_f64 v[53:54], -v[43:44], v[31:32], 1.0
	v_add_f64 v[55:56], v[45:46], -v[47:48]
	v_add_f64 v[51:52], v[47:48], -v[51:52]
	v_fma_f64 v[31:32], v[31:32], v[53:54], v[31:32]
	v_add_f64 v[45:46], v[45:46], -v[55:56]
	v_add_f64 v[5:6], v[51:52], -v[5:6]
	v_mul_f64 v[53:54], v[49:50], v[31:32]
	v_add_f64 v[45:46], v[45:46], -v[47:48]
	v_fma_f64 v[43:44], -v[43:44], v[53:54], v[49:50]
	v_add_f64 v[5:6], v[5:6], v[45:46]
	v_div_fmas_f64 v[31:32], v[43:44], v[31:32], v[53:54]
	v_subbrev_co_u32_e64 v7, vcc, 0, v7, s[2:3]
	v_cmp_eq_f64_e64 s[2:3], 0, v[11:12]
	v_cmp_gt_i32_e32 vcc, 0, v10
	v_add_f64 v[5:6], v[55:56], v[5:6]
	v_mul_f64 v[5:6], v[35:36], v[5:6]
	v_div_fixup_f64 v[31:32], v[31:32], v[37:38], v[39:40]
	v_add_f64 v[35:36], v[41:42], v[5:6]
	v_mul_f64 v[37:38], v[31:32], v[31:32]
	v_mul_f64 v[39:40], v[35:36], v[35:36]
	v_fma_f64 v[43:44], v[37:38], s[16:17], v[21:22]
	v_fma_f64 v[45:46], v[39:40], s[24:25], v[19:20]
	v_mul_f64 v[47:48], v[35:36], v[39:40]
	v_fma_f64 v[43:44], v[37:38], v[43:44], s[4:5]
	s_mov_b32 s4, 0xaf56de9b
	s_mov_b32 s5, 0xbf67952d
	v_fma_f64 v[45:46], v[39:40], v[45:46], s[26:27]
	v_fma_f64 v[43:44], v[37:38], v[43:44], s[4:5]
	v_cmp_class_f64_e64 s[4:5], v[11:12], s44
	v_fma_f64 v[45:46], v[39:40], v[45:46], s[28:29]
	v_fma_f64 v[43:44], v[37:38], v[43:44], s[46:47]
	;; [unrolled: 1-line block ×7, first 2 shown]
	v_ldexp_f64 v[45:46], v[35:36], 1
	v_fma_f64 v[43:44], v[37:38], v[43:44], s[52:53]
	v_add_f64 v[35:36], v[35:36], -v[41:42]
	v_mul_f64 v[39:40], v[47:48], v[39:40]
	v_cvt_f64_i32_e32 v[47:48], v7
	v_fma_f64 v[43:44], v[37:38], v[43:44], s[40:41]
	v_add_f64 v[5:6], v[5:6], -v[35:36]
	v_cndmask_b32_e32 v7, v63, v64, vcc
	v_mul_f64 v[49:50], v[47:48], s[36:37]
	v_add_f64 v[41:42], v[45:46], v[39:40]
	v_fma_f64 v[43:44], v[37:38], v[43:44], s[56:57]
	v_ldexp_f64 v[5:6], v[5:6], 1
	v_add_f64 v[35:36], v[41:42], -v[45:46]
	v_fma_f64 v[45:46], v[47:48], s[36:37], -v[49:50]
	v_fma_f64 v[43:44], v[37:38], v[43:44], s[58:59]
	v_add_f64 v[35:36], v[39:40], -v[35:36]
	v_fma_f64 v[39:40], v[37:38], v[43:44], s[60:61]
	v_fma_f64 v[43:44], v[47:48], s[38:39], v[45:46]
	v_add_f64 v[5:6], v[5:6], v[35:36]
	v_fma_f64 v[35:36], v[37:38], v[39:40], s[62:63]
	v_add_f64 v[39:40], v[49:50], v[43:44]
	v_add_f64 v[45:46], v[41:42], v[5:6]
	v_fma_f64 v[35:36], v[37:38], v[35:36], s[64:65]
	v_add_f64 v[49:50], v[39:40], -v[49:50]
	v_add_f64 v[47:48], v[39:40], v[45:46]
	v_add_f64 v[41:42], v[45:46], -v[41:42]
	v_fma_f64 v[35:36], v[37:38], v[35:36], s[66:67]
	v_add_f64 v[43:44], v[43:44], -v[49:50]
	v_add_f64 v[51:52], v[47:48], -v[39:40]
	;; [unrolled: 1-line block ×3, first 2 shown]
	v_fma_f64 v[35:36], v[37:38], v[35:36], s[68:69]
	v_add_f64 v[53:54], v[47:48], -v[51:52]
	v_add_f64 v[41:42], v[45:46], -v[51:52]
	v_fma_f64 v[35:36], v[37:38], v[35:36], s[70:71]
	v_add_f64 v[45:46], v[43:44], v[5:6]
	v_add_f64 v[39:40], v[39:40], -v[53:54]
	v_fma_f64 v[35:36], v[37:38], v[35:36], s[72:73]
	v_add_f64 v[39:40], v[41:42], v[39:40]
	;; [unrolled: 3-line block ×3, first 2 shown]
	v_add_f64 v[45:46], v[45:46], -v[41:42]
	v_fma_f64 v[35:36], v[37:38], v[35:36], s[76:77]
	v_add_f64 v[5:6], v[5:6], -v[41:42]
	v_add_f64 v[49:50], v[47:48], v[39:40]
	v_mul_f64 v[35:36], v[37:38], v[35:36]
	v_add_f64 v[37:38], v[43:44], -v[45:46]
	v_add_f64 v[41:42], v[49:50], -v[47:48]
	v_fma_f64 v[31:32], v[31:32], v[35:36], v[31:32]
	v_add_f64 v[5:6], v[5:6], v[37:38]
	v_add_f64 v[35:36], v[39:40], -v[41:42]
	v_add_f64 v[37:38], -v[31:32], s[80:81]
	v_add_f64 v[5:6], v[5:6], v[35:36]
	v_cndmask_b32_e64 v32, v32, v38, s[0:1]
	v_cndmask_b32_e64 v31, v31, v37, s[0:1]
	v_add_f64 v[35:36], -v[31:32], s[78:79]
	v_and_b32_e32 v37, 0x400921fb, v9
	v_add_f64 v[5:6], v[49:50], v[5:6]
	v_cndmask_b32_e32 v31, v31, v35, vcc
	v_cndmask_b32_e32 v35, v65, v66, vcc
	v_cndmask_b32_e64 v18, v31, v18, s[2:3]
	v_mul_f64 v[9:10], v[5:6], 0.5
	v_cndmask_b32_e32 v6, v32, v36, vcc
	v_bfi_b32 v5, s42, v35, v12
	v_cndmask_b32_e64 v6, v6, v37, s[2:3]
	s_and_b64 vcc, s[10:11], s[4:5]
	v_cndmask_b32_e32 v6, v6, v5, vcc
	v_cndmask_b32_e32 v5, v18, v7, vcc
                                        ; implicit-def: $vgpr37_vgpr38
                                        ; implicit-def: $vgpr35_vgpr36
	v_cndmask_b32_e64 v32, v62, v10, s[6:7]
	v_cndmask_b32_e64 v31, 0, v9, s[6:7]
.LBB179_48:                             ;   in Loop: Header=BB179_5 Depth=1
	s_andn2_saveexec_b64 s[10:11], s[8:9]
	s_cbranch_execz .LBB179_52
; %bb.49:                               ;   in Loop: Header=BB179_5 Depth=1
	v_and_b32_e32 v18, 0x7ffffff8, v38
	v_and_b32_e32 v32, 0x7ffffff8, v36
	v_mov_b32_e32 v31, v17
	v_add_f64 v[5:6], v[37:38], -v[17:18]
	v_add_f64 v[33:34], v[35:36], -v[31:32]
	v_mov_b32_e32 v37, v17
	v_mov_b32_e32 v45, v17
	v_add_f64 v[41:42], v[17:18], v[17:18]
	v_add_f64 v[43:44], v[31:32], v[31:32]
	v_mul_f64 v[31:32], v[31:32], v[31:32]
	s_mov_b64 s[16:17], 0
	v_and_b32_e32 v38, -8, v6
	v_and_b32_e32 v46, -8, v34
	v_add_f64 v[51:52], v[5:6], -v[37:38]
	v_add_f64 v[53:54], v[33:34], -v[45:46]
	v_add_f64 v[55:56], v[37:38], v[37:38]
	v_add_f64 v[57:58], v[45:46], v[45:46]
	v_mul_f64 v[5:6], v[17:18], v[17:18]
	v_mul_f64 v[35:36], v[41:42], v[37:38]
	;; [unrolled: 1-line block ×11, first 2 shown]
.LBB179_50:                             ;   Parent Loop BB179_5 Depth=1
                                        ; =>  This Inner Loop Header: Depth=2
	v_cmp_nlt_f64_e32 vcc, v[5:6], v[31:32]
	v_cndmask_b32_e32 v54, v6, v32, vcc
	v_cndmask_b32_e32 v53, v5, v31, vcc
	v_cmp_nlt_f64_e64 s[2:3], v[53:54], v[35:36]
	v_cndmask_b32_e32 v6, v32, v6, vcc
	v_cndmask_b32_e32 v5, v31, v5, vcc
	v_cndmask_b32_e64 v56, v54, v36, s[2:3]
	v_cndmask_b32_e64 v55, v53, v35, s[2:3]
	v_cmp_nlt_f64_e64 s[6:7], v[55:56], v[33:34]
	v_cndmask_b32_e64 v32, v36, v54, s[2:3]
	v_cndmask_b32_e64 v31, v35, v53, s[2:3]
	s_and_b64 s[4:5], vcc, s[2:3]
	v_cndmask_b32_e64 v58, v56, v34, s[6:7]
	v_cndmask_b32_e64 v57, v55, v33, s[6:7]
	v_cmp_nlt_f64_e64 s[8:9], v[57:58], v[39:40]
	v_cndmask_b32_e64 v36, v34, v56, s[6:7]
	v_cndmask_b32_e64 v35, v33, v55, s[6:7]
	;; [unrolled: 1-line block ×4, first 2 shown]
	v_cmp_nlt_f64_e32 vcc, v[53:54], v[45:46]
	v_cndmask_b32_e64 v34, v40, v58, s[8:9]
	v_cndmask_b32_e64 v33, v39, v57, s[8:9]
	s_and_b64 s[8:9], s[6:7], s[8:9]
	v_cndmask_b32_e32 v56, v54, v46, vcc
	v_cndmask_b32_e32 v55, v53, v45, vcc
	v_cmp_nlt_f64_e64 s[2:3], v[55:56], v[49:50]
	v_cndmask_b32_e32 v40, v46, v54, vcc
	v_cndmask_b32_e32 v39, v45, v53, vcc
	v_cndmask_b32_e64 v54, v56, v50, s[2:3]
	v_cndmask_b32_e64 v53, v55, v49, s[2:3]
	v_cmp_nlt_f64_e64 s[6:7], v[53:54], v[47:48]
	v_cndmask_b32_e64 v46, v50, v56, s[2:3]
	v_cndmask_b32_e64 v45, v49, v55, s[2:3]
	s_and_b64 s[2:3], vcc, s[2:3]
	v_cndmask_b32_e64 v56, v54, v48, s[6:7]
	v_cndmask_b32_e64 v55, v53, v47, s[6:7]
	v_cmp_nlt_f64_e32 vcc, v[55:56], v[43:44]
	v_cndmask_b32_e64 v50, v48, v54, s[6:7]
	v_cndmask_b32_e64 v49, v47, v53, s[6:7]
	s_and_b64 s[6:7], s[2:3], s[6:7]
	v_cndmask_b32_e32 v54, v56, v44, vcc
	v_cndmask_b32_e32 v53, v55, v43, vcc
	v_cmp_nlt_f64_e64 s[2:3], v[53:54], v[41:42]
	v_cndmask_b32_e32 v48, v44, v56, vcc
	v_cndmask_b32_e32 v47, v43, v55, vcc
	s_and_b64 s[6:7], s[6:7], vcc
	v_cndmask_b32_e64 v56, v54, v42, s[2:3]
	v_cndmask_b32_e64 v55, v53, v41, s[2:3]
	v_cmp_nlt_f64_e32 vcc, v[55:56], v[37:38]
	v_cndmask_b32_e64 v44, v42, v54, s[2:3]
	v_cndmask_b32_e64 v43, v41, v53, s[2:3]
	s_and_b64 s[6:7], s[6:7], s[2:3]
	v_cndmask_b32_e32 v58, v56, v38, vcc
	v_cndmask_b32_e32 v57, v55, v37, vcc
	v_cmp_nlt_f64_e64 s[2:3], v[57:58], v[51:52]
	s_and_b64 s[6:7], s[6:7], vcc
	v_cndmask_b32_e32 v42, v38, v56, vcc
	v_cndmask_b32_e32 v41, v37, v55, vcc
	v_cndmask_b32_e64 v54, v58, v52, s[2:3]
	v_cndmask_b32_e64 v53, v57, v51, s[2:3]
	;; [unrolled: 1-line block ×4, first 2 shown]
	s_and_b64 s[2:3], s[6:7], s[2:3]
	s_and_b64 s[2:3], s[2:3], s[8:9]
	;; [unrolled: 1-line block ×3, first 2 shown]
	s_and_b64 s[2:3], exec, s[2:3]
	v_mov_b32_e32 v51, v53
	s_or_b64 s[16:17], s[2:3], s[16:17]
	v_mov_b32_e32 v52, v54
	s_andn2_b64 exec, exec, s[16:17]
	s_cbranch_execnz .LBB179_50
; %bb.51:                               ;   in Loop: Header=BB179_5 Depth=1
	s_or_b64 exec, exec, s[16:17]
	v_add_f64 v[5:6], v[5:6], -1.0
	s_mov_b32 s91, s23
	s_mov_b32 s78, s80
	;; [unrolled: 1-line block ×4, first 2 shown]
	v_cmp_class_f64_e64 s[16:17], v[9:10], s44
	v_cmp_class_f64_e64 s[4:5], v[11:12], s44
	v_add_f64 v[5:6], v[5:6], v[31:32]
	v_add_f64 v[5:6], v[5:6], v[35:36]
	;; [unrolled: 1-line block ×11, first 2 shown]
	v_add_f64 v[5:6], v[32:33], 1.0
	v_cmp_nge_f64_e64 s[6:7], -1.0, v[32:33]
	v_cmp_neq_f64_e64 s[8:9], s[8:9], v[32:33]
	v_frexp_mant_f64_e32 v[36:37], v[5:6]
	v_frexp_exp_i32_f64_e32 v7, v[5:6]
	v_add_f64 v[34:35], v[5:6], -1.0
	v_cmp_gt_f64_e32 vcc, s[22:23], v[36:37]
	v_add_f64 v[38:39], v[34:35], -v[5:6]
	v_add_f64 v[34:35], v[32:33], -v[34:35]
	v_subbrev_co_u32_e32 v7, vcc, 0, v7, vcc
	v_sub_u32_e32 v18, 0, v7
	v_ldexp_f64 v[5:6], v[5:6], v18
	v_add_f64 v[36:37], v[38:39], 1.0
	v_add_f64 v[38:39], v[5:6], 1.0
	v_add_f64 v[34:35], v[34:35], v[36:37]
	v_add_f64 v[44:45], v[5:6], -1.0
	v_add_f64 v[36:37], v[38:39], -1.0
	v_ldexp_f64 v[34:35], v[34:35], v18
	v_add_f64 v[46:47], v[44:45], 1.0
	v_add_f64 v[36:37], v[5:6], -v[36:37]
	v_add_f64 v[5:6], v[5:6], -v[46:47]
	v_add_f64 v[40:41], v[34:35], v[36:37]
	v_add_f64 v[46:47], v[34:35], v[5:6]
	;; [unrolled: 1-line block ×3, first 2 shown]
	v_rcp_f64_e32 v[42:43], v[36:37]
	v_add_f64 v[38:39], v[36:37], -v[38:39]
	v_add_f64 v[40:41], v[40:41], -v[38:39]
	v_fma_f64 v[48:49], -v[36:37], v[42:43], 1.0
	v_fma_f64 v[42:43], v[48:49], v[42:43], v[42:43]
	v_add_f64 v[48:49], v[44:45], v[46:47]
	v_fma_f64 v[5:6], -v[36:37], v[42:43], 1.0
	v_add_f64 v[44:45], v[48:49], -v[44:45]
	v_fma_f64 v[5:6], v[5:6], v[42:43], v[42:43]
	v_add_f64 v[44:45], v[46:47], -v[44:45]
	v_mul_f64 v[34:35], v[48:49], v[5:6]
	v_mul_f64 v[42:43], v[36:37], v[34:35]
	v_fma_f64 v[38:39], v[34:35], v[36:37], -v[42:43]
	v_fma_f64 v[50:51], v[34:35], v[40:41], v[38:39]
	v_add_f64 v[52:53], v[42:43], v[50:51]
	v_add_f64 v[38:39], v[48:49], -v[52:53]
	v_add_f64 v[42:43], v[52:53], -v[42:43]
	;; [unrolled: 1-line block ×5, first 2 shown]
	v_add_f64 v[44:45], v[44:45], v[46:47]
	v_max_f64 v[46:47], |v[9:10]|, |v[9:10]|
	v_ashrrev_i32_e32 v9, 31, v10
	v_and_b32_e32 v31, 0x54442d18, v9
	v_add_f64 v[42:43], v[42:43], v[44:45]
	v_max_f64 v[44:45], |v[11:12]|, |v[11:12]|
	v_add_f64 v[48:49], v[38:39], v[42:43]
	v_max_f64 v[50:51], v[46:47], v[44:45]
	v_min_f64 v[44:45], v[46:47], v[44:45]
	v_mul_f64 v[46:47], v[5:6], v[48:49]
	v_add_f64 v[38:39], v[38:39], -v[48:49]
	v_div_scale_f64 v[52:53], s[2:3], v[50:51], v[50:51], v[44:45]
	s_mov_b32 s2, 0xb5e68a13
	s_mov_b32 s3, 0x3eeba404
	v_mul_f64 v[54:55], v[36:37], v[46:47]
	v_add_f64 v[38:39], v[42:43], v[38:39]
	v_fma_f64 v[36:37], v[46:47], v[36:37], -v[54:55]
	v_rcp_f64_e32 v[56:57], v[52:53]
	v_fma_f64 v[36:37], v[46:47], v[40:41], v[36:37]
	v_add_f64 v[40:41], v[54:55], v[36:37]
	v_fma_f64 v[67:68], -v[52:53], v[56:57], 1.0
	v_add_f64 v[69:70], v[48:49], -v[40:41]
	v_add_f64 v[42:43], v[40:41], -v[54:55]
	v_fma_f64 v[56:57], v[56:57], v[67:68], v[56:57]
	v_div_scale_f64 v[67:68], vcc, v[44:45], v[50:51], v[44:45]
	v_add_f64 v[48:49], v[48:49], -v[69:70]
	v_add_f64 v[36:37], v[42:43], -v[36:37]
	v_fma_f64 v[71:72], -v[52:53], v[56:57], 1.0
	v_add_f64 v[42:43], v[34:35], v[46:47]
	v_add_f64 v[40:41], v[48:49], -v[40:41]
	v_fma_f64 v[48:49], v[56:57], v[71:72], v[56:57]
	v_add_f64 v[34:35], v[42:43], -v[34:35]
	v_add_f64 v[38:39], v[38:39], v[40:41]
	v_mul_f64 v[40:41], v[67:68], v[48:49]
	v_add_f64 v[34:35], v[46:47], -v[34:35]
	v_add_f64 v[36:37], v[36:37], v[38:39]
	v_fma_f64 v[38:39], -v[52:53], v[40:41], v[67:68]
	v_add_f64 v[36:37], v[69:70], v[36:37]
	v_div_fmas_f64 v[38:39], v[38:39], v[48:49], v[40:41]
	v_cmp_gt_i32_e32 vcc, 0, v10
	v_cndmask_b32_e32 v18, v65, v66, vcc
	v_mul_f64 v[5:6], v[5:6], v[36:37]
	v_add_f64 v[5:6], v[34:35], v[5:6]
	v_div_fixup_f64 v[34:35], v[38:39], v[50:51], v[44:45]
	v_add_f64 v[36:37], v[42:43], v[5:6]
	v_mul_f64 v[38:39], v[34:35], v[34:35]
	v_mul_f64 v[40:41], v[36:37], v[36:37]
	v_fma_f64 v[44:45], v[38:39], s[2:3], v[21:22]
	s_mov_b32 s2, 0x69efb384
	s_mov_b32 s3, 0x3f4b2bb0
	v_fma_f64 v[46:47], v[40:41], s[24:25], v[19:20]
	v_mul_f64 v[48:49], v[36:37], v[40:41]
	v_fma_f64 v[44:45], v[38:39], v[44:45], s[2:3]
	s_mov_b32 s2, 0xaf56de9b
	s_mov_b32 s3, 0xbf67952d
	v_fma_f64 v[46:47], v[40:41], v[46:47], s[26:27]
	v_fma_f64 v[44:45], v[38:39], v[44:45], s[2:3]
	v_cmp_eq_f64_e64 s[2:3], 0, v[11:12]
	v_fma_f64 v[46:47], v[40:41], v[46:47], s[28:29]
	v_fma_f64 v[44:45], v[38:39], v[44:45], s[46:47]
	;; [unrolled: 1-line block ×7, first 2 shown]
	v_ldexp_f64 v[46:47], v[36:37], 1
	v_fma_f64 v[44:45], v[38:39], v[44:45], s[52:53]
	v_add_f64 v[36:37], v[36:37], -v[42:43]
	v_mul_f64 v[40:41], v[48:49], v[40:41]
	v_cvt_f64_i32_e32 v[48:49], v7
	v_fma_f64 v[44:45], v[38:39], v[44:45], s[40:41]
	v_add_f64 v[5:6], v[5:6], -v[36:37]
	v_cndmask_b32_e32 v7, v63, v64, vcc
	v_mul_f64 v[50:51], v[48:49], s[36:37]
	v_add_f64 v[42:43], v[46:47], v[40:41]
	v_fma_f64 v[44:45], v[38:39], v[44:45], s[56:57]
	v_ldexp_f64 v[5:6], v[5:6], 1
	v_add_f64 v[36:37], v[42:43], -v[46:47]
	v_fma_f64 v[46:47], v[48:49], s[36:37], -v[50:51]
	v_fma_f64 v[44:45], v[38:39], v[44:45], s[58:59]
	v_add_f64 v[36:37], v[40:41], -v[36:37]
	v_fma_f64 v[40:41], v[38:39], v[44:45], s[60:61]
	v_fma_f64 v[44:45], v[48:49], s[38:39], v[46:47]
	v_add_f64 v[5:6], v[5:6], v[36:37]
	v_fma_f64 v[36:37], v[38:39], v[40:41], s[62:63]
	v_add_f64 v[40:41], v[50:51], v[44:45]
	v_add_f64 v[46:47], v[42:43], v[5:6]
	v_fma_f64 v[36:37], v[38:39], v[36:37], s[64:65]
	v_add_f64 v[50:51], v[40:41], -v[50:51]
	v_add_f64 v[48:49], v[40:41], v[46:47]
	v_add_f64 v[42:43], v[46:47], -v[42:43]
	v_fma_f64 v[36:37], v[38:39], v[36:37], s[66:67]
	v_add_f64 v[44:45], v[44:45], -v[50:51]
	v_add_f64 v[52:53], v[48:49], -v[40:41]
	v_add_f64 v[5:6], v[5:6], -v[42:43]
	v_fma_f64 v[36:37], v[38:39], v[36:37], s[68:69]
	v_add_f64 v[54:55], v[48:49], -v[52:53]
	v_add_f64 v[42:43], v[46:47], -v[52:53]
	v_fma_f64 v[36:37], v[38:39], v[36:37], s[70:71]
	v_add_f64 v[46:47], v[44:45], v[5:6]
	v_add_f64 v[40:41], v[40:41], -v[54:55]
	v_fma_f64 v[36:37], v[38:39], v[36:37], s[72:73]
	v_add_f64 v[40:41], v[42:43], v[40:41]
	;; [unrolled: 3-line block ×3, first 2 shown]
	v_add_f64 v[46:47], v[46:47], -v[42:43]
	v_fma_f64 v[36:37], v[38:39], v[36:37], s[76:77]
	v_add_f64 v[5:6], v[5:6], -v[42:43]
	v_add_f64 v[50:51], v[48:49], v[40:41]
	v_mul_f64 v[36:37], v[38:39], v[36:37]
	v_add_f64 v[38:39], v[44:45], -v[46:47]
	v_add_f64 v[42:43], v[50:51], -v[48:49]
	v_fma_f64 v[34:35], v[34:35], v[36:37], v[34:35]
	v_add_f64 v[5:6], v[5:6], v[38:39]
	v_add_f64 v[36:37], v[40:41], -v[42:43]
	v_add_f64 v[38:39], -v[34:35], s[80:81]
	v_add_f64 v[5:6], v[5:6], v[36:37]
	v_cndmask_b32_e64 v35, v35, v39, s[0:1]
	v_cndmask_b32_e64 v34, v34, v38, s[0:1]
	v_add_f64 v[36:37], -v[34:35], s[78:79]
	v_add_f64 v[5:6], v[50:51], v[5:6]
	v_cndmask_b32_e32 v34, v34, v36, vcc
	v_and_b32_e32 v36, 0x400921fb, v9
	v_mul_f64 v[9:10], v[5:6], 0.5
	v_cndmask_b32_e32 v6, v35, v37, vcc
	v_bfi_b32 v5, s42, v18, v12
	v_cndmask_b32_e64 v18, v34, v31, s[2:3]
	v_cndmask_b32_e64 v6, v6, v36, s[2:3]
	s_and_b64 s[2:3], s[6:7], s[8:9]
	s_and_b64 vcc, s[16:17], s[4:5]
	v_cndmask_b32_e32 v6, v6, v5, vcc
	v_cndmask_b32_e64 v31, 0, v9, s[2:3]
	v_cmp_ngt_f64_e64 s[2:3], -1.0, v[32:33]
	v_cndmask_b32_e64 v5, v60, v10, s[8:9]
	s_mov_b32 s16, 0xb5e68a13
	s_mov_b32 s17, 0x3eeba404
	v_cndmask_b32_e64 v5, v61, v5, s[2:3]
	v_cmp_neq_f64_e64 s[2:3], -1.0, v[32:33]
	v_cndmask_b32_e64 v32, v62, v5, s[2:3]
	v_cndmask_b32_e32 v5, v18, v7, vcc
.LBB179_52:                             ;   in Loop: Header=BB179_5 Depth=1
	s_or_b64 exec, exec, s[10:11]
.LBB179_53:                             ;   in Loop: Header=BB179_5 Depth=1
	s_or_b64 exec, exec, s[82:83]
.LBB179_54:                             ;   in Loop: Header=BB179_5 Depth=1
	s_andn2_saveexec_b64 s[8:9], s[20:21]
	s_cbranch_execz .LBB179_56
; %bb.55:                               ;   in Loop: Header=BB179_5 Depth=1
	v_max_f64 v[5:6], |v[11:12]|, |v[11:12]|
	v_max_f64 v[34:35], |v[9:10]|, |v[9:10]|
	v_cmp_class_f64_e64 s[10:11], v[9:10], s44
	v_cmp_class_f64_e64 s[20:21], v[11:12], s44
	s_mov_b32 s91, s23
	s_mov_b32 s78, s80
	v_max_f64 v[36:37], v[34:35], v[5:6]
	v_min_f64 v[5:6], v[34:35], v[5:6]
	v_frexp_exp_i32_f64_e32 v7, v[36:37]
	v_sub_u32_e32 v18, 0, v7
	v_ldexp_f64 v[31:32], |v[11:12]|, v18
	v_ldexp_f64 v[38:39], |v[9:10]|, v18
	v_mul_f64 v[31:32], v[31:32], v[31:32]
	v_fma_f64 v[31:32], v[38:39], v[38:39], v[31:32]
	v_rsq_f64_e32 v[38:39], v[31:32]
	v_cmp_eq_f64_e32 vcc, 0, v[31:32]
	v_mul_f64 v[40:41], v[31:32], v[38:39]
	v_mul_f64 v[38:39], v[38:39], 0.5
	v_fma_f64 v[42:43], -v[38:39], v[40:41], 0.5
	v_fma_f64 v[40:41], v[40:41], v[42:43], v[40:41]
	v_fma_f64 v[38:39], v[38:39], v[42:43], v[38:39]
	v_fma_f64 v[42:43], -v[40:41], v[40:41], v[31:32]
	v_fma_f64 v[38:39], v[42:43], v[38:39], v[40:41]
	v_cndmask_b32_e32 v32, v39, v32, vcc
	v_cndmask_b32_e32 v31, v38, v31, vcc
	v_ldexp_f64 v[31:32], v[31:32], v7
	s_or_b64 vcc, s[10:11], s[20:21]
	v_cndmask_b32_e32 v33, v32, v60, vcc
	v_cndmask_b32_e64 v32, v31, 0, vcc
	v_frexp_mant_f64_e32 v[38:39], v[32:33]
	v_cmp_class_f64_e64 s[6:7], v[32:33], s44
	v_cmp_gt_f64_e64 s[2:3], s[22:23], v[38:39]
	v_cndmask_b32_e64 v7, 0, 1, s[2:3]
	v_ldexp_f64 v[38:39], v[38:39], v7
	v_frexp_exp_i32_f64_e32 v7, v[32:33]
	v_add_f64 v[40:41], v[38:39], 1.0
	v_add_f64 v[46:47], v[38:39], -1.0
	v_rcp_f64_e32 v[42:43], v[40:41]
	v_add_f64 v[50:51], v[40:41], -1.0
	v_add_f64 v[38:39], v[38:39], -v[50:51]
	v_fma_f64 v[44:45], -v[40:41], v[42:43], 1.0
	v_fma_f64 v[34:35], v[44:45], v[42:43], v[42:43]
	v_div_scale_f64 v[42:43], s[4:5], v[36:37], v[36:37], v[5:6]
	s_mov_b32 s4, 0x69efb384
	s_mov_b32 s5, 0x3f4b2bb0
	v_fma_f64 v[44:45], -v[40:41], v[34:35], 1.0
	v_fma_f64 v[34:35], v[44:45], v[34:35], v[34:35]
	v_rcp_f64_e32 v[44:45], v[42:43]
	v_mul_f64 v[48:49], v[46:47], v[34:35]
	v_mul_f64 v[52:53], v[40:41], v[48:49]
	v_fma_f64 v[54:55], -v[42:43], v[44:45], 1.0
	v_fma_f64 v[40:41], v[48:49], v[40:41], -v[52:53]
	v_fma_f64 v[44:45], v[44:45], v[54:55], v[44:45]
	v_fma_f64 v[38:39], v[48:49], v[38:39], v[40:41]
	v_div_scale_f64 v[40:41], vcc, v[5:6], v[36:37], v[5:6]
	v_fma_f64 v[50:51], -v[42:43], v[44:45], 1.0
	v_add_f64 v[54:55], v[52:53], v[38:39]
	v_fma_f64 v[44:45], v[44:45], v[50:51], v[44:45]
	v_add_f64 v[50:51], v[46:47], -v[54:55]
	v_add_f64 v[52:53], v[54:55], -v[52:53]
	v_mul_f64 v[56:57], v[40:41], v[44:45]
	v_add_f64 v[46:47], v[46:47], -v[50:51]
	v_add_f64 v[38:39], v[52:53], -v[38:39]
	v_fma_f64 v[40:41], -v[42:43], v[56:57], v[40:41]
	v_add_f64 v[42:43], v[46:47], -v[54:55]
	v_div_fmas_f64 v[40:41], v[40:41], v[44:45], v[56:57]
	v_subbrev_co_u32_e64 v7, vcc, 0, v7, s[2:3]
	v_cmp_eq_f64_e64 s[2:3], 0, v[11:12]
	v_cmp_gt_i32_e32 vcc, 0, v10
	v_add_f64 v[38:39], v[38:39], v[42:43]
	v_cndmask_b32_e32 v18, v63, v64, vcc
	v_add_f64 v[38:39], v[50:51], v[38:39]
	v_div_fixup_f64 v[5:6], v[40:41], v[36:37], v[5:6]
	v_mul_f64 v[34:35], v[34:35], v[38:39]
	v_mul_f64 v[36:37], v[5:6], v[5:6]
	v_add_f64 v[38:39], v[48:49], v[34:35]
	v_fma_f64 v[40:41], v[36:37], s[16:17], v[21:22]
	v_mul_f64 v[42:43], v[38:39], v[38:39]
	v_fma_f64 v[40:41], v[36:37], v[40:41], s[4:5]
	s_mov_b32 s4, 0xaf56de9b
	s_mov_b32 s5, 0xbf67952d
	v_fma_f64 v[44:45], v[42:43], s[24:25], v[19:20]
	v_mul_f64 v[46:47], v[38:39], v[42:43]
	v_fma_f64 v[40:41], v[36:37], v[40:41], s[4:5]
	v_fma_f64 v[44:45], v[42:43], v[44:45], s[26:27]
	;; [unrolled: 1-line block ×10, first 2 shown]
	v_ldexp_f64 v[44:45], v[38:39], 1
	v_add_f64 v[38:39], v[38:39], -v[48:49]
	v_fma_f64 v[40:41], v[36:37], v[40:41], s[40:41]
	v_cvt_f64_i32_e32 v[48:49], v7
	v_ashrrev_i32_e32 v7, 31, v10
	v_and_b32_e32 v31, 0x54442d18, v7
	v_and_b32_e32 v7, 0x400921fb, v7
	v_mul_f64 v[42:43], v[46:47], v[42:43]
	v_mul_f64 v[50:51], v[48:49], s[36:37]
	v_add_f64 v[34:35], v[34:35], -v[38:39]
	v_fma_f64 v[40:41], v[36:37], v[40:41], s[56:57]
	v_add_f64 v[46:47], v[44:45], v[42:43]
	v_ldexp_f64 v[34:35], v[34:35], 1
	v_fma_f64 v[40:41], v[36:37], v[40:41], s[58:59]
	v_add_f64 v[38:39], v[46:47], -v[44:45]
	v_fma_f64 v[44:45], v[48:49], s[36:37], -v[50:51]
	v_fma_f64 v[40:41], v[36:37], v[40:41], s[60:61]
	v_add_f64 v[38:39], v[42:43], -v[38:39]
	v_fma_f64 v[42:43], v[48:49], s[38:39], v[44:45]
	v_fma_f64 v[40:41], v[36:37], v[40:41], s[62:63]
	v_add_f64 v[34:35], v[34:35], v[38:39]
	v_fma_f64 v[38:39], v[36:37], v[40:41], s[64:65]
	v_add_f64 v[40:41], v[50:51], v[42:43]
	v_add_f64 v[44:45], v[46:47], v[34:35]
	v_fma_f64 v[38:39], v[36:37], v[38:39], s[66:67]
	v_add_f64 v[50:51], v[40:41], -v[50:51]
	v_add_f64 v[48:49], v[40:41], v[44:45]
	v_add_f64 v[46:47], v[44:45], -v[46:47]
	v_fma_f64 v[38:39], v[36:37], v[38:39], s[68:69]
	v_add_f64 v[42:43], v[42:43], -v[50:51]
	v_add_f64 v[52:53], v[48:49], -v[40:41]
	;; [unrolled: 1-line block ×3, first 2 shown]
	v_fma_f64 v[38:39], v[36:37], v[38:39], s[70:71]
	v_add_f64 v[54:55], v[48:49], -v[52:53]
	v_add_f64 v[44:45], v[44:45], -v[52:53]
	v_add_f64 v[46:47], v[42:43], v[34:35]
	v_fma_f64 v[38:39], v[36:37], v[38:39], s[72:73]
	v_add_f64 v[40:41], v[40:41], -v[54:55]
	v_fma_f64 v[38:39], v[36:37], v[38:39], s[74:75]
	v_add_f64 v[40:41], v[44:45], v[40:41]
	v_add_f64 v[44:45], v[46:47], -v[42:43]
	v_fma_f64 v[38:39], v[36:37], v[38:39], s[76:77]
	v_add_f64 v[40:41], v[46:47], v[40:41]
	v_add_f64 v[34:35], v[34:35], -v[44:45]
	v_mul_f64 v[36:37], v[36:37], v[38:39]
	v_add_f64 v[38:39], v[46:47], -v[44:45]
	v_add_f64 v[46:47], v[48:49], v[40:41]
	v_fma_f64 v[5:6], v[5:6], v[36:37], v[5:6]
	v_add_f64 v[36:37], v[42:43], -v[38:39]
	v_add_f64 v[38:39], v[46:47], -v[48:49]
	v_add_f64 v[42:43], -v[5:6], s[80:81]
	v_add_f64 v[34:35], v[34:35], v[36:37]
	v_add_f64 v[36:37], v[40:41], -v[38:39]
	v_cndmask_b32_e64 v6, v6, v43, s[0:1]
	v_cndmask_b32_e64 v5, v5, v42, s[0:1]
	v_add_f64 v[38:39], -v[5:6], s[78:79]
	v_add_f64 v[34:35], v[34:35], v[36:37]
	v_cndmask_b32_e32 v36, v65, v66, vcc
	v_cndmask_b32_e32 v5, v5, v38, vcc
	;; [unrolled: 1-line block ×3, first 2 shown]
	v_cndmask_b32_e64 v5, v5, v31, s[2:3]
	v_add_f64 v[9:10], v[46:47], v[34:35]
	v_cndmask_b32_e64 v6, v6, v7, s[2:3]
	v_cmp_ngt_f64_e64 s[2:3], 0, v[32:33]
	v_bfi_b32 v34, s42, v36, v12
	s_and_b64 vcc, s[10:11], s[20:21]
	v_cndmask_b32_e32 v6, v6, v34, vcc
	v_cndmask_b32_e32 v5, v5, v18, vcc
	v_cndmask_b32_e64 v7, v9, v32, s[6:7]
	v_cndmask_b32_e64 v9, v10, v33, s[6:7]
	;; [unrolled: 1-line block ×3, first 2 shown]
	v_cmp_nge_f64_e64 s[2:3], 0, v[32:33]
	v_cndmask_b32_e64 v31, 0, v7, s[2:3]
	v_cmp_neq_f64_e64 s[2:3], 0, v[32:33]
	v_cndmask_b32_e64 v32, v62, v9, s[2:3]
.LBB179_56:                             ;   in Loop: Header=BB179_5 Depth=1
	s_or_b64 exec, exec, s[8:9]
	s_mov_b32 s20, 0x69efb384
	s_mov_b32 s21, 0x3f4b2bb0
                                        ; implicit-def: $vgpr35_vgpr36
.LBB179_57:                             ;   in Loop: Header=BB179_5 Depth=1
	s_andn2_saveexec_b64 s[8:9], s[18:19]
	s_cbranch_execz .LBB179_63
; %bb.58:                               ;   in Loop: Header=BB179_5 Depth=1
	s_mov_b32 s2, 0x6a3f9475
	s_mov_b32 s3, 0x20ca2fe7
	v_cmp_ngt_f64_e32 vcc, s[2:3], v[35:36]
                                        ; implicit-def: $vgpr31_vgpr32
                                        ; implicit-def: $vgpr5_vgpr6
	s_and_saveexec_b64 s[2:3], vcc
	s_xor_b64 s[10:11], exec, s[2:3]
	s_cbranch_execz .LBB179_60
; %bb.59:                               ;   in Loop: Header=BB179_5 Depth=1
	v_mul_f64 v[5:6], v[35:36], v[35:36]
	s_mov_b32 s91, s23
	s_mov_b32 s78, s80
	;; [unrolled: 1-line block ×3, first 2 shown]
	v_cmp_class_f64_e64 s[4:5], v[11:12], s44
	s_mov_b32 s7, 0x7ff00000
	v_add_f64 v[31:32], v[5:6], 1.0
	v_cmp_neq_f64_e64 s[6:7], s[6:7], v[5:6]
	v_frexp_mant_f64_e32 v[35:36], v[31:32]
	v_frexp_exp_i32_f64_e32 v7, v[31:32]
	v_add_f64 v[33:34], v[31:32], -1.0
	v_cmp_gt_f64_e32 vcc, s[22:23], v[35:36]
	v_add_f64 v[37:38], v[33:34], -v[31:32]
	v_add_f64 v[33:34], v[5:6], -v[33:34]
	v_subbrev_co_u32_e32 v7, vcc, 0, v7, vcc
	v_sub_u32_e32 v18, 0, v7
	v_ldexp_f64 v[31:32], v[31:32], v18
	v_add_f64 v[35:36], v[37:38], 1.0
	v_add_f64 v[37:38], v[31:32], 1.0
	v_add_f64 v[33:34], v[33:34], v[35:36]
	v_add_f64 v[43:44], v[31:32], -1.0
	v_add_f64 v[35:36], v[37:38], -1.0
	v_ldexp_f64 v[33:34], v[33:34], v18
	v_add_f64 v[45:46], v[43:44], 1.0
	v_add_f64 v[35:36], v[31:32], -v[35:36]
	v_add_f64 v[31:32], v[31:32], -v[45:46]
	v_add_f64 v[39:40], v[33:34], v[35:36]
	v_add_f64 v[45:46], v[33:34], v[31:32]
	;; [unrolled: 1-line block ×3, first 2 shown]
	v_rcp_f64_e32 v[41:42], v[35:36]
	v_add_f64 v[37:38], v[37:38], -v[35:36]
	v_add_f64 v[39:40], v[39:40], v[37:38]
	v_fma_f64 v[47:48], -v[35:36], v[41:42], 1.0
	v_fma_f64 v[41:42], v[47:48], v[41:42], v[41:42]
	v_add_f64 v[47:48], v[43:44], v[45:46]
	v_fma_f64 v[31:32], -v[35:36], v[41:42], 1.0
	v_add_f64 v[43:44], v[43:44], -v[47:48]
	v_fma_f64 v[31:32], v[31:32], v[41:42], v[41:42]
	v_add_f64 v[43:44], v[45:46], v[43:44]
	v_mul_f64 v[33:34], v[47:48], v[31:32]
	v_mul_f64 v[41:42], v[35:36], v[33:34]
	v_fma_f64 v[37:38], v[33:34], v[35:36], -v[41:42]
	v_fma_f64 v[49:50], v[33:34], v[39:40], v[37:38]
	v_add_f64 v[51:52], v[41:42], v[49:50]
	v_add_f64 v[37:38], v[47:48], -v[51:52]
	v_add_f64 v[41:42], v[51:52], -v[41:42]
	v_add_f64 v[47:48], v[47:48], -v[37:38]
	v_add_f64 v[41:42], v[41:42], -v[49:50]
	v_add_f64 v[45:46], v[47:48], -v[51:52]
	v_add_f64 v[43:44], v[43:44], v[45:46]
	v_max_f64 v[45:46], |v[9:10]|, |v[9:10]|
	v_add_f64 v[41:42], v[41:42], v[43:44]
	v_max_f64 v[43:44], |v[11:12]|, |v[11:12]|
	v_add_f64 v[47:48], v[37:38], v[41:42]
	v_max_f64 v[49:50], v[45:46], v[43:44]
	v_min_f64 v[43:44], v[45:46], v[43:44]
	v_mul_f64 v[45:46], v[31:32], v[47:48]
	v_add_f64 v[37:38], v[37:38], -v[47:48]
	v_div_scale_f64 v[51:52], s[2:3], v[49:50], v[49:50], v[43:44]
	s_mov_b32 s2, 0xaf56de9b
	s_mov_b32 s3, 0xbf67952d
	v_mul_f64 v[53:54], v[35:36], v[45:46]
	v_add_f64 v[37:38], v[41:42], v[37:38]
	v_fma_f64 v[35:36], v[45:46], v[35:36], -v[53:54]
	v_rcp_f64_e32 v[55:56], v[51:52]
	v_fma_f64 v[35:36], v[45:46], v[39:40], v[35:36]
	v_add_f64 v[39:40], v[53:54], v[35:36]
	v_fma_f64 v[57:58], -v[51:52], v[55:56], 1.0
	v_add_f64 v[67:68], v[47:48], -v[39:40]
	v_add_f64 v[41:42], v[39:40], -v[53:54]
	v_fma_f64 v[55:56], v[55:56], v[57:58], v[55:56]
	v_div_scale_f64 v[57:58], vcc, v[43:44], v[49:50], v[43:44]
	v_add_f64 v[47:48], v[47:48], -v[67:68]
	v_add_f64 v[35:36], v[41:42], -v[35:36]
	v_fma_f64 v[69:70], -v[51:52], v[55:56], 1.0
	v_add_f64 v[41:42], v[33:34], v[45:46]
	v_add_f64 v[39:40], v[47:48], -v[39:40]
	v_fma_f64 v[47:48], v[55:56], v[69:70], v[55:56]
	v_add_f64 v[33:34], v[41:42], -v[33:34]
	v_add_f64 v[37:38], v[37:38], v[39:40]
	v_mul_f64 v[39:40], v[57:58], v[47:48]
	v_add_f64 v[33:34], v[45:46], -v[33:34]
	v_add_f64 v[35:36], v[35:36], v[37:38]
	v_fma_f64 v[37:38], -v[51:52], v[39:40], v[57:58]
	v_add_f64 v[35:36], v[67:68], v[35:36]
	v_div_fmas_f64 v[37:38], v[37:38], v[47:48], v[39:40]
	v_cmp_gt_i32_e32 vcc, 0, v10
	v_mul_f64 v[31:32], v[31:32], v[35:36]
	v_add_f64 v[31:32], v[33:34], v[31:32]
	v_div_fixup_f64 v[33:34], v[37:38], v[49:50], v[43:44]
	v_add_f64 v[35:36], v[41:42], v[31:32]
	v_mul_f64 v[37:38], v[33:34], v[33:34]
	v_mul_f64 v[39:40], v[35:36], v[35:36]
	v_fma_f64 v[43:44], v[37:38], s[16:17], v[21:22]
	v_cmp_class_f64_e64 s[16:17], v[9:10], s44
	v_ashrrev_i32_e32 v9, 31, v10
	v_and_b32_e32 v18, 0x54442d18, v9
	v_fma_f64 v[45:46], v[39:40], s[24:25], v[19:20]
	v_mul_f64 v[47:48], v[35:36], v[39:40]
	v_fma_f64 v[43:44], v[37:38], v[43:44], s[20:21]
	v_fma_f64 v[45:46], v[39:40], v[45:46], s[26:27]
	;; [unrolled: 1-line block ×3, first 2 shown]
	v_cmp_eq_f64_e64 s[2:3], 0, v[11:12]
	v_fma_f64 v[45:46], v[39:40], v[45:46], s[28:29]
	v_fma_f64 v[43:44], v[37:38], v[43:44], s[46:47]
	;; [unrolled: 1-line block ×7, first 2 shown]
	v_ldexp_f64 v[45:46], v[35:36], 1
	v_fma_f64 v[43:44], v[37:38], v[43:44], s[52:53]
	v_add_f64 v[35:36], v[35:36], -v[41:42]
	v_mul_f64 v[39:40], v[47:48], v[39:40]
	v_cvt_f64_i32_e32 v[47:48], v7
	v_fma_f64 v[43:44], v[37:38], v[43:44], s[40:41]
	v_add_f64 v[31:32], v[31:32], -v[35:36]
	v_cndmask_b32_e32 v7, v63, v64, vcc
	v_mul_f64 v[49:50], v[47:48], s[36:37]
	v_add_f64 v[41:42], v[45:46], v[39:40]
	v_fma_f64 v[43:44], v[37:38], v[43:44], s[56:57]
	v_ldexp_f64 v[31:32], v[31:32], 1
	v_add_f64 v[35:36], v[41:42], -v[45:46]
	v_fma_f64 v[45:46], v[47:48], s[36:37], -v[49:50]
	v_fma_f64 v[43:44], v[37:38], v[43:44], s[58:59]
	v_add_f64 v[35:36], v[39:40], -v[35:36]
	v_fma_f64 v[39:40], v[37:38], v[43:44], s[60:61]
	v_fma_f64 v[43:44], v[47:48], s[38:39], v[45:46]
	v_add_f64 v[31:32], v[31:32], v[35:36]
	v_fma_f64 v[35:36], v[37:38], v[39:40], s[62:63]
	v_add_f64 v[39:40], v[49:50], v[43:44]
	v_add_f64 v[45:46], v[41:42], v[31:32]
	v_fma_f64 v[35:36], v[37:38], v[35:36], s[64:65]
	v_add_f64 v[49:50], v[39:40], -v[49:50]
	v_add_f64 v[47:48], v[39:40], v[45:46]
	v_add_f64 v[41:42], v[45:46], -v[41:42]
	v_fma_f64 v[35:36], v[37:38], v[35:36], s[66:67]
	v_add_f64 v[43:44], v[43:44], -v[49:50]
	v_add_f64 v[51:52], v[47:48], -v[39:40]
	;; [unrolled: 1-line block ×3, first 2 shown]
	v_fma_f64 v[35:36], v[37:38], v[35:36], s[68:69]
	v_add_f64 v[53:54], v[47:48], -v[51:52]
	v_add_f64 v[41:42], v[45:46], -v[51:52]
	v_fma_f64 v[35:36], v[37:38], v[35:36], s[70:71]
	v_add_f64 v[45:46], v[43:44], v[31:32]
	v_add_f64 v[39:40], v[39:40], -v[53:54]
	v_fma_f64 v[35:36], v[37:38], v[35:36], s[72:73]
	v_add_f64 v[39:40], v[41:42], v[39:40]
	;; [unrolled: 3-line block ×3, first 2 shown]
	v_add_f64 v[45:46], v[45:46], -v[41:42]
	v_fma_f64 v[35:36], v[37:38], v[35:36], s[76:77]
	v_add_f64 v[31:32], v[31:32], -v[41:42]
	v_add_f64 v[49:50], v[47:48], v[39:40]
	v_mul_f64 v[35:36], v[37:38], v[35:36]
	v_add_f64 v[37:38], v[43:44], -v[45:46]
	v_add_f64 v[41:42], v[49:50], -v[47:48]
	v_fma_f64 v[33:34], v[33:34], v[35:36], v[33:34]
	v_add_f64 v[31:32], v[31:32], v[37:38]
	v_add_f64 v[35:36], v[39:40], -v[41:42]
	v_add_f64 v[37:38], -v[33:34], s[80:81]
	v_add_f64 v[31:32], v[31:32], v[35:36]
	v_cndmask_b32_e64 v34, v34, v38, s[0:1]
	v_cndmask_b32_e64 v33, v33, v37, s[0:1]
	v_add_f64 v[35:36], -v[33:34], s[78:79]
	v_and_b32_e32 v37, 0x400921fb, v9
	v_add_f64 v[31:32], v[49:50], v[31:32]
	v_cndmask_b32_e32 v33, v33, v35, vcc
	v_cndmask_b32_e32 v35, v65, v66, vcc
	;; [unrolled: 1-line block ×3, first 2 shown]
	v_bfi_b32 v5, s42, v35, v12
	v_mul_f64 v[9:10], v[31:32], 0.5
	v_cndmask_b32_e64 v18, v33, v18, s[2:3]
	v_cndmask_b32_e64 v6, v6, v37, s[2:3]
	s_and_b64 vcc, s[16:17], s[4:5]
	s_mov_b32 s16, 0xb5e68a13
	s_mov_b32 s17, 0x3eeba404
	v_cndmask_b32_e32 v6, v6, v5, vcc
	v_cndmask_b32_e32 v5, v18, v7, vcc
	v_cndmask_b32_e64 v32, v60, v10, s[6:7]
	v_cndmask_b32_e64 v31, 0, v9, s[6:7]
                                        ; implicit-def: $vgpr35_vgpr36
.LBB179_60:                             ;   in Loop: Header=BB179_5 Depth=1
	s_andn2_saveexec_b64 s[6:7], s[10:11]
	s_cbranch_execz .LBB179_62
; %bb.61:                               ;   in Loop: Header=BB179_5 Depth=1
	v_max_f64 v[5:6], |v[11:12]|, |v[11:12]|
	v_max_f64 v[31:32], |v[9:10]|, |v[9:10]|
	s_mov_b32 s78, s80
	v_cmp_class_f64_e64 s[4:5], v[11:12], s44
	v_cmp_class_f64_e64 s[10:11], v[9:10], s44
	v_ashrrev_i32_e32 v7, 31, v10
	v_max_f64 v[33:34], v[31:32], v[5:6]
	v_min_f64 v[5:6], v[31:32], v[5:6]
	v_div_scale_f64 v[31:32], s[2:3], v[33:34], v[33:34], v[5:6]
	s_mov_b32 s2, 0xaf56de9b
	s_mov_b32 s3, 0xbf67952d
	v_rcp_f64_e32 v[37:38], v[31:32]
	v_fma_f64 v[39:40], -v[31:32], v[37:38], 1.0
	v_fma_f64 v[37:38], v[37:38], v[39:40], v[37:38]
	v_div_scale_f64 v[39:40], vcc, v[5:6], v[33:34], v[5:6]
	v_fma_f64 v[41:42], -v[31:32], v[37:38], 1.0
	v_fma_f64 v[37:38], v[37:38], v[41:42], v[37:38]
	v_mul_f64 v[41:42], v[39:40], v[37:38]
	v_fma_f64 v[31:32], -v[31:32], v[41:42], v[39:40]
	v_div_fmas_f64 v[31:32], v[31:32], v[37:38], v[41:42]
	v_mul_f64 v[37:38], v[35:36], 0.5
	v_cmp_gt_i32_e32 vcc, 0, v10
	v_cndmask_b32_e32 v9, v65, v66, vcc
	v_cndmask_b32_e32 v18, v63, v64, vcc
	v_bfi_b32 v9, s42, v9, v12
	v_div_fixup_f64 v[5:6], v[31:32], v[33:34], v[5:6]
	v_mul_f64 v[31:32], v[5:6], v[5:6]
	v_fma_f64 v[33:34], v[31:32], s[16:17], v[21:22]
	v_fma_f64 v[33:34], v[31:32], v[33:34], s[20:21]
	;; [unrolled: 1-line block ×3, first 2 shown]
	v_cmp_eq_f64_e64 s[2:3], 0, v[11:12]
	v_fma_f64 v[33:34], v[31:32], v[33:34], s[46:47]
	v_fma_f64 v[33:34], v[31:32], v[33:34], s[48:49]
	;; [unrolled: 1-line block ×16, first 2 shown]
	v_mul_f64 v[31:32], v[31:32], v[33:34]
	v_and_b32_e32 v34, 0x54442d18, v7
	v_and_b32_e32 v7, 0x400921fb, v7
	v_fma_f64 v[5:6], v[5:6], v[31:32], v[5:6]
	v_add_f64 v[31:32], -v[5:6], s[80:81]
	v_cndmask_b32_e64 v6, v6, v32, s[0:1]
	v_cndmask_b32_e64 v5, v5, v31, s[0:1]
	v_add_f64 v[32:33], -v[5:6], s[78:79]
	v_cndmask_b32_e32 v5, v5, v32, vcc
	v_mul_f64 v[31:32], v[35:36], v[37:38]
	v_cndmask_b32_e32 v6, v6, v33, vcc
	v_cndmask_b32_e64 v5, v5, v34, s[2:3]
	v_cndmask_b32_e64 v6, v6, v7, s[2:3]
	s_and_b64 vcc, s[10:11], s[4:5]
	v_cndmask_b32_e32 v6, v6, v9, vcc
	v_cndmask_b32_e32 v5, v5, v18, vcc
.LBB179_62:                             ;   in Loop: Header=BB179_5 Depth=1
	s_or_b64 exec, exec, s[6:7]
.LBB179_63:                             ;   in Loop: Header=BB179_5 Depth=1
	s_or_b64 exec, exec, s[8:9]
.LBB179_64:                             ;   in Loop: Header=BB179_5 Depth=1
	s_andn2_saveexec_b64 s[6:7], s[92:93]
	s_cbranch_execz .LBB179_66
; %bb.65:                               ;   in Loop: Header=BB179_5 Depth=1
	v_div_scale_f64 v[5:6], s[2:3], s[84:85], s[84:85], v[9:10]
	v_div_scale_f64 v[31:32], s[2:3], s[84:85], s[84:85], v[11:12]
	v_div_scale_f64 v[41:42], s[2:3], v[11:12], s[84:85], v[11:12]
	s_mov_b32 s91, s23
	s_mov_b32 s78, s80
	v_cmp_class_f64_e64 s[8:9], v[9:10], s44
	v_rcp_f64_e32 v[33:34], v[5:6]
	v_rcp_f64_e32 v[35:36], v[31:32]
	v_fma_f64 v[37:38], -v[5:6], v[33:34], 1.0
	v_fma_f64 v[39:40], -v[31:32], v[35:36], 1.0
	v_fma_f64 v[33:34], v[33:34], v[37:38], v[33:34]
	v_div_scale_f64 v[37:38], vcc, v[9:10], s[84:85], v[9:10]
	v_fma_f64 v[35:36], v[35:36], v[39:40], v[35:36]
	v_fma_f64 v[39:40], -v[5:6], v[33:34], 1.0
	v_fma_f64 v[43:44], -v[31:32], v[35:36], 1.0
	v_fma_f64 v[33:34], v[33:34], v[39:40], v[33:34]
	v_fma_f64 v[35:36], v[35:36], v[43:44], v[35:36]
	v_mul_f64 v[39:40], v[37:38], v[33:34]
	v_mul_f64 v[43:44], v[41:42], v[35:36]
	v_fma_f64 v[5:6], -v[5:6], v[39:40], v[37:38]
	v_fma_f64 v[31:32], -v[31:32], v[43:44], v[41:42]
	v_div_fmas_f64 v[5:6], v[5:6], v[33:34], v[39:40]
	s_mov_b64 vcc, s[2:3]
	v_div_fmas_f64 v[31:32], v[31:32], v[35:36], v[43:44]
	v_max_f64 v[42:43], |v[9:10]|, |v[9:10]|
	v_div_fixup_f64 v[5:6], v[5:6], s[84:85], v[9:10]
	v_ashrrev_i32_e32 v9, 31, v10
	v_div_fixup_f64 v[31:32], v[31:32], s[84:85], v[11:12]
	v_cmp_class_f64_e64 s[2:3], v[5:6], s44
	v_max_f64 v[33:34], |v[5:6]|, |v[31:32]|
	v_cmp_class_f64_e64 s[4:5], v[31:32], s44
	v_frexp_exp_i32_f64_e32 v7, v[33:34]
	v_sub_u32_e32 v18, 0, v7
	v_ldexp_f64 v[33:34], |v[31:32]|, v18
	v_ldexp_f64 v[35:36], |v[5:6]|, v18
	v_mul_f64 v[33:34], v[33:34], v[33:34]
	v_fma_f64 v[33:34], v[35:36], v[35:36], v[33:34]
	v_rsq_f64_e32 v[35:36], v[33:34]
	v_cmp_eq_f64_e32 vcc, 0, v[33:34]
	v_mul_f64 v[37:38], v[33:34], v[35:36]
	v_mul_f64 v[35:36], v[35:36], 0.5
	v_fma_f64 v[39:40], -v[35:36], v[37:38], 0.5
	v_fma_f64 v[37:38], v[37:38], v[39:40], v[37:38]
	v_fma_f64 v[35:36], v[35:36], v[39:40], v[35:36]
	v_fma_f64 v[39:40], -v[37:38], v[37:38], v[33:34]
	v_fma_f64 v[35:36], v[39:40], v[35:36], v[37:38]
	v_max_f64 v[40:41], |v[11:12]|, |v[11:12]|
	v_cndmask_b32_e32 v34, v36, v34, vcc
	v_cndmask_b32_e32 v33, v35, v33, vcc
	v_ldexp_f64 v[33:34], v[33:34], v7
	v_cmp_o_f64_e32 vcc, v[5:6], v[31:32]
	v_and_b32_e32 v31, 0x54442d18, v9
	v_cndmask_b32_e32 v5, 0, v33, vcc
	v_cndmask_b32_e32 v6, v61, v34, vcc
	s_or_b64 vcc, s[2:3], s[4:5]
	v_cndmask_b32_e32 v33, v6, v60, vcc
	v_cndmask_b32_e64 v32, v5, 0, vcc
	v_frexp_mant_f64_e32 v[5:6], v[32:33]
	v_cmp_gt_f64_e64 s[2:3], s[22:23], v[5:6]
	v_cndmask_b32_e64 v7, 0, 1, s[2:3]
	v_ldexp_f64 v[5:6], v[5:6], v7
	v_frexp_exp_i32_f64_e32 v7, v[32:33]
	v_add_f64 v[34:35], v[5:6], 1.0
	v_add_f64 v[46:47], v[5:6], -1.0
	v_rcp_f64_e32 v[36:37], v[34:35]
	v_add_f64 v[50:51], v[34:35], -1.0
	v_add_f64 v[5:6], v[5:6], -v[50:51]
	v_fma_f64 v[38:39], -v[34:35], v[36:37], 1.0
	v_fma_f64 v[36:37], v[38:39], v[36:37], v[36:37]
	v_max_f64 v[38:39], v[42:43], v[40:41]
	v_min_f64 v[40:41], v[42:43], v[40:41]
	v_fma_f64 v[42:43], -v[34:35], v[36:37], 1.0
	v_div_scale_f64 v[44:45], s[4:5], v[38:39], v[38:39], v[40:41]
	s_mov_b32 s4, 0xaf56de9b
	s_mov_b32 s5, 0xbf67952d
	v_fma_f64 v[36:37], v[42:43], v[36:37], v[36:37]
	v_mul_f64 v[42:43], v[46:47], v[36:37]
	v_rcp_f64_e32 v[48:49], v[44:45]
	v_mul_f64 v[52:53], v[34:35], v[42:43]
	v_fma_f64 v[34:35], v[42:43], v[34:35], -v[52:53]
	v_fma_f64 v[50:51], -v[44:45], v[48:49], 1.0
	v_fma_f64 v[5:6], v[42:43], v[5:6], v[34:35]
	v_fma_f64 v[34:35], v[48:49], v[50:51], v[48:49]
	v_div_scale_f64 v[50:51], vcc, v[40:41], v[38:39], v[40:41]
	v_add_f64 v[48:49], v[52:53], v[5:6]
	v_fma_f64 v[54:55], -v[44:45], v[34:35], 1.0
	v_add_f64 v[56:57], v[46:47], -v[48:49]
	v_add_f64 v[52:53], v[48:49], -v[52:53]
	v_fma_f64 v[34:35], v[34:35], v[54:55], v[34:35]
	v_add_f64 v[46:47], v[46:47], -v[56:57]
	v_add_f64 v[5:6], v[52:53], -v[5:6]
	v_mul_f64 v[54:55], v[50:51], v[34:35]
	v_add_f64 v[46:47], v[46:47], -v[48:49]
	v_fma_f64 v[44:45], -v[44:45], v[54:55], v[50:51]
	v_add_f64 v[5:6], v[5:6], v[46:47]
	v_div_fmas_f64 v[34:35], v[44:45], v[34:35], v[54:55]
	v_subbrev_co_u32_e64 v7, vcc, 0, v7, s[2:3]
	v_cmp_gt_i32_e32 vcc, 0, v10
	v_cmp_eq_f64_e64 s[2:3], 0, v[11:12]
	v_cndmask_b32_e32 v18, v65, v66, vcc
	v_add_f64 v[5:6], v[56:57], v[5:6]
	v_mul_f64 v[5:6], v[36:37], v[5:6]
	v_div_fixup_f64 v[34:35], v[34:35], v[38:39], v[40:41]
	v_add_f64 v[36:37], v[42:43], v[5:6]
	v_mul_f64 v[38:39], v[34:35], v[34:35]
	v_mul_f64 v[40:41], v[36:37], v[36:37]
	v_fma_f64 v[44:45], v[38:39], s[16:17], v[21:22]
	v_fma_f64 v[46:47], v[40:41], s[24:25], v[19:20]
	v_mul_f64 v[48:49], v[36:37], v[40:41]
	v_fma_f64 v[44:45], v[38:39], v[44:45], s[20:21]
	v_fma_f64 v[46:47], v[40:41], v[46:47], s[26:27]
	;; [unrolled: 1-line block ×3, first 2 shown]
	v_cmp_class_f64_e64 s[4:5], v[11:12], s44
	v_fma_f64 v[46:47], v[40:41], v[46:47], s[28:29]
	v_fma_f64 v[44:45], v[38:39], v[44:45], s[46:47]
	;; [unrolled: 1-line block ×7, first 2 shown]
	v_ldexp_f64 v[46:47], v[36:37], 1
	v_fma_f64 v[44:45], v[38:39], v[44:45], s[52:53]
	v_add_f64 v[36:37], v[36:37], -v[42:43]
	v_mul_f64 v[40:41], v[48:49], v[40:41]
	v_cvt_f64_i32_e32 v[48:49], v7
	v_fma_f64 v[44:45], v[38:39], v[44:45], s[40:41]
	v_add_f64 v[5:6], v[5:6], -v[36:37]
	v_cndmask_b32_e32 v7, v63, v64, vcc
	v_mul_f64 v[50:51], v[48:49], s[36:37]
	v_add_f64 v[42:43], v[46:47], v[40:41]
	v_fma_f64 v[44:45], v[38:39], v[44:45], s[56:57]
	v_ldexp_f64 v[5:6], v[5:6], 1
	v_add_f64 v[36:37], v[42:43], -v[46:47]
	v_fma_f64 v[46:47], v[48:49], s[36:37], -v[50:51]
	v_fma_f64 v[44:45], v[38:39], v[44:45], s[58:59]
	v_add_f64 v[36:37], v[40:41], -v[36:37]
	v_fma_f64 v[40:41], v[38:39], v[44:45], s[60:61]
	v_fma_f64 v[44:45], v[48:49], s[38:39], v[46:47]
	v_add_f64 v[5:6], v[5:6], v[36:37]
	v_fma_f64 v[36:37], v[38:39], v[40:41], s[62:63]
	v_add_f64 v[40:41], v[50:51], v[44:45]
	v_add_f64 v[46:47], v[42:43], v[5:6]
	v_fma_f64 v[36:37], v[38:39], v[36:37], s[64:65]
	v_add_f64 v[50:51], v[40:41], -v[50:51]
	v_add_f64 v[48:49], v[40:41], v[46:47]
	v_add_f64 v[42:43], v[46:47], -v[42:43]
	v_fma_f64 v[36:37], v[38:39], v[36:37], s[66:67]
	v_add_f64 v[44:45], v[44:45], -v[50:51]
	v_add_f64 v[52:53], v[48:49], -v[40:41]
	v_add_f64 v[5:6], v[5:6], -v[42:43]
	v_fma_f64 v[36:37], v[38:39], v[36:37], s[68:69]
	v_add_f64 v[54:55], v[48:49], -v[52:53]
	v_add_f64 v[42:43], v[46:47], -v[52:53]
	v_fma_f64 v[36:37], v[38:39], v[36:37], s[70:71]
	v_add_f64 v[46:47], v[44:45], v[5:6]
	v_add_f64 v[40:41], v[40:41], -v[54:55]
	v_fma_f64 v[36:37], v[38:39], v[36:37], s[72:73]
	v_add_f64 v[40:41], v[42:43], v[40:41]
	;; [unrolled: 3-line block ×3, first 2 shown]
	v_add_f64 v[46:47], v[46:47], -v[42:43]
	v_fma_f64 v[36:37], v[38:39], v[36:37], s[76:77]
	v_add_f64 v[5:6], v[5:6], -v[42:43]
	v_add_f64 v[50:51], v[48:49], v[40:41]
	v_mul_f64 v[36:37], v[38:39], v[36:37]
	v_add_f64 v[38:39], v[44:45], -v[46:47]
	v_add_f64 v[42:43], v[50:51], -v[48:49]
	v_fma_f64 v[34:35], v[34:35], v[36:37], v[34:35]
	v_add_f64 v[5:6], v[5:6], v[38:39]
	v_add_f64 v[36:37], v[40:41], -v[42:43]
	v_add_f64 v[38:39], -v[34:35], s[80:81]
	v_add_f64 v[5:6], v[5:6], v[36:37]
	v_cndmask_b32_e64 v35, v35, v39, s[0:1]
	v_cndmask_b32_e64 v34, v34, v38, s[0:1]
	v_cmp_class_f64_e64 s[0:1], v[32:33], s44
	v_add_f64 v[36:37], -v[34:35], s[78:79]
	v_add_f64 v[5:6], v[50:51], v[5:6]
	v_cndmask_b32_e32 v34, v34, v36, vcc
	v_and_b32_e32 v36, 0x400921fb, v9
	v_cndmask_b32_e64 v6, v6, v33, s[0:1]
	v_cndmask_b32_e64 v5, v5, v32, s[0:1]
	v_add_f64 v[9:10], v[5:6], 1.0
	v_cmp_ngt_f64_e64 s[0:1], 0, v[32:33]
	v_cndmask_b32_e32 v6, v35, v37, vcc
	v_bfi_b32 v5, s42, v18, v12
	v_cndmask_b32_e64 v6, v6, v36, s[2:3]
	s_and_b64 vcc, s[8:9], s[4:5]
	v_cndmask_b32_e32 v6, v6, v5, vcc
	v_cndmask_b32_e64 v18, v34, v31, s[2:3]
	v_cndmask_b32_e64 v5, v61, v10, s[0:1]
	v_cmp_nge_f64_e64 s[0:1], 0, v[32:33]
	v_cndmask_b32_e64 v31, 0, v9, s[0:1]
	v_cmp_neq_f64_e64 s[0:1], 0, v[32:33]
	v_cndmask_b32_e64 v32, v62, v5, s[0:1]
	v_cndmask_b32_e32 v5, v18, v7, vcc
.LBB179_66:                             ;   in Loop: Header=BB179_5 Depth=1
	s_or_b64 exec, exec, s[6:7]
.LBB179_67:                             ;   in Loop: Header=BB179_5 Depth=1
	s_andn2_saveexec_b64 s[0:1], s[14:15]
	s_cbranch_execz .LBB179_73
; %bb.68:                               ;   in Loop: Header=BB179_5 Depth=1
	v_cmp_nlt_f64_e64 s[2:3], |v[9:10]|, s[94:95]
	v_cmp_nlt_f64_e64 s[4:5], |v[11:12]|, s[94:95]
                                        ; implicit-def: $vgpr32_vgpr33
	s_or_b64 s[2:3], s[2:3], s[4:5]
	s_and_saveexec_b64 s[4:5], s[2:3]
	s_xor_b64 s[2:3], exec, s[4:5]
	s_cbranch_execz .LBB179_70
; %bb.69:                               ;   in Loop: Header=BB179_5 Depth=1
	v_mul_f64 v[5:6], v[11:12], v[11:12]
	v_fma_f64 v[32:33], v[9:10], v[9:10], v[5:6]
.LBB179_70:                             ;   in Loop: Header=BB179_5 Depth=1
	s_andn2_saveexec_b64 s[2:3], s[2:3]
	s_cbranch_execz .LBB179_72
; %bb.71:                               ;   in Loop: Header=BB179_5 Depth=1
	v_mul_f64 v[5:6], v[11:12], 4.0
	v_mul_f64 v[9:10], v[9:10], 4.0
	v_mul_f64 v[5:6], v[5:6], v[5:6]
	v_fma_f64 v[5:6], v[9:10], v[9:10], v[5:6]
	v_ldexp_f64 v[32:33], v[5:6], -4
.LBB179_72:                             ;   in Loop: Header=BB179_5 Depth=1
	s_or_b64 exec, exec, s[2:3]
	v_frexp_mant_f64_e32 v[5:6], v[32:33]
	s_mov_b32 s91, s23
	v_cmp_gt_f64_e32 vcc, s[22:23], v[5:6]
	v_cndmask_b32_e64 v7, 0, 1, vcc
	v_ldexp_f64 v[5:6], v[5:6], v7
	v_frexp_exp_i32_f64_e32 v7, v[32:33]
	v_add_f64 v[9:10], v[5:6], 1.0
	v_add_f64 v[38:39], v[5:6], -1.0
	v_subbrev_co_u32_e32 v7, vcc, 0, v7, vcc
	v_cmp_class_f64_e64 vcc, v[32:33], s44
	v_rcp_f64_e32 v[34:35], v[9:10]
	v_add_f64 v[40:41], v[9:10], -1.0
	v_add_f64 v[5:6], v[5:6], -v[40:41]
	v_fma_f64 v[36:37], -v[9:10], v[34:35], 1.0
	v_fma_f64 v[34:35], v[36:37], v[34:35], v[34:35]
	v_fma_f64 v[36:37], -v[9:10], v[34:35], 1.0
	v_fma_f64 v[34:35], v[36:37], v[34:35], v[34:35]
	v_mul_f64 v[36:37], v[38:39], v[34:35]
	v_mul_f64 v[42:43], v[9:10], v[36:37]
	v_fma_f64 v[9:10], v[36:37], v[9:10], -v[42:43]
	v_fma_f64 v[5:6], v[36:37], v[5:6], v[9:10]
	v_add_f64 v[9:10], v[42:43], v[5:6]
	v_add_f64 v[40:41], v[38:39], -v[9:10]
	v_add_f64 v[42:43], v[9:10], -v[42:43]
	;; [unrolled: 1-line block ×5, first 2 shown]
	v_add_f64 v[5:6], v[5:6], v[9:10]
	v_add_f64 v[5:6], v[40:41], v[5:6]
	v_mul_f64 v[5:6], v[34:35], v[5:6]
	v_add_f64 v[9:10], v[36:37], v[5:6]
	v_mul_f64 v[34:35], v[9:10], v[9:10]
	v_fma_f64 v[38:39], v[34:35], s[24:25], v[19:20]
	v_mul_f64 v[40:41], v[9:10], v[34:35]
	v_fma_f64 v[38:39], v[34:35], v[38:39], s[26:27]
	v_fma_f64 v[38:39], v[34:35], v[38:39], s[28:29]
	;; [unrolled: 1-line block ×5, first 2 shown]
	v_ldexp_f64 v[38:39], v[9:10], 1
	v_add_f64 v[9:10], v[9:10], -v[36:37]
	v_mul_f64 v[34:35], v[40:41], v[34:35]
	v_cvt_f64_i32_e32 v[40:41], v7
	v_add_f64 v[5:6], v[5:6], -v[9:10]
	v_mul_f64 v[42:43], v[40:41], s[36:37]
	v_add_f64 v[36:37], v[38:39], v[34:35]
	v_ldexp_f64 v[5:6], v[5:6], 1
	v_add_f64 v[9:10], v[36:37], -v[38:39]
	v_fma_f64 v[38:39], v[40:41], s[36:37], -v[42:43]
	v_add_f64 v[9:10], v[34:35], -v[9:10]
	v_fma_f64 v[34:35], v[40:41], s[38:39], v[38:39]
	v_add_f64 v[5:6], v[5:6], v[9:10]
	v_add_f64 v[9:10], v[42:43], v[34:35]
	;; [unrolled: 1-line block ×3, first 2 shown]
	v_add_f64 v[42:43], v[9:10], -v[42:43]
	v_add_f64 v[40:41], v[9:10], v[38:39]
	v_add_f64 v[36:37], v[38:39], -v[36:37]
	v_add_f64 v[34:35], v[34:35], -v[42:43]
	;; [unrolled: 1-line block ×6, first 2 shown]
	v_add_f64 v[38:39], v[34:35], v[5:6]
	v_add_f64 v[9:10], v[9:10], -v[46:47]
	v_add_f64 v[9:10], v[36:37], v[9:10]
	v_add_f64 v[36:37], v[38:39], -v[34:35]
	;; [unrolled: 2-line block ×3, first 2 shown]
	v_add_f64 v[5:6], v[5:6], -v[36:37]
	v_add_f64 v[42:43], v[40:41], v[9:10]
	v_add_f64 v[34:35], v[34:35], -v[38:39]
	v_add_f64 v[36:37], v[42:43], -v[40:41]
	v_add_f64 v[5:6], v[5:6], v[34:35]
	v_add_f64 v[9:10], v[9:10], -v[36:37]
	v_add_f64 v[5:6], v[5:6], v[9:10]
	v_add_f64 v[9:10], v[42:43], v[5:6]
	v_mov_b32_e32 v5, 0
	v_mov_b32_e32 v6, 0x7ff80000
	v_cndmask_b32_e32 v7, v9, v32, vcc
	v_cndmask_b32_e32 v9, v10, v33, vcc
	v_cmp_ngt_f64_e32 vcc, 0, v[32:33]
	v_cndmask_b32_e32 v9, v61, v9, vcc
	v_cmp_nge_f64_e32 vcc, 0, v[32:33]
	v_cndmask_b32_e32 v31, 0, v7, vcc
	v_cmp_neq_f64_e32 vcc, 0, v[32:33]
	v_cndmask_b32_e32 v32, v62, v9, vcc
.LBB179_73:                             ;   in Loop: Header=BB179_5 Depth=1
	s_or_b64 exec, exec, s[0:1]
	s_waitcnt vmcnt(0)
	v_cmp_o_f64_e32 vcc, v[13:14], v[15:16]
                                        ; implicit-def: $vgpr33_vgpr34
                                        ; implicit-def: $vgpr9_vgpr10
	s_and_saveexec_b64 s[0:1], vcc
	s_xor_b64 s[14:15], exec, s[0:1]
	s_cbranch_execz .LBB179_101
; %bb.74:                               ;   in Loop: Header=BB179_5 Depth=1
	v_cmp_lt_f64_e64 s[0:1], |v[13:14]|, |v[15:16]|
	v_and_b32_e32 v7, 0x7fffffff, v14
	v_and_b32_e32 v11, 0x7fffffff, v16
	s_mov_b32 s2, 0x85ebc8a0
	s_mov_b32 s3, 0x7fd1ccf3
	v_mov_b32_e32 v18, v15
                                        ; implicit-def: $vgpr33_vgpr34
                                        ; implicit-def: $vgpr9_vgpr10
	v_cndmask_b32_e64 v38, v11, v7, s[0:1]
	v_cndmask_b32_e64 v37, v15, v13, s[0:1]
	v_cmp_nlt_f64_e32 vcc, s[2:3], v[37:38]
	s_and_saveexec_b64 s[2:3], vcc
	s_xor_b64 s[92:93], exec, s[2:3]
	s_cbranch_execz .LBB179_98
; %bb.75:                               ;   in Loop: Header=BB179_5 Depth=1
	v_cndmask_b32_e64 v40, v7, v11, s[0:1]
	v_cndmask_b32_e64 v39, v13, v18, s[0:1]
	v_cmp_neq_f64_e32 vcc, 1.0, v[39:40]
                                        ; implicit-def: $vgpr33_vgpr34
                                        ; implicit-def: $vgpr9_vgpr10
	s_and_saveexec_b64 s[2:3], vcc
	s_xor_b64 s[18:19], exec, s[2:3]
	s_cbranch_execz .LBB179_91
; %bb.76:                               ;   in Loop: Header=BB179_5 Depth=1
	v_max_f64 v[9:10], v[37:38], v[37:38]
	v_max_f64 v[33:34], v[39:40], v[39:40]
	s_mov_b32 s2, 0x4ad4b81f
	s_mov_b32 s3, 0x358dee7a
	v_min_f64 v[35:36], v[33:34], v[9:10]
	v_max_f64 v[9:10], v[33:34], v[9:10]
                                        ; implicit-def: $vgpr33_vgpr34
	v_cmp_ngt_f64_e32 vcc, s[2:3], v[35:36]
	s_mov_b32 s2, 0xc57e649a
	s_mov_b32 s3, 0x4a511b0e
	v_cmp_nlt_f64_e64 s[2:3], s[2:3], v[9:10]
                                        ; implicit-def: $vgpr9_vgpr10
	s_and_b64 s[2:3], s[2:3], vcc
	s_and_saveexec_b64 s[4:5], s[2:3]
	s_xor_b64 s[20:21], exec, s[4:5]
	s_cbranch_execz .LBB179_88
; %bb.77:                               ;   in Loop: Header=BB179_5 Depth=1
	v_cmp_le_f64_e32 vcc, 1.0, v[39:40]
                                        ; implicit-def: $vgpr33_vgpr34
                                        ; implicit-def: $vgpr9_vgpr10
	s_and_saveexec_b64 s[2:3], vcc
	s_xor_b64 s[10:11], exec, s[2:3]
	s_cbranch_execz .LBB179_79
; %bb.78:                               ;   in Loop: Header=BB179_5 Depth=1
	v_add_f64 v[9:10], v[39:40], -1.0
	v_add_f64 v[33:34], v[39:40], 1.0
	s_mov_b32 s91, s23
	s_mov_b32 s78, s80
	;; [unrolled: 1-line block ×4, first 2 shown]
	v_cmp_class_f64_e64 s[4:5], v[15:16], s44
	v_mul_f64 v[9:10], v[9:10], v[33:34]
	v_fma_f64 v[34:35], v[37:38], v[37:38], v[9:10]
	v_add_f64 v[9:10], v[34:35], 1.0
	v_cmp_nge_f64_e64 s[6:7], -1.0, v[34:35]
	v_cmp_neq_f64_e64 s[8:9], s[8:9], v[34:35]
	v_frexp_mant_f64_e32 v[38:39], v[9:10]
	v_frexp_exp_i32_f64_e32 v7, v[9:10]
	v_add_f64 v[36:37], v[9:10], -1.0
	v_cmp_gt_f64_e32 vcc, s[22:23], v[38:39]
	v_add_f64 v[40:41], v[36:37], -v[9:10]
	v_add_f64 v[36:37], v[34:35], -v[36:37]
	v_subbrev_co_u32_e32 v7, vcc, 0, v7, vcc
	v_sub_u32_e32 v11, 0, v7
	v_ldexp_f64 v[9:10], v[9:10], v11
	v_add_f64 v[38:39], v[40:41], 1.0
	v_add_f64 v[40:41], v[9:10], 1.0
	v_add_f64 v[36:37], v[36:37], v[38:39]
	v_add_f64 v[46:47], v[9:10], -1.0
	v_add_f64 v[38:39], v[40:41], -1.0
	v_ldexp_f64 v[36:37], v[36:37], v11
	v_add_f64 v[48:49], v[46:47], 1.0
	v_ashrrev_i32_e32 v11, 31, v14
	v_and_b32_e32 v33, 0x54442d18, v11
	v_and_b32_e32 v11, 0x400921fb, v11
	v_add_f64 v[38:39], v[9:10], -v[38:39]
	v_add_f64 v[9:10], v[9:10], -v[48:49]
	v_add_f64 v[42:43], v[36:37], v[38:39]
	v_add_f64 v[48:49], v[36:37], v[9:10]
	;; [unrolled: 1-line block ×3, first 2 shown]
	v_rcp_f64_e32 v[44:45], v[38:39]
	v_add_f64 v[40:41], v[38:39], -v[40:41]
	v_add_f64 v[42:43], v[42:43], -v[40:41]
	v_fma_f64 v[50:51], -v[38:39], v[44:45], 1.0
	v_fma_f64 v[44:45], v[50:51], v[44:45], v[44:45]
	v_add_f64 v[50:51], v[46:47], v[48:49]
	v_fma_f64 v[9:10], -v[38:39], v[44:45], 1.0
	v_add_f64 v[46:47], v[50:51], -v[46:47]
	v_fma_f64 v[9:10], v[9:10], v[44:45], v[44:45]
	v_add_f64 v[46:47], v[48:49], -v[46:47]
	v_mul_f64 v[36:37], v[50:51], v[9:10]
	v_mul_f64 v[44:45], v[38:39], v[36:37]
	v_fma_f64 v[40:41], v[36:37], v[38:39], -v[44:45]
	v_fma_f64 v[52:53], v[36:37], v[42:43], v[40:41]
	v_add_f64 v[54:55], v[44:45], v[52:53]
	v_add_f64 v[40:41], v[50:51], -v[54:55]
	v_add_f64 v[44:45], v[54:55], -v[44:45]
	;; [unrolled: 1-line block ×5, first 2 shown]
	v_add_f64 v[46:47], v[46:47], v[48:49]
	v_max_f64 v[48:49], |v[13:14]|, |v[13:14]|
	v_add_f64 v[44:45], v[44:45], v[46:47]
	v_max_f64 v[46:47], |v[15:16]|, |v[15:16]|
	v_add_f64 v[50:51], v[40:41], v[44:45]
	v_max_f64 v[52:53], v[48:49], v[46:47]
	v_min_f64 v[46:47], v[48:49], v[46:47]
	v_mul_f64 v[48:49], v[9:10], v[50:51]
	v_add_f64 v[40:41], v[40:41], -v[50:51]
	v_div_scale_f64 v[54:55], s[2:3], v[52:53], v[52:53], v[46:47]
	s_mov_b32 s2, 0x69efb384
	s_mov_b32 s3, 0x3f4b2bb0
	v_mul_f64 v[56:57], v[38:39], v[48:49]
	v_add_f64 v[40:41], v[44:45], v[40:41]
	v_fma_f64 v[38:39], v[48:49], v[38:39], -v[56:57]
	v_rcp_f64_e32 v[67:68], v[54:55]
	v_fma_f64 v[38:39], v[48:49], v[42:43], v[38:39]
	v_add_f64 v[42:43], v[56:57], v[38:39]
	v_fma_f64 v[69:70], -v[54:55], v[67:68], 1.0
	v_add_f64 v[71:72], v[50:51], -v[42:43]
	v_add_f64 v[44:45], v[42:43], -v[56:57]
	v_fma_f64 v[67:68], v[67:68], v[69:70], v[67:68]
	v_div_scale_f64 v[69:70], vcc, v[46:47], v[52:53], v[46:47]
	v_add_f64 v[50:51], v[50:51], -v[71:72]
	v_add_f64 v[38:39], v[44:45], -v[38:39]
	v_fma_f64 v[73:74], -v[54:55], v[67:68], 1.0
	v_add_f64 v[44:45], v[36:37], v[48:49]
	v_add_f64 v[42:43], v[50:51], -v[42:43]
	v_fma_f64 v[50:51], v[67:68], v[73:74], v[67:68]
	v_add_f64 v[36:37], v[44:45], -v[36:37]
	v_add_f64 v[40:41], v[40:41], v[42:43]
	v_mul_f64 v[42:43], v[69:70], v[50:51]
	v_add_f64 v[36:37], v[48:49], -v[36:37]
	v_add_f64 v[38:39], v[38:39], v[40:41]
	v_fma_f64 v[40:41], -v[54:55], v[42:43], v[69:70]
	v_add_f64 v[38:39], v[71:72], v[38:39]
	v_div_fmas_f64 v[40:41], v[40:41], v[50:51], v[42:43]
	v_cmp_gt_i32_e32 vcc, 0, v14
	v_cndmask_b32_e32 v18, v65, v66, vcc
	v_mul_f64 v[9:10], v[9:10], v[38:39]
	v_add_f64 v[9:10], v[36:37], v[9:10]
	v_div_fixup_f64 v[36:37], v[40:41], v[52:53], v[46:47]
	v_add_f64 v[38:39], v[44:45], v[9:10]
	v_mul_f64 v[40:41], v[36:37], v[36:37]
	v_mul_f64 v[42:43], v[38:39], v[38:39]
	v_fma_f64 v[46:47], v[40:41], s[16:17], v[21:22]
	v_cmp_class_f64_e64 s[16:17], v[13:14], s44
	v_fma_f64 v[48:49], v[42:43], s[24:25], v[19:20]
	v_mul_f64 v[50:51], v[38:39], v[42:43]
	v_fma_f64 v[46:47], v[40:41], v[46:47], s[2:3]
	s_mov_b32 s2, 0xaf56de9b
	s_mov_b32 s3, 0xbf67952d
	v_fma_f64 v[48:49], v[42:43], v[48:49], s[26:27]
	v_fma_f64 v[46:47], v[40:41], v[46:47], s[2:3]
	v_cmp_eq_f64_e64 s[2:3], 0, v[15:16]
	v_fma_f64 v[48:49], v[42:43], v[48:49], s[28:29]
	v_fma_f64 v[46:47], v[40:41], v[46:47], s[46:47]
	;; [unrolled: 1-line block ×7, first 2 shown]
	v_ldexp_f64 v[48:49], v[38:39], 1
	v_fma_f64 v[46:47], v[40:41], v[46:47], s[52:53]
	v_add_f64 v[38:39], v[38:39], -v[44:45]
	v_mul_f64 v[42:43], v[50:51], v[42:43]
	v_cvt_f64_i32_e32 v[50:51], v7
	v_fma_f64 v[46:47], v[40:41], v[46:47], s[40:41]
	v_add_f64 v[9:10], v[9:10], -v[38:39]
	v_cndmask_b32_e32 v7, v63, v64, vcc
	v_mul_f64 v[52:53], v[50:51], s[36:37]
	v_add_f64 v[44:45], v[48:49], v[42:43]
	v_fma_f64 v[46:47], v[40:41], v[46:47], s[56:57]
	v_ldexp_f64 v[9:10], v[9:10], 1
	v_add_f64 v[38:39], v[44:45], -v[48:49]
	v_fma_f64 v[48:49], v[50:51], s[36:37], -v[52:53]
	v_fma_f64 v[46:47], v[40:41], v[46:47], s[58:59]
	v_add_f64 v[38:39], v[42:43], -v[38:39]
	v_fma_f64 v[42:43], v[40:41], v[46:47], s[60:61]
	v_fma_f64 v[46:47], v[50:51], s[38:39], v[48:49]
	v_add_f64 v[9:10], v[9:10], v[38:39]
	v_fma_f64 v[38:39], v[40:41], v[42:43], s[62:63]
	v_add_f64 v[42:43], v[52:53], v[46:47]
	v_add_f64 v[48:49], v[44:45], v[9:10]
	v_fma_f64 v[38:39], v[40:41], v[38:39], s[64:65]
	v_add_f64 v[52:53], v[42:43], -v[52:53]
	v_add_f64 v[50:51], v[42:43], v[48:49]
	v_add_f64 v[44:45], v[48:49], -v[44:45]
	v_fma_f64 v[38:39], v[40:41], v[38:39], s[66:67]
	v_add_f64 v[46:47], v[46:47], -v[52:53]
	v_add_f64 v[54:55], v[50:51], -v[42:43]
	v_add_f64 v[9:10], v[9:10], -v[44:45]
	v_fma_f64 v[38:39], v[40:41], v[38:39], s[68:69]
	v_add_f64 v[56:57], v[50:51], -v[54:55]
	v_add_f64 v[44:45], v[48:49], -v[54:55]
	v_fma_f64 v[38:39], v[40:41], v[38:39], s[70:71]
	v_add_f64 v[48:49], v[46:47], v[9:10]
	v_add_f64 v[42:43], v[42:43], -v[56:57]
	v_fma_f64 v[38:39], v[40:41], v[38:39], s[72:73]
	v_add_f64 v[42:43], v[44:45], v[42:43]
	;; [unrolled: 3-line block ×3, first 2 shown]
	v_add_f64 v[48:49], v[48:49], -v[44:45]
	v_fma_f64 v[38:39], v[40:41], v[38:39], s[76:77]
	v_add_f64 v[9:10], v[9:10], -v[44:45]
	v_add_f64 v[52:53], v[50:51], v[42:43]
	v_mul_f64 v[38:39], v[40:41], v[38:39]
	v_add_f64 v[40:41], v[46:47], -v[48:49]
	v_add_f64 v[44:45], v[52:53], -v[50:51]
	v_fma_f64 v[36:37], v[36:37], v[38:39], v[36:37]
	v_add_f64 v[9:10], v[9:10], v[40:41]
	v_add_f64 v[38:39], v[42:43], -v[44:45]
	v_add_f64 v[40:41], -v[36:37], s[80:81]
	v_add_f64 v[9:10], v[9:10], v[38:39]
	v_cndmask_b32_e64 v37, v37, v41, s[0:1]
	v_cndmask_b32_e64 v36, v36, v40, s[0:1]
	v_add_f64 v[38:39], -v[36:37], s[78:79]
	v_add_f64 v[9:10], v[52:53], v[9:10]
	v_cndmask_b32_e32 v36, v36, v38, vcc
	v_mul_f64 v[13:14], v[9:10], 0.5
	v_cndmask_b32_e32 v10, v37, v39, vcc
	v_bfi_b32 v9, s42, v18, v16
	v_cndmask_b32_e64 v18, v36, v33, s[2:3]
	v_cndmask_b32_e64 v10, v10, v11, s[2:3]
	s_and_b64 s[2:3], s[6:7], s[8:9]
	s_and_b64 vcc, s[16:17], s[4:5]
	v_cndmask_b32_e32 v10, v10, v9, vcc
	v_cndmask_b32_e64 v33, 0, v13, s[2:3]
	v_cmp_ngt_f64_e64 s[2:3], -1.0, v[34:35]
	v_cndmask_b32_e64 v9, v60, v14, s[8:9]
	s_mov_b32 s16, 0xb5e68a13
	s_mov_b32 s17, 0x3eeba404
                                        ; implicit-def: $vgpr37_vgpr38
                                        ; implicit-def: $vgpr39_vgpr40
	v_cndmask_b32_e64 v9, v61, v9, s[2:3]
	v_cmp_neq_f64_e64 s[2:3], -1.0, v[34:35]
	v_cndmask_b32_e64 v34, v62, v9, s[2:3]
	v_cndmask_b32_e32 v9, v18, v7, vcc
.LBB179_79:                             ;   in Loop: Header=BB179_5 Depth=1
	s_andn2_saveexec_b64 s[82:83], s[10:11]
	s_cbranch_execz .LBB179_87
; %bb.80:                               ;   in Loop: Header=BB179_5 Depth=1
	v_mul_f64 v[9:10], v[37:38], v[37:38]
	s_mov_b32 s2, 0x66666666
	s_mov_b32 s3, 0x3fe66666
                                        ; implicit-def: $vgpr33_vgpr34
	v_fma_f64 v[35:36], v[39:40], v[39:40], v[9:10]
                                        ; implicit-def: $vgpr9_vgpr10
	v_cmp_ge_f64_e32 vcc, s[2:3], v[35:36]
	s_and_saveexec_b64 s[2:3], vcc
	s_xor_b64 s[8:9], exec, s[2:3]
	s_cbranch_execz .LBB179_82
; %bb.81:                               ;   in Loop: Header=BB179_5 Depth=1
	v_frexp_mant_f64_e32 v[9:10], v[35:36]
	v_max_f64 v[41:42], |v[15:16]|, |v[15:16]|
	v_max_f64 v[43:44], |v[13:14]|, |v[13:14]|
	s_mov_b32 s91, s23
	s_mov_b32 s78, s80
	v_cmp_class_f64_e64 s[10:11], v[13:14], s44
	v_ashrrev_i32_e32 v11, 31, v14
	v_cmp_neq_f64_e64 s[6:7], 0, v[35:36]
	v_cmp_gt_f64_e64 s[2:3], s[22:23], v[9:10]
	v_and_b32_e32 v18, 0x54442d18, v11
	v_and_b32_e32 v11, 0x400921fb, v11
	v_cndmask_b32_e64 v7, 0, 1, s[2:3]
	v_ldexp_f64 v[9:10], v[9:10], v7
	v_frexp_exp_i32_f64_e32 v7, v[35:36]
	v_add_f64 v[33:34], v[9:10], 1.0
	v_add_f64 v[47:48], v[9:10], -1.0
	v_rcp_f64_e32 v[37:38], v[33:34]
	v_add_f64 v[51:52], v[33:34], -1.0
	v_add_f64 v[9:10], v[9:10], -v[51:52]
	v_fma_f64 v[39:40], -v[33:34], v[37:38], 1.0
	v_fma_f64 v[37:38], v[39:40], v[37:38], v[37:38]
	v_max_f64 v[39:40], v[43:44], v[41:42]
	v_min_f64 v[41:42], v[43:44], v[41:42]
	v_fma_f64 v[43:44], -v[33:34], v[37:38], 1.0
	v_div_scale_f64 v[45:46], s[4:5], v[39:40], v[39:40], v[41:42]
	s_mov_b32 s4, 0x69efb384
	s_mov_b32 s5, 0x3f4b2bb0
	v_fma_f64 v[37:38], v[43:44], v[37:38], v[37:38]
	v_mul_f64 v[43:44], v[47:48], v[37:38]
	v_rcp_f64_e32 v[49:50], v[45:46]
	v_mul_f64 v[53:54], v[33:34], v[43:44]
	v_fma_f64 v[33:34], v[43:44], v[33:34], -v[53:54]
	v_fma_f64 v[51:52], -v[45:46], v[49:50], 1.0
	v_fma_f64 v[9:10], v[43:44], v[9:10], v[33:34]
	v_fma_f64 v[33:34], v[49:50], v[51:52], v[49:50]
	v_div_scale_f64 v[51:52], vcc, v[41:42], v[39:40], v[41:42]
	v_add_f64 v[49:50], v[53:54], v[9:10]
	v_fma_f64 v[55:56], -v[45:46], v[33:34], 1.0
	v_add_f64 v[57:58], v[47:48], -v[49:50]
	v_add_f64 v[53:54], v[49:50], -v[53:54]
	v_fma_f64 v[33:34], v[33:34], v[55:56], v[33:34]
	v_add_f64 v[47:48], v[47:48], -v[57:58]
	v_add_f64 v[9:10], v[53:54], -v[9:10]
	v_mul_f64 v[55:56], v[51:52], v[33:34]
	v_add_f64 v[47:48], v[47:48], -v[49:50]
	v_fma_f64 v[45:46], -v[45:46], v[55:56], v[51:52]
	v_add_f64 v[9:10], v[9:10], v[47:48]
	v_div_fmas_f64 v[33:34], v[45:46], v[33:34], v[55:56]
	v_subbrev_co_u32_e64 v7, vcc, 0, v7, s[2:3]
	v_cmp_eq_f64_e64 s[2:3], 0, v[15:16]
	v_cmp_gt_i32_e32 vcc, 0, v14
	v_add_f64 v[9:10], v[57:58], v[9:10]
	v_mul_f64 v[9:10], v[37:38], v[9:10]
	v_div_fixup_f64 v[33:34], v[33:34], v[39:40], v[41:42]
	v_add_f64 v[37:38], v[43:44], v[9:10]
	v_mul_f64 v[39:40], v[33:34], v[33:34]
	v_mul_f64 v[41:42], v[37:38], v[37:38]
	v_fma_f64 v[45:46], v[39:40], s[16:17], v[21:22]
	v_fma_f64 v[47:48], v[41:42], s[24:25], v[19:20]
	v_mul_f64 v[49:50], v[37:38], v[41:42]
	v_fma_f64 v[45:46], v[39:40], v[45:46], s[4:5]
	s_mov_b32 s4, 0xaf56de9b
	s_mov_b32 s5, 0xbf67952d
	v_fma_f64 v[47:48], v[41:42], v[47:48], s[26:27]
	v_fma_f64 v[45:46], v[39:40], v[45:46], s[4:5]
	v_cmp_class_f64_e64 s[4:5], v[15:16], s44
	v_fma_f64 v[47:48], v[41:42], v[47:48], s[28:29]
	v_fma_f64 v[45:46], v[39:40], v[45:46], s[46:47]
	;; [unrolled: 1-line block ×7, first 2 shown]
	v_ldexp_f64 v[47:48], v[37:38], 1
	v_fma_f64 v[45:46], v[39:40], v[45:46], s[52:53]
	v_add_f64 v[37:38], v[37:38], -v[43:44]
	v_mul_f64 v[41:42], v[49:50], v[41:42]
	v_cvt_f64_i32_e32 v[49:50], v7
	v_fma_f64 v[45:46], v[39:40], v[45:46], s[40:41]
	v_add_f64 v[9:10], v[9:10], -v[37:38]
	v_cndmask_b32_e32 v7, v63, v64, vcc
	v_mul_f64 v[51:52], v[49:50], s[36:37]
	v_add_f64 v[43:44], v[47:48], v[41:42]
	v_fma_f64 v[45:46], v[39:40], v[45:46], s[56:57]
	v_ldexp_f64 v[9:10], v[9:10], 1
	v_add_f64 v[37:38], v[43:44], -v[47:48]
	v_fma_f64 v[47:48], v[49:50], s[36:37], -v[51:52]
	v_fma_f64 v[45:46], v[39:40], v[45:46], s[58:59]
	v_add_f64 v[37:38], v[41:42], -v[37:38]
	v_fma_f64 v[41:42], v[39:40], v[45:46], s[60:61]
	v_fma_f64 v[45:46], v[49:50], s[38:39], v[47:48]
	v_add_f64 v[9:10], v[9:10], v[37:38]
	v_fma_f64 v[37:38], v[39:40], v[41:42], s[62:63]
	v_add_f64 v[41:42], v[51:52], v[45:46]
	v_add_f64 v[47:48], v[43:44], v[9:10]
	v_fma_f64 v[37:38], v[39:40], v[37:38], s[64:65]
	v_add_f64 v[51:52], v[41:42], -v[51:52]
	v_add_f64 v[49:50], v[41:42], v[47:48]
	v_add_f64 v[43:44], v[47:48], -v[43:44]
	v_fma_f64 v[37:38], v[39:40], v[37:38], s[66:67]
	v_add_f64 v[45:46], v[45:46], -v[51:52]
	v_add_f64 v[53:54], v[49:50], -v[41:42]
	;; [unrolled: 1-line block ×3, first 2 shown]
	v_fma_f64 v[37:38], v[39:40], v[37:38], s[68:69]
	v_add_f64 v[55:56], v[49:50], -v[53:54]
	v_add_f64 v[43:44], v[47:48], -v[53:54]
	v_fma_f64 v[37:38], v[39:40], v[37:38], s[70:71]
	v_add_f64 v[47:48], v[45:46], v[9:10]
	v_add_f64 v[41:42], v[41:42], -v[55:56]
	v_fma_f64 v[37:38], v[39:40], v[37:38], s[72:73]
	v_add_f64 v[41:42], v[43:44], v[41:42]
	;; [unrolled: 3-line block ×3, first 2 shown]
	v_add_f64 v[47:48], v[47:48], -v[43:44]
	v_fma_f64 v[37:38], v[39:40], v[37:38], s[76:77]
	v_add_f64 v[9:10], v[9:10], -v[43:44]
	v_add_f64 v[51:52], v[49:50], v[41:42]
	v_mul_f64 v[37:38], v[39:40], v[37:38]
	v_add_f64 v[39:40], v[45:46], -v[47:48]
	v_add_f64 v[43:44], v[51:52], -v[49:50]
	v_fma_f64 v[33:34], v[33:34], v[37:38], v[33:34]
	v_add_f64 v[9:10], v[9:10], v[39:40]
	v_add_f64 v[37:38], v[41:42], -v[43:44]
	v_add_f64 v[39:40], -v[33:34], s[80:81]
	v_add_f64 v[9:10], v[9:10], v[37:38]
	v_cndmask_b32_e64 v34, v34, v40, s[0:1]
	v_cndmask_b32_e64 v33, v33, v39, s[0:1]
	v_add_f64 v[37:38], -v[33:34], s[78:79]
                                        ; implicit-def: $vgpr39_vgpr40
	v_add_f64 v[9:10], v[51:52], v[9:10]
	v_cndmask_b32_e32 v33, v33, v37, vcc
	v_cndmask_b32_e32 v37, v65, v66, vcc
	v_cndmask_b32_e64 v18, v33, v18, s[2:3]
	v_mul_f64 v[13:14], v[9:10], 0.5
	v_cndmask_b32_e32 v10, v34, v38, vcc
	v_bfi_b32 v9, s42, v37, v16
	v_cndmask_b32_e64 v10, v10, v11, s[2:3]
	s_and_b64 vcc, s[10:11], s[4:5]
	v_cndmask_b32_e32 v10, v10, v9, vcc
	v_cndmask_b32_e32 v9, v18, v7, vcc
                                        ; implicit-def: $vgpr37_vgpr38
	v_cndmask_b32_e64 v34, v62, v14, s[6:7]
	v_cndmask_b32_e64 v33, 0, v13, s[6:7]
.LBB179_82:                             ;   in Loop: Header=BB179_5 Depth=1
	s_andn2_saveexec_b64 s[10:11], s[8:9]
	s_cbranch_execz .LBB179_86
; %bb.83:                               ;   in Loop: Header=BB179_5 Depth=1
	v_and_b32_e32 v18, 0x7ffffff8, v40
	v_and_b32_e32 v34, 0x7ffffff8, v38
	v_mov_b32_e32 v33, v17
	v_add_f64 v[9:10], v[39:40], -v[17:18]
	v_add_f64 v[35:36], v[37:38], -v[33:34]
	v_mov_b32_e32 v39, v17
	v_mov_b32_e32 v47, v17
	v_add_f64 v[43:44], v[17:18], v[17:18]
	v_add_f64 v[45:46], v[33:34], v[33:34]
	v_mul_f64 v[33:34], v[33:34], v[33:34]
	s_mov_b64 s[16:17], 0
	v_and_b32_e32 v40, -8, v10
	v_and_b32_e32 v48, -8, v36
	v_add_f64 v[53:54], v[9:10], -v[39:40]
	v_add_f64 v[55:56], v[35:36], -v[47:48]
	v_add_f64 v[57:58], v[39:40], v[39:40]
	v_add_f64 v[67:68], v[47:48], v[47:48]
	v_mul_f64 v[9:10], v[17:18], v[17:18]
	v_mul_f64 v[37:38], v[43:44], v[39:40]
	;; [unrolled: 1-line block ×11, first 2 shown]
.LBB179_84:                             ;   Parent Loop BB179_5 Depth=1
                                        ; =>  This Inner Loop Header: Depth=2
	v_cmp_nlt_f64_e32 vcc, v[9:10], v[33:34]
	v_cndmask_b32_e32 v56, v10, v34, vcc
	v_cndmask_b32_e32 v55, v9, v33, vcc
	v_cmp_nlt_f64_e64 s[2:3], v[55:56], v[37:38]
	v_cndmask_b32_e32 v10, v34, v10, vcc
	v_cndmask_b32_e32 v9, v33, v9, vcc
	v_cndmask_b32_e64 v58, v56, v38, s[2:3]
	v_cndmask_b32_e64 v57, v55, v37, s[2:3]
	v_cmp_nlt_f64_e64 s[6:7], v[57:58], v[35:36]
	v_cndmask_b32_e64 v34, v38, v56, s[2:3]
	v_cndmask_b32_e64 v33, v37, v55, s[2:3]
	s_and_b64 s[4:5], vcc, s[2:3]
	v_cndmask_b32_e64 v68, v58, v36, s[6:7]
	v_cndmask_b32_e64 v67, v57, v35, s[6:7]
	v_cmp_nlt_f64_e64 s[8:9], v[67:68], v[41:42]
	v_cndmask_b32_e64 v38, v36, v58, s[6:7]
	v_cndmask_b32_e64 v37, v35, v57, s[6:7]
	;; [unrolled: 1-line block ×4, first 2 shown]
	v_cmp_nlt_f64_e32 vcc, v[55:56], v[47:48]
	v_cndmask_b32_e64 v36, v42, v68, s[8:9]
	v_cndmask_b32_e64 v35, v41, v67, s[8:9]
	s_and_b64 s[8:9], s[6:7], s[8:9]
	v_cndmask_b32_e32 v58, v56, v48, vcc
	v_cndmask_b32_e32 v57, v55, v47, vcc
	v_cmp_nlt_f64_e64 s[2:3], v[57:58], v[51:52]
	v_cndmask_b32_e32 v42, v48, v56, vcc
	v_cndmask_b32_e32 v41, v47, v55, vcc
	v_cndmask_b32_e64 v56, v58, v52, s[2:3]
	v_cndmask_b32_e64 v55, v57, v51, s[2:3]
	v_cmp_nlt_f64_e64 s[6:7], v[55:56], v[49:50]
	v_cndmask_b32_e64 v48, v52, v58, s[2:3]
	v_cndmask_b32_e64 v47, v51, v57, s[2:3]
	s_and_b64 s[2:3], vcc, s[2:3]
	v_cndmask_b32_e64 v58, v56, v50, s[6:7]
	v_cndmask_b32_e64 v57, v55, v49, s[6:7]
	v_cmp_nlt_f64_e32 vcc, v[57:58], v[45:46]
	v_cndmask_b32_e64 v52, v50, v56, s[6:7]
	v_cndmask_b32_e64 v51, v49, v55, s[6:7]
	s_and_b64 s[6:7], s[2:3], s[6:7]
	v_cndmask_b32_e32 v56, v58, v46, vcc
	v_cndmask_b32_e32 v55, v57, v45, vcc
	v_cmp_nlt_f64_e64 s[2:3], v[55:56], v[43:44]
	v_cndmask_b32_e32 v50, v46, v58, vcc
	v_cndmask_b32_e32 v49, v45, v57, vcc
	s_and_b64 s[6:7], s[6:7], vcc
	v_cndmask_b32_e64 v58, v56, v44, s[2:3]
	v_cndmask_b32_e64 v57, v55, v43, s[2:3]
	v_cmp_nlt_f64_e32 vcc, v[57:58], v[39:40]
	v_cndmask_b32_e64 v46, v44, v56, s[2:3]
	v_cndmask_b32_e64 v45, v43, v55, s[2:3]
	s_and_b64 s[6:7], s[6:7], s[2:3]
	v_cndmask_b32_e32 v68, v58, v40, vcc
	v_cndmask_b32_e32 v67, v57, v39, vcc
	v_cmp_nlt_f64_e64 s[2:3], v[67:68], v[53:54]
	s_and_b64 s[6:7], s[6:7], vcc
	v_cndmask_b32_e32 v44, v40, v58, vcc
	v_cndmask_b32_e32 v43, v39, v57, vcc
	v_cndmask_b32_e64 v56, v68, v54, s[2:3]
	v_cndmask_b32_e64 v55, v67, v53, s[2:3]
	;; [unrolled: 1-line block ×4, first 2 shown]
	s_and_b64 s[2:3], s[6:7], s[2:3]
	s_and_b64 s[2:3], s[2:3], s[8:9]
	;; [unrolled: 1-line block ×3, first 2 shown]
	s_and_b64 s[2:3], exec, s[2:3]
	v_mov_b32_e32 v53, v55
	s_or_b64 s[16:17], s[2:3], s[16:17]
	v_mov_b32_e32 v54, v56
	s_andn2_b64 exec, exec, s[16:17]
	s_cbranch_execnz .LBB179_84
; %bb.85:                               ;   in Loop: Header=BB179_5 Depth=1
	s_or_b64 exec, exec, s[16:17]
	v_add_f64 v[9:10], v[9:10], -1.0
	s_mov_b32 s91, s23
	s_mov_b32 s78, s80
	s_mov_b32 s8, 0
	s_mov_b32 s9, 0x7ff00000
	v_cmp_class_f64_e64 s[16:17], v[13:14], s44
	v_cmp_class_f64_e64 s[4:5], v[15:16], s44
	v_add_f64 v[9:10], v[9:10], v[33:34]
	v_add_f64 v[9:10], v[9:10], v[37:38]
	;; [unrolled: 1-line block ×11, first 2 shown]
	v_add_f64 v[9:10], v[34:35], 1.0
	v_cmp_nge_f64_e64 s[6:7], -1.0, v[34:35]
	v_cmp_neq_f64_e64 s[8:9], s[8:9], v[34:35]
	v_frexp_mant_f64_e32 v[38:39], v[9:10]
	v_frexp_exp_i32_f64_e32 v7, v[9:10]
	v_add_f64 v[36:37], v[9:10], -1.0
	v_cmp_gt_f64_e32 vcc, s[22:23], v[38:39]
	v_add_f64 v[40:41], v[36:37], -v[9:10]
	v_add_f64 v[36:37], v[34:35], -v[36:37]
	v_subbrev_co_u32_e32 v7, vcc, 0, v7, vcc
	v_sub_u32_e32 v11, 0, v7
	v_ldexp_f64 v[9:10], v[9:10], v11
	v_add_f64 v[38:39], v[40:41], 1.0
	v_add_f64 v[40:41], v[9:10], 1.0
	v_add_f64 v[36:37], v[36:37], v[38:39]
	v_add_f64 v[46:47], v[9:10], -1.0
	v_add_f64 v[38:39], v[40:41], -1.0
	v_ldexp_f64 v[36:37], v[36:37], v11
	v_add_f64 v[48:49], v[46:47], 1.0
	v_ashrrev_i32_e32 v11, 31, v14
	v_and_b32_e32 v33, 0x54442d18, v11
	v_and_b32_e32 v11, 0x400921fb, v11
	v_add_f64 v[38:39], v[9:10], -v[38:39]
	v_add_f64 v[9:10], v[9:10], -v[48:49]
	v_add_f64 v[42:43], v[36:37], v[38:39]
	v_add_f64 v[48:49], v[36:37], v[9:10]
	;; [unrolled: 1-line block ×3, first 2 shown]
	v_rcp_f64_e32 v[44:45], v[38:39]
	v_add_f64 v[40:41], v[38:39], -v[40:41]
	v_add_f64 v[42:43], v[42:43], -v[40:41]
	v_fma_f64 v[50:51], -v[38:39], v[44:45], 1.0
	v_fma_f64 v[44:45], v[50:51], v[44:45], v[44:45]
	v_add_f64 v[50:51], v[46:47], v[48:49]
	v_fma_f64 v[9:10], -v[38:39], v[44:45], 1.0
	v_add_f64 v[46:47], v[50:51], -v[46:47]
	v_fma_f64 v[9:10], v[9:10], v[44:45], v[44:45]
	v_add_f64 v[46:47], v[48:49], -v[46:47]
	v_mul_f64 v[36:37], v[50:51], v[9:10]
	v_mul_f64 v[44:45], v[38:39], v[36:37]
	v_fma_f64 v[40:41], v[36:37], v[38:39], -v[44:45]
	v_fma_f64 v[52:53], v[36:37], v[42:43], v[40:41]
	v_add_f64 v[54:55], v[44:45], v[52:53]
	v_add_f64 v[40:41], v[50:51], -v[54:55]
	v_add_f64 v[44:45], v[54:55], -v[44:45]
	;; [unrolled: 1-line block ×5, first 2 shown]
	v_add_f64 v[46:47], v[46:47], v[48:49]
	v_max_f64 v[48:49], |v[13:14]|, |v[13:14]|
	v_add_f64 v[44:45], v[44:45], v[46:47]
	v_max_f64 v[46:47], |v[15:16]|, |v[15:16]|
	v_add_f64 v[50:51], v[40:41], v[44:45]
	v_max_f64 v[52:53], v[48:49], v[46:47]
	v_min_f64 v[46:47], v[48:49], v[46:47]
	v_mul_f64 v[48:49], v[9:10], v[50:51]
	v_add_f64 v[40:41], v[40:41], -v[50:51]
	v_div_scale_f64 v[54:55], s[2:3], v[52:53], v[52:53], v[46:47]
	s_mov_b32 s2, 0xb5e68a13
	s_mov_b32 s3, 0x3eeba404
	v_mul_f64 v[56:57], v[38:39], v[48:49]
	v_add_f64 v[40:41], v[44:45], v[40:41]
	v_fma_f64 v[38:39], v[48:49], v[38:39], -v[56:57]
	v_rcp_f64_e32 v[67:68], v[54:55]
	v_fma_f64 v[38:39], v[48:49], v[42:43], v[38:39]
	v_add_f64 v[42:43], v[56:57], v[38:39]
	v_fma_f64 v[69:70], -v[54:55], v[67:68], 1.0
	v_add_f64 v[71:72], v[50:51], -v[42:43]
	v_add_f64 v[44:45], v[42:43], -v[56:57]
	v_fma_f64 v[67:68], v[67:68], v[69:70], v[67:68]
	v_div_scale_f64 v[69:70], vcc, v[46:47], v[52:53], v[46:47]
	v_add_f64 v[50:51], v[50:51], -v[71:72]
	v_add_f64 v[38:39], v[44:45], -v[38:39]
	v_fma_f64 v[73:74], -v[54:55], v[67:68], 1.0
	v_add_f64 v[44:45], v[36:37], v[48:49]
	v_add_f64 v[42:43], v[50:51], -v[42:43]
	v_fma_f64 v[50:51], v[67:68], v[73:74], v[67:68]
	v_add_f64 v[36:37], v[44:45], -v[36:37]
	v_add_f64 v[40:41], v[40:41], v[42:43]
	v_mul_f64 v[42:43], v[69:70], v[50:51]
	v_add_f64 v[36:37], v[48:49], -v[36:37]
	v_add_f64 v[38:39], v[38:39], v[40:41]
	v_fma_f64 v[40:41], -v[54:55], v[42:43], v[69:70]
	v_add_f64 v[38:39], v[71:72], v[38:39]
	v_div_fmas_f64 v[40:41], v[40:41], v[50:51], v[42:43]
	v_cmp_gt_i32_e32 vcc, 0, v14
	v_cndmask_b32_e32 v18, v65, v66, vcc
	v_mul_f64 v[9:10], v[9:10], v[38:39]
	v_add_f64 v[9:10], v[36:37], v[9:10]
	v_div_fixup_f64 v[36:37], v[40:41], v[52:53], v[46:47]
	v_add_f64 v[38:39], v[44:45], v[9:10]
	v_mul_f64 v[40:41], v[36:37], v[36:37]
	v_mul_f64 v[42:43], v[38:39], v[38:39]
	v_fma_f64 v[46:47], v[40:41], s[2:3], v[21:22]
	s_mov_b32 s2, 0x69efb384
	s_mov_b32 s3, 0x3f4b2bb0
	v_fma_f64 v[48:49], v[42:43], s[24:25], v[19:20]
	v_mul_f64 v[50:51], v[38:39], v[42:43]
	v_fma_f64 v[46:47], v[40:41], v[46:47], s[2:3]
	s_mov_b32 s2, 0xaf56de9b
	s_mov_b32 s3, 0xbf67952d
	v_fma_f64 v[48:49], v[42:43], v[48:49], s[26:27]
	v_fma_f64 v[46:47], v[40:41], v[46:47], s[2:3]
	v_cmp_eq_f64_e64 s[2:3], 0, v[15:16]
	v_fma_f64 v[48:49], v[42:43], v[48:49], s[28:29]
	v_fma_f64 v[46:47], v[40:41], v[46:47], s[46:47]
	;; [unrolled: 1-line block ×7, first 2 shown]
	v_ldexp_f64 v[48:49], v[38:39], 1
	v_fma_f64 v[46:47], v[40:41], v[46:47], s[52:53]
	v_add_f64 v[38:39], v[38:39], -v[44:45]
	v_mul_f64 v[42:43], v[50:51], v[42:43]
	v_cvt_f64_i32_e32 v[50:51], v7
	v_fma_f64 v[46:47], v[40:41], v[46:47], s[40:41]
	v_add_f64 v[9:10], v[9:10], -v[38:39]
	v_cndmask_b32_e32 v7, v63, v64, vcc
	v_mul_f64 v[52:53], v[50:51], s[36:37]
	v_add_f64 v[44:45], v[48:49], v[42:43]
	v_fma_f64 v[46:47], v[40:41], v[46:47], s[56:57]
	v_ldexp_f64 v[9:10], v[9:10], 1
	v_add_f64 v[38:39], v[44:45], -v[48:49]
	v_fma_f64 v[48:49], v[50:51], s[36:37], -v[52:53]
	v_fma_f64 v[46:47], v[40:41], v[46:47], s[58:59]
	v_add_f64 v[38:39], v[42:43], -v[38:39]
	v_fma_f64 v[42:43], v[40:41], v[46:47], s[60:61]
	v_fma_f64 v[46:47], v[50:51], s[38:39], v[48:49]
	v_add_f64 v[9:10], v[9:10], v[38:39]
	v_fma_f64 v[38:39], v[40:41], v[42:43], s[62:63]
	v_add_f64 v[42:43], v[52:53], v[46:47]
	v_add_f64 v[48:49], v[44:45], v[9:10]
	v_fma_f64 v[38:39], v[40:41], v[38:39], s[64:65]
	v_add_f64 v[52:53], v[42:43], -v[52:53]
	v_add_f64 v[50:51], v[42:43], v[48:49]
	v_add_f64 v[44:45], v[48:49], -v[44:45]
	v_fma_f64 v[38:39], v[40:41], v[38:39], s[66:67]
	v_add_f64 v[46:47], v[46:47], -v[52:53]
	v_add_f64 v[54:55], v[50:51], -v[42:43]
	;; [unrolled: 1-line block ×3, first 2 shown]
	v_fma_f64 v[38:39], v[40:41], v[38:39], s[68:69]
	v_add_f64 v[56:57], v[50:51], -v[54:55]
	v_add_f64 v[44:45], v[48:49], -v[54:55]
	v_fma_f64 v[38:39], v[40:41], v[38:39], s[70:71]
	v_add_f64 v[48:49], v[46:47], v[9:10]
	v_add_f64 v[42:43], v[42:43], -v[56:57]
	v_fma_f64 v[38:39], v[40:41], v[38:39], s[72:73]
	v_add_f64 v[42:43], v[44:45], v[42:43]
	;; [unrolled: 3-line block ×3, first 2 shown]
	v_add_f64 v[48:49], v[48:49], -v[44:45]
	v_fma_f64 v[38:39], v[40:41], v[38:39], s[76:77]
	v_add_f64 v[9:10], v[9:10], -v[44:45]
	v_add_f64 v[52:53], v[50:51], v[42:43]
	v_mul_f64 v[38:39], v[40:41], v[38:39]
	v_add_f64 v[40:41], v[46:47], -v[48:49]
	v_add_f64 v[44:45], v[52:53], -v[50:51]
	v_fma_f64 v[36:37], v[36:37], v[38:39], v[36:37]
	v_add_f64 v[9:10], v[9:10], v[40:41]
	v_add_f64 v[38:39], v[42:43], -v[44:45]
	v_add_f64 v[40:41], -v[36:37], s[80:81]
	v_add_f64 v[9:10], v[9:10], v[38:39]
	v_cndmask_b32_e64 v37, v37, v41, s[0:1]
	v_cndmask_b32_e64 v36, v36, v40, s[0:1]
	v_add_f64 v[38:39], -v[36:37], s[78:79]
	v_add_f64 v[9:10], v[52:53], v[9:10]
	v_cndmask_b32_e32 v36, v36, v38, vcc
	v_mul_f64 v[13:14], v[9:10], 0.5
	v_cndmask_b32_e32 v10, v37, v39, vcc
	v_bfi_b32 v9, s42, v18, v16
	v_cndmask_b32_e64 v18, v36, v33, s[2:3]
	v_cndmask_b32_e64 v10, v10, v11, s[2:3]
	s_and_b64 s[2:3], s[6:7], s[8:9]
	s_and_b64 vcc, s[16:17], s[4:5]
	v_cndmask_b32_e32 v10, v10, v9, vcc
	v_cndmask_b32_e64 v33, 0, v13, s[2:3]
	v_cmp_ngt_f64_e64 s[2:3], -1.0, v[34:35]
	v_cndmask_b32_e64 v9, v60, v14, s[8:9]
	s_mov_b32 s16, 0xb5e68a13
	s_mov_b32 s17, 0x3eeba404
	v_cndmask_b32_e64 v9, v61, v9, s[2:3]
	v_cmp_neq_f64_e64 s[2:3], -1.0, v[34:35]
	v_cndmask_b32_e64 v34, v62, v9, s[2:3]
	v_cndmask_b32_e32 v9, v18, v7, vcc
.LBB179_86:                             ;   in Loop: Header=BB179_5 Depth=1
	s_or_b64 exec, exec, s[10:11]
.LBB179_87:                             ;   in Loop: Header=BB179_5 Depth=1
	s_or_b64 exec, exec, s[82:83]
.LBB179_88:                             ;   in Loop: Header=BB179_5 Depth=1
	s_andn2_saveexec_b64 s[8:9], s[20:21]
	s_cbranch_execz .LBB179_90
; %bb.89:                               ;   in Loop: Header=BB179_5 Depth=1
	v_max_f64 v[36:37], |v[15:16]|, |v[15:16]|
	v_max_f64 v[38:39], |v[13:14]|, |v[13:14]|
	v_cmp_class_f64_e64 s[10:11], v[13:14], s44
	v_cmp_class_f64_e64 s[20:21], v[15:16], s44
	s_mov_b32 s91, s23
	s_mov_b32 s78, s80
	v_max_f64 v[9:10], v[38:39], v[36:37]
	v_min_f64 v[36:37], v[38:39], v[36:37]
	v_frexp_exp_i32_f64_e32 v7, v[9:10]
	v_sub_u32_e32 v11, 0, v7
	v_ldexp_f64 v[33:34], |v[15:16]|, v11
	v_ldexp_f64 v[40:41], |v[13:14]|, v11
	v_ashrrev_i32_e32 v11, 31, v14
	v_and_b32_e32 v18, 0x54442d18, v11
	v_and_b32_e32 v11, 0x400921fb, v11
	v_mul_f64 v[33:34], v[33:34], v[33:34]
	v_fma_f64 v[33:34], v[40:41], v[40:41], v[33:34]
	v_rsq_f64_e32 v[40:41], v[33:34]
	v_cmp_eq_f64_e32 vcc, 0, v[33:34]
	v_mul_f64 v[42:43], v[33:34], v[40:41]
	v_mul_f64 v[40:41], v[40:41], 0.5
	v_fma_f64 v[44:45], -v[40:41], v[42:43], 0.5
	v_fma_f64 v[42:43], v[42:43], v[44:45], v[42:43]
	v_fma_f64 v[40:41], v[40:41], v[44:45], v[40:41]
	v_fma_f64 v[44:45], -v[42:43], v[42:43], v[33:34]
	v_fma_f64 v[40:41], v[44:45], v[40:41], v[42:43]
	v_cndmask_b32_e32 v34, v41, v34, vcc
	v_cndmask_b32_e32 v33, v40, v33, vcc
	v_ldexp_f64 v[33:34], v[33:34], v7
	s_or_b64 vcc, s[10:11], s[20:21]
	v_cndmask_b32_e32 v35, v34, v60, vcc
	v_cndmask_b32_e64 v34, v33, 0, vcc
	v_frexp_mant_f64_e32 v[40:41], v[34:35]
	v_cmp_class_f64_e64 s[6:7], v[34:35], s44
	v_cmp_gt_f64_e64 s[2:3], s[22:23], v[40:41]
	v_cndmask_b32_e64 v7, 0, 1, s[2:3]
	v_ldexp_f64 v[40:41], v[40:41], v7
	v_frexp_exp_i32_f64_e32 v7, v[34:35]
	v_add_f64 v[42:43], v[40:41], 1.0
	v_add_f64 v[48:49], v[40:41], -1.0
	v_rcp_f64_e32 v[44:45], v[42:43]
	v_add_f64 v[52:53], v[42:43], -1.0
	v_add_f64 v[40:41], v[40:41], -v[52:53]
	v_fma_f64 v[46:47], -v[42:43], v[44:45], 1.0
	v_fma_f64 v[38:39], v[46:47], v[44:45], v[44:45]
	v_div_scale_f64 v[44:45], s[4:5], v[9:10], v[9:10], v[36:37]
	s_mov_b32 s4, 0x69efb384
	s_mov_b32 s5, 0x3f4b2bb0
	v_fma_f64 v[46:47], -v[42:43], v[38:39], 1.0
	v_fma_f64 v[38:39], v[46:47], v[38:39], v[38:39]
	v_rcp_f64_e32 v[46:47], v[44:45]
	v_mul_f64 v[50:51], v[48:49], v[38:39]
	v_mul_f64 v[54:55], v[42:43], v[50:51]
	v_fma_f64 v[56:57], -v[44:45], v[46:47], 1.0
	v_fma_f64 v[42:43], v[50:51], v[42:43], -v[54:55]
	v_fma_f64 v[46:47], v[46:47], v[56:57], v[46:47]
	v_fma_f64 v[40:41], v[50:51], v[40:41], v[42:43]
	v_div_scale_f64 v[42:43], vcc, v[36:37], v[9:10], v[36:37]
	v_fma_f64 v[52:53], -v[44:45], v[46:47], 1.0
	v_add_f64 v[56:57], v[54:55], v[40:41]
	v_fma_f64 v[46:47], v[46:47], v[52:53], v[46:47]
	v_add_f64 v[52:53], v[48:49], -v[56:57]
	v_add_f64 v[54:55], v[56:57], -v[54:55]
	v_mul_f64 v[67:68], v[42:43], v[46:47]
	v_add_f64 v[48:49], v[48:49], -v[52:53]
	v_add_f64 v[40:41], v[54:55], -v[40:41]
	v_fma_f64 v[42:43], -v[44:45], v[67:68], v[42:43]
	v_add_f64 v[44:45], v[48:49], -v[56:57]
	v_div_fmas_f64 v[42:43], v[42:43], v[46:47], v[67:68]
	v_subbrev_co_u32_e64 v7, vcc, 0, v7, s[2:3]
	v_cmp_eq_f64_e64 s[2:3], 0, v[15:16]
	v_cmp_gt_i32_e32 vcc, 0, v14
	v_add_f64 v[40:41], v[40:41], v[44:45]
	v_cndmask_b32_e32 v33, v65, v66, vcc
	v_bfi_b32 v33, s42, v33, v16
	v_add_f64 v[40:41], v[52:53], v[40:41]
	v_div_fixup_f64 v[9:10], v[42:43], v[9:10], v[36:37]
	v_mul_f64 v[36:37], v[38:39], v[40:41]
	v_mul_f64 v[38:39], v[9:10], v[9:10]
	v_add_f64 v[40:41], v[50:51], v[36:37]
	v_fma_f64 v[42:43], v[38:39], s[16:17], v[21:22]
	v_mul_f64 v[44:45], v[40:41], v[40:41]
	v_fma_f64 v[42:43], v[38:39], v[42:43], s[4:5]
	s_mov_b32 s4, 0xaf56de9b
	s_mov_b32 s5, 0xbf67952d
	v_fma_f64 v[46:47], v[44:45], s[24:25], v[19:20]
	v_mul_f64 v[48:49], v[40:41], v[44:45]
	v_fma_f64 v[42:43], v[38:39], v[42:43], s[4:5]
	v_fma_f64 v[46:47], v[44:45], v[46:47], s[26:27]
	;; [unrolled: 1-line block ×10, first 2 shown]
	v_ldexp_f64 v[46:47], v[40:41], 1
	v_add_f64 v[40:41], v[40:41], -v[50:51]
	v_fma_f64 v[42:43], v[38:39], v[42:43], s[40:41]
	v_cvt_f64_i32_e32 v[50:51], v7
	v_cndmask_b32_e32 v7, v63, v64, vcc
	v_mul_f64 v[44:45], v[48:49], v[44:45]
	v_mul_f64 v[52:53], v[50:51], s[36:37]
	v_add_f64 v[36:37], v[36:37], -v[40:41]
	v_fma_f64 v[42:43], v[38:39], v[42:43], s[56:57]
	v_add_f64 v[48:49], v[46:47], v[44:45]
	v_ldexp_f64 v[36:37], v[36:37], 1
	v_fma_f64 v[42:43], v[38:39], v[42:43], s[58:59]
	v_add_f64 v[40:41], v[48:49], -v[46:47]
	v_fma_f64 v[46:47], v[50:51], s[36:37], -v[52:53]
	v_fma_f64 v[42:43], v[38:39], v[42:43], s[60:61]
	v_add_f64 v[40:41], v[44:45], -v[40:41]
	v_fma_f64 v[44:45], v[50:51], s[38:39], v[46:47]
	v_fma_f64 v[42:43], v[38:39], v[42:43], s[62:63]
	v_add_f64 v[36:37], v[36:37], v[40:41]
	v_fma_f64 v[40:41], v[38:39], v[42:43], s[64:65]
	v_add_f64 v[42:43], v[52:53], v[44:45]
	v_add_f64 v[46:47], v[48:49], v[36:37]
	v_fma_f64 v[40:41], v[38:39], v[40:41], s[66:67]
	v_add_f64 v[52:53], v[42:43], -v[52:53]
	v_add_f64 v[50:51], v[42:43], v[46:47]
	v_add_f64 v[48:49], v[46:47], -v[48:49]
	v_fma_f64 v[40:41], v[38:39], v[40:41], s[68:69]
	v_add_f64 v[44:45], v[44:45], -v[52:53]
	v_add_f64 v[54:55], v[50:51], -v[42:43]
	;; [unrolled: 1-line block ×3, first 2 shown]
	v_fma_f64 v[40:41], v[38:39], v[40:41], s[70:71]
	v_add_f64 v[56:57], v[50:51], -v[54:55]
	v_add_f64 v[46:47], v[46:47], -v[54:55]
	v_add_f64 v[48:49], v[44:45], v[36:37]
	v_fma_f64 v[40:41], v[38:39], v[40:41], s[72:73]
	v_add_f64 v[42:43], v[42:43], -v[56:57]
	v_fma_f64 v[40:41], v[38:39], v[40:41], s[74:75]
	v_add_f64 v[42:43], v[46:47], v[42:43]
	v_add_f64 v[46:47], v[48:49], -v[44:45]
	v_fma_f64 v[40:41], v[38:39], v[40:41], s[76:77]
	v_add_f64 v[42:43], v[48:49], v[42:43]
	v_add_f64 v[36:37], v[36:37], -v[46:47]
	v_mul_f64 v[38:39], v[38:39], v[40:41]
	v_add_f64 v[40:41], v[48:49], -v[46:47]
	v_add_f64 v[48:49], v[50:51], v[42:43]
	v_fma_f64 v[9:10], v[9:10], v[38:39], v[9:10]
	v_add_f64 v[38:39], v[44:45], -v[40:41]
	v_add_f64 v[40:41], v[48:49], -v[50:51]
	v_add_f64 v[44:45], -v[9:10], s[80:81]
	v_add_f64 v[36:37], v[36:37], v[38:39]
	v_add_f64 v[38:39], v[42:43], -v[40:41]
	v_cndmask_b32_e64 v10, v10, v45, s[0:1]
	v_cndmask_b32_e64 v9, v9, v44, s[0:1]
	v_add_f64 v[40:41], -v[9:10], s[78:79]
	v_add_f64 v[36:37], v[36:37], v[38:39]
	v_cndmask_b32_e32 v9, v9, v40, vcc
	v_cndmask_b32_e32 v10, v10, v41, vcc
	v_cndmask_b32_e64 v9, v9, v18, s[2:3]
	v_add_f64 v[13:14], v[48:49], v[36:37]
	v_cndmask_b32_e64 v10, v10, v11, s[2:3]
	v_cmp_ngt_f64_e64 s[2:3], 0, v[34:35]
	s_and_b64 vcc, s[10:11], s[20:21]
	v_cndmask_b32_e32 v10, v10, v33, vcc
	v_cndmask_b32_e32 v9, v9, v7, vcc
	v_cndmask_b32_e64 v11, v13, v34, s[6:7]
	v_cndmask_b32_e64 v13, v14, v35, s[6:7]
	;; [unrolled: 1-line block ×3, first 2 shown]
	v_cmp_nge_f64_e64 s[2:3], 0, v[34:35]
	v_cndmask_b32_e64 v33, 0, v11, s[2:3]
	v_cmp_neq_f64_e64 s[2:3], 0, v[34:35]
	v_cndmask_b32_e64 v34, v62, v13, s[2:3]
.LBB179_90:                             ;   in Loop: Header=BB179_5 Depth=1
	s_or_b64 exec, exec, s[8:9]
	s_mov_b32 s20, 0x69efb384
	s_mov_b32 s21, 0x3f4b2bb0
                                        ; implicit-def: $vgpr37_vgpr38
.LBB179_91:                             ;   in Loop: Header=BB179_5 Depth=1
	s_andn2_saveexec_b64 s[8:9], s[18:19]
	s_cbranch_execz .LBB179_97
; %bb.92:                               ;   in Loop: Header=BB179_5 Depth=1
	s_mov_b32 s2, 0x6a3f9475
	s_mov_b32 s3, 0x20ca2fe7
	v_cmp_ngt_f64_e32 vcc, s[2:3], v[37:38]
                                        ; implicit-def: $vgpr33_vgpr34
                                        ; implicit-def: $vgpr9_vgpr10
	s_and_saveexec_b64 s[2:3], vcc
	s_xor_b64 s[10:11], exec, s[2:3]
	s_cbranch_execz .LBB179_94
; %bb.93:                               ;   in Loop: Header=BB179_5 Depth=1
	v_mul_f64 v[9:10], v[37:38], v[37:38]
	s_mov_b32 s91, s23
	s_mov_b32 s78, s80
	;; [unrolled: 1-line block ×3, first 2 shown]
	v_cmp_class_f64_e64 s[4:5], v[15:16], s44
	s_mov_b32 s7, 0x7ff00000
	v_add_f64 v[33:34], v[9:10], 1.0
	v_cmp_neq_f64_e64 s[6:7], s[6:7], v[9:10]
	v_frexp_mant_f64_e32 v[37:38], v[33:34]
	v_frexp_exp_i32_f64_e32 v7, v[33:34]
	v_add_f64 v[35:36], v[33:34], -1.0
	v_cmp_gt_f64_e32 vcc, s[22:23], v[37:38]
	v_add_f64 v[39:40], v[35:36], -v[33:34]
	v_add_f64 v[35:36], v[9:10], -v[35:36]
	v_subbrev_co_u32_e32 v7, vcc, 0, v7, vcc
	v_sub_u32_e32 v11, 0, v7
	v_ldexp_f64 v[33:34], v[33:34], v11
	v_add_f64 v[37:38], v[39:40], 1.0
	v_add_f64 v[39:40], v[33:34], 1.0
	v_add_f64 v[35:36], v[35:36], v[37:38]
	v_add_f64 v[45:46], v[33:34], -1.0
	v_add_f64 v[37:38], v[39:40], -1.0
	v_ldexp_f64 v[35:36], v[35:36], v11
	v_add_f64 v[47:48], v[45:46], 1.0
	v_ashrrev_i32_e32 v11, 31, v14
	v_and_b32_e32 v18, 0x54442d18, v11
	v_and_b32_e32 v11, 0x400921fb, v11
	v_add_f64 v[37:38], v[33:34], -v[37:38]
	v_add_f64 v[33:34], v[33:34], -v[47:48]
	v_add_f64 v[41:42], v[35:36], v[37:38]
	v_add_f64 v[47:48], v[35:36], v[33:34]
	;; [unrolled: 1-line block ×3, first 2 shown]
	v_rcp_f64_e32 v[43:44], v[37:38]
	v_add_f64 v[39:40], v[39:40], -v[37:38]
	v_add_f64 v[41:42], v[41:42], v[39:40]
	v_fma_f64 v[49:50], -v[37:38], v[43:44], 1.0
	v_fma_f64 v[43:44], v[49:50], v[43:44], v[43:44]
	v_add_f64 v[49:50], v[45:46], v[47:48]
	v_fma_f64 v[33:34], -v[37:38], v[43:44], 1.0
	v_add_f64 v[45:46], v[45:46], -v[49:50]
	v_fma_f64 v[33:34], v[33:34], v[43:44], v[43:44]
	v_add_f64 v[45:46], v[47:48], v[45:46]
	v_mul_f64 v[35:36], v[49:50], v[33:34]
	v_mul_f64 v[43:44], v[37:38], v[35:36]
	v_fma_f64 v[39:40], v[35:36], v[37:38], -v[43:44]
	v_fma_f64 v[51:52], v[35:36], v[41:42], v[39:40]
	v_add_f64 v[53:54], v[43:44], v[51:52]
	v_add_f64 v[39:40], v[49:50], -v[53:54]
	v_add_f64 v[43:44], v[53:54], -v[43:44]
	;; [unrolled: 1-line block ×5, first 2 shown]
	v_add_f64 v[45:46], v[45:46], v[47:48]
	v_max_f64 v[47:48], |v[13:14]|, |v[13:14]|
	v_add_f64 v[43:44], v[43:44], v[45:46]
	v_max_f64 v[45:46], |v[15:16]|, |v[15:16]|
	v_add_f64 v[49:50], v[39:40], v[43:44]
	v_max_f64 v[51:52], v[47:48], v[45:46]
	v_min_f64 v[45:46], v[47:48], v[45:46]
	v_mul_f64 v[47:48], v[33:34], v[49:50]
	v_add_f64 v[39:40], v[39:40], -v[49:50]
	v_div_scale_f64 v[53:54], s[2:3], v[51:52], v[51:52], v[45:46]
	s_mov_b32 s2, 0xaf56de9b
	s_mov_b32 s3, 0xbf67952d
	v_mul_f64 v[55:56], v[37:38], v[47:48]
	v_add_f64 v[39:40], v[43:44], v[39:40]
	v_fma_f64 v[37:38], v[47:48], v[37:38], -v[55:56]
	v_rcp_f64_e32 v[57:58], v[53:54]
	v_fma_f64 v[37:38], v[47:48], v[41:42], v[37:38]
	v_add_f64 v[41:42], v[55:56], v[37:38]
	v_fma_f64 v[67:68], -v[53:54], v[57:58], 1.0
	v_add_f64 v[69:70], v[49:50], -v[41:42]
	v_add_f64 v[43:44], v[41:42], -v[55:56]
	v_fma_f64 v[57:58], v[57:58], v[67:68], v[57:58]
	v_div_scale_f64 v[67:68], vcc, v[45:46], v[51:52], v[45:46]
	v_add_f64 v[49:50], v[49:50], -v[69:70]
	v_add_f64 v[37:38], v[43:44], -v[37:38]
	v_fma_f64 v[71:72], -v[53:54], v[57:58], 1.0
	v_add_f64 v[43:44], v[35:36], v[47:48]
	v_add_f64 v[41:42], v[49:50], -v[41:42]
	v_fma_f64 v[49:50], v[57:58], v[71:72], v[57:58]
	v_add_f64 v[35:36], v[43:44], -v[35:36]
	v_add_f64 v[39:40], v[39:40], v[41:42]
	v_mul_f64 v[41:42], v[67:68], v[49:50]
	v_add_f64 v[35:36], v[47:48], -v[35:36]
	v_add_f64 v[37:38], v[37:38], v[39:40]
	v_fma_f64 v[39:40], -v[53:54], v[41:42], v[67:68]
	v_add_f64 v[37:38], v[69:70], v[37:38]
	v_div_fmas_f64 v[39:40], v[39:40], v[49:50], v[41:42]
	v_cmp_gt_i32_e32 vcc, 0, v14
	v_mul_f64 v[33:34], v[33:34], v[37:38]
	v_add_f64 v[33:34], v[35:36], v[33:34]
	v_div_fixup_f64 v[35:36], v[39:40], v[51:52], v[45:46]
	v_add_f64 v[37:38], v[43:44], v[33:34]
	v_mul_f64 v[39:40], v[35:36], v[35:36]
	v_mul_f64 v[41:42], v[37:38], v[37:38]
	v_fma_f64 v[45:46], v[39:40], s[16:17], v[21:22]
	v_cmp_class_f64_e64 s[16:17], v[13:14], s44
	v_fma_f64 v[47:48], v[41:42], s[24:25], v[19:20]
	v_mul_f64 v[49:50], v[37:38], v[41:42]
	v_fma_f64 v[45:46], v[39:40], v[45:46], s[20:21]
	v_fma_f64 v[47:48], v[41:42], v[47:48], s[26:27]
	;; [unrolled: 1-line block ×3, first 2 shown]
	v_cmp_eq_f64_e64 s[2:3], 0, v[15:16]
	v_fma_f64 v[47:48], v[41:42], v[47:48], s[28:29]
	v_fma_f64 v[45:46], v[39:40], v[45:46], s[46:47]
	v_fma_f64 v[47:48], v[41:42], v[47:48], s[30:31]
	v_fma_f64 v[45:46], v[39:40], v[45:46], s[48:49]
	v_fma_f64 v[47:48], v[41:42], v[47:48], s[34:35]
	v_fma_f64 v[45:46], v[39:40], v[45:46], s[50:51]
	v_fma_f64 v[41:42], v[41:42], v[47:48], s[90:91]
	v_ldexp_f64 v[47:48], v[37:38], 1
	v_fma_f64 v[45:46], v[39:40], v[45:46], s[52:53]
	v_add_f64 v[37:38], v[37:38], -v[43:44]
	v_mul_f64 v[41:42], v[49:50], v[41:42]
	v_cvt_f64_i32_e32 v[49:50], v7
	v_fma_f64 v[45:46], v[39:40], v[45:46], s[40:41]
	v_add_f64 v[33:34], v[33:34], -v[37:38]
	v_cndmask_b32_e32 v7, v63, v64, vcc
	v_mul_f64 v[51:52], v[49:50], s[36:37]
	v_add_f64 v[43:44], v[47:48], v[41:42]
	v_fma_f64 v[45:46], v[39:40], v[45:46], s[56:57]
	v_ldexp_f64 v[33:34], v[33:34], 1
	v_add_f64 v[37:38], v[43:44], -v[47:48]
	v_fma_f64 v[47:48], v[49:50], s[36:37], -v[51:52]
	v_fma_f64 v[45:46], v[39:40], v[45:46], s[58:59]
	v_add_f64 v[37:38], v[41:42], -v[37:38]
	v_fma_f64 v[41:42], v[39:40], v[45:46], s[60:61]
	v_fma_f64 v[45:46], v[49:50], s[38:39], v[47:48]
	v_add_f64 v[33:34], v[33:34], v[37:38]
	v_fma_f64 v[37:38], v[39:40], v[41:42], s[62:63]
	v_add_f64 v[41:42], v[51:52], v[45:46]
	v_add_f64 v[47:48], v[43:44], v[33:34]
	v_fma_f64 v[37:38], v[39:40], v[37:38], s[64:65]
	v_add_f64 v[51:52], v[41:42], -v[51:52]
	v_add_f64 v[49:50], v[41:42], v[47:48]
	v_add_f64 v[43:44], v[47:48], -v[43:44]
	v_fma_f64 v[37:38], v[39:40], v[37:38], s[66:67]
	v_add_f64 v[45:46], v[45:46], -v[51:52]
	v_add_f64 v[53:54], v[49:50], -v[41:42]
	;; [unrolled: 1-line block ×3, first 2 shown]
	v_fma_f64 v[37:38], v[39:40], v[37:38], s[68:69]
	v_add_f64 v[55:56], v[49:50], -v[53:54]
	v_add_f64 v[43:44], v[47:48], -v[53:54]
	v_fma_f64 v[37:38], v[39:40], v[37:38], s[70:71]
	v_add_f64 v[47:48], v[45:46], v[33:34]
	v_add_f64 v[41:42], v[41:42], -v[55:56]
	v_fma_f64 v[37:38], v[39:40], v[37:38], s[72:73]
	v_add_f64 v[41:42], v[43:44], v[41:42]
	v_add_f64 v[43:44], v[47:48], -v[45:46]
	v_fma_f64 v[37:38], v[39:40], v[37:38], s[74:75]
	v_add_f64 v[41:42], v[47:48], v[41:42]
	v_add_f64 v[47:48], v[47:48], -v[43:44]
	v_fma_f64 v[37:38], v[39:40], v[37:38], s[76:77]
	v_add_f64 v[33:34], v[33:34], -v[43:44]
	v_add_f64 v[51:52], v[49:50], v[41:42]
	v_mul_f64 v[37:38], v[39:40], v[37:38]
	v_add_f64 v[39:40], v[45:46], -v[47:48]
	v_add_f64 v[43:44], v[51:52], -v[49:50]
	v_fma_f64 v[35:36], v[35:36], v[37:38], v[35:36]
	v_add_f64 v[33:34], v[33:34], v[39:40]
	v_add_f64 v[37:38], v[41:42], -v[43:44]
	v_add_f64 v[39:40], -v[35:36], s[80:81]
	v_add_f64 v[33:34], v[33:34], v[37:38]
	v_cndmask_b32_e64 v36, v36, v40, s[0:1]
	v_cndmask_b32_e64 v35, v35, v39, s[0:1]
	v_add_f64 v[37:38], -v[35:36], s[78:79]
	v_add_f64 v[33:34], v[51:52], v[33:34]
	v_cndmask_b32_e32 v35, v35, v37, vcc
	v_cndmask_b32_e32 v37, v65, v66, vcc
	;; [unrolled: 1-line block ×3, first 2 shown]
	v_bfi_b32 v9, s42, v37, v16
	v_mul_f64 v[13:14], v[33:34], 0.5
	v_cndmask_b32_e64 v18, v35, v18, s[2:3]
	v_cndmask_b32_e64 v10, v10, v11, s[2:3]
	s_and_b64 vcc, s[16:17], s[4:5]
	s_mov_b32 s16, 0xb5e68a13
	s_mov_b32 s17, 0x3eeba404
	v_cndmask_b32_e32 v10, v10, v9, vcc
	v_cndmask_b32_e32 v9, v18, v7, vcc
	v_cndmask_b32_e64 v34, v60, v14, s[6:7]
	v_cndmask_b32_e64 v33, 0, v13, s[6:7]
                                        ; implicit-def: $vgpr37_vgpr38
.LBB179_94:                             ;   in Loop: Header=BB179_5 Depth=1
	s_andn2_saveexec_b64 s[6:7], s[10:11]
	s_cbranch_execz .LBB179_96
; %bb.95:                               ;   in Loop: Header=BB179_5 Depth=1
	v_max_f64 v[9:10], |v[15:16]|, |v[15:16]|
	v_max_f64 v[33:34], |v[13:14]|, |v[13:14]|
	s_mov_b32 s78, s80
	v_cmp_class_f64_e64 s[4:5], v[15:16], s44
	v_cmp_class_f64_e64 s[10:11], v[13:14], s44
	v_ashrrev_i32_e32 v7, 31, v14
	v_and_b32_e32 v18, 0x54442d18, v7
	v_and_b32_e32 v7, 0x400921fb, v7
	v_max_f64 v[35:36], v[33:34], v[9:10]
	v_min_f64 v[9:10], v[33:34], v[9:10]
	v_div_scale_f64 v[33:34], s[2:3], v[35:36], v[35:36], v[9:10]
	s_mov_b32 s2, 0xaf56de9b
	s_mov_b32 s3, 0xbf67952d
	v_rcp_f64_e32 v[39:40], v[33:34]
	v_fma_f64 v[41:42], -v[33:34], v[39:40], 1.0
	v_fma_f64 v[39:40], v[39:40], v[41:42], v[39:40]
	v_div_scale_f64 v[41:42], vcc, v[9:10], v[35:36], v[9:10]
	v_fma_f64 v[43:44], -v[33:34], v[39:40], 1.0
	v_fma_f64 v[39:40], v[39:40], v[43:44], v[39:40]
	v_mul_f64 v[43:44], v[41:42], v[39:40]
	v_fma_f64 v[33:34], -v[33:34], v[43:44], v[41:42]
	v_div_fmas_f64 v[33:34], v[33:34], v[39:40], v[43:44]
	v_mul_f64 v[39:40], v[37:38], 0.5
	v_cmp_gt_i32_e32 vcc, 0, v14
	v_cndmask_b32_e32 v13, v65, v66, vcc
	v_cndmask_b32_e32 v11, v63, v64, vcc
	v_bfi_b32 v13, s42, v13, v16
	v_div_fixup_f64 v[9:10], v[33:34], v[35:36], v[9:10]
	v_mul_f64 v[33:34], v[9:10], v[9:10]
	v_fma_f64 v[35:36], v[33:34], s[16:17], v[21:22]
	v_fma_f64 v[35:36], v[33:34], v[35:36], s[20:21]
	;; [unrolled: 1-line block ×3, first 2 shown]
	v_cmp_eq_f64_e64 s[2:3], 0, v[15:16]
	v_fma_f64 v[35:36], v[33:34], v[35:36], s[46:47]
	v_fma_f64 v[35:36], v[33:34], v[35:36], s[48:49]
	;; [unrolled: 1-line block ×16, first 2 shown]
	v_mul_f64 v[33:34], v[33:34], v[35:36]
	v_fma_f64 v[9:10], v[9:10], v[33:34], v[9:10]
	v_add_f64 v[33:34], -v[9:10], s[80:81]
	v_cndmask_b32_e64 v10, v10, v34, s[0:1]
	v_cndmask_b32_e64 v9, v9, v33, s[0:1]
	v_add_f64 v[34:35], -v[9:10], s[78:79]
	v_cndmask_b32_e32 v9, v9, v34, vcc
	v_mul_f64 v[33:34], v[37:38], v[39:40]
	v_cndmask_b32_e32 v10, v10, v35, vcc
	v_cndmask_b32_e64 v9, v9, v18, s[2:3]
	v_cndmask_b32_e64 v7, v10, v7, s[2:3]
	s_and_b64 vcc, s[10:11], s[4:5]
	v_cndmask_b32_e32 v10, v7, v13, vcc
	v_cndmask_b32_e32 v9, v9, v11, vcc
.LBB179_96:                             ;   in Loop: Header=BB179_5 Depth=1
	s_or_b64 exec, exec, s[6:7]
.LBB179_97:                             ;   in Loop: Header=BB179_5 Depth=1
	s_or_b64 exec, exec, s[8:9]
.LBB179_98:                             ;   in Loop: Header=BB179_5 Depth=1
	s_andn2_saveexec_b64 s[6:7], s[92:93]
	s_cbranch_execz .LBB179_100
; %bb.99:                               ;   in Loop: Header=BB179_5 Depth=1
	v_div_scale_f64 v[9:10], s[2:3], s[84:85], s[84:85], v[13:14]
	v_div_scale_f64 v[33:34], s[2:3], s[84:85], s[84:85], v[15:16]
	;; [unrolled: 1-line block ×3, first 2 shown]
	s_mov_b32 s91, s23
	s_mov_b32 s78, s80
	v_cmp_class_f64_e64 s[8:9], v[13:14], s44
	v_rcp_f64_e32 v[35:36], v[9:10]
	v_rcp_f64_e32 v[37:38], v[33:34]
	v_fma_f64 v[39:40], -v[9:10], v[35:36], 1.0
	v_fma_f64 v[41:42], -v[33:34], v[37:38], 1.0
	v_fma_f64 v[35:36], v[35:36], v[39:40], v[35:36]
	v_div_scale_f64 v[39:40], vcc, v[13:14], s[84:85], v[13:14]
	v_fma_f64 v[37:38], v[37:38], v[41:42], v[37:38]
	v_fma_f64 v[41:42], -v[9:10], v[35:36], 1.0
	v_fma_f64 v[45:46], -v[33:34], v[37:38], 1.0
	v_fma_f64 v[35:36], v[35:36], v[41:42], v[35:36]
	v_fma_f64 v[37:38], v[37:38], v[45:46], v[37:38]
	v_mul_f64 v[41:42], v[39:40], v[35:36]
	v_mul_f64 v[45:46], v[43:44], v[37:38]
	v_fma_f64 v[9:10], -v[9:10], v[41:42], v[39:40]
	v_fma_f64 v[33:34], -v[33:34], v[45:46], v[43:44]
	v_div_fmas_f64 v[9:10], v[9:10], v[35:36], v[41:42]
	s_mov_b64 vcc, s[2:3]
	v_div_fmas_f64 v[33:34], v[33:34], v[37:38], v[45:46]
	v_max_f64 v[44:45], |v[13:14]|, |v[13:14]|
	v_div_fixup_f64 v[9:10], v[9:10], s[84:85], v[13:14]
	v_div_fixup_f64 v[33:34], v[33:34], s[84:85], v[15:16]
	v_cmp_class_f64_e64 s[2:3], v[9:10], s44
	v_max_f64 v[35:36], |v[9:10]|, |v[33:34]|
	v_cmp_class_f64_e64 s[4:5], v[33:34], s44
	v_frexp_exp_i32_f64_e32 v7, v[35:36]
	v_sub_u32_e32 v11, 0, v7
	v_ldexp_f64 v[35:36], |v[33:34]|, v11
	v_ldexp_f64 v[37:38], |v[9:10]|, v11
	v_ashrrev_i32_e32 v11, 31, v14
	v_mul_f64 v[35:36], v[35:36], v[35:36]
	v_fma_f64 v[35:36], v[37:38], v[37:38], v[35:36]
	v_rsq_f64_e32 v[37:38], v[35:36]
	v_cmp_eq_f64_e32 vcc, 0, v[35:36]
	v_mul_f64 v[39:40], v[35:36], v[37:38]
	v_mul_f64 v[37:38], v[37:38], 0.5
	v_fma_f64 v[41:42], -v[37:38], v[39:40], 0.5
	v_fma_f64 v[39:40], v[39:40], v[41:42], v[39:40]
	v_fma_f64 v[37:38], v[37:38], v[41:42], v[37:38]
	v_fma_f64 v[41:42], -v[39:40], v[39:40], v[35:36]
	v_fma_f64 v[37:38], v[41:42], v[37:38], v[39:40]
	v_max_f64 v[42:43], |v[15:16]|, |v[15:16]|
	v_cndmask_b32_e32 v36, v38, v36, vcc
	v_cndmask_b32_e32 v35, v37, v35, vcc
	v_ldexp_f64 v[35:36], v[35:36], v7
	v_cmp_o_f64_e32 vcc, v[9:10], v[33:34]
	v_and_b32_e32 v33, 0x54442d18, v11
	v_and_b32_e32 v11, 0x400921fb, v11
	v_cndmask_b32_e32 v7, 0, v35, vcc
	v_cndmask_b32_e32 v9, v61, v36, vcc
	s_or_b64 vcc, s[2:3], s[4:5]
	v_cndmask_b32_e32 v35, v9, v60, vcc
	v_cndmask_b32_e64 v34, v7, 0, vcc
	v_frexp_mant_f64_e32 v[9:10], v[34:35]
	v_cmp_gt_f64_e64 s[2:3], s[22:23], v[9:10]
	v_cndmask_b32_e64 v7, 0, 1, s[2:3]
	v_ldexp_f64 v[9:10], v[9:10], v7
	v_frexp_exp_i32_f64_e32 v7, v[34:35]
	v_add_f64 v[36:37], v[9:10], 1.0
	v_add_f64 v[48:49], v[9:10], -1.0
	v_rcp_f64_e32 v[38:39], v[36:37]
	v_add_f64 v[52:53], v[36:37], -1.0
	v_add_f64 v[9:10], v[9:10], -v[52:53]
	v_fma_f64 v[40:41], -v[36:37], v[38:39], 1.0
	v_fma_f64 v[38:39], v[40:41], v[38:39], v[38:39]
	v_max_f64 v[40:41], v[44:45], v[42:43]
	v_min_f64 v[42:43], v[44:45], v[42:43]
	v_fma_f64 v[44:45], -v[36:37], v[38:39], 1.0
	v_div_scale_f64 v[46:47], s[4:5], v[40:41], v[40:41], v[42:43]
	s_mov_b32 s4, 0xaf56de9b
	s_mov_b32 s5, 0xbf67952d
	v_fma_f64 v[38:39], v[44:45], v[38:39], v[38:39]
	v_mul_f64 v[44:45], v[48:49], v[38:39]
	v_rcp_f64_e32 v[50:51], v[46:47]
	v_mul_f64 v[54:55], v[36:37], v[44:45]
	v_fma_f64 v[36:37], v[44:45], v[36:37], -v[54:55]
	v_fma_f64 v[52:53], -v[46:47], v[50:51], 1.0
	v_fma_f64 v[9:10], v[44:45], v[9:10], v[36:37]
	v_fma_f64 v[36:37], v[50:51], v[52:53], v[50:51]
	v_div_scale_f64 v[52:53], vcc, v[42:43], v[40:41], v[42:43]
	v_add_f64 v[50:51], v[54:55], v[9:10]
	v_fma_f64 v[56:57], -v[46:47], v[36:37], 1.0
	v_add_f64 v[67:68], v[48:49], -v[50:51]
	v_add_f64 v[54:55], v[50:51], -v[54:55]
	v_fma_f64 v[36:37], v[36:37], v[56:57], v[36:37]
	v_add_f64 v[48:49], v[48:49], -v[67:68]
	v_add_f64 v[9:10], v[54:55], -v[9:10]
	v_mul_f64 v[56:57], v[52:53], v[36:37]
	v_add_f64 v[48:49], v[48:49], -v[50:51]
	v_fma_f64 v[46:47], -v[46:47], v[56:57], v[52:53]
	v_add_f64 v[9:10], v[9:10], v[48:49]
	v_div_fmas_f64 v[36:37], v[46:47], v[36:37], v[56:57]
	v_subbrev_co_u32_e64 v7, vcc, 0, v7, s[2:3]
	v_cmp_eq_f64_e64 s[2:3], 0, v[15:16]
	v_cmp_gt_i32_e32 vcc, 0, v14
	v_cndmask_b32_e32 v18, v65, v66, vcc
	v_add_f64 v[9:10], v[67:68], v[9:10]
	v_mul_f64 v[9:10], v[38:39], v[9:10]
	v_div_fixup_f64 v[36:37], v[36:37], v[40:41], v[42:43]
	v_add_f64 v[38:39], v[44:45], v[9:10]
	v_mul_f64 v[40:41], v[36:37], v[36:37]
	v_mul_f64 v[42:43], v[38:39], v[38:39]
	v_fma_f64 v[46:47], v[40:41], s[16:17], v[21:22]
	v_fma_f64 v[48:49], v[42:43], s[24:25], v[19:20]
	v_mul_f64 v[50:51], v[38:39], v[42:43]
	v_fma_f64 v[46:47], v[40:41], v[46:47], s[20:21]
	v_fma_f64 v[48:49], v[42:43], v[48:49], s[26:27]
	;; [unrolled: 1-line block ×3, first 2 shown]
	v_cmp_class_f64_e64 s[4:5], v[15:16], s44
	v_fma_f64 v[48:49], v[42:43], v[48:49], s[28:29]
	v_fma_f64 v[46:47], v[40:41], v[46:47], s[46:47]
	;; [unrolled: 1-line block ×7, first 2 shown]
	v_ldexp_f64 v[48:49], v[38:39], 1
	v_fma_f64 v[46:47], v[40:41], v[46:47], s[52:53]
	v_add_f64 v[38:39], v[38:39], -v[44:45]
	v_mul_f64 v[42:43], v[50:51], v[42:43]
	v_cvt_f64_i32_e32 v[50:51], v7
	v_fma_f64 v[46:47], v[40:41], v[46:47], s[40:41]
	v_add_f64 v[9:10], v[9:10], -v[38:39]
	v_cndmask_b32_e32 v7, v63, v64, vcc
	v_mul_f64 v[52:53], v[50:51], s[36:37]
	v_add_f64 v[44:45], v[48:49], v[42:43]
	v_fma_f64 v[46:47], v[40:41], v[46:47], s[56:57]
	v_ldexp_f64 v[9:10], v[9:10], 1
	v_add_f64 v[38:39], v[44:45], -v[48:49]
	v_fma_f64 v[48:49], v[50:51], s[36:37], -v[52:53]
	v_fma_f64 v[46:47], v[40:41], v[46:47], s[58:59]
	v_add_f64 v[38:39], v[42:43], -v[38:39]
	v_fma_f64 v[42:43], v[40:41], v[46:47], s[60:61]
	v_fma_f64 v[46:47], v[50:51], s[38:39], v[48:49]
	v_add_f64 v[9:10], v[9:10], v[38:39]
	v_fma_f64 v[38:39], v[40:41], v[42:43], s[62:63]
	v_add_f64 v[42:43], v[52:53], v[46:47]
	v_add_f64 v[48:49], v[44:45], v[9:10]
	v_fma_f64 v[38:39], v[40:41], v[38:39], s[64:65]
	v_add_f64 v[52:53], v[42:43], -v[52:53]
	v_add_f64 v[50:51], v[42:43], v[48:49]
	v_add_f64 v[44:45], v[48:49], -v[44:45]
	v_fma_f64 v[38:39], v[40:41], v[38:39], s[66:67]
	v_add_f64 v[46:47], v[46:47], -v[52:53]
	v_add_f64 v[54:55], v[50:51], -v[42:43]
	;; [unrolled: 1-line block ×3, first 2 shown]
	v_fma_f64 v[38:39], v[40:41], v[38:39], s[68:69]
	v_add_f64 v[56:57], v[50:51], -v[54:55]
	v_add_f64 v[44:45], v[48:49], -v[54:55]
	v_fma_f64 v[38:39], v[40:41], v[38:39], s[70:71]
	v_add_f64 v[48:49], v[46:47], v[9:10]
	v_add_f64 v[42:43], v[42:43], -v[56:57]
	v_fma_f64 v[38:39], v[40:41], v[38:39], s[72:73]
	v_add_f64 v[42:43], v[44:45], v[42:43]
	;; [unrolled: 3-line block ×3, first 2 shown]
	v_add_f64 v[48:49], v[48:49], -v[44:45]
	v_fma_f64 v[38:39], v[40:41], v[38:39], s[76:77]
	v_add_f64 v[9:10], v[9:10], -v[44:45]
	v_add_f64 v[52:53], v[50:51], v[42:43]
	v_mul_f64 v[38:39], v[40:41], v[38:39]
	v_add_f64 v[40:41], v[46:47], -v[48:49]
	v_add_f64 v[44:45], v[52:53], -v[50:51]
	v_fma_f64 v[36:37], v[36:37], v[38:39], v[36:37]
	v_add_f64 v[9:10], v[9:10], v[40:41]
	v_add_f64 v[38:39], v[42:43], -v[44:45]
	v_add_f64 v[40:41], -v[36:37], s[80:81]
	v_add_f64 v[9:10], v[9:10], v[38:39]
	v_cndmask_b32_e64 v37, v37, v41, s[0:1]
	v_cndmask_b32_e64 v36, v36, v40, s[0:1]
	v_cmp_class_f64_e64 s[0:1], v[34:35], s44
	v_add_f64 v[38:39], -v[36:37], s[78:79]
	v_add_f64 v[9:10], v[52:53], v[9:10]
	v_cndmask_b32_e32 v36, v36, v38, vcc
	v_cndmask_b32_e64 v10, v10, v35, s[0:1]
	v_cndmask_b32_e64 v9, v9, v34, s[0:1]
	v_add_f64 v[13:14], v[9:10], 1.0
	v_cmp_ngt_f64_e64 s[0:1], 0, v[34:35]
	v_cndmask_b32_e32 v10, v37, v39, vcc
	v_bfi_b32 v9, s42, v18, v16
	v_cndmask_b32_e64 v10, v10, v11, s[2:3]
	s_and_b64 vcc, s[8:9], s[4:5]
	v_cndmask_b32_e32 v10, v10, v9, vcc
	v_cndmask_b32_e64 v18, v36, v33, s[2:3]
	v_cndmask_b32_e64 v9, v61, v14, s[0:1]
	v_cmp_nge_f64_e64 s[0:1], 0, v[34:35]
	v_cndmask_b32_e64 v33, 0, v13, s[0:1]
	v_cmp_neq_f64_e64 s[0:1], 0, v[34:35]
	v_cndmask_b32_e64 v34, v62, v9, s[0:1]
	v_cndmask_b32_e32 v9, v18, v7, vcc
.LBB179_100:                            ;   in Loop: Header=BB179_5 Depth=1
	s_or_b64 exec, exec, s[6:7]
.LBB179_101:                            ;   in Loop: Header=BB179_5 Depth=1
	s_andn2_saveexec_b64 s[0:1], s[14:15]
	s_cbranch_execz .LBB179_107
; %bb.102:                              ;   in Loop: Header=BB179_5 Depth=1
	v_cmp_nlt_f64_e64 s[2:3], |v[13:14]|, s[94:95]
	v_cmp_nlt_f64_e64 s[4:5], |v[15:16]|, s[94:95]
                                        ; implicit-def: $vgpr34_vgpr35
	s_or_b64 s[2:3], s[2:3], s[4:5]
	s_and_saveexec_b64 s[4:5], s[2:3]
	s_xor_b64 s[2:3], exec, s[4:5]
	s_cbranch_execz .LBB179_104
; %bb.103:                              ;   in Loop: Header=BB179_5 Depth=1
	v_mul_f64 v[9:10], v[15:16], v[15:16]
	v_fma_f64 v[34:35], v[13:14], v[13:14], v[9:10]
.LBB179_104:                            ;   in Loop: Header=BB179_5 Depth=1
	s_andn2_saveexec_b64 s[2:3], s[2:3]
	s_cbranch_execz .LBB179_106
; %bb.105:                              ;   in Loop: Header=BB179_5 Depth=1
	v_mul_f64 v[9:10], v[15:16], 4.0
	v_mul_f64 v[13:14], v[13:14], 4.0
	v_mul_f64 v[9:10], v[9:10], v[9:10]
	v_fma_f64 v[9:10], v[13:14], v[13:14], v[9:10]
	v_ldexp_f64 v[34:35], v[9:10], -4
.LBB179_106:                            ;   in Loop: Header=BB179_5 Depth=1
	s_or_b64 exec, exec, s[2:3]
	v_frexp_mant_f64_e32 v[9:10], v[34:35]
	s_mov_b32 s91, s23
	v_cmp_gt_f64_e32 vcc, s[22:23], v[9:10]
	v_cndmask_b32_e64 v7, 0, 1, vcc
	v_ldexp_f64 v[9:10], v[9:10], v7
	v_frexp_exp_i32_f64_e32 v7, v[34:35]
	v_add_f64 v[13:14], v[9:10], 1.0
	v_add_f64 v[40:41], v[9:10], -1.0
	v_subbrev_co_u32_e32 v7, vcc, 0, v7, vcc
	v_cmp_class_f64_e64 vcc, v[34:35], s44
	v_rcp_f64_e32 v[36:37], v[13:14]
	v_add_f64 v[42:43], v[13:14], -1.0
	v_add_f64 v[9:10], v[9:10], -v[42:43]
	v_fma_f64 v[38:39], -v[13:14], v[36:37], 1.0
	v_fma_f64 v[36:37], v[38:39], v[36:37], v[36:37]
	v_fma_f64 v[38:39], -v[13:14], v[36:37], 1.0
	v_fma_f64 v[36:37], v[38:39], v[36:37], v[36:37]
	v_mul_f64 v[38:39], v[40:41], v[36:37]
	v_mul_f64 v[44:45], v[13:14], v[38:39]
	v_fma_f64 v[13:14], v[38:39], v[13:14], -v[44:45]
	v_fma_f64 v[9:10], v[38:39], v[9:10], v[13:14]
	v_add_f64 v[13:14], v[44:45], v[9:10]
	v_add_f64 v[42:43], v[40:41], -v[13:14]
	v_add_f64 v[44:45], v[13:14], -v[44:45]
	;; [unrolled: 1-line block ×5, first 2 shown]
	v_add_f64 v[9:10], v[9:10], v[13:14]
	v_add_f64 v[9:10], v[42:43], v[9:10]
	v_mul_f64 v[9:10], v[36:37], v[9:10]
	v_add_f64 v[13:14], v[38:39], v[9:10]
	v_mul_f64 v[36:37], v[13:14], v[13:14]
	v_fma_f64 v[40:41], v[36:37], s[24:25], v[19:20]
	v_mul_f64 v[42:43], v[13:14], v[36:37]
	v_fma_f64 v[40:41], v[36:37], v[40:41], s[26:27]
	v_fma_f64 v[40:41], v[36:37], v[40:41], s[28:29]
	;; [unrolled: 1-line block ×5, first 2 shown]
	v_ldexp_f64 v[40:41], v[13:14], 1
	v_add_f64 v[13:14], v[13:14], -v[38:39]
	v_mul_f64 v[36:37], v[42:43], v[36:37]
	v_cvt_f64_i32_e32 v[42:43], v7
	v_add_f64 v[9:10], v[9:10], -v[13:14]
	v_mul_f64 v[44:45], v[42:43], s[36:37]
	v_add_f64 v[38:39], v[40:41], v[36:37]
	v_ldexp_f64 v[9:10], v[9:10], 1
	v_add_f64 v[13:14], v[38:39], -v[40:41]
	v_fma_f64 v[40:41], v[42:43], s[36:37], -v[44:45]
	v_add_f64 v[13:14], v[36:37], -v[13:14]
	v_fma_f64 v[36:37], v[42:43], s[38:39], v[40:41]
	v_add_f64 v[9:10], v[9:10], v[13:14]
	v_add_f64 v[13:14], v[44:45], v[36:37]
	;; [unrolled: 1-line block ×3, first 2 shown]
	v_add_f64 v[44:45], v[13:14], -v[44:45]
	v_add_f64 v[42:43], v[13:14], v[40:41]
	v_add_f64 v[38:39], v[40:41], -v[38:39]
	v_add_f64 v[36:37], v[36:37], -v[44:45]
	;; [unrolled: 1-line block ×6, first 2 shown]
	v_add_f64 v[40:41], v[36:37], v[9:10]
	v_add_f64 v[13:14], v[13:14], -v[48:49]
	v_add_f64 v[13:14], v[38:39], v[13:14]
	v_add_f64 v[38:39], v[40:41], -v[36:37]
	;; [unrolled: 2-line block ×3, first 2 shown]
	v_add_f64 v[9:10], v[9:10], -v[38:39]
	v_add_f64 v[44:45], v[42:43], v[13:14]
	v_add_f64 v[36:37], v[36:37], -v[40:41]
	v_add_f64 v[38:39], v[44:45], -v[42:43]
	v_add_f64 v[9:10], v[9:10], v[36:37]
	v_add_f64 v[13:14], v[13:14], -v[38:39]
	v_add_f64 v[9:10], v[9:10], v[13:14]
	v_add_f64 v[13:14], v[44:45], v[9:10]
	v_mov_b32_e32 v9, 0
	v_mov_b32_e32 v10, 0x7ff80000
	v_cndmask_b32_e32 v7, v13, v34, vcc
	v_cndmask_b32_e32 v11, v14, v35, vcc
	v_cmp_ngt_f64_e32 vcc, 0, v[34:35]
	v_cndmask_b32_e32 v11, v61, v11, vcc
	v_cmp_nge_f64_e32 vcc, 0, v[34:35]
	v_cndmask_b32_e32 v33, 0, v7, vcc
	v_cmp_neq_f64_e32 vcc, 0, v[34:35]
	v_cndmask_b32_e32 v34, v62, v11, vcc
.LBB179_107:                            ;   in Loop: Header=BB179_5 Depth=1
	s_or_b64 exec, exec, s[0:1]
	v_cmp_o_f64_e32 vcc, v[1:2], v[3:4]
                                        ; implicit-def: $vgpr37_vgpr38
                                        ; implicit-def: $vgpr35_vgpr36
	s_and_saveexec_b64 s[0:1], vcc
	s_xor_b64 s[14:15], exec, s[0:1]
	s_cbranch_execz .LBB179_135
; %bb.108:                              ;   in Loop: Header=BB179_5 Depth=1
	v_cmp_lt_f64_e64 s[0:1], |v[1:2]|, |v[3:4]|
	v_and_b32_e32 v7, 0x7fffffff, v2
	v_and_b32_e32 v11, 0x7fffffff, v4
	s_mov_b32 s2, 0x85ebc8a0
	s_mov_b32 s3, 0x7fd1ccf3
	v_mov_b32_e32 v13, v3
                                        ; implicit-def: $vgpr37_vgpr38
                                        ; implicit-def: $vgpr35_vgpr36
	v_cndmask_b32_e64 v40, v11, v7, s[0:1]
	v_cndmask_b32_e64 v39, v3, v1, s[0:1]
	v_cmp_nlt_f64_e32 vcc, s[2:3], v[39:40]
	s_and_saveexec_b64 s[2:3], vcc
	s_xor_b64 s[92:93], exec, s[2:3]
	s_cbranch_execz .LBB179_132
; %bb.109:                              ;   in Loop: Header=BB179_5 Depth=1
	v_cndmask_b32_e64 v42, v7, v11, s[0:1]
	v_cndmask_b32_e64 v41, v1, v13, s[0:1]
	v_cmp_neq_f64_e32 vcc, 1.0, v[41:42]
                                        ; implicit-def: $vgpr37_vgpr38
                                        ; implicit-def: $vgpr35_vgpr36
	s_and_saveexec_b64 s[2:3], vcc
	s_xor_b64 s[18:19], exec, s[2:3]
	s_cbranch_execz .LBB179_125
; %bb.110:                              ;   in Loop: Header=BB179_5 Depth=1
	v_max_f64 v[13:14], v[39:40], v[39:40]
	v_max_f64 v[35:36], v[41:42], v[41:42]
	s_mov_b32 s2, 0x4ad4b81f
	s_mov_b32 s3, 0x358dee7a
	v_min_f64 v[37:38], v[35:36], v[13:14]
	v_max_f64 v[13:14], v[35:36], v[13:14]
                                        ; implicit-def: $vgpr35_vgpr36
	v_cmp_ngt_f64_e32 vcc, s[2:3], v[37:38]
	s_mov_b32 s2, 0xc57e649a
	s_mov_b32 s3, 0x4a511b0e
	v_cmp_nlt_f64_e64 s[2:3], s[2:3], v[13:14]
                                        ; implicit-def: $vgpr37_vgpr38
	s_and_b64 s[2:3], s[2:3], vcc
	s_and_saveexec_b64 s[4:5], s[2:3]
	s_xor_b64 s[20:21], exec, s[4:5]
	s_cbranch_execz .LBB179_122
; %bb.111:                              ;   in Loop: Header=BB179_5 Depth=1
	v_cmp_le_f64_e32 vcc, 1.0, v[41:42]
                                        ; implicit-def: $vgpr37_vgpr38
                                        ; implicit-def: $vgpr35_vgpr36
	s_and_saveexec_b64 s[2:3], vcc
	s_xor_b64 s[10:11], exec, s[2:3]
	s_cbranch_execz .LBB179_113
; %bb.112:                              ;   in Loop: Header=BB179_5 Depth=1
	v_add_f64 v[13:14], v[41:42], -1.0
	v_add_f64 v[35:36], v[41:42], 1.0
	s_mov_b32 s91, s23
	s_mov_b32 s78, s80
	;; [unrolled: 1-line block ×4, first 2 shown]
	v_cmp_class_f64_e64 s[4:5], v[3:4], s44
	v_mul_f64 v[13:14], v[13:14], v[35:36]
	v_fma_f64 v[13:14], v[39:40], v[39:40], v[13:14]
	v_add_f64 v[35:36], v[13:14], 1.0
	v_cmp_nge_f64_e64 s[6:7], -1.0, v[13:14]
	v_cmp_neq_f64_e64 s[8:9], s[8:9], v[13:14]
	v_frexp_mant_f64_e32 v[39:40], v[35:36]
	v_frexp_exp_i32_f64_e32 v7, v[35:36]
	v_add_f64 v[37:38], v[35:36], -1.0
	v_cmp_gt_f64_e32 vcc, s[22:23], v[39:40]
	v_add_f64 v[41:42], v[37:38], -v[35:36]
	v_add_f64 v[37:38], v[13:14], -v[37:38]
	v_subbrev_co_u32_e32 v7, vcc, 0, v7, vcc
	v_sub_u32_e32 v11, 0, v7
	v_ldexp_f64 v[35:36], v[35:36], v11
	v_add_f64 v[39:40], v[41:42], 1.0
	v_add_f64 v[41:42], v[35:36], 1.0
	v_add_f64 v[37:38], v[37:38], v[39:40]
	v_add_f64 v[47:48], v[35:36], -1.0
	v_add_f64 v[39:40], v[41:42], -1.0
	v_ldexp_f64 v[37:38], v[37:38], v11
	v_add_f64 v[49:50], v[47:48], 1.0
	v_add_f64 v[39:40], v[35:36], -v[39:40]
	v_add_f64 v[35:36], v[35:36], -v[49:50]
	v_add_f64 v[43:44], v[37:38], v[39:40]
	v_add_f64 v[49:50], v[37:38], v[35:36]
	;; [unrolled: 1-line block ×3, first 2 shown]
	v_rcp_f64_e32 v[45:46], v[39:40]
	v_add_f64 v[41:42], v[39:40], -v[41:42]
	v_add_f64 v[43:44], v[43:44], -v[41:42]
	v_fma_f64 v[51:52], -v[39:40], v[45:46], 1.0
	v_fma_f64 v[45:46], v[51:52], v[45:46], v[45:46]
	v_add_f64 v[51:52], v[47:48], v[49:50]
	v_fma_f64 v[35:36], -v[39:40], v[45:46], 1.0
	v_add_f64 v[47:48], v[51:52], -v[47:48]
	v_fma_f64 v[35:36], v[35:36], v[45:46], v[45:46]
	v_add_f64 v[47:48], v[49:50], -v[47:48]
	v_mul_f64 v[37:38], v[51:52], v[35:36]
	v_mul_f64 v[45:46], v[39:40], v[37:38]
	v_fma_f64 v[41:42], v[37:38], v[39:40], -v[45:46]
	v_fma_f64 v[53:54], v[37:38], v[43:44], v[41:42]
	v_add_f64 v[55:56], v[45:46], v[53:54]
	v_add_f64 v[41:42], v[51:52], -v[55:56]
	v_add_f64 v[45:46], v[55:56], -v[45:46]
	;; [unrolled: 1-line block ×5, first 2 shown]
	v_add_f64 v[47:48], v[47:48], v[49:50]
	v_max_f64 v[49:50], |v[1:2]|, |v[1:2]|
	v_add_f64 v[45:46], v[45:46], v[47:48]
	v_max_f64 v[47:48], |v[3:4]|, |v[3:4]|
	v_add_f64 v[51:52], v[41:42], v[45:46]
	v_max_f64 v[53:54], v[49:50], v[47:48]
	v_min_f64 v[47:48], v[49:50], v[47:48]
	v_mul_f64 v[49:50], v[35:36], v[51:52]
	v_add_f64 v[41:42], v[41:42], -v[51:52]
	v_div_scale_f64 v[55:56], s[2:3], v[53:54], v[53:54], v[47:48]
	s_mov_b32 s2, 0x69efb384
	s_mov_b32 s3, 0x3f4b2bb0
	v_mul_f64 v[57:58], v[39:40], v[49:50]
	v_add_f64 v[41:42], v[45:46], v[41:42]
	v_fma_f64 v[39:40], v[49:50], v[39:40], -v[57:58]
	v_rcp_f64_e32 v[67:68], v[55:56]
	v_fma_f64 v[39:40], v[49:50], v[43:44], v[39:40]
	v_add_f64 v[43:44], v[57:58], v[39:40]
	v_fma_f64 v[69:70], -v[55:56], v[67:68], 1.0
	v_add_f64 v[71:72], v[51:52], -v[43:44]
	v_add_f64 v[45:46], v[43:44], -v[57:58]
	v_fma_f64 v[67:68], v[67:68], v[69:70], v[67:68]
	v_div_scale_f64 v[69:70], vcc, v[47:48], v[53:54], v[47:48]
	v_add_f64 v[51:52], v[51:52], -v[71:72]
	v_add_f64 v[39:40], v[45:46], -v[39:40]
	v_fma_f64 v[73:74], -v[55:56], v[67:68], 1.0
	v_add_f64 v[45:46], v[37:38], v[49:50]
	v_add_f64 v[43:44], v[51:52], -v[43:44]
	v_fma_f64 v[51:52], v[67:68], v[73:74], v[67:68]
	v_add_f64 v[37:38], v[45:46], -v[37:38]
	v_add_f64 v[41:42], v[41:42], v[43:44]
	v_mul_f64 v[43:44], v[69:70], v[51:52]
	v_add_f64 v[37:38], v[49:50], -v[37:38]
	v_add_f64 v[39:40], v[39:40], v[41:42]
	v_fma_f64 v[41:42], -v[55:56], v[43:44], v[69:70]
	v_add_f64 v[39:40], v[71:72], v[39:40]
	v_div_fmas_f64 v[41:42], v[41:42], v[51:52], v[43:44]
	v_cmp_gt_i32_e32 vcc, 0, v2
	v_cndmask_b32_e32 v11, v65, v66, vcc
	v_bfi_b32 v11, s42, v11, v4
	v_mul_f64 v[35:36], v[35:36], v[39:40]
	v_add_f64 v[35:36], v[37:38], v[35:36]
	v_div_fixup_f64 v[37:38], v[41:42], v[53:54], v[47:48]
	v_add_f64 v[39:40], v[45:46], v[35:36]
	v_mul_f64 v[41:42], v[37:38], v[37:38]
	v_mul_f64 v[43:44], v[39:40], v[39:40]
	v_fma_f64 v[47:48], v[41:42], s[16:17], v[21:22]
	v_cmp_class_f64_e64 s[16:17], v[1:2], s44
	v_ashrrev_i32_e32 v1, 31, v2
	v_and_b32_e32 v15, 0x54442d18, v1
	v_fma_f64 v[49:50], v[43:44], s[24:25], v[19:20]
	v_mul_f64 v[51:52], v[39:40], v[43:44]
	v_fma_f64 v[47:48], v[41:42], v[47:48], s[2:3]
	s_mov_b32 s2, 0xaf56de9b
	s_mov_b32 s3, 0xbf67952d
	v_fma_f64 v[49:50], v[43:44], v[49:50], s[26:27]
	v_fma_f64 v[47:48], v[41:42], v[47:48], s[2:3]
	v_cmp_eq_f64_e64 s[2:3], 0, v[3:4]
	v_fma_f64 v[49:50], v[43:44], v[49:50], s[28:29]
	v_fma_f64 v[47:48], v[41:42], v[47:48], s[46:47]
	;; [unrolled: 1-line block ×7, first 2 shown]
	v_ldexp_f64 v[49:50], v[39:40], 1
	v_fma_f64 v[47:48], v[41:42], v[47:48], s[52:53]
	v_add_f64 v[39:40], v[39:40], -v[45:46]
	v_mul_f64 v[43:44], v[51:52], v[43:44]
	v_cvt_f64_i32_e32 v[51:52], v7
	v_fma_f64 v[47:48], v[41:42], v[47:48], s[40:41]
	v_add_f64 v[35:36], v[35:36], -v[39:40]
	v_cndmask_b32_e32 v7, v63, v64, vcc
	v_mul_f64 v[53:54], v[51:52], s[36:37]
	v_add_f64 v[45:46], v[49:50], v[43:44]
	v_fma_f64 v[47:48], v[41:42], v[47:48], s[56:57]
	v_ldexp_f64 v[35:36], v[35:36], 1
	v_add_f64 v[39:40], v[45:46], -v[49:50]
	v_fma_f64 v[49:50], v[51:52], s[36:37], -v[53:54]
	v_fma_f64 v[47:48], v[41:42], v[47:48], s[58:59]
	v_add_f64 v[39:40], v[43:44], -v[39:40]
	v_fma_f64 v[43:44], v[41:42], v[47:48], s[60:61]
	v_fma_f64 v[47:48], v[51:52], s[38:39], v[49:50]
	v_add_f64 v[35:36], v[35:36], v[39:40]
	v_fma_f64 v[39:40], v[41:42], v[43:44], s[62:63]
	v_add_f64 v[43:44], v[53:54], v[47:48]
	v_add_f64 v[49:50], v[45:46], v[35:36]
	v_fma_f64 v[39:40], v[41:42], v[39:40], s[64:65]
	v_add_f64 v[53:54], v[43:44], -v[53:54]
	v_add_f64 v[51:52], v[43:44], v[49:50]
	v_add_f64 v[45:46], v[49:50], -v[45:46]
	v_fma_f64 v[39:40], v[41:42], v[39:40], s[66:67]
	v_add_f64 v[47:48], v[47:48], -v[53:54]
	v_add_f64 v[55:56], v[51:52], -v[43:44]
	v_add_f64 v[35:36], v[35:36], -v[45:46]
	v_fma_f64 v[39:40], v[41:42], v[39:40], s[68:69]
	v_add_f64 v[57:58], v[51:52], -v[55:56]
	v_add_f64 v[45:46], v[49:50], -v[55:56]
	v_fma_f64 v[39:40], v[41:42], v[39:40], s[70:71]
	v_add_f64 v[49:50], v[47:48], v[35:36]
	v_add_f64 v[43:44], v[43:44], -v[57:58]
	v_fma_f64 v[39:40], v[41:42], v[39:40], s[72:73]
	v_add_f64 v[43:44], v[45:46], v[43:44]
	v_add_f64 v[45:46], v[49:50], -v[47:48]
	v_fma_f64 v[39:40], v[41:42], v[39:40], s[74:75]
	v_add_f64 v[43:44], v[49:50], v[43:44]
	v_add_f64 v[49:50], v[49:50], -v[45:46]
	v_fma_f64 v[39:40], v[41:42], v[39:40], s[76:77]
	v_add_f64 v[35:36], v[35:36], -v[45:46]
	v_add_f64 v[53:54], v[51:52], v[43:44]
	v_mul_f64 v[39:40], v[41:42], v[39:40]
	v_add_f64 v[41:42], v[47:48], -v[49:50]
	v_add_f64 v[45:46], v[53:54], -v[51:52]
	v_fma_f64 v[37:38], v[37:38], v[39:40], v[37:38]
	v_add_f64 v[35:36], v[35:36], v[41:42]
	v_add_f64 v[39:40], v[43:44], -v[45:46]
	v_add_f64 v[41:42], -v[37:38], s[80:81]
	v_add_f64 v[35:36], v[35:36], v[39:40]
	v_cndmask_b32_e64 v38, v38, v42, s[0:1]
	v_cndmask_b32_e64 v37, v37, v41, s[0:1]
	v_add_f64 v[39:40], -v[37:38], s[78:79]
                                        ; implicit-def: $vgpr41_vgpr42
	v_add_f64 v[35:36], v[53:54], v[35:36]
	v_cndmask_b32_e32 v18, v37, v39, vcc
	v_and_b32_e32 v37, 0x400921fb, v1
	v_cndmask_b32_e64 v15, v18, v15, s[2:3]
	v_mul_f64 v[1:2], v[35:36], 0.5
	v_cndmask_b32_e32 v35, v38, v40, vcc
	v_cndmask_b32_e64 v18, v35, v37, s[2:3]
	s_and_b64 s[2:3], s[6:7], s[8:9]
	s_and_b64 vcc, s[16:17], s[4:5]
	s_mov_b32 s16, 0xb5e68a13
	s_mov_b32 s17, 0x3eeba404
	v_cndmask_b32_e32 v36, v18, v11, vcc
	v_cndmask_b32_e64 v37, 0, v1, s[2:3]
	v_cmp_ngt_f64_e64 s[2:3], -1.0, v[13:14]
	v_cndmask_b32_e64 v2, v60, v2, s[8:9]
	v_cndmask_b32_e32 v35, v15, v7, vcc
                                        ; implicit-def: $vgpr39_vgpr40
	v_cndmask_b32_e64 v1, v61, v2, s[2:3]
	v_cmp_neq_f64_e64 s[2:3], -1.0, v[13:14]
	v_cndmask_b32_e64 v38, v62, v1, s[2:3]
.LBB179_113:                            ;   in Loop: Header=BB179_5 Depth=1
	s_andn2_saveexec_b64 s[82:83], s[10:11]
	s_cbranch_execz .LBB179_121
; %bb.114:                              ;   in Loop: Header=BB179_5 Depth=1
	v_mul_f64 v[13:14], v[39:40], v[39:40]
	s_mov_b32 s2, 0x66666666
	s_mov_b32 s3, 0x3fe66666
                                        ; implicit-def: $vgpr37_vgpr38
                                        ; implicit-def: $vgpr35_vgpr36
	v_fma_f64 v[13:14], v[41:42], v[41:42], v[13:14]
	v_cmp_ge_f64_e32 vcc, s[2:3], v[13:14]
	s_and_saveexec_b64 s[2:3], vcc
	s_xor_b64 s[8:9], exec, s[2:3]
	s_cbranch_execz .LBB179_116
; %bb.115:                              ;   in Loop: Header=BB179_5 Depth=1
	v_frexp_mant_f64_e32 v[35:36], v[13:14]
	v_max_f64 v[43:44], |v[3:4]|, |v[3:4]|
	v_max_f64 v[45:46], |v[1:2]|, |v[1:2]|
	s_mov_b32 s91, s23
	s_mov_b32 s78, s80
	v_cmp_class_f64_e64 s[10:11], v[1:2], s44
	v_ashrrev_i32_e32 v1, 31, v2
	v_and_b32_e32 v11, 0x54442d18, v1
	v_cmp_gt_f64_e64 s[2:3], s[22:23], v[35:36]
	v_cmp_neq_f64_e64 s[6:7], 0, v[13:14]
	v_cndmask_b32_e64 v7, 0, 1, s[2:3]
	v_ldexp_f64 v[35:36], v[35:36], v7
	v_frexp_exp_i32_f64_e32 v7, v[13:14]
	v_add_f64 v[37:38], v[35:36], 1.0
	v_add_f64 v[49:50], v[35:36], -1.0
	v_rcp_f64_e32 v[39:40], v[37:38]
	v_add_f64 v[53:54], v[37:38], -1.0
	v_add_f64 v[35:36], v[35:36], -v[53:54]
	v_fma_f64 v[41:42], -v[37:38], v[39:40], 1.0
	v_fma_f64 v[39:40], v[41:42], v[39:40], v[39:40]
	v_max_f64 v[41:42], v[45:46], v[43:44]
	v_min_f64 v[43:44], v[45:46], v[43:44]
	v_fma_f64 v[45:46], -v[37:38], v[39:40], 1.0
	v_div_scale_f64 v[47:48], s[4:5], v[41:42], v[41:42], v[43:44]
	s_mov_b32 s4, 0x69efb384
	s_mov_b32 s5, 0x3f4b2bb0
	v_fma_f64 v[39:40], v[45:46], v[39:40], v[39:40]
	v_mul_f64 v[45:46], v[49:50], v[39:40]
	v_rcp_f64_e32 v[51:52], v[47:48]
	v_mul_f64 v[55:56], v[37:38], v[45:46]
	v_fma_f64 v[37:38], v[45:46], v[37:38], -v[55:56]
	v_fma_f64 v[53:54], -v[47:48], v[51:52], 1.0
	v_fma_f64 v[35:36], v[45:46], v[35:36], v[37:38]
	v_fma_f64 v[37:38], v[51:52], v[53:54], v[51:52]
	v_div_scale_f64 v[53:54], vcc, v[43:44], v[41:42], v[43:44]
	v_add_f64 v[51:52], v[55:56], v[35:36]
	v_fma_f64 v[57:58], -v[47:48], v[37:38], 1.0
	v_add_f64 v[67:68], v[49:50], -v[51:52]
	v_add_f64 v[55:56], v[51:52], -v[55:56]
	v_fma_f64 v[37:38], v[37:38], v[57:58], v[37:38]
	v_add_f64 v[49:50], v[49:50], -v[67:68]
	v_add_f64 v[35:36], v[55:56], -v[35:36]
	v_mul_f64 v[57:58], v[53:54], v[37:38]
	v_add_f64 v[49:50], v[49:50], -v[51:52]
	v_fma_f64 v[47:48], -v[47:48], v[57:58], v[53:54]
	v_add_f64 v[35:36], v[35:36], v[49:50]
	v_div_fmas_f64 v[37:38], v[47:48], v[37:38], v[57:58]
	v_subbrev_co_u32_e64 v7, vcc, 0, v7, s[2:3]
	v_cmp_gt_i32_e32 vcc, 0, v2
	v_cmp_eq_f64_e64 s[2:3], 0, v[3:4]
	v_cndmask_b32_e32 v18, v65, v66, vcc
	v_add_f64 v[35:36], v[67:68], v[35:36]
	v_bfi_b32 v13, s42, v18, v4
	v_mul_f64 v[35:36], v[39:40], v[35:36]
	v_div_fixup_f64 v[37:38], v[37:38], v[41:42], v[43:44]
	v_add_f64 v[39:40], v[45:46], v[35:36]
	v_mul_f64 v[41:42], v[37:38], v[37:38]
	v_mul_f64 v[43:44], v[39:40], v[39:40]
	v_fma_f64 v[47:48], v[41:42], s[16:17], v[21:22]
	v_fma_f64 v[49:50], v[43:44], s[24:25], v[19:20]
	v_mul_f64 v[51:52], v[39:40], v[43:44]
	v_fma_f64 v[47:48], v[41:42], v[47:48], s[4:5]
	s_mov_b32 s4, 0xaf56de9b
	s_mov_b32 s5, 0xbf67952d
	v_fma_f64 v[49:50], v[43:44], v[49:50], s[26:27]
	v_fma_f64 v[47:48], v[41:42], v[47:48], s[4:5]
	v_cmp_class_f64_e64 s[4:5], v[3:4], s44
	v_fma_f64 v[49:50], v[43:44], v[49:50], s[28:29]
	v_fma_f64 v[47:48], v[41:42], v[47:48], s[46:47]
	;; [unrolled: 1-line block ×7, first 2 shown]
	v_ldexp_f64 v[49:50], v[39:40], 1
	v_fma_f64 v[47:48], v[41:42], v[47:48], s[52:53]
	v_add_f64 v[39:40], v[39:40], -v[45:46]
	v_mul_f64 v[43:44], v[51:52], v[43:44]
	v_cvt_f64_i32_e32 v[51:52], v7
	v_fma_f64 v[47:48], v[41:42], v[47:48], s[40:41]
	v_add_f64 v[35:36], v[35:36], -v[39:40]
	v_cndmask_b32_e32 v7, v63, v64, vcc
	v_mul_f64 v[53:54], v[51:52], s[36:37]
	v_add_f64 v[45:46], v[49:50], v[43:44]
	v_fma_f64 v[47:48], v[41:42], v[47:48], s[56:57]
	v_ldexp_f64 v[35:36], v[35:36], 1
	v_add_f64 v[39:40], v[45:46], -v[49:50]
	v_fma_f64 v[49:50], v[51:52], s[36:37], -v[53:54]
	v_fma_f64 v[47:48], v[41:42], v[47:48], s[58:59]
	v_add_f64 v[39:40], v[43:44], -v[39:40]
	v_fma_f64 v[43:44], v[41:42], v[47:48], s[60:61]
	v_fma_f64 v[47:48], v[51:52], s[38:39], v[49:50]
	v_add_f64 v[35:36], v[35:36], v[39:40]
	v_fma_f64 v[39:40], v[41:42], v[43:44], s[62:63]
	v_add_f64 v[43:44], v[53:54], v[47:48]
	v_add_f64 v[49:50], v[45:46], v[35:36]
	v_fma_f64 v[39:40], v[41:42], v[39:40], s[64:65]
	v_add_f64 v[53:54], v[43:44], -v[53:54]
	v_add_f64 v[51:52], v[43:44], v[49:50]
	v_add_f64 v[45:46], v[49:50], -v[45:46]
	v_fma_f64 v[39:40], v[41:42], v[39:40], s[66:67]
	v_add_f64 v[47:48], v[47:48], -v[53:54]
	v_add_f64 v[55:56], v[51:52], -v[43:44]
	;; [unrolled: 1-line block ×3, first 2 shown]
	v_fma_f64 v[39:40], v[41:42], v[39:40], s[68:69]
	v_add_f64 v[57:58], v[51:52], -v[55:56]
	v_add_f64 v[45:46], v[49:50], -v[55:56]
	v_fma_f64 v[39:40], v[41:42], v[39:40], s[70:71]
	v_add_f64 v[49:50], v[47:48], v[35:36]
	v_add_f64 v[43:44], v[43:44], -v[57:58]
	v_fma_f64 v[39:40], v[41:42], v[39:40], s[72:73]
	v_add_f64 v[43:44], v[45:46], v[43:44]
	;; [unrolled: 3-line block ×3, first 2 shown]
	v_add_f64 v[49:50], v[49:50], -v[45:46]
	v_fma_f64 v[39:40], v[41:42], v[39:40], s[76:77]
	v_add_f64 v[35:36], v[35:36], -v[45:46]
	v_add_f64 v[53:54], v[51:52], v[43:44]
	v_mul_f64 v[39:40], v[41:42], v[39:40]
	v_add_f64 v[41:42], v[47:48], -v[49:50]
	v_add_f64 v[45:46], v[53:54], -v[51:52]
	v_fma_f64 v[37:38], v[37:38], v[39:40], v[37:38]
	v_add_f64 v[35:36], v[35:36], v[41:42]
	v_add_f64 v[39:40], v[43:44], -v[45:46]
	v_add_f64 v[41:42], -v[37:38], s[80:81]
	v_add_f64 v[35:36], v[35:36], v[39:40]
	v_cndmask_b32_e64 v38, v38, v42, s[0:1]
	v_cndmask_b32_e64 v37, v37, v41, s[0:1]
	v_add_f64 v[39:40], -v[37:38], s[78:79]
                                        ; implicit-def: $vgpr41_vgpr42
	v_add_f64 v[35:36], v[53:54], v[35:36]
	v_cndmask_b32_e32 v15, v37, v39, vcc
	v_and_b32_e32 v37, 0x400921fb, v1
	v_cndmask_b32_e32 v14, v38, v40, vcc
	v_cndmask_b32_e64 v11, v15, v11, s[2:3]
	v_mul_f64 v[1:2], v[35:36], 0.5
	v_cndmask_b32_e64 v14, v14, v37, s[2:3]
	s_and_b64 vcc, s[10:11], s[4:5]
	v_cndmask_b32_e32 v36, v14, v13, vcc
	v_cndmask_b32_e32 v35, v11, v7, vcc
                                        ; implicit-def: $vgpr39_vgpr40
	v_cndmask_b32_e64 v38, v62, v2, s[6:7]
	v_cndmask_b32_e64 v37, 0, v1, s[6:7]
.LBB179_116:                            ;   in Loop: Header=BB179_5 Depth=1
	s_andn2_saveexec_b64 s[10:11], s[8:9]
	s_cbranch_execz .LBB179_120
; %bb.117:                              ;   in Loop: Header=BB179_5 Depth=1
	v_and_b32_e32 v18, 0x7ffffff8, v42
	v_and_b32_e32 v36, 0x7ffffff8, v40
	v_mov_b32_e32 v35, v17
	v_add_f64 v[13:14], v[41:42], -v[17:18]
	v_add_f64 v[37:38], v[39:40], -v[35:36]
	v_mov_b32_e32 v41, v17
	v_mov_b32_e32 v45, v17
	v_add_f64 v[47:48], v[17:18], v[17:18]
	v_add_f64 v[49:50], v[35:36], v[35:36]
	v_mul_f64 v[35:36], v[35:36], v[35:36]
	s_mov_b64 s[16:17], 0
	v_and_b32_e32 v42, -8, v14
	v_and_b32_e32 v46, -8, v38
	v_add_f64 v[55:56], v[13:14], -v[41:42]
	v_add_f64 v[57:58], v[37:38], -v[45:46]
	v_add_f64 v[67:68], v[41:42], v[41:42]
	v_add_f64 v[69:70], v[45:46], v[45:46]
	v_mul_f64 v[13:14], v[17:18], v[17:18]
	v_mul_f64 v[39:40], v[47:48], v[41:42]
	;; [unrolled: 1-line block ×11, first 2 shown]
.LBB179_118:                            ;   Parent Loop BB179_5 Depth=1
                                        ; =>  This Inner Loop Header: Depth=2
	v_cmp_nlt_f64_e32 vcc, v[13:14], v[35:36]
	v_cndmask_b32_e32 v58, v14, v36, vcc
	v_cndmask_b32_e32 v57, v13, v35, vcc
	v_cmp_nlt_f64_e64 s[2:3], v[57:58], v[39:40]
	v_cndmask_b32_e32 v14, v36, v14, vcc
	v_cndmask_b32_e32 v13, v35, v13, vcc
	v_cndmask_b32_e64 v68, v58, v40, s[2:3]
	v_cndmask_b32_e64 v67, v57, v39, s[2:3]
	v_cmp_nlt_f64_e64 s[6:7], v[67:68], v[37:38]
	v_cndmask_b32_e64 v36, v40, v58, s[2:3]
	v_cndmask_b32_e64 v35, v39, v57, s[2:3]
	s_and_b64 s[4:5], vcc, s[2:3]
	v_cndmask_b32_e64 v70, v68, v38, s[6:7]
	v_cndmask_b32_e64 v69, v67, v37, s[6:7]
	v_cmp_nlt_f64_e64 s[8:9], v[69:70], v[43:44]
	v_cndmask_b32_e64 v40, v38, v68, s[6:7]
	v_cndmask_b32_e64 v39, v37, v67, s[6:7]
	v_cndmask_b32_e64 v58, v70, v44, s[8:9]
	v_cndmask_b32_e64 v57, v69, v43, s[8:9]
	v_cmp_nlt_f64_e32 vcc, v[57:58], v[45:46]
	v_cndmask_b32_e64 v38, v44, v70, s[8:9]
	v_cndmask_b32_e64 v37, v43, v69, s[8:9]
	s_and_b64 s[8:9], s[6:7], s[8:9]
	v_cndmask_b32_e32 v68, v58, v46, vcc
	v_cndmask_b32_e32 v67, v57, v45, vcc
	v_cmp_nlt_f64_e64 s[2:3], v[67:68], v[53:54]
	v_cndmask_b32_e32 v44, v46, v58, vcc
	v_cndmask_b32_e32 v43, v45, v57, vcc
	v_cndmask_b32_e64 v58, v68, v54, s[2:3]
	v_cndmask_b32_e64 v57, v67, v53, s[2:3]
	v_cmp_nlt_f64_e64 s[6:7], v[57:58], v[51:52]
	v_cndmask_b32_e64 v46, v54, v68, s[2:3]
	v_cndmask_b32_e64 v45, v53, v67, s[2:3]
	s_and_b64 s[2:3], vcc, s[2:3]
	v_cndmask_b32_e64 v68, v58, v52, s[6:7]
	v_cndmask_b32_e64 v67, v57, v51, s[6:7]
	v_cmp_nlt_f64_e32 vcc, v[67:68], v[49:50]
	v_cndmask_b32_e64 v54, v52, v58, s[6:7]
	v_cndmask_b32_e64 v53, v51, v57, s[6:7]
	s_and_b64 s[6:7], s[2:3], s[6:7]
	v_cndmask_b32_e32 v58, v68, v50, vcc
	v_cndmask_b32_e32 v57, v67, v49, vcc
	v_cmp_nlt_f64_e64 s[2:3], v[57:58], v[47:48]
	v_cndmask_b32_e32 v52, v50, v68, vcc
	v_cndmask_b32_e32 v51, v49, v67, vcc
	s_and_b64 s[6:7], s[6:7], vcc
	v_cndmask_b32_e64 v68, v58, v48, s[2:3]
	v_cndmask_b32_e64 v67, v57, v47, s[2:3]
	v_cmp_nlt_f64_e32 vcc, v[67:68], v[41:42]
	v_cndmask_b32_e64 v50, v48, v58, s[2:3]
	v_cndmask_b32_e64 v49, v47, v57, s[2:3]
	s_and_b64 s[6:7], s[6:7], s[2:3]
	v_cndmask_b32_e32 v70, v68, v42, vcc
	v_cndmask_b32_e32 v69, v67, v41, vcc
	v_cmp_nlt_f64_e64 s[2:3], v[69:70], v[55:56]
	s_and_b64 s[6:7], s[6:7], vcc
	v_cndmask_b32_e32 v48, v42, v68, vcc
	v_cndmask_b32_e32 v47, v41, v67, vcc
	v_cndmask_b32_e64 v58, v70, v56, s[2:3]
	v_cndmask_b32_e64 v57, v69, v55, s[2:3]
	;; [unrolled: 1-line block ×4, first 2 shown]
	s_and_b64 s[2:3], s[6:7], s[2:3]
	s_and_b64 s[2:3], s[2:3], s[8:9]
	;; [unrolled: 1-line block ×3, first 2 shown]
	s_and_b64 s[2:3], exec, s[2:3]
	v_mov_b32_e32 v55, v57
	s_or_b64 s[16:17], s[2:3], s[16:17]
	v_mov_b32_e32 v56, v58
	s_andn2_b64 exec, exec, s[16:17]
	s_cbranch_execnz .LBB179_118
; %bb.119:                              ;   in Loop: Header=BB179_5 Depth=1
	s_or_b64 exec, exec, s[16:17]
	v_add_f64 v[13:14], v[13:14], -1.0
	s_mov_b32 s91, s23
	s_mov_b32 s78, s80
	;; [unrolled: 1-line block ×4, first 2 shown]
	v_cmp_class_f64_e64 s[16:17], v[1:2], s44
	v_cmp_class_f64_e64 s[4:5], v[3:4], s44
	v_add_f64 v[13:14], v[13:14], v[35:36]
	v_add_f64 v[13:14], v[13:14], v[39:40]
	;; [unrolled: 1-line block ×11, first 2 shown]
	v_add_f64 v[35:36], v[13:14], 1.0
	v_cmp_nge_f64_e64 s[6:7], -1.0, v[13:14]
	v_cmp_neq_f64_e64 s[8:9], s[8:9], v[13:14]
	v_frexp_mant_f64_e32 v[39:40], v[35:36]
	v_frexp_exp_i32_f64_e32 v7, v[35:36]
	v_add_f64 v[37:38], v[35:36], -1.0
	v_cmp_gt_f64_e32 vcc, s[22:23], v[39:40]
	v_add_f64 v[41:42], v[37:38], -v[35:36]
	v_add_f64 v[37:38], v[13:14], -v[37:38]
	v_subbrev_co_u32_e32 v7, vcc, 0, v7, vcc
	v_sub_u32_e32 v11, 0, v7
	v_ldexp_f64 v[35:36], v[35:36], v11
	v_add_f64 v[39:40], v[41:42], 1.0
	v_add_f64 v[41:42], v[35:36], 1.0
	v_add_f64 v[37:38], v[37:38], v[39:40]
	v_add_f64 v[47:48], v[35:36], -1.0
	v_add_f64 v[39:40], v[41:42], -1.0
	v_ldexp_f64 v[37:38], v[37:38], v11
	v_add_f64 v[49:50], v[47:48], 1.0
	v_add_f64 v[39:40], v[35:36], -v[39:40]
	v_add_f64 v[35:36], v[35:36], -v[49:50]
	v_add_f64 v[43:44], v[37:38], v[39:40]
	v_add_f64 v[49:50], v[37:38], v[35:36]
	;; [unrolled: 1-line block ×3, first 2 shown]
	v_rcp_f64_e32 v[45:46], v[39:40]
	v_add_f64 v[41:42], v[39:40], -v[41:42]
	v_add_f64 v[43:44], v[43:44], -v[41:42]
	v_fma_f64 v[51:52], -v[39:40], v[45:46], 1.0
	v_fma_f64 v[45:46], v[51:52], v[45:46], v[45:46]
	v_add_f64 v[51:52], v[47:48], v[49:50]
	v_fma_f64 v[35:36], -v[39:40], v[45:46], 1.0
	v_add_f64 v[47:48], v[51:52], -v[47:48]
	v_fma_f64 v[35:36], v[35:36], v[45:46], v[45:46]
	v_add_f64 v[47:48], v[49:50], -v[47:48]
	v_mul_f64 v[37:38], v[51:52], v[35:36]
	v_mul_f64 v[45:46], v[39:40], v[37:38]
	v_fma_f64 v[41:42], v[37:38], v[39:40], -v[45:46]
	v_fma_f64 v[53:54], v[37:38], v[43:44], v[41:42]
	v_add_f64 v[55:56], v[45:46], v[53:54]
	v_add_f64 v[41:42], v[51:52], -v[55:56]
	v_add_f64 v[45:46], v[55:56], -v[45:46]
	;; [unrolled: 1-line block ×5, first 2 shown]
	v_add_f64 v[47:48], v[47:48], v[49:50]
	v_max_f64 v[49:50], |v[1:2]|, |v[1:2]|
	v_ashrrev_i32_e32 v1, 31, v2
	v_and_b32_e32 v15, 0x54442d18, v1
	v_add_f64 v[45:46], v[45:46], v[47:48]
	v_max_f64 v[47:48], |v[3:4]|, |v[3:4]|
	v_add_f64 v[51:52], v[41:42], v[45:46]
	v_max_f64 v[53:54], v[49:50], v[47:48]
	v_min_f64 v[47:48], v[49:50], v[47:48]
	v_mul_f64 v[49:50], v[35:36], v[51:52]
	v_add_f64 v[41:42], v[41:42], -v[51:52]
	v_div_scale_f64 v[55:56], s[2:3], v[53:54], v[53:54], v[47:48]
	s_mov_b32 s2, 0xb5e68a13
	s_mov_b32 s3, 0x3eeba404
	v_mul_f64 v[57:58], v[39:40], v[49:50]
	v_add_f64 v[41:42], v[45:46], v[41:42]
	v_fma_f64 v[39:40], v[49:50], v[39:40], -v[57:58]
	v_rcp_f64_e32 v[67:68], v[55:56]
	v_fma_f64 v[39:40], v[49:50], v[43:44], v[39:40]
	v_add_f64 v[43:44], v[57:58], v[39:40]
	v_fma_f64 v[69:70], -v[55:56], v[67:68], 1.0
	v_add_f64 v[71:72], v[51:52], -v[43:44]
	v_add_f64 v[45:46], v[43:44], -v[57:58]
	v_fma_f64 v[67:68], v[67:68], v[69:70], v[67:68]
	v_div_scale_f64 v[69:70], vcc, v[47:48], v[53:54], v[47:48]
	v_add_f64 v[51:52], v[51:52], -v[71:72]
	v_add_f64 v[39:40], v[45:46], -v[39:40]
	v_fma_f64 v[73:74], -v[55:56], v[67:68], 1.0
	v_add_f64 v[45:46], v[37:38], v[49:50]
	v_add_f64 v[43:44], v[51:52], -v[43:44]
	v_fma_f64 v[51:52], v[67:68], v[73:74], v[67:68]
	v_add_f64 v[37:38], v[45:46], -v[37:38]
	v_add_f64 v[41:42], v[41:42], v[43:44]
	v_mul_f64 v[43:44], v[69:70], v[51:52]
	v_add_f64 v[37:38], v[49:50], -v[37:38]
	v_add_f64 v[39:40], v[39:40], v[41:42]
	v_fma_f64 v[41:42], -v[55:56], v[43:44], v[69:70]
	v_add_f64 v[39:40], v[71:72], v[39:40]
	v_div_fmas_f64 v[41:42], v[41:42], v[51:52], v[43:44]
	v_cmp_gt_i32_e32 vcc, 0, v2
	v_cndmask_b32_e32 v11, v65, v66, vcc
	v_bfi_b32 v11, s42, v11, v4
	v_mul_f64 v[35:36], v[35:36], v[39:40]
	v_add_f64 v[35:36], v[37:38], v[35:36]
	v_div_fixup_f64 v[37:38], v[41:42], v[53:54], v[47:48]
	v_add_f64 v[39:40], v[45:46], v[35:36]
	v_mul_f64 v[41:42], v[37:38], v[37:38]
	v_mul_f64 v[43:44], v[39:40], v[39:40]
	v_fma_f64 v[47:48], v[41:42], s[2:3], v[21:22]
	s_mov_b32 s2, 0x69efb384
	s_mov_b32 s3, 0x3f4b2bb0
	v_fma_f64 v[49:50], v[43:44], s[24:25], v[19:20]
	v_mul_f64 v[51:52], v[39:40], v[43:44]
	v_fma_f64 v[47:48], v[41:42], v[47:48], s[2:3]
	s_mov_b32 s2, 0xaf56de9b
	s_mov_b32 s3, 0xbf67952d
	v_fma_f64 v[49:50], v[43:44], v[49:50], s[26:27]
	v_fma_f64 v[47:48], v[41:42], v[47:48], s[2:3]
	v_cmp_eq_f64_e64 s[2:3], 0, v[3:4]
	v_fma_f64 v[49:50], v[43:44], v[49:50], s[28:29]
	v_fma_f64 v[47:48], v[41:42], v[47:48], s[46:47]
	;; [unrolled: 1-line block ×7, first 2 shown]
	v_ldexp_f64 v[49:50], v[39:40], 1
	v_fma_f64 v[47:48], v[41:42], v[47:48], s[52:53]
	v_add_f64 v[39:40], v[39:40], -v[45:46]
	v_mul_f64 v[43:44], v[51:52], v[43:44]
	v_cvt_f64_i32_e32 v[51:52], v7
	v_fma_f64 v[47:48], v[41:42], v[47:48], s[40:41]
	v_add_f64 v[35:36], v[35:36], -v[39:40]
	v_cndmask_b32_e32 v7, v63, v64, vcc
	v_mul_f64 v[53:54], v[51:52], s[36:37]
	v_add_f64 v[45:46], v[49:50], v[43:44]
	v_fma_f64 v[47:48], v[41:42], v[47:48], s[56:57]
	v_ldexp_f64 v[35:36], v[35:36], 1
	v_add_f64 v[39:40], v[45:46], -v[49:50]
	v_fma_f64 v[49:50], v[51:52], s[36:37], -v[53:54]
	v_fma_f64 v[47:48], v[41:42], v[47:48], s[58:59]
	v_add_f64 v[39:40], v[43:44], -v[39:40]
	v_fma_f64 v[43:44], v[41:42], v[47:48], s[60:61]
	v_fma_f64 v[47:48], v[51:52], s[38:39], v[49:50]
	v_add_f64 v[35:36], v[35:36], v[39:40]
	v_fma_f64 v[39:40], v[41:42], v[43:44], s[62:63]
	v_add_f64 v[43:44], v[53:54], v[47:48]
	v_add_f64 v[49:50], v[45:46], v[35:36]
	v_fma_f64 v[39:40], v[41:42], v[39:40], s[64:65]
	v_add_f64 v[53:54], v[43:44], -v[53:54]
	v_add_f64 v[51:52], v[43:44], v[49:50]
	v_add_f64 v[45:46], v[49:50], -v[45:46]
	v_fma_f64 v[39:40], v[41:42], v[39:40], s[66:67]
	v_add_f64 v[47:48], v[47:48], -v[53:54]
	v_add_f64 v[55:56], v[51:52], -v[43:44]
	;; [unrolled: 1-line block ×3, first 2 shown]
	v_fma_f64 v[39:40], v[41:42], v[39:40], s[68:69]
	v_add_f64 v[57:58], v[51:52], -v[55:56]
	v_add_f64 v[45:46], v[49:50], -v[55:56]
	v_fma_f64 v[39:40], v[41:42], v[39:40], s[70:71]
	v_add_f64 v[49:50], v[47:48], v[35:36]
	v_add_f64 v[43:44], v[43:44], -v[57:58]
	v_fma_f64 v[39:40], v[41:42], v[39:40], s[72:73]
	v_add_f64 v[43:44], v[45:46], v[43:44]
	;; [unrolled: 3-line block ×3, first 2 shown]
	v_add_f64 v[49:50], v[49:50], -v[45:46]
	v_fma_f64 v[39:40], v[41:42], v[39:40], s[76:77]
	v_add_f64 v[35:36], v[35:36], -v[45:46]
	v_add_f64 v[53:54], v[51:52], v[43:44]
	v_mul_f64 v[39:40], v[41:42], v[39:40]
	v_add_f64 v[41:42], v[47:48], -v[49:50]
	v_add_f64 v[45:46], v[53:54], -v[51:52]
	v_fma_f64 v[37:38], v[37:38], v[39:40], v[37:38]
	v_add_f64 v[35:36], v[35:36], v[41:42]
	v_add_f64 v[39:40], v[43:44], -v[45:46]
	v_add_f64 v[41:42], -v[37:38], s[80:81]
	v_add_f64 v[35:36], v[35:36], v[39:40]
	v_cndmask_b32_e64 v38, v38, v42, s[0:1]
	v_cndmask_b32_e64 v37, v37, v41, s[0:1]
	v_add_f64 v[39:40], -v[37:38], s[78:79]
	v_add_f64 v[35:36], v[53:54], v[35:36]
	v_cndmask_b32_e32 v18, v37, v39, vcc
	v_and_b32_e32 v37, 0x400921fb, v1
	v_cndmask_b32_e64 v15, v18, v15, s[2:3]
	v_mul_f64 v[1:2], v[35:36], 0.5
	v_cndmask_b32_e32 v35, v38, v40, vcc
	v_cndmask_b32_e64 v18, v35, v37, s[2:3]
	s_and_b64 s[2:3], s[6:7], s[8:9]
	s_and_b64 vcc, s[16:17], s[4:5]
	s_mov_b32 s16, 0xb5e68a13
	s_mov_b32 s17, 0x3eeba404
	v_cndmask_b32_e32 v36, v18, v11, vcc
	v_cndmask_b32_e64 v37, 0, v1, s[2:3]
	v_cmp_ngt_f64_e64 s[2:3], -1.0, v[13:14]
	v_cndmask_b32_e64 v2, v60, v2, s[8:9]
	v_cndmask_b32_e32 v35, v15, v7, vcc
	v_cndmask_b32_e64 v1, v61, v2, s[2:3]
	v_cmp_neq_f64_e64 s[2:3], -1.0, v[13:14]
	v_cndmask_b32_e64 v38, v62, v1, s[2:3]
.LBB179_120:                            ;   in Loop: Header=BB179_5 Depth=1
	s_or_b64 exec, exec, s[10:11]
.LBB179_121:                            ;   in Loop: Header=BB179_5 Depth=1
	s_or_b64 exec, exec, s[82:83]
.LBB179_122:                            ;   in Loop: Header=BB179_5 Depth=1
	s_andn2_saveexec_b64 s[8:9], s[20:21]
	s_cbranch_execz .LBB179_124
; %bb.123:                              ;   in Loop: Header=BB179_5 Depth=1
	v_max_f64 v[37:38], |v[3:4]|, |v[3:4]|
	v_max_f64 v[39:40], |v[1:2]|, |v[1:2]|
	v_cmp_class_f64_e64 s[10:11], v[1:2], s44
	v_cmp_class_f64_e64 s[20:21], v[3:4], s44
	s_mov_b32 s91, s23
	s_mov_b32 s78, s80
	v_max_f64 v[35:36], v[39:40], v[37:38]
	v_min_f64 v[37:38], v[39:40], v[37:38]
	v_frexp_exp_i32_f64_e32 v7, v[35:36]
	v_sub_u32_e32 v11, 0, v7
	v_ldexp_f64 v[13:14], |v[3:4]|, v11
	v_ldexp_f64 v[41:42], |v[1:2]|, v11
	v_mul_f64 v[13:14], v[13:14], v[13:14]
	v_fma_f64 v[13:14], v[41:42], v[41:42], v[13:14]
	v_rsq_f64_e32 v[41:42], v[13:14]
	v_cmp_eq_f64_e32 vcc, 0, v[13:14]
	v_mul_f64 v[43:44], v[13:14], v[41:42]
	v_mul_f64 v[41:42], v[41:42], 0.5
	v_fma_f64 v[45:46], -v[41:42], v[43:44], 0.5
	v_fma_f64 v[43:44], v[43:44], v[45:46], v[43:44]
	v_fma_f64 v[41:42], v[41:42], v[45:46], v[41:42]
	v_fma_f64 v[45:46], -v[43:44], v[43:44], v[13:14]
	v_fma_f64 v[41:42], v[45:46], v[41:42], v[43:44]
	v_cndmask_b32_e32 v14, v42, v14, vcc
	v_cndmask_b32_e32 v13, v41, v13, vcc
	v_ldexp_f64 v[13:14], v[13:14], v7
	s_or_b64 vcc, s[10:11], s[20:21]
	v_cndmask_b32_e32 v14, v14, v60, vcc
	v_cndmask_b32_e64 v13, v13, 0, vcc
	v_frexp_mant_f64_e32 v[41:42], v[13:14]
	v_cmp_class_f64_e64 s[6:7], v[13:14], s44
	v_cmp_gt_f64_e64 s[2:3], s[22:23], v[41:42]
	v_cndmask_b32_e64 v1, 0, 1, s[2:3]
	v_ldexp_f64 v[41:42], v[41:42], v1
	v_frexp_exp_i32_f64_e32 v1, v[13:14]
	v_add_f64 v[43:44], v[41:42], 1.0
	v_add_f64 v[49:50], v[41:42], -1.0
	v_rcp_f64_e32 v[45:46], v[43:44]
	v_add_f64 v[53:54], v[43:44], -1.0
	v_add_f64 v[41:42], v[41:42], -v[53:54]
	v_fma_f64 v[47:48], -v[43:44], v[45:46], 1.0
	v_fma_f64 v[39:40], v[47:48], v[45:46], v[45:46]
	v_div_scale_f64 v[45:46], s[4:5], v[35:36], v[35:36], v[37:38]
	s_mov_b32 s4, 0x69efb384
	s_mov_b32 s5, 0x3f4b2bb0
	v_fma_f64 v[47:48], -v[43:44], v[39:40], 1.0
	v_fma_f64 v[39:40], v[47:48], v[39:40], v[39:40]
	v_rcp_f64_e32 v[47:48], v[45:46]
	v_mul_f64 v[51:52], v[49:50], v[39:40]
	v_mul_f64 v[55:56], v[43:44], v[51:52]
	v_fma_f64 v[57:58], -v[45:46], v[47:48], 1.0
	v_fma_f64 v[43:44], v[51:52], v[43:44], -v[55:56]
	v_fma_f64 v[47:48], v[47:48], v[57:58], v[47:48]
	v_fma_f64 v[41:42], v[51:52], v[41:42], v[43:44]
	v_div_scale_f64 v[43:44], vcc, v[37:38], v[35:36], v[37:38]
	v_fma_f64 v[53:54], -v[45:46], v[47:48], 1.0
	v_add_f64 v[57:58], v[55:56], v[41:42]
	v_fma_f64 v[47:48], v[47:48], v[53:54], v[47:48]
	v_add_f64 v[53:54], v[49:50], -v[57:58]
	v_add_f64 v[55:56], v[57:58], -v[55:56]
	v_mul_f64 v[67:68], v[43:44], v[47:48]
	v_add_f64 v[49:50], v[49:50], -v[53:54]
	v_add_f64 v[41:42], v[55:56], -v[41:42]
	v_fma_f64 v[43:44], -v[45:46], v[67:68], v[43:44]
	v_add_f64 v[45:46], v[49:50], -v[57:58]
	v_div_fmas_f64 v[43:44], v[43:44], v[47:48], v[67:68]
	v_subbrev_co_u32_e64 v1, vcc, 0, v1, s[2:3]
	v_cmp_eq_f64_e64 s[2:3], 0, v[3:4]
	v_cmp_gt_i32_e32 vcc, 0, v2
	v_add_f64 v[41:42], v[41:42], v[45:46]
	v_cndmask_b32_e32 v18, v65, v66, vcc
	v_cndmask_b32_e32 v7, v63, v64, vcc
	v_bfi_b32 v18, s42, v18, v4
	v_add_f64 v[41:42], v[53:54], v[41:42]
	v_div_fixup_f64 v[35:36], v[43:44], v[35:36], v[37:38]
	v_mul_f64 v[37:38], v[39:40], v[41:42]
	v_mul_f64 v[39:40], v[35:36], v[35:36]
	v_add_f64 v[41:42], v[51:52], v[37:38]
	v_fma_f64 v[43:44], v[39:40], s[16:17], v[21:22]
	v_mul_f64 v[45:46], v[41:42], v[41:42]
	v_fma_f64 v[43:44], v[39:40], v[43:44], s[4:5]
	s_mov_b32 s4, 0xaf56de9b
	s_mov_b32 s5, 0xbf67952d
	v_fma_f64 v[47:48], v[45:46], s[24:25], v[19:20]
	v_mul_f64 v[49:50], v[41:42], v[45:46]
	v_fma_f64 v[43:44], v[39:40], v[43:44], s[4:5]
	v_fma_f64 v[47:48], v[45:46], v[47:48], s[26:27]
	;; [unrolled: 1-line block ×10, first 2 shown]
	v_ldexp_f64 v[47:48], v[41:42], 1
	v_add_f64 v[41:42], v[41:42], -v[51:52]
	v_fma_f64 v[43:44], v[39:40], v[43:44], s[40:41]
	v_cvt_f64_i32_e32 v[51:52], v1
	v_ashrrev_i32_e32 v1, 31, v2
	v_and_b32_e32 v11, 0x54442d18, v1
	v_mul_f64 v[45:46], v[49:50], v[45:46]
	v_mul_f64 v[53:54], v[51:52], s[36:37]
	v_add_f64 v[37:38], v[37:38], -v[41:42]
	v_fma_f64 v[43:44], v[39:40], v[43:44], s[56:57]
	v_add_f64 v[49:50], v[47:48], v[45:46]
	v_ldexp_f64 v[37:38], v[37:38], 1
	v_fma_f64 v[43:44], v[39:40], v[43:44], s[58:59]
	v_add_f64 v[41:42], v[49:50], -v[47:48]
	v_fma_f64 v[47:48], v[51:52], s[36:37], -v[53:54]
	v_fma_f64 v[43:44], v[39:40], v[43:44], s[60:61]
	v_add_f64 v[41:42], v[45:46], -v[41:42]
	v_fma_f64 v[45:46], v[51:52], s[38:39], v[47:48]
	v_fma_f64 v[43:44], v[39:40], v[43:44], s[62:63]
	v_add_f64 v[37:38], v[37:38], v[41:42]
	v_fma_f64 v[41:42], v[39:40], v[43:44], s[64:65]
	v_add_f64 v[43:44], v[53:54], v[45:46]
	v_add_f64 v[47:48], v[49:50], v[37:38]
	v_fma_f64 v[41:42], v[39:40], v[41:42], s[66:67]
	v_add_f64 v[53:54], v[43:44], -v[53:54]
	v_add_f64 v[51:52], v[43:44], v[47:48]
	v_add_f64 v[49:50], v[47:48], -v[49:50]
	v_fma_f64 v[41:42], v[39:40], v[41:42], s[68:69]
	v_add_f64 v[45:46], v[45:46], -v[53:54]
	v_add_f64 v[55:56], v[51:52], -v[43:44]
	;; [unrolled: 1-line block ×3, first 2 shown]
	v_fma_f64 v[41:42], v[39:40], v[41:42], s[70:71]
	v_add_f64 v[57:58], v[51:52], -v[55:56]
	v_add_f64 v[47:48], v[47:48], -v[55:56]
	v_add_f64 v[49:50], v[45:46], v[37:38]
	v_fma_f64 v[41:42], v[39:40], v[41:42], s[72:73]
	v_add_f64 v[43:44], v[43:44], -v[57:58]
	v_fma_f64 v[41:42], v[39:40], v[41:42], s[74:75]
	v_add_f64 v[43:44], v[47:48], v[43:44]
	v_add_f64 v[47:48], v[49:50], -v[45:46]
	v_fma_f64 v[41:42], v[39:40], v[41:42], s[76:77]
	v_add_f64 v[43:44], v[49:50], v[43:44]
	v_add_f64 v[37:38], v[37:38], -v[47:48]
	v_mul_f64 v[39:40], v[39:40], v[41:42]
	v_add_f64 v[41:42], v[49:50], -v[47:48]
	v_add_f64 v[49:50], v[51:52], v[43:44]
	v_fma_f64 v[35:36], v[35:36], v[39:40], v[35:36]
	v_add_f64 v[39:40], v[45:46], -v[41:42]
	v_add_f64 v[41:42], v[49:50], -v[51:52]
	v_add_f64 v[45:46], -v[35:36], s[80:81]
	v_add_f64 v[37:38], v[37:38], v[39:40]
	v_add_f64 v[39:40], v[43:44], -v[41:42]
	v_cndmask_b32_e64 v36, v36, v46, s[0:1]
	v_cndmask_b32_e64 v35, v35, v45, s[0:1]
	v_add_f64 v[41:42], -v[35:36], s[78:79]
	v_add_f64 v[37:38], v[37:38], v[39:40]
	v_cndmask_b32_e32 v15, v35, v41, vcc
	v_and_b32_e32 v35, 0x400921fb, v1
	v_cndmask_b32_e32 v36, v36, v42, vcc
	v_add_f64 v[1:2], v[49:50], v[37:38]
	v_cndmask_b32_e64 v11, v15, v11, s[2:3]
	v_cndmask_b32_e64 v15, v36, v35, s[2:3]
	v_cmp_ngt_f64_e64 s[2:3], 0, v[13:14]
	s_and_b64 vcc, s[10:11], s[20:21]
	v_cndmask_b32_e32 v36, v15, v18, vcc
	v_cndmask_b32_e32 v35, v11, v7, vcc
	v_cndmask_b32_e64 v2, v2, v14, s[6:7]
	v_cndmask_b32_e64 v1, v1, v13, s[6:7]
	;; [unrolled: 1-line block ×3, first 2 shown]
	v_cmp_nge_f64_e64 s[2:3], 0, v[13:14]
	v_cndmask_b32_e64 v37, 0, v1, s[2:3]
	v_cmp_neq_f64_e64 s[2:3], 0, v[13:14]
	v_cndmask_b32_e64 v38, v62, v2, s[2:3]
.LBB179_124:                            ;   in Loop: Header=BB179_5 Depth=1
	s_or_b64 exec, exec, s[8:9]
	s_mov_b32 s20, 0x69efb384
	s_mov_b32 s21, 0x3f4b2bb0
                                        ; implicit-def: $vgpr39_vgpr40
.LBB179_125:                            ;   in Loop: Header=BB179_5 Depth=1
	s_andn2_saveexec_b64 s[8:9], s[18:19]
	s_cbranch_execz .LBB179_131
; %bb.126:                              ;   in Loop: Header=BB179_5 Depth=1
	s_mov_b32 s2, 0x6a3f9475
	s_mov_b32 s3, 0x20ca2fe7
	v_cmp_ngt_f64_e32 vcc, s[2:3], v[39:40]
                                        ; implicit-def: $vgpr37_vgpr38
                                        ; implicit-def: $vgpr35_vgpr36
	s_and_saveexec_b64 s[2:3], vcc
	s_xor_b64 s[10:11], exec, s[2:3]
	s_cbranch_execz .LBB179_128
; %bb.127:                              ;   in Loop: Header=BB179_5 Depth=1
	v_mul_f64 v[13:14], v[39:40], v[39:40]
	s_mov_b32 s91, s23
	s_mov_b32 s78, s80
	;; [unrolled: 1-line block ×3, first 2 shown]
	v_cmp_class_f64_e64 s[4:5], v[3:4], s44
	s_mov_b32 s7, 0x7ff00000
	v_add_f64 v[35:36], v[13:14], 1.0
	v_cmp_neq_f64_e64 s[6:7], s[6:7], v[13:14]
	v_frexp_mant_f64_e32 v[39:40], v[35:36]
	v_frexp_exp_i32_f64_e32 v7, v[35:36]
	v_add_f64 v[37:38], v[35:36], -1.0
	v_cmp_gt_f64_e32 vcc, s[22:23], v[39:40]
	v_add_f64 v[41:42], v[37:38], -v[35:36]
	v_add_f64 v[37:38], v[13:14], -v[37:38]
	v_subbrev_co_u32_e32 v7, vcc, 0, v7, vcc
	v_sub_u32_e32 v11, 0, v7
	v_ldexp_f64 v[35:36], v[35:36], v11
	v_add_f64 v[39:40], v[41:42], 1.0
	v_add_f64 v[41:42], v[35:36], 1.0
	v_add_f64 v[37:38], v[37:38], v[39:40]
	v_add_f64 v[47:48], v[35:36], -1.0
	v_add_f64 v[39:40], v[41:42], -1.0
	v_ldexp_f64 v[37:38], v[37:38], v11
	v_add_f64 v[49:50], v[47:48], 1.0
	v_add_f64 v[39:40], v[35:36], -v[39:40]
	v_add_f64 v[35:36], v[35:36], -v[49:50]
	v_add_f64 v[43:44], v[37:38], v[39:40]
	v_add_f64 v[49:50], v[37:38], v[35:36]
	;; [unrolled: 1-line block ×3, first 2 shown]
	v_rcp_f64_e32 v[45:46], v[39:40]
	v_add_f64 v[41:42], v[41:42], -v[39:40]
	v_add_f64 v[43:44], v[43:44], v[41:42]
	v_fma_f64 v[51:52], -v[39:40], v[45:46], 1.0
	v_fma_f64 v[45:46], v[51:52], v[45:46], v[45:46]
	v_add_f64 v[51:52], v[47:48], v[49:50]
	v_fma_f64 v[35:36], -v[39:40], v[45:46], 1.0
	v_add_f64 v[47:48], v[47:48], -v[51:52]
	v_fma_f64 v[35:36], v[35:36], v[45:46], v[45:46]
	v_add_f64 v[47:48], v[49:50], v[47:48]
	v_mul_f64 v[37:38], v[51:52], v[35:36]
	v_mul_f64 v[45:46], v[39:40], v[37:38]
	v_fma_f64 v[41:42], v[37:38], v[39:40], -v[45:46]
	v_fma_f64 v[53:54], v[37:38], v[43:44], v[41:42]
	v_add_f64 v[55:56], v[45:46], v[53:54]
	v_add_f64 v[41:42], v[51:52], -v[55:56]
	v_add_f64 v[45:46], v[55:56], -v[45:46]
	;; [unrolled: 1-line block ×5, first 2 shown]
	v_add_f64 v[47:48], v[47:48], v[49:50]
	v_max_f64 v[49:50], |v[1:2]|, |v[1:2]|
	v_add_f64 v[45:46], v[45:46], v[47:48]
	v_max_f64 v[47:48], |v[3:4]|, |v[3:4]|
	v_add_f64 v[51:52], v[41:42], v[45:46]
	v_max_f64 v[53:54], v[49:50], v[47:48]
	v_min_f64 v[47:48], v[49:50], v[47:48]
	v_mul_f64 v[49:50], v[35:36], v[51:52]
	v_add_f64 v[41:42], v[41:42], -v[51:52]
	v_div_scale_f64 v[55:56], s[2:3], v[53:54], v[53:54], v[47:48]
	s_mov_b32 s2, 0xaf56de9b
	s_mov_b32 s3, 0xbf67952d
	v_mul_f64 v[57:58], v[39:40], v[49:50]
	v_add_f64 v[41:42], v[45:46], v[41:42]
	v_fma_f64 v[39:40], v[49:50], v[39:40], -v[57:58]
	v_rcp_f64_e32 v[67:68], v[55:56]
	v_fma_f64 v[39:40], v[49:50], v[43:44], v[39:40]
	v_add_f64 v[43:44], v[57:58], v[39:40]
	v_fma_f64 v[69:70], -v[55:56], v[67:68], 1.0
	v_add_f64 v[71:72], v[51:52], -v[43:44]
	v_add_f64 v[45:46], v[43:44], -v[57:58]
	v_fma_f64 v[67:68], v[67:68], v[69:70], v[67:68]
	v_div_scale_f64 v[69:70], vcc, v[47:48], v[53:54], v[47:48]
	v_add_f64 v[51:52], v[51:52], -v[71:72]
	v_add_f64 v[39:40], v[45:46], -v[39:40]
	v_fma_f64 v[73:74], -v[55:56], v[67:68], 1.0
	v_add_f64 v[45:46], v[37:38], v[49:50]
	v_add_f64 v[43:44], v[51:52], -v[43:44]
	v_fma_f64 v[51:52], v[67:68], v[73:74], v[67:68]
	v_add_f64 v[37:38], v[45:46], -v[37:38]
	v_add_f64 v[41:42], v[41:42], v[43:44]
	v_mul_f64 v[43:44], v[69:70], v[51:52]
	v_add_f64 v[37:38], v[49:50], -v[37:38]
	v_add_f64 v[39:40], v[39:40], v[41:42]
	v_fma_f64 v[41:42], -v[55:56], v[43:44], v[69:70]
	v_add_f64 v[39:40], v[71:72], v[39:40]
	v_div_fmas_f64 v[41:42], v[41:42], v[51:52], v[43:44]
	v_cmp_gt_i32_e32 vcc, 0, v2
	v_cndmask_b32_e32 v18, v65, v66, vcc
	v_bfi_b32 v13, s42, v18, v4
	v_mul_f64 v[35:36], v[35:36], v[39:40]
	v_add_f64 v[35:36], v[37:38], v[35:36]
	v_div_fixup_f64 v[37:38], v[41:42], v[53:54], v[47:48]
	v_add_f64 v[39:40], v[45:46], v[35:36]
	v_mul_f64 v[41:42], v[37:38], v[37:38]
	v_mul_f64 v[43:44], v[39:40], v[39:40]
	v_fma_f64 v[47:48], v[41:42], s[16:17], v[21:22]
	v_cmp_class_f64_e64 s[16:17], v[1:2], s44
	v_ashrrev_i32_e32 v1, 31, v2
	v_and_b32_e32 v11, 0x54442d18, v1
	v_fma_f64 v[49:50], v[43:44], s[24:25], v[19:20]
	v_mul_f64 v[51:52], v[39:40], v[43:44]
	v_fma_f64 v[47:48], v[41:42], v[47:48], s[20:21]
	v_fma_f64 v[49:50], v[43:44], v[49:50], s[26:27]
	;; [unrolled: 1-line block ×3, first 2 shown]
	v_cmp_eq_f64_e64 s[2:3], 0, v[3:4]
	v_fma_f64 v[49:50], v[43:44], v[49:50], s[28:29]
	v_fma_f64 v[47:48], v[41:42], v[47:48], s[46:47]
	;; [unrolled: 1-line block ×7, first 2 shown]
	v_ldexp_f64 v[49:50], v[39:40], 1
	v_fma_f64 v[47:48], v[41:42], v[47:48], s[52:53]
	v_add_f64 v[39:40], v[39:40], -v[45:46]
	v_mul_f64 v[43:44], v[51:52], v[43:44]
	v_cvt_f64_i32_e32 v[51:52], v7
	v_fma_f64 v[47:48], v[41:42], v[47:48], s[40:41]
	v_add_f64 v[35:36], v[35:36], -v[39:40]
	v_cndmask_b32_e32 v7, v63, v64, vcc
	v_mul_f64 v[53:54], v[51:52], s[36:37]
	v_add_f64 v[45:46], v[49:50], v[43:44]
	v_fma_f64 v[47:48], v[41:42], v[47:48], s[56:57]
	v_ldexp_f64 v[35:36], v[35:36], 1
	v_add_f64 v[39:40], v[45:46], -v[49:50]
	v_fma_f64 v[49:50], v[51:52], s[36:37], -v[53:54]
	v_fma_f64 v[47:48], v[41:42], v[47:48], s[58:59]
	v_add_f64 v[39:40], v[43:44], -v[39:40]
	v_fma_f64 v[43:44], v[41:42], v[47:48], s[60:61]
	v_fma_f64 v[47:48], v[51:52], s[38:39], v[49:50]
	v_add_f64 v[35:36], v[35:36], v[39:40]
	v_fma_f64 v[39:40], v[41:42], v[43:44], s[62:63]
	v_add_f64 v[43:44], v[53:54], v[47:48]
	v_add_f64 v[49:50], v[45:46], v[35:36]
	v_fma_f64 v[39:40], v[41:42], v[39:40], s[64:65]
	v_add_f64 v[53:54], v[43:44], -v[53:54]
	v_add_f64 v[51:52], v[43:44], v[49:50]
	v_add_f64 v[45:46], v[49:50], -v[45:46]
	v_fma_f64 v[39:40], v[41:42], v[39:40], s[66:67]
	v_add_f64 v[47:48], v[47:48], -v[53:54]
	v_add_f64 v[55:56], v[51:52], -v[43:44]
	;; [unrolled: 1-line block ×3, first 2 shown]
	v_fma_f64 v[39:40], v[41:42], v[39:40], s[68:69]
	v_add_f64 v[57:58], v[51:52], -v[55:56]
	v_add_f64 v[45:46], v[49:50], -v[55:56]
	v_fma_f64 v[39:40], v[41:42], v[39:40], s[70:71]
	v_add_f64 v[49:50], v[47:48], v[35:36]
	v_add_f64 v[43:44], v[43:44], -v[57:58]
	v_fma_f64 v[39:40], v[41:42], v[39:40], s[72:73]
	v_add_f64 v[43:44], v[45:46], v[43:44]
	;; [unrolled: 3-line block ×3, first 2 shown]
	v_add_f64 v[49:50], v[49:50], -v[45:46]
	v_fma_f64 v[39:40], v[41:42], v[39:40], s[76:77]
	v_add_f64 v[35:36], v[35:36], -v[45:46]
	v_add_f64 v[53:54], v[51:52], v[43:44]
	v_mul_f64 v[39:40], v[41:42], v[39:40]
	v_add_f64 v[41:42], v[47:48], -v[49:50]
	v_add_f64 v[45:46], v[53:54], -v[51:52]
	v_fma_f64 v[37:38], v[37:38], v[39:40], v[37:38]
	v_add_f64 v[35:36], v[35:36], v[41:42]
	v_add_f64 v[39:40], v[43:44], -v[45:46]
	v_add_f64 v[41:42], -v[37:38], s[80:81]
	v_add_f64 v[35:36], v[35:36], v[39:40]
	v_cndmask_b32_e64 v38, v38, v42, s[0:1]
	v_cndmask_b32_e64 v37, v37, v41, s[0:1]
	v_add_f64 v[39:40], -v[37:38], s[78:79]
	v_add_f64 v[35:36], v[53:54], v[35:36]
	v_cndmask_b32_e32 v15, v37, v39, vcc
	v_and_b32_e32 v37, 0x400921fb, v1
	v_cndmask_b32_e32 v14, v38, v40, vcc
	v_cndmask_b32_e64 v11, v15, v11, s[2:3]
	v_mul_f64 v[1:2], v[35:36], 0.5
	v_cndmask_b32_e64 v14, v14, v37, s[2:3]
	s_and_b64 vcc, s[16:17], s[4:5]
	s_mov_b32 s16, 0xb5e68a13
	s_mov_b32 s17, 0x3eeba404
	v_cndmask_b32_e32 v36, v14, v13, vcc
	v_cndmask_b32_e32 v35, v11, v7, vcc
                                        ; implicit-def: $vgpr39_vgpr40
	v_cndmask_b32_e64 v38, v60, v2, s[6:7]
	v_cndmask_b32_e64 v37, 0, v1, s[6:7]
.LBB179_128:                            ;   in Loop: Header=BB179_5 Depth=1
	s_andn2_saveexec_b64 s[6:7], s[10:11]
	s_cbranch_execz .LBB179_130
; %bb.129:                              ;   in Loop: Header=BB179_5 Depth=1
	v_max_f64 v[13:14], |v[3:4]|, |v[3:4]|
	v_max_f64 v[35:36], |v[1:2]|, |v[1:2]|
	s_mov_b32 s78, s80
	v_cmp_class_f64_e64 s[4:5], v[3:4], s44
	v_cmp_class_f64_e64 s[10:11], v[1:2], s44
	v_ashrrev_i32_e32 v7, 31, v2
	v_and_b32_e32 v15, 0x54442d18, v7
	v_max_f64 v[37:38], v[35:36], v[13:14]
	v_min_f64 v[13:14], v[35:36], v[13:14]
	v_div_scale_f64 v[35:36], s[2:3], v[37:38], v[37:38], v[13:14]
	s_mov_b32 s2, 0xaf56de9b
	s_mov_b32 s3, 0xbf67952d
	v_rcp_f64_e32 v[41:42], v[35:36]
	v_fma_f64 v[43:44], -v[35:36], v[41:42], 1.0
	v_fma_f64 v[41:42], v[41:42], v[43:44], v[41:42]
	v_div_scale_f64 v[43:44], vcc, v[13:14], v[37:38], v[13:14]
	v_fma_f64 v[45:46], -v[35:36], v[41:42], 1.0
	v_fma_f64 v[41:42], v[41:42], v[45:46], v[41:42]
	v_mul_f64 v[45:46], v[43:44], v[41:42]
	v_fma_f64 v[35:36], -v[35:36], v[45:46], v[43:44]
	v_div_fmas_f64 v[35:36], v[35:36], v[41:42], v[45:46]
	v_cmp_gt_i32_e32 vcc, 0, v2
	v_cndmask_b32_e32 v1, v65, v66, vcc
	v_and_b32_e32 v2, 0x400921fb, v7
	v_cndmask_b32_e32 v11, v63, v64, vcc
	v_bfi_b32 v1, s42, v1, v4
	v_div_fixup_f64 v[13:14], v[35:36], v[37:38], v[13:14]
	v_mul_f64 v[35:36], v[13:14], v[13:14]
	v_fma_f64 v[37:38], v[35:36], s[16:17], v[21:22]
	v_fma_f64 v[37:38], v[35:36], v[37:38], s[20:21]
	;; [unrolled: 1-line block ×3, first 2 shown]
	v_cmp_eq_f64_e64 s[2:3], 0, v[3:4]
	v_fma_f64 v[37:38], v[35:36], v[37:38], s[46:47]
	v_fma_f64 v[37:38], v[35:36], v[37:38], s[48:49]
	;; [unrolled: 1-line block ×16, first 2 shown]
	v_mul_f64 v[35:36], v[35:36], v[37:38]
	v_mul_f64 v[37:38], v[39:40], 0.5
	v_fma_f64 v[13:14], v[13:14], v[35:36], v[13:14]
	v_mul_f64 v[37:38], v[39:40], v[37:38]
	v_add_f64 v[35:36], -v[13:14], s[80:81]
	v_cndmask_b32_e64 v14, v14, v36, s[0:1]
	v_cndmask_b32_e64 v13, v13, v35, s[0:1]
	v_add_f64 v[35:36], -v[13:14], s[78:79]
	v_cndmask_b32_e32 v13, v13, v35, vcc
	v_cndmask_b32_e32 v7, v14, v36, vcc
	v_cndmask_b32_e64 v13, v13, v15, s[2:3]
	v_cndmask_b32_e64 v2, v7, v2, s[2:3]
	s_and_b64 vcc, s[10:11], s[4:5]
	v_cndmask_b32_e32 v36, v2, v1, vcc
	v_cndmask_b32_e32 v35, v13, v11, vcc
.LBB179_130:                            ;   in Loop: Header=BB179_5 Depth=1
	s_or_b64 exec, exec, s[6:7]
.LBB179_131:                            ;   in Loop: Header=BB179_5 Depth=1
	s_or_b64 exec, exec, s[8:9]
.LBB179_132:                            ;   in Loop: Header=BB179_5 Depth=1
	s_andn2_saveexec_b64 s[6:7], s[92:93]
	s_cbranch_execz .LBB179_134
; %bb.133:                              ;   in Loop: Header=BB179_5 Depth=1
	v_div_scale_f64 v[13:14], s[2:3], s[84:85], s[84:85], v[1:2]
	v_div_scale_f64 v[35:36], s[2:3], s[84:85], s[84:85], v[3:4]
	;; [unrolled: 1-line block ×3, first 2 shown]
	s_mov_b32 s91, s23
	s_mov_b32 s78, s80
	v_cmp_class_f64_e64 s[8:9], v[1:2], s44
	v_rcp_f64_e32 v[37:38], v[13:14]
	v_rcp_f64_e32 v[39:40], v[35:36]
	v_fma_f64 v[41:42], -v[13:14], v[37:38], 1.0
	v_fma_f64 v[43:44], -v[35:36], v[39:40], 1.0
	v_fma_f64 v[37:38], v[37:38], v[41:42], v[37:38]
	v_div_scale_f64 v[41:42], vcc, v[1:2], s[84:85], v[1:2]
	v_fma_f64 v[39:40], v[39:40], v[43:44], v[39:40]
	v_fma_f64 v[43:44], -v[13:14], v[37:38], 1.0
	v_fma_f64 v[47:48], -v[35:36], v[39:40], 1.0
	v_fma_f64 v[37:38], v[37:38], v[43:44], v[37:38]
	v_fma_f64 v[39:40], v[39:40], v[47:48], v[39:40]
	v_mul_f64 v[43:44], v[41:42], v[37:38]
	v_mul_f64 v[47:48], v[45:46], v[39:40]
	v_fma_f64 v[13:14], -v[13:14], v[43:44], v[41:42]
	v_fma_f64 v[35:36], -v[35:36], v[47:48], v[45:46]
	v_max_f64 v[45:46], |v[1:2]|, |v[1:2]|
	v_div_fmas_f64 v[13:14], v[13:14], v[37:38], v[43:44]
	s_mov_b64 vcc, s[2:3]
	v_div_fmas_f64 v[35:36], v[35:36], v[39:40], v[47:48]
	v_div_fixup_f64 v[13:14], v[13:14], s[84:85], v[1:2]
	v_ashrrev_i32_e32 v1, 31, v2
	v_and_b32_e32 v15, 0x54442d18, v1
	v_div_fixup_f64 v[35:36], v[35:36], s[84:85], v[3:4]
	v_cmp_class_f64_e64 s[2:3], v[13:14], s44
	v_max_f64 v[37:38], |v[13:14]|, |v[35:36]|
	v_cmp_class_f64_e64 s[4:5], v[35:36], s44
	v_frexp_exp_i32_f64_e32 v7, v[37:38]
	v_sub_u32_e32 v11, 0, v7
	v_ldexp_f64 v[37:38], |v[35:36]|, v11
	v_ldexp_f64 v[39:40], |v[13:14]|, v11
	v_mul_f64 v[37:38], v[37:38], v[37:38]
	v_fma_f64 v[37:38], v[39:40], v[39:40], v[37:38]
	v_rsq_f64_e32 v[39:40], v[37:38]
	v_cmp_eq_f64_e32 vcc, 0, v[37:38]
	v_mul_f64 v[41:42], v[37:38], v[39:40]
	v_mul_f64 v[39:40], v[39:40], 0.5
	v_fma_f64 v[43:44], -v[39:40], v[41:42], 0.5
	v_fma_f64 v[41:42], v[41:42], v[43:44], v[41:42]
	v_fma_f64 v[39:40], v[39:40], v[43:44], v[39:40]
	v_fma_f64 v[43:44], -v[41:42], v[41:42], v[37:38]
	v_fma_f64 v[39:40], v[43:44], v[39:40], v[41:42]
	v_max_f64 v[43:44], |v[3:4]|, |v[3:4]|
	v_cndmask_b32_e32 v38, v40, v38, vcc
	v_cndmask_b32_e32 v37, v39, v37, vcc
	v_ldexp_f64 v[37:38], v[37:38], v7
	v_cmp_o_f64_e32 vcc, v[13:14], v[35:36]
	v_cndmask_b32_e32 v7, 0, v37, vcc
	v_cndmask_b32_e32 v11, v61, v38, vcc
	s_or_b64 vcc, s[2:3], s[4:5]
	v_cndmask_b32_e32 v14, v11, v60, vcc
	v_cndmask_b32_e64 v13, v7, 0, vcc
	v_frexp_mant_f64_e32 v[35:36], v[13:14]
	v_cmp_gt_f64_e64 s[2:3], s[22:23], v[35:36]
	v_cndmask_b32_e64 v7, 0, 1, s[2:3]
	v_ldexp_f64 v[35:36], v[35:36], v7
	v_frexp_exp_i32_f64_e32 v7, v[13:14]
	v_add_f64 v[37:38], v[35:36], 1.0
	v_add_f64 v[49:50], v[35:36], -1.0
	v_rcp_f64_e32 v[39:40], v[37:38]
	v_add_f64 v[53:54], v[37:38], -1.0
	v_add_f64 v[35:36], v[35:36], -v[53:54]
	v_fma_f64 v[41:42], -v[37:38], v[39:40], 1.0
	v_fma_f64 v[39:40], v[41:42], v[39:40], v[39:40]
	v_max_f64 v[41:42], v[45:46], v[43:44]
	v_min_f64 v[43:44], v[45:46], v[43:44]
	v_fma_f64 v[45:46], -v[37:38], v[39:40], 1.0
	v_div_scale_f64 v[47:48], s[4:5], v[41:42], v[41:42], v[43:44]
	s_mov_b32 s4, 0xaf56de9b
	s_mov_b32 s5, 0xbf67952d
	v_fma_f64 v[39:40], v[45:46], v[39:40], v[39:40]
	v_mul_f64 v[45:46], v[49:50], v[39:40]
	v_rcp_f64_e32 v[51:52], v[47:48]
	v_mul_f64 v[55:56], v[37:38], v[45:46]
	v_fma_f64 v[37:38], v[45:46], v[37:38], -v[55:56]
	v_fma_f64 v[53:54], -v[47:48], v[51:52], 1.0
	v_fma_f64 v[35:36], v[45:46], v[35:36], v[37:38]
	v_fma_f64 v[37:38], v[51:52], v[53:54], v[51:52]
	v_div_scale_f64 v[53:54], vcc, v[43:44], v[41:42], v[43:44]
	v_add_f64 v[51:52], v[55:56], v[35:36]
	v_fma_f64 v[57:58], -v[47:48], v[37:38], 1.0
	v_add_f64 v[67:68], v[49:50], -v[51:52]
	v_add_f64 v[55:56], v[51:52], -v[55:56]
	v_fma_f64 v[37:38], v[37:38], v[57:58], v[37:38]
	v_add_f64 v[49:50], v[49:50], -v[67:68]
	v_add_f64 v[35:36], v[55:56], -v[35:36]
	v_mul_f64 v[57:58], v[53:54], v[37:38]
	v_add_f64 v[49:50], v[49:50], -v[51:52]
	v_fma_f64 v[47:48], -v[47:48], v[57:58], v[53:54]
	v_add_f64 v[35:36], v[35:36], v[49:50]
	v_div_fmas_f64 v[37:38], v[47:48], v[37:38], v[57:58]
	v_subbrev_co_u32_e64 v7, vcc, 0, v7, s[2:3]
	v_cmp_gt_i32_e32 vcc, 0, v2
	v_cmp_eq_f64_e64 s[2:3], 0, v[3:4]
	v_cndmask_b32_e32 v11, v65, v66, vcc
	v_add_f64 v[35:36], v[67:68], v[35:36]
	v_bfi_b32 v11, s42, v11, v4
	v_mul_f64 v[35:36], v[39:40], v[35:36]
	v_div_fixup_f64 v[37:38], v[37:38], v[41:42], v[43:44]
	v_add_f64 v[39:40], v[45:46], v[35:36]
	v_mul_f64 v[41:42], v[37:38], v[37:38]
	v_mul_f64 v[43:44], v[39:40], v[39:40]
	v_fma_f64 v[47:48], v[41:42], s[16:17], v[21:22]
	v_fma_f64 v[49:50], v[43:44], s[24:25], v[19:20]
	v_mul_f64 v[51:52], v[39:40], v[43:44]
	v_fma_f64 v[47:48], v[41:42], v[47:48], s[20:21]
	v_fma_f64 v[49:50], v[43:44], v[49:50], s[26:27]
	;; [unrolled: 1-line block ×3, first 2 shown]
	v_cmp_class_f64_e64 s[4:5], v[3:4], s44
	v_fma_f64 v[49:50], v[43:44], v[49:50], s[28:29]
	v_fma_f64 v[47:48], v[41:42], v[47:48], s[46:47]
	;; [unrolled: 1-line block ×7, first 2 shown]
	v_ldexp_f64 v[49:50], v[39:40], 1
	v_fma_f64 v[47:48], v[41:42], v[47:48], s[52:53]
	v_add_f64 v[39:40], v[39:40], -v[45:46]
	v_mul_f64 v[43:44], v[51:52], v[43:44]
	v_cvt_f64_i32_e32 v[51:52], v7
	v_fma_f64 v[47:48], v[41:42], v[47:48], s[40:41]
	v_add_f64 v[35:36], v[35:36], -v[39:40]
	v_cndmask_b32_e32 v7, v63, v64, vcc
	v_mul_f64 v[53:54], v[51:52], s[36:37]
	v_add_f64 v[45:46], v[49:50], v[43:44]
	v_fma_f64 v[47:48], v[41:42], v[47:48], s[56:57]
	v_ldexp_f64 v[35:36], v[35:36], 1
	v_add_f64 v[39:40], v[45:46], -v[49:50]
	v_fma_f64 v[49:50], v[51:52], s[36:37], -v[53:54]
	v_fma_f64 v[47:48], v[41:42], v[47:48], s[58:59]
	v_add_f64 v[39:40], v[43:44], -v[39:40]
	v_fma_f64 v[43:44], v[41:42], v[47:48], s[60:61]
	v_fma_f64 v[47:48], v[51:52], s[38:39], v[49:50]
	v_add_f64 v[35:36], v[35:36], v[39:40]
	v_fma_f64 v[39:40], v[41:42], v[43:44], s[62:63]
	v_add_f64 v[43:44], v[53:54], v[47:48]
	v_add_f64 v[49:50], v[45:46], v[35:36]
	v_fma_f64 v[39:40], v[41:42], v[39:40], s[64:65]
	v_add_f64 v[53:54], v[43:44], -v[53:54]
	v_add_f64 v[51:52], v[43:44], v[49:50]
	v_add_f64 v[45:46], v[49:50], -v[45:46]
	v_fma_f64 v[39:40], v[41:42], v[39:40], s[66:67]
	v_add_f64 v[47:48], v[47:48], -v[53:54]
	v_add_f64 v[55:56], v[51:52], -v[43:44]
	v_add_f64 v[35:36], v[35:36], -v[45:46]
	v_fma_f64 v[39:40], v[41:42], v[39:40], s[68:69]
	v_add_f64 v[57:58], v[51:52], -v[55:56]
	v_add_f64 v[45:46], v[49:50], -v[55:56]
	v_fma_f64 v[39:40], v[41:42], v[39:40], s[70:71]
	v_add_f64 v[49:50], v[47:48], v[35:36]
	v_add_f64 v[43:44], v[43:44], -v[57:58]
	v_fma_f64 v[39:40], v[41:42], v[39:40], s[72:73]
	v_add_f64 v[43:44], v[45:46], v[43:44]
	;; [unrolled: 3-line block ×3, first 2 shown]
	v_add_f64 v[49:50], v[49:50], -v[45:46]
	v_fma_f64 v[39:40], v[41:42], v[39:40], s[76:77]
	v_add_f64 v[35:36], v[35:36], -v[45:46]
	v_add_f64 v[53:54], v[51:52], v[43:44]
	v_mul_f64 v[39:40], v[41:42], v[39:40]
	v_add_f64 v[41:42], v[47:48], -v[49:50]
	v_add_f64 v[45:46], v[53:54], -v[51:52]
	v_fma_f64 v[37:38], v[37:38], v[39:40], v[37:38]
	v_add_f64 v[35:36], v[35:36], v[41:42]
	v_add_f64 v[39:40], v[43:44], -v[45:46]
	v_add_f64 v[41:42], -v[37:38], s[80:81]
	v_add_f64 v[35:36], v[35:36], v[39:40]
	v_cndmask_b32_e64 v38, v38, v42, s[0:1]
	v_cndmask_b32_e64 v37, v37, v41, s[0:1]
	v_add_f64 v[39:40], -v[37:38], s[78:79]
	v_cmp_class_f64_e64 s[0:1], v[13:14], s44
	v_add_f64 v[35:36], v[53:54], v[35:36]
	v_cndmask_b32_e32 v18, v37, v39, vcc
	v_and_b32_e32 v37, 0x400921fb, v1
	v_cndmask_b32_e64 v15, v18, v15, s[2:3]
	v_cndmask_b32_e64 v2, v36, v14, s[0:1]
	;; [unrolled: 1-line block ×3, first 2 shown]
	v_add_f64 v[1:2], v[1:2], 1.0
	v_cmp_ngt_f64_e64 s[0:1], 0, v[13:14]
	v_cndmask_b32_e32 v35, v38, v40, vcc
	v_cndmask_b32_e64 v18, v35, v37, s[2:3]
	s_and_b64 vcc, s[8:9], s[4:5]
	v_cndmask_b32_e32 v36, v18, v11, vcc
	v_cndmask_b32_e32 v35, v15, v7, vcc
	v_cndmask_b32_e64 v2, v61, v2, s[0:1]
	v_cmp_nge_f64_e64 s[0:1], 0, v[13:14]
	v_cndmask_b32_e64 v37, 0, v1, s[0:1]
	v_cmp_neq_f64_e64 s[0:1], 0, v[13:14]
	v_cndmask_b32_e64 v38, v62, v2, s[0:1]
.LBB179_134:                            ;   in Loop: Header=BB179_5 Depth=1
	s_or_b64 exec, exec, s[6:7]
.LBB179_135:                            ;   in Loop: Header=BB179_5 Depth=1
	s_andn2_saveexec_b64 s[0:1], s[14:15]
	s_cbranch_execz .LBB179_4
; %bb.136:                              ;   in Loop: Header=BB179_5 Depth=1
	v_cmp_nlt_f64_e64 s[2:3], |v[1:2]|, s[94:95]
	v_cmp_nlt_f64_e64 s[4:5], |v[3:4]|, s[94:95]
                                        ; implicit-def: $vgpr13_vgpr14
	s_or_b64 s[2:3], s[2:3], s[4:5]
	s_and_saveexec_b64 s[4:5], s[2:3]
	s_xor_b64 s[2:3], exec, s[4:5]
	s_cbranch_execz .LBB179_138
; %bb.137:                              ;   in Loop: Header=BB179_5 Depth=1
	v_mul_f64 v[13:14], v[3:4], v[3:4]
	v_fma_f64 v[13:14], v[1:2], v[1:2], v[13:14]
.LBB179_138:                            ;   in Loop: Header=BB179_5 Depth=1
	s_andn2_saveexec_b64 s[2:3], s[2:3]
	s_cbranch_execz .LBB179_3
; %bb.139:                              ;   in Loop: Header=BB179_5 Depth=1
	v_mul_f64 v[13:14], v[3:4], 4.0
	v_mul_f64 v[1:2], v[1:2], 4.0
	v_mul_f64 v[13:14], v[13:14], v[13:14]
	v_fma_f64 v[1:2], v[1:2], v[1:2], v[13:14]
	v_ldexp_f64 v[13:14], v[1:2], -4
	s_branch .LBB179_3
.LBB179_140:
	v_readlane_b32 s0, v80, 4
	v_readlane_b32 s1, v80, 5
	s_or_b64 exec, exec, s[0:1]
	v_readlane_b32 s4, v80, 0
	v_readlane_b32 s10, v80, 2
	s_mov_b64 s[0:1], 0
	s_mov_b32 s61, s45
	v_readlane_b32 s5, v80, 1
	v_readlane_b32 s11, v80, 3
.LBB179_141:
	s_andn2_b64 vcc, exec, s[0:1]
	s_cbranch_vccnz .LBB179_297
; %bb.142:
	v_cmp_lt_i64_e64 s[0:1], s[10:11], 1
	s_and_b64 vcc, exec, s[0:1]
	s_cbranch_vccnz .LBB179_297
; %bb.143:
	v_mov_b32_e32 v1, 0x10000
	s_load_dword s2, s[4:5], 0xc5c
	v_mov_b32_e32 v2, 0
	v_cmp_lt_i64_e32 vcc, s[10:11], v[1:2]
	s_mov_b32 s26, 0x55555555
	s_and_b64 s[0:1], vcc, exec
	v_cmp_lt_u64_e32 vcc, s[10:11], v[1:2]
	s_cselect_b32 s17, s11, 0
	s_cselect_b32 s16, s10, 0x10000
	s_waitcnt lgkmcnt(0)
	s_and_b32 s56, s2, 0xffff
	s_and_b64 s[0:1], vcc, exec
	s_mov_b32 s28, 0xbf559e2b
	s_mov_b32 s30, 0xd7f4df2e
	;; [unrolled: 1-line block ×23, first 2 shown]
	v_mov_b32_e32 v17, 0
	s_cselect_b32 s19, s11, 0
	s_cselect_b32 s18, s10, 0x10000
	s_mov_b32 s27, 0x3fe55555
	s_mov_b32 s29, 0x3fc3ab76
	;; [unrolled: 1-line block ×23, first 2 shown]
	v_mov_b32_e32 v19, 0x6b47b09a
	v_mov_b32_e32 v20, 0x3fc38538
	v_mov_b32_e32 v63, 0x7ff00000
	v_mov_b32_e32 v64, 0x7ff80000
	v_mov_b32_e32 v65, 0xfff00000
	v_mov_b32_e32 v21, 0xbd3237f4
	v_mov_b32_e32 v22, 0xbf23e260
	v_mov_b32_e32 v66, 0x54442d18
	v_mov_b32_e32 v67, 0x7f3321d2
	v_mov_b32_e32 v68, 0x3fe921fb
	v_mov_b32_e32 v69, 0x4002d97c
	s_lshl_b32 s57, s56, 1
	s_lshl_b32 s58, s56, 2
	s_brev_b32 s59, -2
	s_movk_i32 s60, 0x204
	s_mov_b64 s[92:93], 0
	s_mov_b32 s94, 0x55555780
	s_brev_b32 s85, 4
	s_mov_b32 s83, 0x400921fb
	s_branch .LBB179_145
.LBB179_144:                            ;   in Loop: Header=BB179_145 Depth=1
	s_or_b64 exec, exec, s[2:3]
	s_add_u32 s92, s92, s58
	v_mov_b32_e32 v1, s16
	s_addc_u32 s93, s93, 0
	v_mov_b32_e32 v2, s17
	v_cmp_ge_i64_e32 vcc, s[92:93], v[1:2]
	s_cbranch_vccnz .LBB179_297
.LBB179_145:                            ; =>This Loop Header: Depth=1
                                        ;     Child Loop BB179_164 Depth 2
                                        ;     Child Loop BB179_198 Depth 2
	;; [unrolled: 1-line block ×4, first 2 shown]
	v_mov_b32_e32 v1, s93
	v_add_co_u32_e32 v29, vcc, s92, v0
	v_addc_co_u32_e32 v30, vcc, 0, v1, vcc
	v_cmp_gt_u64_e64 s[6:7], s[18:19], v[29:30]
	v_mov_b32_e32 v7, 0
	v_mov_b32_e32 v15, 0
	;; [unrolled: 1-line block ×6, first 2 shown]
	s_and_saveexec_b64 s[0:1], s[6:7]
	s_cbranch_execz .LBB179_147
; %bb.146:                              ;   in Loop: Header=BB179_145 Depth=1
	v_lshlrev_b64 v[1:2], 4, v[29:30]
	v_mov_b32_e32 v3, s61
	v_add_co_u32_e32 v1, vcc, s33, v1
	v_addc_co_u32_e32 v2, vcc, v3, v2, vcc
	global_load_dwordx4 v[13:16], v[1:2], off
.LBB179_147:                            ;   in Loop: Header=BB179_145 Depth=1
	s_or_b64 exec, exec, s[0:1]
	v_add_co_u32_e32 v27, vcc, s56, v29
	v_addc_co_u32_e32 v28, vcc, 0, v30, vcc
	v_cmp_gt_u64_e64 s[4:5], s[18:19], v[27:28]
	v_mov_b32_e32 v5, 0
	v_mov_b32_e32 v6, 0
	s_and_saveexec_b64 s[0:1], s[4:5]
	s_cbranch_execz .LBB179_149
; %bb.148:                              ;   in Loop: Header=BB179_145 Depth=1
	v_lshlrev_b64 v[1:2], 4, v[27:28]
	v_mov_b32_e32 v3, s61
	v_add_co_u32_e32 v1, vcc, s33, v1
	v_addc_co_u32_e32 v2, vcc, v3, v2, vcc
	global_load_dwordx4 v[5:8], v[1:2], off
.LBB179_149:                            ;   in Loop: Header=BB179_145 Depth=1
	s_or_b64 exec, exec, s[0:1]
	v_add_co_u32_e32 v25, vcc, s57, v29
	v_addc_co_u32_e32 v26, vcc, 0, v30, vcc
	v_cmp_gt_u64_e64 s[2:3], s[18:19], v[25:26]
	v_mov_b32_e32 v3, 0
	v_mov_b32_e32 v11, 0
	;; [unrolled: 1-line block ×6, first 2 shown]
	s_and_saveexec_b64 s[0:1], s[2:3]
	s_cbranch_execz .LBB179_151
; %bb.150:                              ;   in Loop: Header=BB179_145 Depth=1
	v_lshlrev_b64 v[1:2], 4, v[25:26]
	v_mov_b32_e32 v9, s61
	v_add_co_u32_e32 v1, vcc, s33, v1
	v_addc_co_u32_e32 v2, vcc, v9, v2, vcc
	global_load_dwordx4 v[9:12], v[1:2], off
.LBB179_151:                            ;   in Loop: Header=BB179_145 Depth=1
	s_or_b64 exec, exec, s[0:1]
	s_mul_i32 s0, s56, 3
	v_add_co_u32_e32 v23, vcc, s0, v29
	v_addc_co_u32_e32 v24, vcc, 0, v30, vcc
	v_cmp_gt_u64_e64 s[0:1], s[18:19], v[23:24]
	v_mov_b32_e32 v1, 0
	v_mov_b32_e32 v2, 0
	s_and_saveexec_b64 s[8:9], s[0:1]
	s_cbranch_execz .LBB179_153
; %bb.152:                              ;   in Loop: Header=BB179_145 Depth=1
	v_lshlrev_b64 v[1:2], 4, v[23:24]
	v_mov_b32_e32 v3, s61
	v_add_co_u32_e32 v1, vcc, s33, v1
	v_addc_co_u32_e32 v2, vcc, v3, v2, vcc
	global_load_dwordx4 v[1:4], v[1:2], off
.LBB179_153:                            ;   in Loop: Header=BB179_145 Depth=1
	s_or_b64 exec, exec, s[8:9]
	s_waitcnt vmcnt(0)
	v_cmp_o_f64_e32 vcc, v[13:14], v[15:16]
                                        ; implicit-def: $vgpr33_vgpr34
                                        ; implicit-def: $vgpr31_vgpr32
	s_and_saveexec_b64 s[8:9], vcc
	s_xor_b64 s[24:25], exec, s[8:9]
	s_cbranch_execz .LBB179_181
; %bb.154:                              ;   in Loop: Header=BB179_145 Depth=1
	v_cmp_lt_f64_e64 s[8:9], |v[13:14]|, |v[15:16]|
	v_and_b32_e32 v18, 0x7fffffff, v14
	v_and_b32_e32 v35, 0x7fffffff, v16
	s_mov_b32 s10, 0x85ebc8a0
	s_mov_b32 s11, 0x7fd1ccf3
	v_mov_b32_e32 v36, v15
                                        ; implicit-def: $vgpr33_vgpr34
                                        ; implicit-def: $vgpr31_vgpr32
	v_cndmask_b32_e64 v38, v35, v18, s[8:9]
	v_cndmask_b32_e64 v37, v15, v13, s[8:9]
	v_cmp_nlt_f64_e32 vcc, s[10:11], v[37:38]
	s_and_saveexec_b64 s[10:11], vcc
	s_xor_b64 s[86:87], exec, s[10:11]
	s_cbranch_execz .LBB179_178
; %bb.155:                              ;   in Loop: Header=BB179_145 Depth=1
	v_cndmask_b32_e64 v40, v18, v35, s[8:9]
	v_cndmask_b32_e64 v39, v13, v36, s[8:9]
	v_cmp_neq_f64_e32 vcc, 1.0, v[39:40]
                                        ; implicit-def: $vgpr33_vgpr34
                                        ; implicit-def: $vgpr31_vgpr32
	s_and_saveexec_b64 s[10:11], vcc
	s_xor_b64 s[20:21], exec, s[10:11]
	s_cbranch_execz .LBB179_171
; %bb.156:                              ;   in Loop: Header=BB179_145 Depth=1
	v_max_f64 v[31:32], v[37:38], v[37:38]
	v_max_f64 v[33:34], v[39:40], v[39:40]
	s_mov_b32 s10, 0x4ad4b81f
	s_mov_b32 s11, 0x358dee7a
	v_min_f64 v[35:36], v[33:34], v[31:32]
	v_max_f64 v[31:32], v[33:34], v[31:32]
                                        ; implicit-def: $vgpr33_vgpr34
	v_cmp_ngt_f64_e32 vcc, s[10:11], v[35:36]
	s_mov_b32 s10, 0xc57e649a
	s_mov_b32 s11, 0x4a511b0e
	v_cmp_nlt_f64_e64 s[10:11], s[10:11], v[31:32]
                                        ; implicit-def: $vgpr31_vgpr32
	s_and_b64 s[10:11], s[10:11], vcc
	s_and_saveexec_b64 s[12:13], s[10:11]
	s_xor_b64 s[44:45], exec, s[12:13]
	s_cbranch_execz .LBB179_168
; %bb.157:                              ;   in Loop: Header=BB179_145 Depth=1
	v_cmp_le_f64_e32 vcc, 1.0, v[39:40]
                                        ; implicit-def: $vgpr33_vgpr34
                                        ; implicit-def: $vgpr31_vgpr32
	s_and_saveexec_b64 s[10:11], vcc
	s_xor_b64 s[46:47], exec, s[10:11]
	s_cbranch_execz .LBB179_159
; %bb.158:                              ;   in Loop: Header=BB179_145 Depth=1
	v_add_f64 v[31:32], v[39:40], -1.0
	v_add_f64 v[33:34], v[39:40], 1.0
	s_mov_b32 s95, s27
	s_mov_b32 s82, s22
	;; [unrolled: 1-line block ×4, first 2 shown]
	v_cmp_class_f64_e64 s[48:49], v[15:16], s60
	v_mul_f64 v[31:32], v[31:32], v[33:34]
	v_fma_f64 v[34:35], v[37:38], v[37:38], v[31:32]
	v_add_f64 v[31:32], v[34:35], 1.0
	v_cmp_nge_f64_e64 s[12:13], -1.0, v[34:35]
	v_cmp_neq_f64_e64 s[14:15], s[14:15], v[34:35]
	v_frexp_mant_f64_e32 v[38:39], v[31:32]
	v_frexp_exp_i32_f64_e32 v18, v[31:32]
	v_add_f64 v[36:37], v[31:32], -1.0
	v_cmp_gt_f64_e32 vcc, s[26:27], v[38:39]
	v_add_f64 v[40:41], v[36:37], -v[31:32]
	v_add_f64 v[36:37], v[34:35], -v[36:37]
	v_subbrev_co_u32_e32 v18, vcc, 0, v18, vcc
	v_sub_u32_e32 v33, 0, v18
	v_ldexp_f64 v[31:32], v[31:32], v33
	v_add_f64 v[38:39], v[40:41], 1.0
	v_add_f64 v[40:41], v[31:32], 1.0
	v_add_f64 v[36:37], v[36:37], v[38:39]
	v_add_f64 v[46:47], v[31:32], -1.0
	v_add_f64 v[38:39], v[40:41], -1.0
	v_ldexp_f64 v[36:37], v[36:37], v33
	v_add_f64 v[48:49], v[46:47], 1.0
	v_add_f64 v[38:39], v[31:32], -v[38:39]
	v_add_f64 v[31:32], v[31:32], -v[48:49]
	v_add_f64 v[42:43], v[36:37], v[38:39]
	v_add_f64 v[48:49], v[36:37], v[31:32]
	;; [unrolled: 1-line block ×3, first 2 shown]
	v_rcp_f64_e32 v[44:45], v[38:39]
	v_add_f64 v[40:41], v[38:39], -v[40:41]
	v_add_f64 v[42:43], v[42:43], -v[40:41]
	v_fma_f64 v[50:51], -v[38:39], v[44:45], 1.0
	v_fma_f64 v[44:45], v[50:51], v[44:45], v[44:45]
	v_add_f64 v[50:51], v[46:47], v[48:49]
	v_fma_f64 v[31:32], -v[38:39], v[44:45], 1.0
	v_add_f64 v[46:47], v[50:51], -v[46:47]
	v_fma_f64 v[31:32], v[31:32], v[44:45], v[44:45]
	v_add_f64 v[46:47], v[48:49], -v[46:47]
	v_mul_f64 v[36:37], v[50:51], v[31:32]
	v_mul_f64 v[44:45], v[38:39], v[36:37]
	v_fma_f64 v[40:41], v[36:37], v[38:39], -v[44:45]
	v_fma_f64 v[52:53], v[36:37], v[42:43], v[40:41]
	v_add_f64 v[54:55], v[44:45], v[52:53]
	v_add_f64 v[40:41], v[50:51], -v[54:55]
	v_add_f64 v[44:45], v[54:55], -v[44:45]
	;; [unrolled: 1-line block ×5, first 2 shown]
	v_add_f64 v[46:47], v[46:47], v[48:49]
	v_max_f64 v[48:49], |v[13:14]|, |v[13:14]|
	v_add_f64 v[44:45], v[44:45], v[46:47]
	v_max_f64 v[46:47], |v[15:16]|, |v[15:16]|
	v_add_f64 v[50:51], v[40:41], v[44:45]
	v_max_f64 v[52:53], v[48:49], v[46:47]
	v_min_f64 v[46:47], v[48:49], v[46:47]
	v_mul_f64 v[48:49], v[31:32], v[50:51]
	v_add_f64 v[40:41], v[40:41], -v[50:51]
	v_div_scale_f64 v[54:55], s[10:11], v[52:53], v[52:53], v[46:47]
	s_mov_b32 s10, 0xaf56de9b
	s_mov_b32 s11, 0xbf67952d
	v_mul_f64 v[56:57], v[38:39], v[48:49]
	v_add_f64 v[40:41], v[44:45], v[40:41]
	v_fma_f64 v[38:39], v[48:49], v[38:39], -v[56:57]
	v_rcp_f64_e32 v[58:59], v[54:55]
	v_fma_f64 v[38:39], v[48:49], v[42:43], v[38:39]
	v_add_f64 v[42:43], v[56:57], v[38:39]
	v_fma_f64 v[60:61], -v[54:55], v[58:59], 1.0
	v_add_f64 v[70:71], v[50:51], -v[42:43]
	v_add_f64 v[44:45], v[42:43], -v[56:57]
	v_fma_f64 v[58:59], v[58:59], v[60:61], v[58:59]
	v_div_scale_f64 v[60:61], vcc, v[46:47], v[52:53], v[46:47]
	v_add_f64 v[50:51], v[50:51], -v[70:71]
	v_add_f64 v[38:39], v[44:45], -v[38:39]
	v_fma_f64 v[72:73], -v[54:55], v[58:59], 1.0
	v_add_f64 v[44:45], v[36:37], v[48:49]
	v_add_f64 v[42:43], v[50:51], -v[42:43]
	v_fma_f64 v[50:51], v[58:59], v[72:73], v[58:59]
	v_add_f64 v[36:37], v[44:45], -v[36:37]
	v_add_f64 v[40:41], v[40:41], v[42:43]
	v_mul_f64 v[42:43], v[60:61], v[50:51]
	v_add_f64 v[36:37], v[48:49], -v[36:37]
	v_add_f64 v[38:39], v[38:39], v[40:41]
	v_fma_f64 v[40:41], -v[54:55], v[42:43], v[60:61]
	v_add_f64 v[38:39], v[70:71], v[38:39]
	v_div_fmas_f64 v[40:41], v[40:41], v[50:51], v[42:43]
	v_cmp_gt_i32_e32 vcc, 0, v14
	v_cndmask_b32_e32 v33, v68, v69, vcc
	v_mul_f64 v[31:32], v[31:32], v[38:39]
	v_add_f64 v[31:32], v[36:37], v[31:32]
	v_div_fixup_f64 v[36:37], v[40:41], v[52:53], v[46:47]
	v_add_f64 v[38:39], v[44:45], v[31:32]
	v_mul_f64 v[40:41], v[36:37], v[36:37]
	v_mul_f64 v[42:43], v[38:39], v[38:39]
	v_fma_f64 v[46:47], v[40:41], s[52:53], v[21:22]
	v_fma_f64 v[48:49], v[42:43], s[28:29], v[19:20]
	v_mul_f64 v[50:51], v[38:39], v[42:43]
	v_fma_f64 v[46:47], v[40:41], v[46:47], s[50:51]
	v_cmp_class_f64_e64 s[50:51], v[13:14], s60
	v_ashrrev_i32_e32 v13, 31, v14
	v_fma_f64 v[48:49], v[42:43], v[48:49], s[30:31]
	v_fma_f64 v[46:47], v[40:41], v[46:47], s[10:11]
	s_mov_b32 s10, 0xa595c56f
	s_mov_b32 s11, 0x3f7d6d43
	v_fma_f64 v[48:49], v[42:43], v[48:49], s[34:35]
	v_fma_f64 v[46:47], v[40:41], v[46:47], s[10:11]
	s_mov_b32 s10, 0xa57d9582
	s_mov_b32 s11, 0xbf8c6ea4
	;; [unrolled: 4-line block ×4, first 2 shown]
	v_fma_f64 v[42:43], v[42:43], v[48:49], s[94:95]
	v_ldexp_f64 v[48:49], v[38:39], 1
	v_fma_f64 v[46:47], v[40:41], v[46:47], s[10:11]
	s_mov_b32 s10, 0x5711927a
	s_mov_b32 s11, 0x3fa2c15b
	v_add_f64 v[38:39], v[38:39], -v[44:45]
	v_mul_f64 v[42:43], v[50:51], v[42:43]
	v_cvt_f64_i32_e32 v[50:51], v18
	v_fma_f64 v[46:47], v[40:41], v[46:47], s[10:11]
	s_mov_b32 s10, 0xe82d3ff0
	s_mov_b32 s11, 0xbfa59976
	v_mul_f64 v[52:53], v[50:51], s[40:41]
	v_add_f64 v[31:32], v[31:32], -v[38:39]
	v_cndmask_b32_e32 v18, v66, v67, vcc
	v_add_f64 v[44:45], v[48:49], v[42:43]
	v_fma_f64 v[46:47], v[40:41], v[46:47], s[10:11]
	v_cmp_eq_f64_e64 s[10:11], 0, v[15:16]
	v_ldexp_f64 v[31:32], v[31:32], 1
	v_add_f64 v[38:39], v[44:45], -v[48:49]
	v_fma_f64 v[48:49], v[50:51], s[40:41], -v[52:53]
	v_fma_f64 v[46:47], v[40:41], v[46:47], s[62:63]
	v_add_f64 v[38:39], v[42:43], -v[38:39]
	v_fma_f64 v[42:43], v[40:41], v[46:47], s[64:65]
	v_fma_f64 v[46:47], v[50:51], s[42:43], v[48:49]
	v_add_f64 v[31:32], v[31:32], v[38:39]
	v_fma_f64 v[38:39], v[40:41], v[42:43], s[66:67]
	v_add_f64 v[42:43], v[52:53], v[46:47]
	v_add_f64 v[48:49], v[44:45], v[31:32]
	v_fma_f64 v[38:39], v[40:41], v[38:39], s[68:69]
	v_add_f64 v[52:53], v[42:43], -v[52:53]
	v_add_f64 v[50:51], v[42:43], v[48:49]
	v_add_f64 v[44:45], v[48:49], -v[44:45]
	v_fma_f64 v[38:39], v[40:41], v[38:39], s[70:71]
	v_add_f64 v[46:47], v[46:47], -v[52:53]
	v_add_f64 v[54:55], v[50:51], -v[42:43]
	;; [unrolled: 1-line block ×3, first 2 shown]
	v_fma_f64 v[38:39], v[40:41], v[38:39], s[72:73]
	v_add_f64 v[56:57], v[50:51], -v[54:55]
	v_add_f64 v[44:45], v[48:49], -v[54:55]
	v_fma_f64 v[38:39], v[40:41], v[38:39], s[74:75]
	v_add_f64 v[48:49], v[46:47], v[31:32]
	v_add_f64 v[42:43], v[42:43], -v[56:57]
	v_fma_f64 v[38:39], v[40:41], v[38:39], s[76:77]
	v_add_f64 v[42:43], v[44:45], v[42:43]
	;; [unrolled: 3-line block ×3, first 2 shown]
	v_add_f64 v[48:49], v[48:49], -v[44:45]
	v_fma_f64 v[38:39], v[40:41], v[38:39], s[80:81]
	v_add_f64 v[31:32], v[31:32], -v[44:45]
	v_add_f64 v[52:53], v[50:51], v[42:43]
	v_mul_f64 v[38:39], v[40:41], v[38:39]
	v_add_f64 v[40:41], v[46:47], -v[48:49]
	v_add_f64 v[44:45], v[52:53], -v[50:51]
	v_fma_f64 v[36:37], v[36:37], v[38:39], v[36:37]
	v_add_f64 v[31:32], v[31:32], v[40:41]
	v_add_f64 v[38:39], v[42:43], -v[44:45]
	v_add_f64 v[40:41], -v[36:37], s[22:23]
	v_add_f64 v[31:32], v[31:32], v[38:39]
	v_cndmask_b32_e64 v37, v37, v41, s[8:9]
	v_cndmask_b32_e64 v36, v36, v40, s[8:9]
	v_add_f64 v[38:39], -v[36:37], s[82:83]
	v_and_b32_e32 v40, 0x54442d18, v13
	v_add_f64 v[31:32], v[52:53], v[31:32]
	v_cndmask_b32_e32 v36, v36, v38, vcc
	v_and_b32_e32 v38, 0x400921fb, v13
	v_cndmask_b32_e64 v36, v36, v40, s[10:11]
	v_mul_f64 v[13:14], v[31:32], 0.5
	v_cndmask_b32_e32 v32, v37, v39, vcc
	v_cndmask_b32_e64 v32, v32, v38, s[10:11]
	s_and_b64 s[10:11], s[12:13], s[14:15]
	v_bfi_b32 v31, s59, v33, v16
	s_and_b64 vcc, s[48:49], s[50:51]
	s_mov_b32 s50, 0x69efb384
	s_mov_b32 s51, 0x3f4b2bb0
	v_cndmask_b32_e64 v33, 0, v13, s[10:11]
	v_cmp_ngt_f64_e64 s[10:11], -1.0, v[34:35]
	v_cndmask_b32_e64 v14, v63, v14, s[14:15]
	v_cndmask_b32_e32 v32, v32, v31, vcc
	v_cndmask_b32_e32 v31, v36, v18, vcc
                                        ; implicit-def: $vgpr37_vgpr38
                                        ; implicit-def: $vgpr39_vgpr40
	v_cndmask_b32_e64 v13, v64, v14, s[10:11]
	v_cmp_neq_f64_e64 s[10:11], -1.0, v[34:35]
	v_cndmask_b32_e64 v34, v65, v13, s[10:11]
.LBB179_159:                            ;   in Loop: Header=BB179_145 Depth=1
	s_andn2_saveexec_b64 s[46:47], s[46:47]
	s_cbranch_execz .LBB179_167
; %bb.160:                              ;   in Loop: Header=BB179_145 Depth=1
	v_mul_f64 v[31:32], v[37:38], v[37:38]
	s_mov_b32 s10, 0x66666666
	s_mov_b32 s11, 0x3fe66666
                                        ; implicit-def: $vgpr33_vgpr34
	v_fma_f64 v[35:36], v[39:40], v[39:40], v[31:32]
                                        ; implicit-def: $vgpr31_vgpr32
	v_cmp_ge_f64_e32 vcc, s[10:11], v[35:36]
	s_and_saveexec_b64 s[10:11], vcc
	s_xor_b64 s[14:15], exec, s[10:11]
	s_cbranch_execz .LBB179_162
; %bb.161:                              ;   in Loop: Header=BB179_145 Depth=1
	v_frexp_mant_f64_e32 v[31:32], v[35:36]
	v_max_f64 v[41:42], |v[15:16]|, |v[15:16]|
	v_max_f64 v[43:44], |v[13:14]|, |v[13:14]|
	s_mov_b32 s95, s27
	s_mov_b32 s82, s22
	v_cmp_class_f64_e64 s[48:49], v[15:16], s60
	v_cmp_gt_f64_e64 s[10:11], s[26:27], v[31:32]
	v_cndmask_b32_e64 v18, 0, 1, s[10:11]
	v_ldexp_f64 v[31:32], v[31:32], v18
	v_frexp_exp_i32_f64_e32 v18, v[35:36]
	v_add_f64 v[33:34], v[31:32], 1.0
	v_add_f64 v[47:48], v[31:32], -1.0
	v_rcp_f64_e32 v[37:38], v[33:34]
	v_add_f64 v[51:52], v[33:34], -1.0
	v_add_f64 v[31:32], v[31:32], -v[51:52]
	v_fma_f64 v[39:40], -v[33:34], v[37:38], 1.0
	v_fma_f64 v[37:38], v[39:40], v[37:38], v[37:38]
	v_max_f64 v[39:40], v[43:44], v[41:42]
	v_min_f64 v[41:42], v[43:44], v[41:42]
	v_fma_f64 v[43:44], -v[33:34], v[37:38], 1.0
	v_div_scale_f64 v[45:46], s[12:13], v[39:40], v[39:40], v[41:42]
	s_mov_b32 s12, 0xaf56de9b
	s_mov_b32 s13, 0xbf67952d
	v_fma_f64 v[37:38], v[43:44], v[37:38], v[37:38]
	v_mul_f64 v[43:44], v[47:48], v[37:38]
	v_rcp_f64_e32 v[49:50], v[45:46]
	v_mul_f64 v[53:54], v[33:34], v[43:44]
	v_fma_f64 v[33:34], v[43:44], v[33:34], -v[53:54]
	v_fma_f64 v[51:52], -v[45:46], v[49:50], 1.0
	v_fma_f64 v[31:32], v[43:44], v[31:32], v[33:34]
	v_fma_f64 v[33:34], v[49:50], v[51:52], v[49:50]
	v_div_scale_f64 v[51:52], vcc, v[41:42], v[39:40], v[41:42]
	v_add_f64 v[49:50], v[53:54], v[31:32]
	v_fma_f64 v[55:56], -v[45:46], v[33:34], 1.0
	v_add_f64 v[57:58], v[47:48], -v[49:50]
	v_add_f64 v[53:54], v[49:50], -v[53:54]
	v_fma_f64 v[33:34], v[33:34], v[55:56], v[33:34]
	v_add_f64 v[47:48], v[47:48], -v[57:58]
	v_add_f64 v[31:32], v[53:54], -v[31:32]
	v_mul_f64 v[55:56], v[51:52], v[33:34]
	v_add_f64 v[47:48], v[47:48], -v[49:50]
	v_fma_f64 v[45:46], -v[45:46], v[55:56], v[51:52]
	v_add_f64 v[31:32], v[31:32], v[47:48]
	v_div_fmas_f64 v[33:34], v[45:46], v[33:34], v[55:56]
	v_subbrev_co_u32_e64 v18, vcc, 0, v18, s[10:11]
	s_mov_b32 s10, 0xe82d3ff0
	s_mov_b32 s11, 0xbfa59976
	v_cmp_gt_i32_e32 vcc, 0, v14
	v_add_f64 v[31:32], v[57:58], v[31:32]
	v_mul_f64 v[31:32], v[37:38], v[31:32]
	v_div_fixup_f64 v[33:34], v[33:34], v[39:40], v[41:42]
	v_add_f64 v[37:38], v[43:44], v[31:32]
	v_mul_f64 v[39:40], v[33:34], v[33:34]
	v_mul_f64 v[41:42], v[37:38], v[37:38]
	v_fma_f64 v[45:46], v[39:40], s[52:53], v[21:22]
	v_fma_f64 v[47:48], v[41:42], s[28:29], v[19:20]
	v_mul_f64 v[49:50], v[37:38], v[41:42]
	v_fma_f64 v[45:46], v[39:40], v[45:46], s[50:51]
	v_cmp_class_f64_e64 s[50:51], v[13:14], s60
	v_ashrrev_i32_e32 v13, 31, v14
	v_fma_f64 v[47:48], v[41:42], v[47:48], s[30:31]
	v_fma_f64 v[45:46], v[39:40], v[45:46], s[12:13]
	s_mov_b32 s12, 0xa595c56f
	s_mov_b32 s13, 0x3f7d6d43
	v_fma_f64 v[47:48], v[41:42], v[47:48], s[34:35]
	v_fma_f64 v[45:46], v[39:40], v[45:46], s[12:13]
	s_mov_b32 s12, 0xa57d9582
	s_mov_b32 s13, 0xbf8c6ea4
	;; [unrolled: 4-line block ×4, first 2 shown]
	v_fma_f64 v[41:42], v[41:42], v[47:48], s[94:95]
	v_ldexp_f64 v[47:48], v[37:38], 1
	v_fma_f64 v[45:46], v[39:40], v[45:46], s[12:13]
	s_mov_b32 s12, 0x5711927a
	s_mov_b32 s13, 0x3fa2c15b
	v_add_f64 v[37:38], v[37:38], -v[43:44]
	v_mul_f64 v[41:42], v[49:50], v[41:42]
	v_cvt_f64_i32_e32 v[49:50], v18
	v_fma_f64 v[45:46], v[39:40], v[45:46], s[12:13]
	v_cmp_neq_f64_e64 s[12:13], 0, v[35:36]
	v_cndmask_b32_e32 v18, v66, v67, vcc
	v_mul_f64 v[51:52], v[49:50], s[40:41]
	v_add_f64 v[31:32], v[31:32], -v[37:38]
	v_add_f64 v[43:44], v[47:48], v[41:42]
	v_fma_f64 v[45:46], v[39:40], v[45:46], s[10:11]
	v_cmp_eq_f64_e64 s[10:11], 0, v[15:16]
	v_ldexp_f64 v[31:32], v[31:32], 1
	v_add_f64 v[37:38], v[43:44], -v[47:48]
	v_fma_f64 v[47:48], v[49:50], s[40:41], -v[51:52]
	v_fma_f64 v[45:46], v[39:40], v[45:46], s[62:63]
	v_add_f64 v[37:38], v[41:42], -v[37:38]
	v_fma_f64 v[41:42], v[39:40], v[45:46], s[64:65]
	v_fma_f64 v[45:46], v[49:50], s[42:43], v[47:48]
	v_add_f64 v[31:32], v[31:32], v[37:38]
	v_fma_f64 v[37:38], v[39:40], v[41:42], s[66:67]
	v_add_f64 v[41:42], v[51:52], v[45:46]
	v_add_f64 v[47:48], v[43:44], v[31:32]
	v_fma_f64 v[37:38], v[39:40], v[37:38], s[68:69]
	v_add_f64 v[51:52], v[41:42], -v[51:52]
	v_add_f64 v[49:50], v[41:42], v[47:48]
	v_add_f64 v[43:44], v[47:48], -v[43:44]
	v_fma_f64 v[37:38], v[39:40], v[37:38], s[70:71]
	v_add_f64 v[45:46], v[45:46], -v[51:52]
	v_add_f64 v[53:54], v[49:50], -v[41:42]
	;; [unrolled: 1-line block ×3, first 2 shown]
	v_fma_f64 v[37:38], v[39:40], v[37:38], s[72:73]
	v_add_f64 v[55:56], v[49:50], -v[53:54]
	v_add_f64 v[43:44], v[47:48], -v[53:54]
	v_fma_f64 v[37:38], v[39:40], v[37:38], s[74:75]
	v_add_f64 v[47:48], v[45:46], v[31:32]
	v_add_f64 v[41:42], v[41:42], -v[55:56]
	v_fma_f64 v[37:38], v[39:40], v[37:38], s[76:77]
	v_add_f64 v[41:42], v[43:44], v[41:42]
	;; [unrolled: 3-line block ×3, first 2 shown]
	v_add_f64 v[47:48], v[47:48], -v[43:44]
	v_fma_f64 v[37:38], v[39:40], v[37:38], s[80:81]
	v_add_f64 v[31:32], v[31:32], -v[43:44]
	v_add_f64 v[51:52], v[49:50], v[41:42]
	v_mul_f64 v[37:38], v[39:40], v[37:38]
	v_add_f64 v[39:40], v[45:46], -v[47:48]
	v_add_f64 v[43:44], v[51:52], -v[49:50]
	v_fma_f64 v[33:34], v[33:34], v[37:38], v[33:34]
	v_add_f64 v[31:32], v[31:32], v[39:40]
	v_add_f64 v[37:38], v[41:42], -v[43:44]
	v_add_f64 v[39:40], -v[33:34], s[22:23]
	v_add_f64 v[31:32], v[31:32], v[37:38]
	v_cndmask_b32_e64 v34, v34, v40, s[8:9]
	v_cndmask_b32_e64 v33, v33, v39, s[8:9]
	v_add_f64 v[37:38], -v[33:34], s[82:83]
	v_and_b32_e32 v39, 0x54442d18, v13
	v_and_b32_e32 v40, 0x400921fb, v13
	v_add_f64 v[31:32], v[51:52], v[31:32]
	v_cndmask_b32_e32 v33, v33, v37, vcc
	v_cndmask_b32_e32 v37, v68, v69, vcc
	v_cndmask_b32_e64 v35, v33, v39, s[10:11]
	v_mul_f64 v[13:14], v[31:32], 0.5
	v_cndmask_b32_e32 v32, v34, v38, vcc
	v_bfi_b32 v31, s59, v37, v16
	v_cndmask_b32_e64 v32, v32, v40, s[10:11]
	s_and_b64 vcc, s[48:49], s[50:51]
	s_mov_b32 s50, 0x69efb384
	s_mov_b32 s51, 0x3f4b2bb0
	v_cndmask_b32_e32 v32, v32, v31, vcc
	v_cndmask_b32_e64 v34, v65, v14, s[12:13]
	v_cndmask_b32_e64 v33, 0, v13, s[12:13]
	v_cndmask_b32_e32 v31, v35, v18, vcc
                                        ; implicit-def: $vgpr39_vgpr40
                                        ; implicit-def: $vgpr37_vgpr38
.LBB179_162:                            ;   in Loop: Header=BB179_145 Depth=1
	s_andn2_saveexec_b64 s[48:49], s[14:15]
	s_cbranch_execz .LBB179_166
; %bb.163:                              ;   in Loop: Header=BB179_145 Depth=1
	v_and_b32_e32 v18, 0x7ffffff8, v40
	v_and_b32_e32 v34, 0x7ffffff8, v38
	v_mov_b32_e32 v33, v17
	v_add_f64 v[31:32], v[39:40], -v[17:18]
	v_add_f64 v[35:36], v[37:38], -v[33:34]
	v_mov_b32_e32 v39, v17
	v_mov_b32_e32 v43, v17
	v_add_f64 v[45:46], v[17:18], v[17:18]
	v_add_f64 v[47:48], v[33:34], v[33:34]
	v_mul_f64 v[33:34], v[33:34], v[33:34]
	s_mov_b64 s[50:51], 0
	v_and_b32_e32 v40, -8, v32
	v_and_b32_e32 v44, -8, v36
	v_add_f64 v[53:54], v[31:32], -v[39:40]
	v_add_f64 v[55:56], v[35:36], -v[43:44]
	v_add_f64 v[57:58], v[39:40], v[39:40]
	v_add_f64 v[59:60], v[43:44], v[43:44]
	v_mul_f64 v[31:32], v[17:18], v[17:18]
	v_mul_f64 v[37:38], v[45:46], v[39:40]
	;; [unrolled: 1-line block ×11, first 2 shown]
.LBB179_164:                            ;   Parent Loop BB179_145 Depth=1
                                        ; =>  This Inner Loop Header: Depth=2
	v_cmp_nlt_f64_e32 vcc, v[31:32], v[33:34]
	v_cndmask_b32_e32 v56, v32, v34, vcc
	v_cndmask_b32_e32 v55, v31, v33, vcc
	v_cmp_nlt_f64_e64 s[10:11], v[55:56], v[37:38]
	v_cndmask_b32_e32 v32, v34, v32, vcc
	v_cndmask_b32_e32 v31, v33, v31, vcc
	v_cndmask_b32_e64 v58, v56, v38, s[10:11]
	v_cndmask_b32_e64 v57, v55, v37, s[10:11]
	v_cmp_nlt_f64_e64 s[12:13], v[57:58], v[35:36]
	v_cndmask_b32_e64 v34, v38, v56, s[10:11]
	v_cndmask_b32_e64 v33, v37, v55, s[10:11]
	s_and_b64 s[52:53], vcc, s[10:11]
	v_cndmask_b32_e64 v60, v58, v36, s[12:13]
	v_cndmask_b32_e64 v59, v57, v35, s[12:13]
	v_cmp_nlt_f64_e64 s[14:15], v[59:60], v[41:42]
	v_cndmask_b32_e64 v38, v36, v58, s[12:13]
	v_cndmask_b32_e64 v37, v35, v57, s[12:13]
	;; [unrolled: 1-line block ×4, first 2 shown]
	v_cmp_nlt_f64_e32 vcc, v[55:56], v[43:44]
	v_cndmask_b32_e64 v36, v42, v60, s[14:15]
	v_cndmask_b32_e64 v35, v41, v59, s[14:15]
	s_and_b64 s[14:15], s[12:13], s[14:15]
	v_cndmask_b32_e32 v58, v56, v44, vcc
	v_cndmask_b32_e32 v57, v55, v43, vcc
	v_cmp_nlt_f64_e64 s[10:11], v[57:58], v[51:52]
	v_cndmask_b32_e32 v42, v44, v56, vcc
	v_cndmask_b32_e32 v41, v43, v55, vcc
	v_cndmask_b32_e64 v56, v58, v52, s[10:11]
	v_cndmask_b32_e64 v55, v57, v51, s[10:11]
	v_cmp_nlt_f64_e64 s[12:13], v[55:56], v[49:50]
	v_cndmask_b32_e64 v44, v52, v58, s[10:11]
	v_cndmask_b32_e64 v43, v51, v57, s[10:11]
	s_and_b64 s[10:11], vcc, s[10:11]
	v_cndmask_b32_e64 v58, v56, v50, s[12:13]
	v_cndmask_b32_e64 v57, v55, v49, s[12:13]
	v_cmp_nlt_f64_e32 vcc, v[57:58], v[47:48]
	v_cndmask_b32_e64 v52, v50, v56, s[12:13]
	v_cndmask_b32_e64 v51, v49, v55, s[12:13]
	s_and_b64 s[12:13], s[10:11], s[12:13]
	v_cndmask_b32_e32 v56, v58, v48, vcc
	v_cndmask_b32_e32 v55, v57, v47, vcc
	v_cmp_nlt_f64_e64 s[10:11], v[55:56], v[45:46]
	v_cndmask_b32_e32 v50, v48, v58, vcc
	v_cndmask_b32_e32 v49, v47, v57, vcc
	s_and_b64 s[12:13], s[12:13], vcc
	v_cndmask_b32_e64 v58, v56, v46, s[10:11]
	v_cndmask_b32_e64 v57, v55, v45, s[10:11]
	v_cmp_nlt_f64_e32 vcc, v[57:58], v[39:40]
	v_cndmask_b32_e64 v48, v46, v56, s[10:11]
	v_cndmask_b32_e64 v47, v45, v55, s[10:11]
	s_and_b64 s[12:13], s[12:13], s[10:11]
	v_cndmask_b32_e32 v60, v58, v40, vcc
	v_cndmask_b32_e32 v59, v57, v39, vcc
	v_cmp_nlt_f64_e64 s[10:11], v[59:60], v[53:54]
	s_and_b64 s[12:13], s[12:13], vcc
	v_cndmask_b32_e32 v46, v40, v58, vcc
	v_cndmask_b32_e32 v45, v39, v57, vcc
	v_cndmask_b32_e64 v56, v60, v54, s[10:11]
	v_cndmask_b32_e64 v55, v59, v53, s[10:11]
	;; [unrolled: 1-line block ×4, first 2 shown]
	s_and_b64 s[10:11], s[12:13], s[10:11]
	s_and_b64 s[10:11], s[10:11], s[14:15]
	;; [unrolled: 1-line block ×3, first 2 shown]
	s_and_b64 s[10:11], exec, s[10:11]
	v_mov_b32_e32 v53, v55
	s_or_b64 s[50:51], s[10:11], s[50:51]
	v_mov_b32_e32 v54, v56
	s_andn2_b64 exec, exec, s[50:51]
	s_cbranch_execnz .LBB179_164
; %bb.165:                              ;   in Loop: Header=BB179_145 Depth=1
	s_or_b64 exec, exec, s[50:51]
	v_add_f64 v[31:32], v[31:32], -1.0
	s_mov_b32 s95, s27
	s_mov_b32 s82, s22
	;; [unrolled: 1-line block ×4, first 2 shown]
	v_cmp_class_f64_e64 s[52:53], v[13:14], s60
	v_cmp_class_f64_e64 s[50:51], v[15:16], s60
	v_add_f64 v[31:32], v[31:32], v[33:34]
	v_add_f64 v[31:32], v[31:32], v[37:38]
	;; [unrolled: 1-line block ×11, first 2 shown]
	v_add_f64 v[31:32], v[34:35], 1.0
	v_cmp_nge_f64_e64 s[12:13], -1.0, v[34:35]
	v_cmp_neq_f64_e64 s[14:15], s[14:15], v[34:35]
	v_frexp_mant_f64_e32 v[38:39], v[31:32]
	v_frexp_exp_i32_f64_e32 v18, v[31:32]
	v_add_f64 v[36:37], v[31:32], -1.0
	v_cmp_gt_f64_e32 vcc, s[26:27], v[38:39]
	v_add_f64 v[40:41], v[36:37], -v[31:32]
	v_add_f64 v[36:37], v[34:35], -v[36:37]
	v_subbrev_co_u32_e32 v18, vcc, 0, v18, vcc
	v_sub_u32_e32 v33, 0, v18
	v_ldexp_f64 v[31:32], v[31:32], v33
	v_add_f64 v[38:39], v[40:41], 1.0
	v_add_f64 v[40:41], v[31:32], 1.0
	v_add_f64 v[36:37], v[36:37], v[38:39]
	v_add_f64 v[46:47], v[31:32], -1.0
	v_add_f64 v[38:39], v[40:41], -1.0
	v_ldexp_f64 v[36:37], v[36:37], v33
	v_add_f64 v[48:49], v[46:47], 1.0
	v_add_f64 v[38:39], v[31:32], -v[38:39]
	v_add_f64 v[31:32], v[31:32], -v[48:49]
	v_add_f64 v[42:43], v[36:37], v[38:39]
	v_add_f64 v[48:49], v[36:37], v[31:32]
	;; [unrolled: 1-line block ×3, first 2 shown]
	v_rcp_f64_e32 v[44:45], v[38:39]
	v_add_f64 v[40:41], v[38:39], -v[40:41]
	v_add_f64 v[42:43], v[42:43], -v[40:41]
	v_fma_f64 v[50:51], -v[38:39], v[44:45], 1.0
	v_fma_f64 v[44:45], v[50:51], v[44:45], v[44:45]
	v_add_f64 v[50:51], v[46:47], v[48:49]
	v_fma_f64 v[31:32], -v[38:39], v[44:45], 1.0
	v_add_f64 v[46:47], v[50:51], -v[46:47]
	v_fma_f64 v[31:32], v[31:32], v[44:45], v[44:45]
	v_add_f64 v[46:47], v[48:49], -v[46:47]
	v_mul_f64 v[36:37], v[50:51], v[31:32]
	v_mul_f64 v[44:45], v[38:39], v[36:37]
	v_fma_f64 v[40:41], v[36:37], v[38:39], -v[44:45]
	v_fma_f64 v[52:53], v[36:37], v[42:43], v[40:41]
	v_add_f64 v[54:55], v[44:45], v[52:53]
	v_add_f64 v[40:41], v[50:51], -v[54:55]
	v_add_f64 v[44:45], v[54:55], -v[44:45]
	;; [unrolled: 1-line block ×5, first 2 shown]
	v_add_f64 v[46:47], v[46:47], v[48:49]
	v_max_f64 v[48:49], |v[13:14]|, |v[13:14]|
	v_ashrrev_i32_e32 v13, 31, v14
	v_add_f64 v[44:45], v[44:45], v[46:47]
	v_max_f64 v[46:47], |v[15:16]|, |v[15:16]|
	v_add_f64 v[50:51], v[40:41], v[44:45]
	v_max_f64 v[52:53], v[48:49], v[46:47]
	v_min_f64 v[46:47], v[48:49], v[46:47]
	v_mul_f64 v[48:49], v[31:32], v[50:51]
	v_add_f64 v[40:41], v[40:41], -v[50:51]
	v_div_scale_f64 v[54:55], s[10:11], v[52:53], v[52:53], v[46:47]
	s_mov_b32 s10, 0xb5e68a13
	s_mov_b32 s11, 0x3eeba404
	v_mul_f64 v[56:57], v[38:39], v[48:49]
	v_add_f64 v[40:41], v[44:45], v[40:41]
	v_fma_f64 v[38:39], v[48:49], v[38:39], -v[56:57]
	v_rcp_f64_e32 v[58:59], v[54:55]
	v_fma_f64 v[38:39], v[48:49], v[42:43], v[38:39]
	v_add_f64 v[42:43], v[56:57], v[38:39]
	v_fma_f64 v[60:61], -v[54:55], v[58:59], 1.0
	v_add_f64 v[70:71], v[50:51], -v[42:43]
	v_add_f64 v[44:45], v[42:43], -v[56:57]
	v_fma_f64 v[58:59], v[58:59], v[60:61], v[58:59]
	v_div_scale_f64 v[60:61], vcc, v[46:47], v[52:53], v[46:47]
	v_add_f64 v[50:51], v[50:51], -v[70:71]
	v_add_f64 v[38:39], v[44:45], -v[38:39]
	v_fma_f64 v[72:73], -v[54:55], v[58:59], 1.0
	v_add_f64 v[44:45], v[36:37], v[48:49]
	v_add_f64 v[42:43], v[50:51], -v[42:43]
	v_fma_f64 v[50:51], v[58:59], v[72:73], v[58:59]
	v_add_f64 v[36:37], v[44:45], -v[36:37]
	v_add_f64 v[40:41], v[40:41], v[42:43]
	v_mul_f64 v[42:43], v[60:61], v[50:51]
	v_add_f64 v[36:37], v[48:49], -v[36:37]
	v_add_f64 v[38:39], v[38:39], v[40:41]
	v_fma_f64 v[40:41], -v[54:55], v[42:43], v[60:61]
	v_add_f64 v[38:39], v[70:71], v[38:39]
	v_div_fmas_f64 v[40:41], v[40:41], v[50:51], v[42:43]
	v_cmp_gt_i32_e32 vcc, 0, v14
	v_cndmask_b32_e32 v33, v68, v69, vcc
	v_mul_f64 v[31:32], v[31:32], v[38:39]
	v_add_f64 v[31:32], v[36:37], v[31:32]
	v_div_fixup_f64 v[36:37], v[40:41], v[52:53], v[46:47]
	v_add_f64 v[38:39], v[44:45], v[31:32]
	v_mul_f64 v[40:41], v[36:37], v[36:37]
	v_mul_f64 v[42:43], v[38:39], v[38:39]
	v_fma_f64 v[46:47], v[40:41], s[10:11], v[21:22]
	s_mov_b32 s10, 0x69efb384
	s_mov_b32 s11, 0x3f4b2bb0
	v_fma_f64 v[48:49], v[42:43], s[28:29], v[19:20]
	v_mul_f64 v[50:51], v[38:39], v[42:43]
	v_fma_f64 v[46:47], v[40:41], v[46:47], s[10:11]
	s_mov_b32 s10, 0xaf56de9b
	s_mov_b32 s11, 0xbf67952d
	v_fma_f64 v[48:49], v[42:43], v[48:49], s[30:31]
	v_fma_f64 v[46:47], v[40:41], v[46:47], s[10:11]
	s_mov_b32 s10, 0xa595c56f
	s_mov_b32 s11, 0x3f7d6d43
	v_fma_f64 v[48:49], v[42:43], v[48:49], s[34:35]
	;; [unrolled: 4-line block ×5, first 2 shown]
	v_ldexp_f64 v[48:49], v[38:39], 1
	v_fma_f64 v[46:47], v[40:41], v[46:47], s[10:11]
	s_mov_b32 s10, 0x5711927a
	s_mov_b32 s11, 0x3fa2c15b
	v_add_f64 v[38:39], v[38:39], -v[44:45]
	v_mul_f64 v[42:43], v[50:51], v[42:43]
	v_cvt_f64_i32_e32 v[50:51], v18
	v_fma_f64 v[46:47], v[40:41], v[46:47], s[10:11]
	s_mov_b32 s10, 0xe82d3ff0
	s_mov_b32 s11, 0xbfa59976
	v_mul_f64 v[52:53], v[50:51], s[40:41]
	v_add_f64 v[31:32], v[31:32], -v[38:39]
	v_cndmask_b32_e32 v18, v66, v67, vcc
	v_add_f64 v[44:45], v[48:49], v[42:43]
	v_fma_f64 v[46:47], v[40:41], v[46:47], s[10:11]
	v_cmp_eq_f64_e64 s[10:11], 0, v[15:16]
	v_ldexp_f64 v[31:32], v[31:32], 1
	v_add_f64 v[38:39], v[44:45], -v[48:49]
	v_fma_f64 v[48:49], v[50:51], s[40:41], -v[52:53]
	v_fma_f64 v[46:47], v[40:41], v[46:47], s[62:63]
	v_add_f64 v[38:39], v[42:43], -v[38:39]
	v_fma_f64 v[42:43], v[40:41], v[46:47], s[64:65]
	v_fma_f64 v[46:47], v[50:51], s[42:43], v[48:49]
	v_add_f64 v[31:32], v[31:32], v[38:39]
	v_fma_f64 v[38:39], v[40:41], v[42:43], s[66:67]
	v_add_f64 v[42:43], v[52:53], v[46:47]
	v_add_f64 v[48:49], v[44:45], v[31:32]
	v_fma_f64 v[38:39], v[40:41], v[38:39], s[68:69]
	v_add_f64 v[52:53], v[42:43], -v[52:53]
	v_add_f64 v[50:51], v[42:43], v[48:49]
	v_add_f64 v[44:45], v[48:49], -v[44:45]
	v_fma_f64 v[38:39], v[40:41], v[38:39], s[70:71]
	v_add_f64 v[46:47], v[46:47], -v[52:53]
	v_add_f64 v[54:55], v[50:51], -v[42:43]
	;; [unrolled: 1-line block ×3, first 2 shown]
	v_fma_f64 v[38:39], v[40:41], v[38:39], s[72:73]
	v_add_f64 v[56:57], v[50:51], -v[54:55]
	v_add_f64 v[44:45], v[48:49], -v[54:55]
	v_fma_f64 v[38:39], v[40:41], v[38:39], s[74:75]
	v_add_f64 v[48:49], v[46:47], v[31:32]
	v_add_f64 v[42:43], v[42:43], -v[56:57]
	v_fma_f64 v[38:39], v[40:41], v[38:39], s[76:77]
	v_add_f64 v[42:43], v[44:45], v[42:43]
	;; [unrolled: 3-line block ×3, first 2 shown]
	v_add_f64 v[48:49], v[48:49], -v[44:45]
	v_fma_f64 v[38:39], v[40:41], v[38:39], s[80:81]
	v_add_f64 v[31:32], v[31:32], -v[44:45]
	v_add_f64 v[52:53], v[50:51], v[42:43]
	v_mul_f64 v[38:39], v[40:41], v[38:39]
	v_add_f64 v[40:41], v[46:47], -v[48:49]
	v_add_f64 v[44:45], v[52:53], -v[50:51]
	v_fma_f64 v[36:37], v[36:37], v[38:39], v[36:37]
	v_add_f64 v[31:32], v[31:32], v[40:41]
	v_add_f64 v[38:39], v[42:43], -v[44:45]
	v_add_f64 v[40:41], -v[36:37], s[22:23]
	v_add_f64 v[31:32], v[31:32], v[38:39]
	v_cndmask_b32_e64 v37, v37, v41, s[8:9]
	v_cndmask_b32_e64 v36, v36, v40, s[8:9]
	v_add_f64 v[38:39], -v[36:37], s[82:83]
	v_and_b32_e32 v40, 0x54442d18, v13
	v_add_f64 v[31:32], v[52:53], v[31:32]
	v_cndmask_b32_e32 v36, v36, v38, vcc
	v_and_b32_e32 v38, 0x400921fb, v13
	v_cndmask_b32_e64 v36, v36, v40, s[10:11]
	v_mul_f64 v[13:14], v[31:32], 0.5
	v_cndmask_b32_e32 v32, v37, v39, vcc
	v_cndmask_b32_e64 v32, v32, v38, s[10:11]
	s_and_b64 s[10:11], s[12:13], s[14:15]
	v_bfi_b32 v31, s59, v33, v16
	s_and_b64 vcc, s[50:51], s[52:53]
	s_mov_b32 s50, 0x69efb384
	s_mov_b32 s52, 0xb5e68a13
	v_cndmask_b32_e64 v33, 0, v13, s[10:11]
	v_cmp_ngt_f64_e64 s[10:11], -1.0, v[34:35]
	v_cndmask_b32_e64 v14, v63, v14, s[14:15]
	s_mov_b32 s51, 0x3f4b2bb0
	s_mov_b32 s53, 0x3eeba404
	v_cndmask_b32_e32 v32, v32, v31, vcc
	v_cndmask_b32_e32 v31, v36, v18, vcc
	v_cndmask_b32_e64 v13, v64, v14, s[10:11]
	v_cmp_neq_f64_e64 s[10:11], -1.0, v[34:35]
	v_cndmask_b32_e64 v34, v65, v13, s[10:11]
.LBB179_166:                            ;   in Loop: Header=BB179_145 Depth=1
	s_or_b64 exec, exec, s[48:49]
.LBB179_167:                            ;   in Loop: Header=BB179_145 Depth=1
	s_or_b64 exec, exec, s[46:47]
.LBB179_168:                            ;   in Loop: Header=BB179_145 Depth=1
	s_andn2_saveexec_b64 s[14:15], s[44:45]
	s_cbranch_execz .LBB179_170
; %bb.169:                              ;   in Loop: Header=BB179_145 Depth=1
	v_max_f64 v[36:37], |v[15:16]|, |v[15:16]|
	v_max_f64 v[38:39], |v[13:14]|, |v[13:14]|
	v_cmp_class_f64_e64 s[44:45], v[13:14], s60
	v_cmp_class_f64_e64 s[46:47], v[15:16], s60
	s_mov_b32 s95, s27
	s_mov_b32 s82, s22
	v_max_f64 v[31:32], v[38:39], v[36:37]
	v_min_f64 v[36:37], v[38:39], v[36:37]
	v_frexp_exp_i32_f64_e32 v18, v[31:32]
	v_sub_u32_e32 v35, 0, v18
	v_ldexp_f64 v[33:34], |v[15:16]|, v35
	v_ldexp_f64 v[40:41], |v[13:14]|, v35
	v_mul_f64 v[33:34], v[33:34], v[33:34]
	v_fma_f64 v[33:34], v[40:41], v[40:41], v[33:34]
	v_rsq_f64_e32 v[40:41], v[33:34]
	v_cmp_eq_f64_e32 vcc, 0, v[33:34]
	v_mul_f64 v[42:43], v[33:34], v[40:41]
	v_mul_f64 v[40:41], v[40:41], 0.5
	v_fma_f64 v[44:45], -v[40:41], v[42:43], 0.5
	v_fma_f64 v[42:43], v[42:43], v[44:45], v[42:43]
	v_fma_f64 v[40:41], v[40:41], v[44:45], v[40:41]
	v_fma_f64 v[44:45], -v[42:43], v[42:43], v[33:34]
	v_fma_f64 v[40:41], v[44:45], v[40:41], v[42:43]
	v_cndmask_b32_e32 v34, v41, v34, vcc
	v_cndmask_b32_e32 v33, v40, v33, vcc
	v_ldexp_f64 v[33:34], v[33:34], v18
	s_or_b64 vcc, s[46:47], s[44:45]
	v_cndmask_b32_e32 v35, v34, v63, vcc
	v_cndmask_b32_e64 v34, v33, 0, vcc
	v_frexp_mant_f64_e32 v[40:41], v[34:35]
	v_cmp_gt_f64_e64 s[10:11], s[26:27], v[40:41]
	v_cndmask_b32_e64 v13, 0, 1, s[10:11]
	v_ldexp_f64 v[40:41], v[40:41], v13
	v_frexp_exp_i32_f64_e32 v13, v[34:35]
	v_add_f64 v[42:43], v[40:41], 1.0
	v_add_f64 v[48:49], v[40:41], -1.0
	v_rcp_f64_e32 v[44:45], v[42:43]
	v_add_f64 v[52:53], v[42:43], -1.0
	v_add_f64 v[40:41], v[40:41], -v[52:53]
	v_fma_f64 v[46:47], -v[42:43], v[44:45], 1.0
	v_fma_f64 v[38:39], v[46:47], v[44:45], v[44:45]
	v_div_scale_f64 v[44:45], s[12:13], v[31:32], v[31:32], v[36:37]
	s_mov_b32 s12, 0xaf56de9b
	s_mov_b32 s13, 0xbf67952d
	v_fma_f64 v[46:47], -v[42:43], v[38:39], 1.0
	v_fma_f64 v[38:39], v[46:47], v[38:39], v[38:39]
	v_rcp_f64_e32 v[46:47], v[44:45]
	v_mul_f64 v[50:51], v[48:49], v[38:39]
	v_mul_f64 v[54:55], v[42:43], v[50:51]
	v_fma_f64 v[56:57], -v[44:45], v[46:47], 1.0
	v_fma_f64 v[42:43], v[50:51], v[42:43], -v[54:55]
	v_fma_f64 v[46:47], v[46:47], v[56:57], v[46:47]
	v_fma_f64 v[40:41], v[50:51], v[40:41], v[42:43]
	v_div_scale_f64 v[42:43], vcc, v[36:37], v[31:32], v[36:37]
	v_fma_f64 v[52:53], -v[44:45], v[46:47], 1.0
	v_add_f64 v[56:57], v[54:55], v[40:41]
	v_fma_f64 v[46:47], v[46:47], v[52:53], v[46:47]
	v_add_f64 v[52:53], v[48:49], -v[56:57]
	v_add_f64 v[54:55], v[56:57], -v[54:55]
	v_mul_f64 v[58:59], v[42:43], v[46:47]
	v_add_f64 v[48:49], v[48:49], -v[52:53]
	v_add_f64 v[40:41], v[54:55], -v[40:41]
	v_fma_f64 v[42:43], -v[44:45], v[58:59], v[42:43]
	v_add_f64 v[44:45], v[48:49], -v[56:57]
	v_div_fmas_f64 v[42:43], v[42:43], v[46:47], v[58:59]
	v_subbrev_co_u32_e64 v13, vcc, 0, v13, s[10:11]
	v_cmp_eq_f64_e64 s[10:11], 0, v[15:16]
	v_cmp_gt_i32_e32 vcc, 0, v14
	v_add_f64 v[40:41], v[40:41], v[44:45]
	v_cndmask_b32_e32 v18, v66, v67, vcc
	v_add_f64 v[40:41], v[52:53], v[40:41]
	v_div_fixup_f64 v[31:32], v[42:43], v[31:32], v[36:37]
	v_mul_f64 v[36:37], v[38:39], v[40:41]
	v_mul_f64 v[38:39], v[31:32], v[31:32]
	v_add_f64 v[40:41], v[50:51], v[36:37]
	v_fma_f64 v[42:43], v[38:39], s[52:53], v[21:22]
	v_mul_f64 v[44:45], v[40:41], v[40:41]
	v_fma_f64 v[42:43], v[38:39], v[42:43], s[50:51]
	v_fma_f64 v[46:47], v[44:45], s[28:29], v[19:20]
	v_mul_f64 v[48:49], v[40:41], v[44:45]
	v_fma_f64 v[42:43], v[38:39], v[42:43], s[12:13]
	s_mov_b32 s12, 0xa595c56f
	s_mov_b32 s13, 0x3f7d6d43
	v_fma_f64 v[46:47], v[44:45], v[46:47], s[30:31]
	v_fma_f64 v[42:43], v[38:39], v[42:43], s[12:13]
	s_mov_b32 s12, 0xa57d9582
	s_mov_b32 s13, 0xbf8c6ea4
	v_fma_f64 v[46:47], v[44:45], v[46:47], s[34:35]
	;; [unrolled: 4-line block ×5, first 2 shown]
	v_ldexp_f64 v[46:47], v[40:41], 1
	v_add_f64 v[40:41], v[40:41], -v[50:51]
	v_fma_f64 v[42:43], v[38:39], v[42:43], s[12:13]
	s_mov_b32 s12, 0xe82d3ff0
	s_mov_b32 s13, 0xbfa59976
	v_cvt_f64_i32_e32 v[50:51], v13
	v_ashrrev_i32_e32 v13, 31, v14
	v_mul_f64 v[44:45], v[48:49], v[44:45]
	v_and_b32_e32 v33, 0x54442d18, v13
	v_mul_f64 v[52:53], v[50:51], s[40:41]
	v_fma_f64 v[42:43], v[38:39], v[42:43], s[12:13]
	v_add_f64 v[36:37], v[36:37], -v[40:41]
	v_cmp_class_f64_e64 s[12:13], v[34:35], s60
	v_add_f64 v[48:49], v[46:47], v[44:45]
	v_fma_f64 v[42:43], v[38:39], v[42:43], s[62:63]
	v_ldexp_f64 v[36:37], v[36:37], 1
	v_add_f64 v[40:41], v[48:49], -v[46:47]
	v_fma_f64 v[46:47], v[50:51], s[40:41], -v[52:53]
	v_fma_f64 v[42:43], v[38:39], v[42:43], s[64:65]
	v_add_f64 v[40:41], v[44:45], -v[40:41]
	v_fma_f64 v[44:45], v[50:51], s[42:43], v[46:47]
	v_fma_f64 v[42:43], v[38:39], v[42:43], s[66:67]
	v_add_f64 v[36:37], v[36:37], v[40:41]
	v_fma_f64 v[40:41], v[38:39], v[42:43], s[68:69]
	v_add_f64 v[42:43], v[52:53], v[44:45]
	v_add_f64 v[46:47], v[48:49], v[36:37]
	v_fma_f64 v[40:41], v[38:39], v[40:41], s[70:71]
	v_add_f64 v[52:53], v[42:43], -v[52:53]
	v_add_f64 v[50:51], v[42:43], v[46:47]
	v_add_f64 v[48:49], v[46:47], -v[48:49]
	v_fma_f64 v[40:41], v[38:39], v[40:41], s[72:73]
	v_add_f64 v[44:45], v[44:45], -v[52:53]
	v_add_f64 v[54:55], v[50:51], -v[42:43]
	;; [unrolled: 1-line block ×3, first 2 shown]
	v_fma_f64 v[40:41], v[38:39], v[40:41], s[74:75]
	v_add_f64 v[56:57], v[50:51], -v[54:55]
	v_add_f64 v[46:47], v[46:47], -v[54:55]
	v_add_f64 v[48:49], v[44:45], v[36:37]
	v_fma_f64 v[40:41], v[38:39], v[40:41], s[76:77]
	v_add_f64 v[42:43], v[42:43], -v[56:57]
	v_fma_f64 v[40:41], v[38:39], v[40:41], s[78:79]
	v_add_f64 v[42:43], v[46:47], v[42:43]
	v_add_f64 v[46:47], v[48:49], -v[44:45]
	v_fma_f64 v[40:41], v[38:39], v[40:41], s[80:81]
	v_add_f64 v[42:43], v[48:49], v[42:43]
	v_add_f64 v[36:37], v[36:37], -v[46:47]
	v_mul_f64 v[38:39], v[38:39], v[40:41]
	v_add_f64 v[40:41], v[48:49], -v[46:47]
	v_add_f64 v[48:49], v[50:51], v[42:43]
	v_fma_f64 v[31:32], v[31:32], v[38:39], v[31:32]
	v_add_f64 v[38:39], v[44:45], -v[40:41]
	v_add_f64 v[40:41], v[48:49], -v[50:51]
	v_add_f64 v[44:45], -v[31:32], s[22:23]
	v_add_f64 v[36:37], v[36:37], v[38:39]
	v_add_f64 v[38:39], v[42:43], -v[40:41]
	v_cndmask_b32_e64 v32, v32, v45, s[8:9]
	v_cndmask_b32_e64 v31, v31, v44, s[8:9]
	v_add_f64 v[40:41], -v[31:32], s[82:83]
	v_add_f64 v[36:37], v[36:37], v[38:39]
	v_and_b32_e32 v39, 0x400921fb, v13
	v_cndmask_b32_e32 v38, v68, v69, vcc
	v_cndmask_b32_e32 v31, v31, v40, vcc
	;; [unrolled: 1-line block ×3, first 2 shown]
	v_cndmask_b32_e64 v31, v31, v33, s[10:11]
	v_add_f64 v[13:14], v[48:49], v[36:37]
	v_cndmask_b32_e64 v32, v32, v39, s[10:11]
	v_cmp_ngt_f64_e64 s[10:11], 0, v[34:35]
	v_bfi_b32 v36, s59, v38, v16
	s_and_b64 vcc, s[46:47], s[44:45]
	v_cndmask_b32_e32 v32, v32, v36, vcc
	v_cndmask_b32_e32 v31, v31, v18, vcc
	v_cndmask_b32_e64 v14, v14, v35, s[12:13]
	v_cndmask_b32_e64 v13, v13, v34, s[12:13]
	;; [unrolled: 1-line block ×3, first 2 shown]
	v_cmp_nge_f64_e64 s[10:11], 0, v[34:35]
	v_cndmask_b32_e64 v33, 0, v13, s[10:11]
	v_cmp_neq_f64_e64 s[10:11], 0, v[34:35]
	v_cndmask_b32_e64 v34, v65, v14, s[10:11]
.LBB179_170:                            ;   in Loop: Header=BB179_145 Depth=1
	s_or_b64 exec, exec, s[14:15]
                                        ; implicit-def: $vgpr37_vgpr38
.LBB179_171:                            ;   in Loop: Header=BB179_145 Depth=1
	s_andn2_saveexec_b64 s[14:15], s[20:21]
	s_cbranch_execz .LBB179_177
; %bb.172:                              ;   in Loop: Header=BB179_145 Depth=1
	s_mov_b32 s10, 0x6a3f9475
	s_mov_b32 s11, 0x20ca2fe7
	v_cmp_ngt_f64_e32 vcc, s[10:11], v[37:38]
                                        ; implicit-def: $vgpr33_vgpr34
                                        ; implicit-def: $vgpr31_vgpr32
	s_and_saveexec_b64 s[10:11], vcc
	s_xor_b64 s[20:21], exec, s[10:11]
	s_cbranch_execz .LBB179_174
; %bb.173:                              ;   in Loop: Header=BB179_145 Depth=1
	v_mul_f64 v[31:32], v[37:38], v[37:38]
	s_mov_b32 s95, s27
	s_mov_b32 s82, s22
	;; [unrolled: 1-line block ×3, first 2 shown]
	v_cmp_class_f64_e64 s[44:45], v[15:16], s60
	v_cmp_class_f64_e64 s[46:47], v[13:14], s60
	s_mov_b32 s13, 0x7ff00000
	v_add_f64 v[33:34], v[31:32], 1.0
	v_cmp_neq_f64_e64 s[12:13], s[12:13], v[31:32]
	v_frexp_mant_f64_e32 v[37:38], v[33:34]
	v_frexp_exp_i32_f64_e32 v18, v[33:34]
	v_add_f64 v[35:36], v[33:34], -1.0
	v_cmp_gt_f64_e32 vcc, s[26:27], v[37:38]
	v_add_f64 v[39:40], v[35:36], -v[33:34]
	v_add_f64 v[35:36], v[31:32], -v[35:36]
	v_subbrev_co_u32_e32 v18, vcc, 0, v18, vcc
	v_sub_u32_e32 v41, 0, v18
	v_ldexp_f64 v[33:34], v[33:34], v41
	v_add_f64 v[37:38], v[39:40], 1.0
	v_add_f64 v[39:40], v[33:34], 1.0
	v_add_f64 v[35:36], v[35:36], v[37:38]
	v_add_f64 v[45:46], v[33:34], -1.0
	v_add_f64 v[37:38], v[39:40], -1.0
	v_ldexp_f64 v[35:36], v[35:36], v41
	v_add_f64 v[47:48], v[45:46], 1.0
	v_add_f64 v[37:38], v[33:34], -v[37:38]
	v_add_f64 v[33:34], v[33:34], -v[47:48]
	v_add_f64 v[41:42], v[35:36], v[37:38]
	v_add_f64 v[47:48], v[35:36], v[33:34]
	;; [unrolled: 1-line block ×3, first 2 shown]
	v_rcp_f64_e32 v[43:44], v[37:38]
	v_add_f64 v[39:40], v[39:40], -v[37:38]
	v_add_f64 v[41:42], v[41:42], v[39:40]
	v_fma_f64 v[49:50], -v[37:38], v[43:44], 1.0
	v_fma_f64 v[43:44], v[49:50], v[43:44], v[43:44]
	v_add_f64 v[49:50], v[45:46], v[47:48]
	v_fma_f64 v[33:34], -v[37:38], v[43:44], 1.0
	v_add_f64 v[45:46], v[45:46], -v[49:50]
	v_fma_f64 v[33:34], v[33:34], v[43:44], v[43:44]
	v_add_f64 v[45:46], v[47:48], v[45:46]
	v_mul_f64 v[35:36], v[49:50], v[33:34]
	v_mul_f64 v[43:44], v[37:38], v[35:36]
	v_fma_f64 v[39:40], v[35:36], v[37:38], -v[43:44]
	v_fma_f64 v[51:52], v[35:36], v[41:42], v[39:40]
	v_add_f64 v[53:54], v[43:44], v[51:52]
	v_add_f64 v[39:40], v[49:50], -v[53:54]
	v_add_f64 v[43:44], v[53:54], -v[43:44]
	;; [unrolled: 1-line block ×5, first 2 shown]
	v_add_f64 v[45:46], v[45:46], v[47:48]
	v_max_f64 v[47:48], |v[13:14]|, |v[13:14]|
	v_ashrrev_i32_e32 v13, 31, v14
	v_add_f64 v[43:44], v[43:44], v[45:46]
	v_max_f64 v[45:46], |v[15:16]|, |v[15:16]|
	v_add_f64 v[49:50], v[39:40], v[43:44]
	v_max_f64 v[51:52], v[47:48], v[45:46]
	v_min_f64 v[45:46], v[47:48], v[45:46]
	v_mul_f64 v[47:48], v[33:34], v[49:50]
	v_add_f64 v[39:40], v[39:40], -v[49:50]
	v_div_scale_f64 v[53:54], s[10:11], v[51:52], v[51:52], v[45:46]
	s_mov_b32 s10, 0xaf56de9b
	s_mov_b32 s11, 0xbf67952d
	v_mul_f64 v[55:56], v[37:38], v[47:48]
	v_add_f64 v[39:40], v[43:44], v[39:40]
	v_fma_f64 v[37:38], v[47:48], v[37:38], -v[55:56]
	v_rcp_f64_e32 v[57:58], v[53:54]
	v_fma_f64 v[37:38], v[47:48], v[41:42], v[37:38]
	v_add_f64 v[41:42], v[55:56], v[37:38]
	v_fma_f64 v[59:60], -v[53:54], v[57:58], 1.0
	v_add_f64 v[61:62], v[49:50], -v[41:42]
	v_add_f64 v[43:44], v[41:42], -v[55:56]
	v_fma_f64 v[57:58], v[57:58], v[59:60], v[57:58]
	v_div_scale_f64 v[59:60], vcc, v[45:46], v[51:52], v[45:46]
	v_add_f64 v[49:50], v[49:50], -v[61:62]
	v_add_f64 v[37:38], v[43:44], -v[37:38]
	v_fma_f64 v[70:71], -v[53:54], v[57:58], 1.0
	v_add_f64 v[43:44], v[35:36], v[47:48]
	v_add_f64 v[41:42], v[49:50], -v[41:42]
	v_fma_f64 v[49:50], v[57:58], v[70:71], v[57:58]
	v_add_f64 v[35:36], v[43:44], -v[35:36]
	v_add_f64 v[39:40], v[39:40], v[41:42]
	v_mul_f64 v[41:42], v[59:60], v[49:50]
	v_add_f64 v[35:36], v[47:48], -v[35:36]
	v_add_f64 v[37:38], v[37:38], v[39:40]
	v_fma_f64 v[39:40], -v[53:54], v[41:42], v[59:60]
	v_add_f64 v[37:38], v[61:62], v[37:38]
	v_div_fmas_f64 v[39:40], v[39:40], v[49:50], v[41:42]
	v_cmp_gt_i32_e32 vcc, 0, v14
	v_mul_f64 v[33:34], v[33:34], v[37:38]
	v_add_f64 v[33:34], v[35:36], v[33:34]
	v_div_fixup_f64 v[35:36], v[39:40], v[51:52], v[45:46]
	v_add_f64 v[37:38], v[43:44], v[33:34]
	v_mul_f64 v[39:40], v[35:36], v[35:36]
	v_mul_f64 v[41:42], v[37:38], v[37:38]
	v_fma_f64 v[45:46], v[39:40], s[52:53], v[21:22]
	v_fma_f64 v[47:48], v[41:42], s[28:29], v[19:20]
	v_mul_f64 v[49:50], v[37:38], v[41:42]
	v_fma_f64 v[45:46], v[39:40], v[45:46], s[50:51]
	v_fma_f64 v[47:48], v[41:42], v[47:48], s[30:31]
	;; [unrolled: 1-line block ×3, first 2 shown]
	s_mov_b32 s10, 0xa595c56f
	s_mov_b32 s11, 0x3f7d6d43
	v_fma_f64 v[47:48], v[41:42], v[47:48], s[34:35]
	v_fma_f64 v[45:46], v[39:40], v[45:46], s[10:11]
	s_mov_b32 s10, 0xa57d9582
	s_mov_b32 s11, 0xbf8c6ea4
	v_fma_f64 v[47:48], v[41:42], v[47:48], s[36:37]
	v_fma_f64 v[45:46], v[39:40], v[45:46], s[10:11]
	;; [unrolled: 4-line block ×3, first 2 shown]
	s_mov_b32 s10, 0xfc27006a
	s_mov_b32 s11, 0xbf9e9ae6
	v_fma_f64 v[41:42], v[41:42], v[47:48], s[94:95]
	v_ldexp_f64 v[47:48], v[37:38], 1
	v_fma_f64 v[45:46], v[39:40], v[45:46], s[10:11]
	s_mov_b32 s10, 0x5711927a
	s_mov_b32 s11, 0x3fa2c15b
	v_add_f64 v[37:38], v[37:38], -v[43:44]
	v_mul_f64 v[41:42], v[49:50], v[41:42]
	v_cvt_f64_i32_e32 v[49:50], v18
	v_fma_f64 v[45:46], v[39:40], v[45:46], s[10:11]
	s_mov_b32 s10, 0xe82d3ff0
	s_mov_b32 s11, 0xbfa59976
	v_mul_f64 v[51:52], v[49:50], s[40:41]
	v_add_f64 v[33:34], v[33:34], -v[37:38]
	v_cndmask_b32_e32 v18, v66, v67, vcc
	v_add_f64 v[43:44], v[47:48], v[41:42]
	v_fma_f64 v[45:46], v[39:40], v[45:46], s[10:11]
	v_cmp_eq_f64_e64 s[10:11], 0, v[15:16]
	v_ldexp_f64 v[33:34], v[33:34], 1
	v_add_f64 v[37:38], v[43:44], -v[47:48]
	v_fma_f64 v[47:48], v[49:50], s[40:41], -v[51:52]
	v_fma_f64 v[45:46], v[39:40], v[45:46], s[62:63]
	v_add_f64 v[37:38], v[41:42], -v[37:38]
	v_fma_f64 v[41:42], v[39:40], v[45:46], s[64:65]
	v_fma_f64 v[45:46], v[49:50], s[42:43], v[47:48]
	v_add_f64 v[33:34], v[33:34], v[37:38]
	v_fma_f64 v[37:38], v[39:40], v[41:42], s[66:67]
	v_add_f64 v[41:42], v[51:52], v[45:46]
	v_add_f64 v[47:48], v[43:44], v[33:34]
	v_fma_f64 v[37:38], v[39:40], v[37:38], s[68:69]
	v_add_f64 v[51:52], v[41:42], -v[51:52]
	v_add_f64 v[49:50], v[41:42], v[47:48]
	v_add_f64 v[43:44], v[47:48], -v[43:44]
	v_fma_f64 v[37:38], v[39:40], v[37:38], s[70:71]
	v_add_f64 v[45:46], v[45:46], -v[51:52]
	v_add_f64 v[53:54], v[49:50], -v[41:42]
	;; [unrolled: 1-line block ×3, first 2 shown]
	v_fma_f64 v[37:38], v[39:40], v[37:38], s[72:73]
	v_add_f64 v[55:56], v[49:50], -v[53:54]
	v_add_f64 v[43:44], v[47:48], -v[53:54]
	v_fma_f64 v[37:38], v[39:40], v[37:38], s[74:75]
	v_add_f64 v[47:48], v[45:46], v[33:34]
	v_add_f64 v[41:42], v[41:42], -v[55:56]
	v_fma_f64 v[37:38], v[39:40], v[37:38], s[76:77]
	v_add_f64 v[41:42], v[43:44], v[41:42]
	;; [unrolled: 3-line block ×3, first 2 shown]
	v_add_f64 v[47:48], v[47:48], -v[43:44]
	v_fma_f64 v[37:38], v[39:40], v[37:38], s[80:81]
	v_add_f64 v[33:34], v[33:34], -v[43:44]
	v_add_f64 v[51:52], v[49:50], v[41:42]
	v_mul_f64 v[37:38], v[39:40], v[37:38]
	v_add_f64 v[39:40], v[45:46], -v[47:48]
	v_add_f64 v[43:44], v[51:52], -v[49:50]
	v_fma_f64 v[35:36], v[35:36], v[37:38], v[35:36]
	v_add_f64 v[33:34], v[33:34], v[39:40]
	v_add_f64 v[37:38], v[41:42], -v[43:44]
	v_add_f64 v[39:40], -v[35:36], s[22:23]
	v_add_f64 v[33:34], v[33:34], v[37:38]
	v_cndmask_b32_e64 v36, v36, v40, s[8:9]
	v_cndmask_b32_e64 v35, v35, v39, s[8:9]
	v_add_f64 v[37:38], -v[35:36], s[82:83]
	v_and_b32_e32 v39, 0x54442d18, v13
	v_and_b32_e32 v40, 0x400921fb, v13
	v_add_f64 v[33:34], v[51:52], v[33:34]
	v_cndmask_b32_e32 v35, v35, v37, vcc
	v_cndmask_b32_e32 v37, v68, v69, vcc
	;; [unrolled: 1-line block ×3, first 2 shown]
	v_bfi_b32 v31, s59, v37, v16
	v_mul_f64 v[13:14], v[33:34], 0.5
	v_cndmask_b32_e64 v35, v35, v39, s[10:11]
	v_cndmask_b32_e64 v32, v32, v40, s[10:11]
	s_and_b64 vcc, s[44:45], s[46:47]
	v_cndmask_b32_e32 v32, v32, v31, vcc
	v_cndmask_b32_e32 v31, v35, v18, vcc
                                        ; implicit-def: $vgpr37_vgpr38
	v_cndmask_b32_e64 v34, v63, v14, s[12:13]
	v_cndmask_b32_e64 v33, 0, v13, s[12:13]
.LBB179_174:                            ;   in Loop: Header=BB179_145 Depth=1
	s_andn2_saveexec_b64 s[12:13], s[20:21]
	s_cbranch_execz .LBB179_176
; %bb.175:                              ;   in Loop: Header=BB179_145 Depth=1
	v_max_f64 v[31:32], |v[15:16]|, |v[15:16]|
	v_max_f64 v[33:34], |v[13:14]|, |v[13:14]|
	s_mov_b32 s82, s22
	v_cmp_class_f64_e64 s[20:21], v[15:16], s60
	v_cmp_class_f64_e64 s[44:45], v[13:14], s60
	v_ashrrev_i32_e32 v18, 31, v14
	v_max_f64 v[35:36], v[33:34], v[31:32]
	v_min_f64 v[31:32], v[33:34], v[31:32]
	v_div_scale_f64 v[33:34], s[10:11], v[35:36], v[35:36], v[31:32]
	s_mov_b32 s10, 0xaf56de9b
	s_mov_b32 s11, 0xbf67952d
	v_rcp_f64_e32 v[39:40], v[33:34]
	v_fma_f64 v[41:42], -v[33:34], v[39:40], 1.0
	v_fma_f64 v[39:40], v[39:40], v[41:42], v[39:40]
	v_div_scale_f64 v[41:42], vcc, v[31:32], v[35:36], v[31:32]
	v_fma_f64 v[43:44], -v[33:34], v[39:40], 1.0
	v_fma_f64 v[39:40], v[39:40], v[43:44], v[39:40]
	v_mul_f64 v[43:44], v[41:42], v[39:40]
	v_fma_f64 v[33:34], -v[33:34], v[43:44], v[41:42]
	v_and_b32_e32 v41, 0x54442d18, v18
	v_div_fmas_f64 v[33:34], v[33:34], v[39:40], v[43:44]
	v_mul_f64 v[39:40], v[37:38], 0.5
	v_cmp_gt_i32_e32 vcc, 0, v14
	v_cndmask_b32_e32 v13, v68, v69, vcc
	v_and_b32_e32 v14, 0x400921fb, v18
	v_bfi_b32 v13, s59, v13, v16
	v_div_fixup_f64 v[31:32], v[33:34], v[35:36], v[31:32]
	v_mul_f64 v[33:34], v[31:32], v[31:32]
	v_fma_f64 v[35:36], v[33:34], s[52:53], v[21:22]
	v_fma_f64 v[35:36], v[33:34], v[35:36], s[50:51]
	;; [unrolled: 1-line block ×3, first 2 shown]
	s_mov_b32 s10, 0xa595c56f
	s_mov_b32 s11, 0x3f7d6d43
	v_fma_f64 v[35:36], v[33:34], v[35:36], s[10:11]
	s_mov_b32 s10, 0xa57d9582
	s_mov_b32 s11, 0xbf8c6ea4
	v_fma_f64 v[35:36], v[33:34], v[35:36], s[10:11]
	s_mov_b32 s10, 0x5f08b19f
	s_mov_b32 s11, 0x3f967e29
	v_fma_f64 v[35:36], v[33:34], v[35:36], s[10:11]
	s_mov_b32 s10, 0xfc27006a
	s_mov_b32 s11, 0xbf9e9ae6
	v_fma_f64 v[35:36], v[33:34], v[35:36], s[10:11]
	s_mov_b32 s10, 0x5711927a
	s_mov_b32 s11, 0x3fa2c15b
	v_fma_f64 v[35:36], v[33:34], v[35:36], s[10:11]
	s_mov_b32 s10, 0xe82d3ff0
	s_mov_b32 s11, 0xbfa59976
	v_fma_f64 v[35:36], v[33:34], v[35:36], s[10:11]
	v_cmp_eq_f64_e64 s[10:11], 0, v[15:16]
	v_fma_f64 v[35:36], v[33:34], v[35:36], s[62:63]
	v_fma_f64 v[35:36], v[33:34], v[35:36], s[64:65]
	;; [unrolled: 1-line block ×10, first 2 shown]
	v_mul_f64 v[33:34], v[33:34], v[35:36]
	v_cndmask_b32_e32 v36, v66, v67, vcc
	v_fma_f64 v[31:32], v[31:32], v[33:34], v[31:32]
	v_add_f64 v[33:34], -v[31:32], s[22:23]
	v_cndmask_b32_e64 v32, v32, v34, s[8:9]
	v_cndmask_b32_e64 v31, v31, v33, s[8:9]
	v_add_f64 v[34:35], -v[31:32], s[82:83]
	v_cndmask_b32_e32 v31, v31, v34, vcc
	v_mul_f64 v[33:34], v[37:38], v[39:40]
	v_cndmask_b32_e32 v18, v32, v35, vcc
	v_cndmask_b32_e64 v31, v31, v41, s[10:11]
	v_cndmask_b32_e64 v14, v18, v14, s[10:11]
	s_and_b64 vcc, s[20:21], s[44:45]
	v_cndmask_b32_e32 v32, v14, v13, vcc
	v_cndmask_b32_e32 v31, v31, v36, vcc
.LBB179_176:                            ;   in Loop: Header=BB179_145 Depth=1
	s_or_b64 exec, exec, s[12:13]
.LBB179_177:                            ;   in Loop: Header=BB179_145 Depth=1
	s_or_b64 exec, exec, s[14:15]
.LBB179_178:                            ;   in Loop: Header=BB179_145 Depth=1
	s_andn2_saveexec_b64 s[12:13], s[86:87]
	s_cbranch_execz .LBB179_180
; %bb.179:                              ;   in Loop: Header=BB179_145 Depth=1
	v_div_scale_f64 v[31:32], s[10:11], s[88:89], s[88:89], v[13:14]
	v_div_scale_f64 v[33:34], s[10:11], s[88:89], s[88:89], v[15:16]
	;; [unrolled: 1-line block ×3, first 2 shown]
	s_mov_b32 s95, s27
	s_mov_b32 s82, s22
	v_cmp_class_f64_e64 s[20:21], v[13:14], s60
	v_rcp_f64_e32 v[35:36], v[31:32]
	v_rcp_f64_e32 v[37:38], v[33:34]
	v_fma_f64 v[39:40], -v[31:32], v[35:36], 1.0
	v_fma_f64 v[41:42], -v[33:34], v[37:38], 1.0
	v_fma_f64 v[35:36], v[35:36], v[39:40], v[35:36]
	v_div_scale_f64 v[39:40], vcc, v[13:14], s[88:89], v[13:14]
	v_fma_f64 v[37:38], v[37:38], v[41:42], v[37:38]
	v_fma_f64 v[41:42], -v[31:32], v[35:36], 1.0
	v_fma_f64 v[45:46], -v[33:34], v[37:38], 1.0
	v_fma_f64 v[35:36], v[35:36], v[41:42], v[35:36]
	v_fma_f64 v[37:38], v[37:38], v[45:46], v[37:38]
	v_mul_f64 v[41:42], v[39:40], v[35:36]
	v_mul_f64 v[45:46], v[43:44], v[37:38]
	v_fma_f64 v[31:32], -v[31:32], v[41:42], v[39:40]
	v_fma_f64 v[33:34], -v[33:34], v[45:46], v[43:44]
	v_div_fmas_f64 v[31:32], v[31:32], v[35:36], v[41:42]
	s_mov_b64 vcc, s[10:11]
	v_div_fmas_f64 v[33:34], v[33:34], v[37:38], v[45:46]
	v_max_f64 v[44:45], |v[13:14]|, |v[13:14]|
	v_div_fixup_f64 v[31:32], v[31:32], s[88:89], v[13:14]
	v_ashrrev_i32_e32 v13, 31, v14
	v_div_fixup_f64 v[33:34], v[33:34], s[88:89], v[15:16]
	v_cmp_class_f64_e64 s[10:11], v[31:32], s60
	v_max_f64 v[35:36], |v[31:32]|, |v[33:34]|
	v_cmp_class_f64_e64 s[14:15], v[33:34], s60
	v_frexp_exp_i32_f64_e32 v18, v[35:36]
	v_sub_u32_e32 v37, 0, v18
	v_ldexp_f64 v[35:36], |v[33:34]|, v37
	v_ldexp_f64 v[37:38], |v[31:32]|, v37
	v_mul_f64 v[35:36], v[35:36], v[35:36]
	v_fma_f64 v[35:36], v[37:38], v[37:38], v[35:36]
	v_rsq_f64_e32 v[37:38], v[35:36]
	v_cmp_eq_f64_e32 vcc, 0, v[35:36]
	v_mul_f64 v[39:40], v[35:36], v[37:38]
	v_mul_f64 v[37:38], v[37:38], 0.5
	v_fma_f64 v[41:42], -v[37:38], v[39:40], 0.5
	v_fma_f64 v[39:40], v[39:40], v[41:42], v[39:40]
	v_fma_f64 v[37:38], v[37:38], v[41:42], v[37:38]
	v_fma_f64 v[41:42], -v[39:40], v[39:40], v[35:36]
	v_fma_f64 v[37:38], v[41:42], v[37:38], v[39:40]
	v_max_f64 v[42:43], |v[15:16]|, |v[15:16]|
	v_cndmask_b32_e32 v36, v38, v36, vcc
	v_cndmask_b32_e32 v35, v37, v35, vcc
	v_ldexp_f64 v[35:36], v[35:36], v18
	v_cmp_o_f64_e32 vcc, v[31:32], v[33:34]
	v_cndmask_b32_e32 v18, 0, v35, vcc
	v_cndmask_b32_e32 v31, v64, v36, vcc
	s_or_b64 vcc, s[14:15], s[10:11]
	v_cndmask_b32_e32 v35, v31, v63, vcc
	v_cndmask_b32_e64 v34, v18, 0, vcc
	v_frexp_mant_f64_e32 v[31:32], v[34:35]
	v_cmp_gt_f64_e64 s[10:11], s[26:27], v[31:32]
	v_cndmask_b32_e64 v18, 0, 1, s[10:11]
	v_ldexp_f64 v[31:32], v[31:32], v18
	v_frexp_exp_i32_f64_e32 v18, v[34:35]
	v_add_f64 v[36:37], v[31:32], 1.0
	v_add_f64 v[48:49], v[31:32], -1.0
	v_rcp_f64_e32 v[38:39], v[36:37]
	v_add_f64 v[52:53], v[36:37], -1.0
	v_add_f64 v[31:32], v[31:32], -v[52:53]
	v_fma_f64 v[40:41], -v[36:37], v[38:39], 1.0
	v_fma_f64 v[38:39], v[40:41], v[38:39], v[38:39]
	v_max_f64 v[40:41], v[44:45], v[42:43]
	v_min_f64 v[42:43], v[44:45], v[42:43]
	v_fma_f64 v[44:45], -v[36:37], v[38:39], 1.0
	v_div_scale_f64 v[46:47], s[14:15], v[40:41], v[40:41], v[42:43]
	s_mov_b32 s14, 0xaf56de9b
	s_mov_b32 s15, 0xbf67952d
	v_fma_f64 v[38:39], v[44:45], v[38:39], v[38:39]
	v_mul_f64 v[44:45], v[48:49], v[38:39]
	v_rcp_f64_e32 v[50:51], v[46:47]
	v_mul_f64 v[54:55], v[36:37], v[44:45]
	v_fma_f64 v[36:37], v[44:45], v[36:37], -v[54:55]
	v_fma_f64 v[52:53], -v[46:47], v[50:51], 1.0
	v_fma_f64 v[31:32], v[44:45], v[31:32], v[36:37]
	v_fma_f64 v[36:37], v[50:51], v[52:53], v[50:51]
	v_div_scale_f64 v[52:53], vcc, v[42:43], v[40:41], v[42:43]
	v_add_f64 v[50:51], v[54:55], v[31:32]
	v_fma_f64 v[56:57], -v[46:47], v[36:37], 1.0
	v_add_f64 v[58:59], v[48:49], -v[50:51]
	v_add_f64 v[54:55], v[50:51], -v[54:55]
	v_fma_f64 v[36:37], v[36:37], v[56:57], v[36:37]
	v_add_f64 v[48:49], v[48:49], -v[58:59]
	v_add_f64 v[31:32], v[54:55], -v[31:32]
	v_mul_f64 v[56:57], v[52:53], v[36:37]
	v_add_f64 v[48:49], v[48:49], -v[50:51]
	v_fma_f64 v[46:47], -v[46:47], v[56:57], v[52:53]
	v_add_f64 v[31:32], v[31:32], v[48:49]
	v_div_fmas_f64 v[36:37], v[46:47], v[36:37], v[56:57]
	v_subbrev_co_u32_e64 v18, vcc, 0, v18, s[10:11]
	s_mov_b32 s10, 0xe82d3ff0
	s_mov_b32 s11, 0xbfa59976
	v_cmp_gt_i32_e32 vcc, 0, v14
	v_add_f64 v[31:32], v[58:59], v[31:32]
	v_cndmask_b32_e32 v33, v68, v69, vcc
	v_mul_f64 v[31:32], v[38:39], v[31:32]
	v_div_fixup_f64 v[36:37], v[36:37], v[40:41], v[42:43]
	v_add_f64 v[38:39], v[44:45], v[31:32]
	v_mul_f64 v[40:41], v[36:37], v[36:37]
	v_mul_f64 v[42:43], v[38:39], v[38:39]
	v_fma_f64 v[46:47], v[40:41], s[52:53], v[21:22]
	v_fma_f64 v[48:49], v[42:43], s[28:29], v[19:20]
	v_mul_f64 v[50:51], v[38:39], v[42:43]
	v_fma_f64 v[46:47], v[40:41], v[46:47], s[50:51]
	v_fma_f64 v[48:49], v[42:43], v[48:49], s[30:31]
	;; [unrolled: 1-line block ×3, first 2 shown]
	s_mov_b32 s14, 0xa595c56f
	s_mov_b32 s15, 0x3f7d6d43
	v_fma_f64 v[48:49], v[42:43], v[48:49], s[34:35]
	v_fma_f64 v[46:47], v[40:41], v[46:47], s[14:15]
	s_mov_b32 s14, 0xa57d9582
	s_mov_b32 s15, 0xbf8c6ea4
	v_fma_f64 v[48:49], v[42:43], v[48:49], s[36:37]
	v_fma_f64 v[46:47], v[40:41], v[46:47], s[14:15]
	;; [unrolled: 4-line block ×3, first 2 shown]
	s_mov_b32 s14, 0xfc27006a
	s_mov_b32 s15, 0xbf9e9ae6
	v_fma_f64 v[42:43], v[42:43], v[48:49], s[94:95]
	v_ldexp_f64 v[48:49], v[38:39], 1
	v_fma_f64 v[46:47], v[40:41], v[46:47], s[14:15]
	s_mov_b32 s14, 0x5711927a
	s_mov_b32 s15, 0x3fa2c15b
	v_add_f64 v[38:39], v[38:39], -v[44:45]
	v_mul_f64 v[42:43], v[50:51], v[42:43]
	v_cvt_f64_i32_e32 v[50:51], v18
	v_fma_f64 v[46:47], v[40:41], v[46:47], s[14:15]
	v_cmp_class_f64_e64 s[14:15], v[15:16], s60
	v_cndmask_b32_e32 v18, v66, v67, vcc
	v_mul_f64 v[52:53], v[50:51], s[40:41]
	v_add_f64 v[31:32], v[31:32], -v[38:39]
	v_add_f64 v[44:45], v[48:49], v[42:43]
	v_fma_f64 v[46:47], v[40:41], v[46:47], s[10:11]
	v_cmp_eq_f64_e64 s[10:11], 0, v[15:16]
	v_ldexp_f64 v[31:32], v[31:32], 1
	v_add_f64 v[38:39], v[44:45], -v[48:49]
	v_fma_f64 v[48:49], v[50:51], s[40:41], -v[52:53]
	v_fma_f64 v[46:47], v[40:41], v[46:47], s[62:63]
	v_add_f64 v[38:39], v[42:43], -v[38:39]
	v_fma_f64 v[42:43], v[40:41], v[46:47], s[64:65]
	v_fma_f64 v[46:47], v[50:51], s[42:43], v[48:49]
	v_add_f64 v[31:32], v[31:32], v[38:39]
	v_fma_f64 v[38:39], v[40:41], v[42:43], s[66:67]
	v_add_f64 v[42:43], v[52:53], v[46:47]
	v_add_f64 v[48:49], v[44:45], v[31:32]
	v_fma_f64 v[38:39], v[40:41], v[38:39], s[68:69]
	v_add_f64 v[52:53], v[42:43], -v[52:53]
	v_add_f64 v[50:51], v[42:43], v[48:49]
	v_add_f64 v[44:45], v[48:49], -v[44:45]
	v_fma_f64 v[38:39], v[40:41], v[38:39], s[70:71]
	v_add_f64 v[46:47], v[46:47], -v[52:53]
	v_add_f64 v[54:55], v[50:51], -v[42:43]
	;; [unrolled: 1-line block ×3, first 2 shown]
	v_fma_f64 v[38:39], v[40:41], v[38:39], s[72:73]
	v_add_f64 v[56:57], v[50:51], -v[54:55]
	v_add_f64 v[44:45], v[48:49], -v[54:55]
	v_fma_f64 v[38:39], v[40:41], v[38:39], s[74:75]
	v_add_f64 v[48:49], v[46:47], v[31:32]
	v_add_f64 v[42:43], v[42:43], -v[56:57]
	v_fma_f64 v[38:39], v[40:41], v[38:39], s[76:77]
	v_add_f64 v[42:43], v[44:45], v[42:43]
	;; [unrolled: 3-line block ×3, first 2 shown]
	v_add_f64 v[48:49], v[48:49], -v[44:45]
	v_fma_f64 v[38:39], v[40:41], v[38:39], s[80:81]
	v_add_f64 v[31:32], v[31:32], -v[44:45]
	v_add_f64 v[52:53], v[50:51], v[42:43]
	v_mul_f64 v[38:39], v[40:41], v[38:39]
	v_add_f64 v[40:41], v[46:47], -v[48:49]
	v_add_f64 v[44:45], v[52:53], -v[50:51]
	v_fma_f64 v[36:37], v[36:37], v[38:39], v[36:37]
	v_add_f64 v[31:32], v[31:32], v[40:41]
	v_add_f64 v[38:39], v[42:43], -v[44:45]
	v_add_f64 v[40:41], -v[36:37], s[22:23]
	v_add_f64 v[31:32], v[31:32], v[38:39]
	v_cndmask_b32_e64 v37, v37, v41, s[8:9]
	v_cndmask_b32_e64 v36, v36, v40, s[8:9]
	v_add_f64 v[38:39], -v[36:37], s[82:83]
	v_cmp_class_f64_e64 s[8:9], v[34:35], s60
	v_and_b32_e32 v40, 0x54442d18, v13
	v_add_f64 v[31:32], v[52:53], v[31:32]
	v_cndmask_b32_e32 v36, v36, v38, vcc
	v_and_b32_e32 v38, 0x400921fb, v13
	v_cndmask_b32_e64 v36, v36, v40, s[10:11]
	v_cndmask_b32_e64 v14, v32, v35, s[8:9]
	;; [unrolled: 1-line block ×3, first 2 shown]
	v_add_f64 v[13:14], v[13:14], 1.0
	v_cmp_ngt_f64_e64 s[8:9], 0, v[34:35]
	v_bfi_b32 v31, s59, v33, v16
	v_cndmask_b32_e32 v32, v37, v39, vcc
	v_cndmask_b32_e64 v32, v32, v38, s[10:11]
	s_and_b64 vcc, s[14:15], s[20:21]
	v_cndmask_b32_e32 v32, v32, v31, vcc
	v_cndmask_b32_e32 v31, v36, v18, vcc
	v_cndmask_b32_e64 v14, v64, v14, s[8:9]
	v_cmp_nge_f64_e64 s[8:9], 0, v[34:35]
	v_cndmask_b32_e64 v33, 0, v13, s[8:9]
	v_cmp_neq_f64_e64 s[8:9], 0, v[34:35]
	v_cndmask_b32_e64 v34, v65, v14, s[8:9]
.LBB179_180:                            ;   in Loop: Header=BB179_145 Depth=1
	s_or_b64 exec, exec, s[12:13]
.LBB179_181:                            ;   in Loop: Header=BB179_145 Depth=1
	s_andn2_saveexec_b64 s[8:9], s[24:25]
	s_cbranch_execz .LBB179_187
; %bb.182:                              ;   in Loop: Header=BB179_145 Depth=1
	v_cmp_nlt_f64_e64 s[10:11], |v[13:14]|, s[84:85]
	v_cmp_nlt_f64_e64 s[12:13], |v[15:16]|, s[84:85]
                                        ; implicit-def: $vgpr34_vgpr35
	s_or_b64 s[10:11], s[12:13], s[10:11]
	s_and_saveexec_b64 s[12:13], s[10:11]
	s_xor_b64 s[10:11], exec, s[12:13]
	s_cbranch_execz .LBB179_184
; %bb.183:                              ;   in Loop: Header=BB179_145 Depth=1
	v_mul_f64 v[13:14], v[13:14], v[13:14]
	v_fma_f64 v[34:35], v[15:16], v[15:16], v[13:14]
.LBB179_184:                            ;   in Loop: Header=BB179_145 Depth=1
	s_andn2_saveexec_b64 s[10:11], s[10:11]
	s_cbranch_execz .LBB179_186
; %bb.185:                              ;   in Loop: Header=BB179_145 Depth=1
	v_mul_f64 v[13:14], v[13:14], 4.0
	v_mul_f64 v[31:32], v[15:16], 4.0
	v_mul_f64 v[13:14], v[13:14], v[13:14]
	v_fma_f64 v[13:14], v[31:32], v[31:32], v[13:14]
	v_ldexp_f64 v[34:35], v[13:14], -4
.LBB179_186:                            ;   in Loop: Header=BB179_145 Depth=1
	s_or_b64 exec, exec, s[10:11]
	v_frexp_mant_f64_e32 v[13:14], v[34:35]
	s_mov_b32 s95, s27
	v_cmp_gt_f64_e32 vcc, s[26:27], v[13:14]
	v_cndmask_b32_e64 v15, 0, 1, vcc
	v_ldexp_f64 v[13:14], v[13:14], v15
	v_frexp_exp_i32_f64_e32 v15, v[34:35]
	v_add_f64 v[31:32], v[13:14], 1.0
	v_add_f64 v[40:41], v[13:14], -1.0
	v_subbrev_co_u32_e32 v15, vcc, 0, v15, vcc
	v_cmp_class_f64_e64 vcc, v[34:35], s60
	v_rcp_f64_e32 v[36:37], v[31:32]
	v_add_f64 v[42:43], v[31:32], -1.0
	v_add_f64 v[13:14], v[13:14], -v[42:43]
	v_fma_f64 v[38:39], -v[31:32], v[36:37], 1.0
	v_fma_f64 v[36:37], v[38:39], v[36:37], v[36:37]
	v_fma_f64 v[38:39], -v[31:32], v[36:37], 1.0
	v_fma_f64 v[36:37], v[38:39], v[36:37], v[36:37]
	v_mul_f64 v[38:39], v[40:41], v[36:37]
	v_mul_f64 v[44:45], v[31:32], v[38:39]
	v_fma_f64 v[31:32], v[38:39], v[31:32], -v[44:45]
	v_fma_f64 v[13:14], v[38:39], v[13:14], v[31:32]
	v_add_f64 v[31:32], v[44:45], v[13:14]
	v_add_f64 v[42:43], v[40:41], -v[31:32]
	v_add_f64 v[44:45], v[31:32], -v[44:45]
	;; [unrolled: 1-line block ×5, first 2 shown]
	v_add_f64 v[13:14], v[13:14], v[31:32]
	v_add_f64 v[13:14], v[42:43], v[13:14]
	v_mul_f64 v[13:14], v[36:37], v[13:14]
	v_add_f64 v[31:32], v[38:39], v[13:14]
	v_mul_f64 v[36:37], v[31:32], v[31:32]
	v_fma_f64 v[40:41], v[36:37], s[28:29], v[19:20]
	v_mul_f64 v[42:43], v[31:32], v[36:37]
	v_fma_f64 v[40:41], v[36:37], v[40:41], s[30:31]
	v_fma_f64 v[40:41], v[36:37], v[40:41], s[34:35]
	;; [unrolled: 1-line block ×5, first 2 shown]
	v_ldexp_f64 v[40:41], v[31:32], 1
	v_add_f64 v[31:32], v[31:32], -v[38:39]
	v_mul_f64 v[36:37], v[42:43], v[36:37]
	v_cvt_f64_i32_e32 v[42:43], v15
	v_add_f64 v[13:14], v[13:14], -v[31:32]
	v_mul_f64 v[44:45], v[42:43], s[40:41]
	v_add_f64 v[38:39], v[40:41], v[36:37]
	v_ldexp_f64 v[13:14], v[13:14], 1
	v_add_f64 v[31:32], v[38:39], -v[40:41]
	v_fma_f64 v[40:41], v[42:43], s[40:41], -v[44:45]
	v_add_f64 v[31:32], v[36:37], -v[31:32]
	v_fma_f64 v[36:37], v[42:43], s[42:43], v[40:41]
	v_add_f64 v[13:14], v[13:14], v[31:32]
	v_add_f64 v[31:32], v[44:45], v[36:37]
	v_add_f64 v[40:41], v[38:39], v[13:14]
	v_add_f64 v[44:45], v[31:32], -v[44:45]
	v_add_f64 v[42:43], v[31:32], v[40:41]
	v_add_f64 v[38:39], v[40:41], -v[38:39]
	v_add_f64 v[36:37], v[36:37], -v[44:45]
	;; [unrolled: 1-line block ×6, first 2 shown]
	v_add_f64 v[40:41], v[36:37], v[13:14]
	v_add_f64 v[31:32], v[31:32], -v[48:49]
	v_add_f64 v[31:32], v[38:39], v[31:32]
	v_add_f64 v[38:39], v[40:41], -v[36:37]
	;; [unrolled: 2-line block ×3, first 2 shown]
	v_add_f64 v[13:14], v[13:14], -v[38:39]
	v_add_f64 v[44:45], v[42:43], v[31:32]
	v_add_f64 v[36:37], v[36:37], -v[40:41]
	v_add_f64 v[38:39], v[44:45], -v[42:43]
	v_add_f64 v[13:14], v[13:14], v[36:37]
	v_add_f64 v[31:32], v[31:32], -v[38:39]
	v_add_f64 v[13:14], v[13:14], v[31:32]
	v_mov_b32_e32 v31, 0
	v_mov_b32_e32 v32, 0x7ff80000
	v_add_f64 v[13:14], v[44:45], v[13:14]
	v_cndmask_b32_e32 v13, v13, v34, vcc
	v_cndmask_b32_e32 v14, v14, v35, vcc
	v_cmp_ngt_f64_e32 vcc, 0, v[34:35]
	v_cndmask_b32_e32 v14, v64, v14, vcc
	v_cmp_nge_f64_e32 vcc, 0, v[34:35]
	v_cndmask_b32_e32 v33, 0, v13, vcc
	v_cmp_neq_f64_e32 vcc, 0, v[34:35]
	v_cndmask_b32_e32 v34, v65, v14, vcc
.LBB179_187:                            ;   in Loop: Header=BB179_145 Depth=1
	s_or_b64 exec, exec, s[8:9]
	v_cmp_o_f64_e32 vcc, v[5:6], v[7:8]
                                        ; implicit-def: $vgpr35_vgpr36
                                        ; implicit-def: $vgpr13_vgpr14
	s_and_saveexec_b64 s[8:9], vcc
	s_xor_b64 s[24:25], exec, s[8:9]
	s_cbranch_execz .LBB179_215
; %bb.188:                              ;   in Loop: Header=BB179_145 Depth=1
	v_cmp_lt_f64_e64 s[8:9], |v[5:6]|, |v[7:8]|
	v_and_b32_e32 v15, 0x7fffffff, v6
	v_and_b32_e32 v18, 0x7fffffff, v8
	s_mov_b32 s10, 0x85ebc8a0
	s_mov_b32 s11, 0x7fd1ccf3
	v_mov_b32_e32 v37, v7
                                        ; implicit-def: $vgpr35_vgpr36
                                        ; implicit-def: $vgpr13_vgpr14
	v_cndmask_b32_e64 v40, v18, v15, s[8:9]
	v_cndmask_b32_e64 v39, v7, v5, s[8:9]
	v_cmp_nlt_f64_e32 vcc, s[10:11], v[39:40]
	s_and_saveexec_b64 s[10:11], vcc
	s_xor_b64 s[86:87], exec, s[10:11]
	s_cbranch_execz .LBB179_212
; %bb.189:                              ;   in Loop: Header=BB179_145 Depth=1
	v_cndmask_b32_e64 v42, v15, v18, s[8:9]
	v_cndmask_b32_e64 v41, v5, v37, s[8:9]
	v_cmp_neq_f64_e32 vcc, 1.0, v[41:42]
                                        ; implicit-def: $vgpr35_vgpr36
                                        ; implicit-def: $vgpr13_vgpr14
	s_and_saveexec_b64 s[10:11], vcc
	s_xor_b64 s[20:21], exec, s[10:11]
	s_cbranch_execz .LBB179_205
; %bb.190:                              ;   in Loop: Header=BB179_145 Depth=1
	v_max_f64 v[13:14], v[39:40], v[39:40]
	v_max_f64 v[35:36], v[41:42], v[41:42]
	s_mov_b32 s10, 0x4ad4b81f
	s_mov_b32 s11, 0x358dee7a
	v_min_f64 v[37:38], v[35:36], v[13:14]
	v_max_f64 v[13:14], v[35:36], v[13:14]
                                        ; implicit-def: $vgpr35_vgpr36
	v_cmp_ngt_f64_e32 vcc, s[10:11], v[37:38]
	s_mov_b32 s10, 0xc57e649a
	s_mov_b32 s11, 0x4a511b0e
	v_cmp_nlt_f64_e64 s[10:11], s[10:11], v[13:14]
                                        ; implicit-def: $vgpr13_vgpr14
	s_and_b64 s[10:11], s[10:11], vcc
	s_and_saveexec_b64 s[12:13], s[10:11]
	s_xor_b64 s[44:45], exec, s[12:13]
	s_cbranch_execz .LBB179_202
; %bb.191:                              ;   in Loop: Header=BB179_145 Depth=1
	v_cmp_le_f64_e32 vcc, 1.0, v[41:42]
                                        ; implicit-def: $vgpr35_vgpr36
                                        ; implicit-def: $vgpr13_vgpr14
	s_and_saveexec_b64 s[10:11], vcc
	s_xor_b64 s[46:47], exec, s[10:11]
	s_cbranch_execz .LBB179_193
; %bb.192:                              ;   in Loop: Header=BB179_145 Depth=1
	v_add_f64 v[13:14], v[41:42], -1.0
	v_add_f64 v[35:36], v[41:42], 1.0
	s_mov_b32 s95, s27
	s_mov_b32 s82, s22
	;; [unrolled: 1-line block ×4, first 2 shown]
	v_cmp_class_f64_e64 s[48:49], v[7:8], s60
	v_mul_f64 v[13:14], v[13:14], v[35:36]
	v_fma_f64 v[36:37], v[39:40], v[39:40], v[13:14]
	v_add_f64 v[13:14], v[36:37], 1.0
	v_cmp_nge_f64_e64 s[12:13], -1.0, v[36:37]
	v_cmp_neq_f64_e64 s[14:15], s[14:15], v[36:37]
	v_frexp_mant_f64_e32 v[40:41], v[13:14]
	v_frexp_exp_i32_f64_e32 v15, v[13:14]
	v_add_f64 v[38:39], v[13:14], -1.0
	v_cmp_gt_f64_e32 vcc, s[26:27], v[40:41]
	v_add_f64 v[42:43], v[38:39], -v[13:14]
	v_add_f64 v[38:39], v[36:37], -v[38:39]
	v_subbrev_co_u32_e32 v15, vcc, 0, v15, vcc
	v_sub_u32_e32 v18, 0, v15
	v_ldexp_f64 v[13:14], v[13:14], v18
	v_add_f64 v[40:41], v[42:43], 1.0
	v_add_f64 v[42:43], v[13:14], 1.0
	v_add_f64 v[38:39], v[38:39], v[40:41]
	v_add_f64 v[48:49], v[13:14], -1.0
	v_add_f64 v[40:41], v[42:43], -1.0
	v_ldexp_f64 v[38:39], v[38:39], v18
	v_add_f64 v[50:51], v[48:49], 1.0
	v_add_f64 v[40:41], v[13:14], -v[40:41]
	v_add_f64 v[13:14], v[13:14], -v[50:51]
	v_add_f64 v[44:45], v[38:39], v[40:41]
	v_add_f64 v[50:51], v[38:39], v[13:14]
	;; [unrolled: 1-line block ×3, first 2 shown]
	v_rcp_f64_e32 v[46:47], v[40:41]
	v_add_f64 v[42:43], v[40:41], -v[42:43]
	v_add_f64 v[44:45], v[44:45], -v[42:43]
	v_fma_f64 v[52:53], -v[40:41], v[46:47], 1.0
	v_fma_f64 v[46:47], v[52:53], v[46:47], v[46:47]
	v_add_f64 v[52:53], v[48:49], v[50:51]
	v_fma_f64 v[13:14], -v[40:41], v[46:47], 1.0
	v_add_f64 v[48:49], v[52:53], -v[48:49]
	v_fma_f64 v[13:14], v[13:14], v[46:47], v[46:47]
	v_add_f64 v[48:49], v[50:51], -v[48:49]
	v_mul_f64 v[38:39], v[52:53], v[13:14]
	v_mul_f64 v[46:47], v[40:41], v[38:39]
	v_fma_f64 v[42:43], v[38:39], v[40:41], -v[46:47]
	v_fma_f64 v[54:55], v[38:39], v[44:45], v[42:43]
	v_add_f64 v[56:57], v[46:47], v[54:55]
	v_add_f64 v[42:43], v[52:53], -v[56:57]
	v_add_f64 v[46:47], v[56:57], -v[46:47]
	;; [unrolled: 1-line block ×5, first 2 shown]
	v_add_f64 v[48:49], v[48:49], v[50:51]
	v_max_f64 v[50:51], |v[5:6]|, |v[5:6]|
	v_add_f64 v[46:47], v[46:47], v[48:49]
	v_max_f64 v[48:49], |v[7:8]|, |v[7:8]|
	v_add_f64 v[52:53], v[42:43], v[46:47]
	v_max_f64 v[54:55], v[50:51], v[48:49]
	v_min_f64 v[48:49], v[50:51], v[48:49]
	v_mul_f64 v[50:51], v[13:14], v[52:53]
	v_add_f64 v[42:43], v[42:43], -v[52:53]
	v_div_scale_f64 v[56:57], s[10:11], v[54:55], v[54:55], v[48:49]
	s_mov_b32 s10, 0xaf56de9b
	s_mov_b32 s11, 0xbf67952d
	v_mul_f64 v[58:59], v[40:41], v[50:51]
	v_add_f64 v[42:43], v[46:47], v[42:43]
	v_fma_f64 v[40:41], v[50:51], v[40:41], -v[58:59]
	v_rcp_f64_e32 v[60:61], v[56:57]
	v_fma_f64 v[40:41], v[50:51], v[44:45], v[40:41]
	v_add_f64 v[44:45], v[58:59], v[40:41]
	v_fma_f64 v[70:71], -v[56:57], v[60:61], 1.0
	v_add_f64 v[72:73], v[52:53], -v[44:45]
	v_add_f64 v[46:47], v[44:45], -v[58:59]
	v_fma_f64 v[60:61], v[60:61], v[70:71], v[60:61]
	v_div_scale_f64 v[70:71], vcc, v[48:49], v[54:55], v[48:49]
	v_add_f64 v[52:53], v[52:53], -v[72:73]
	v_add_f64 v[40:41], v[46:47], -v[40:41]
	v_fma_f64 v[74:75], -v[56:57], v[60:61], 1.0
	v_add_f64 v[46:47], v[38:39], v[50:51]
	v_add_f64 v[44:45], v[52:53], -v[44:45]
	v_fma_f64 v[52:53], v[60:61], v[74:75], v[60:61]
	v_add_f64 v[38:39], v[46:47], -v[38:39]
	v_add_f64 v[42:43], v[42:43], v[44:45]
	v_mul_f64 v[44:45], v[70:71], v[52:53]
	v_add_f64 v[38:39], v[50:51], -v[38:39]
	v_add_f64 v[40:41], v[40:41], v[42:43]
	v_fma_f64 v[42:43], -v[56:57], v[44:45], v[70:71]
	v_add_f64 v[40:41], v[72:73], v[40:41]
	v_div_fmas_f64 v[42:43], v[42:43], v[52:53], v[44:45]
	v_cmp_gt_i32_e32 vcc, 0, v6
	v_cndmask_b32_e32 v18, v68, v69, vcc
	v_mul_f64 v[13:14], v[13:14], v[40:41]
	v_add_f64 v[13:14], v[38:39], v[13:14]
	v_div_fixup_f64 v[38:39], v[42:43], v[54:55], v[48:49]
	v_add_f64 v[40:41], v[46:47], v[13:14]
	v_mul_f64 v[42:43], v[38:39], v[38:39]
	v_mul_f64 v[44:45], v[40:41], v[40:41]
	v_fma_f64 v[48:49], v[42:43], s[52:53], v[21:22]
	v_fma_f64 v[50:51], v[44:45], s[28:29], v[19:20]
	v_mul_f64 v[52:53], v[40:41], v[44:45]
	v_fma_f64 v[48:49], v[42:43], v[48:49], s[50:51]
	v_cmp_class_f64_e64 s[50:51], v[5:6], s60
	v_ashrrev_i32_e32 v5, 31, v6
	v_and_b32_e32 v35, 0x54442d18, v5
	v_fma_f64 v[50:51], v[44:45], v[50:51], s[30:31]
	v_fma_f64 v[48:49], v[42:43], v[48:49], s[10:11]
	s_mov_b32 s10, 0xa595c56f
	s_mov_b32 s11, 0x3f7d6d43
	v_fma_f64 v[50:51], v[44:45], v[50:51], s[34:35]
	v_fma_f64 v[48:49], v[42:43], v[48:49], s[10:11]
	s_mov_b32 s10, 0xa57d9582
	s_mov_b32 s11, 0xbf8c6ea4
	;; [unrolled: 4-line block ×4, first 2 shown]
	v_fma_f64 v[44:45], v[44:45], v[50:51], s[94:95]
	v_ldexp_f64 v[50:51], v[40:41], 1
	v_fma_f64 v[48:49], v[42:43], v[48:49], s[10:11]
	s_mov_b32 s10, 0x5711927a
	s_mov_b32 s11, 0x3fa2c15b
	v_add_f64 v[40:41], v[40:41], -v[46:47]
	v_mul_f64 v[44:45], v[52:53], v[44:45]
	v_cvt_f64_i32_e32 v[52:53], v15
	v_fma_f64 v[48:49], v[42:43], v[48:49], s[10:11]
	s_mov_b32 s10, 0xe82d3ff0
	s_mov_b32 s11, 0xbfa59976
	v_mul_f64 v[54:55], v[52:53], s[40:41]
	v_add_f64 v[13:14], v[13:14], -v[40:41]
	v_cndmask_b32_e32 v15, v66, v67, vcc
	v_add_f64 v[46:47], v[50:51], v[44:45]
	v_fma_f64 v[48:49], v[42:43], v[48:49], s[10:11]
	v_cmp_eq_f64_e64 s[10:11], 0, v[7:8]
	v_ldexp_f64 v[13:14], v[13:14], 1
	v_add_f64 v[40:41], v[46:47], -v[50:51]
	v_fma_f64 v[50:51], v[52:53], s[40:41], -v[54:55]
	v_fma_f64 v[48:49], v[42:43], v[48:49], s[62:63]
	v_add_f64 v[40:41], v[44:45], -v[40:41]
	v_fma_f64 v[44:45], v[42:43], v[48:49], s[64:65]
	v_fma_f64 v[48:49], v[52:53], s[42:43], v[50:51]
	v_add_f64 v[13:14], v[13:14], v[40:41]
	v_fma_f64 v[40:41], v[42:43], v[44:45], s[66:67]
	v_add_f64 v[44:45], v[54:55], v[48:49]
	v_add_f64 v[50:51], v[46:47], v[13:14]
	v_fma_f64 v[40:41], v[42:43], v[40:41], s[68:69]
	v_add_f64 v[54:55], v[44:45], -v[54:55]
	v_add_f64 v[52:53], v[44:45], v[50:51]
	v_add_f64 v[46:47], v[50:51], -v[46:47]
	v_fma_f64 v[40:41], v[42:43], v[40:41], s[70:71]
	v_add_f64 v[48:49], v[48:49], -v[54:55]
	v_add_f64 v[56:57], v[52:53], -v[44:45]
	;; [unrolled: 1-line block ×3, first 2 shown]
	v_fma_f64 v[40:41], v[42:43], v[40:41], s[72:73]
	v_add_f64 v[58:59], v[52:53], -v[56:57]
	v_add_f64 v[46:47], v[50:51], -v[56:57]
	v_fma_f64 v[40:41], v[42:43], v[40:41], s[74:75]
	v_add_f64 v[50:51], v[48:49], v[13:14]
	v_add_f64 v[44:45], v[44:45], -v[58:59]
	v_fma_f64 v[40:41], v[42:43], v[40:41], s[76:77]
	v_add_f64 v[44:45], v[46:47], v[44:45]
	;; [unrolled: 3-line block ×3, first 2 shown]
	v_add_f64 v[50:51], v[50:51], -v[46:47]
	v_fma_f64 v[40:41], v[42:43], v[40:41], s[80:81]
	v_add_f64 v[13:14], v[13:14], -v[46:47]
	v_add_f64 v[54:55], v[52:53], v[44:45]
	v_mul_f64 v[40:41], v[42:43], v[40:41]
	v_add_f64 v[42:43], v[48:49], -v[50:51]
	v_add_f64 v[46:47], v[54:55], -v[52:53]
	v_fma_f64 v[38:39], v[38:39], v[40:41], v[38:39]
	v_add_f64 v[13:14], v[13:14], v[42:43]
	v_add_f64 v[40:41], v[44:45], -v[46:47]
	v_add_f64 v[42:43], -v[38:39], s[22:23]
	v_add_f64 v[13:14], v[13:14], v[40:41]
	v_cndmask_b32_e64 v39, v39, v43, s[8:9]
	v_cndmask_b32_e64 v38, v38, v42, s[8:9]
	v_add_f64 v[40:41], -v[38:39], s[82:83]
	v_add_f64 v[13:14], v[54:55], v[13:14]
	v_cndmask_b32_e32 v38, v38, v40, vcc
	v_and_b32_e32 v40, 0x400921fb, v5
	v_mul_f64 v[5:6], v[13:14], 0.5
	v_cndmask_b32_e32 v14, v39, v41, vcc
	v_bfi_b32 v13, s59, v18, v8
	v_cndmask_b32_e64 v18, v38, v35, s[10:11]
	v_cndmask_b32_e64 v14, v14, v40, s[10:11]
	s_and_b64 s[10:11], s[12:13], s[14:15]
	s_and_b64 vcc, s[48:49], s[50:51]
	s_mov_b32 s50, 0x69efb384
	v_cndmask_b32_e64 v35, 0, v5, s[10:11]
	v_cmp_ngt_f64_e64 s[10:11], -1.0, v[36:37]
	v_cndmask_b32_e64 v6, v63, v6, s[14:15]
	s_mov_b32 s51, 0x3f4b2bb0
	v_cndmask_b32_e32 v14, v14, v13, vcc
	v_cndmask_b32_e32 v13, v18, v15, vcc
                                        ; implicit-def: $vgpr39_vgpr40
                                        ; implicit-def: $vgpr41_vgpr42
	v_cndmask_b32_e64 v5, v64, v6, s[10:11]
	v_cmp_neq_f64_e64 s[10:11], -1.0, v[36:37]
	v_cndmask_b32_e64 v36, v65, v5, s[10:11]
.LBB179_193:                            ;   in Loop: Header=BB179_145 Depth=1
	s_andn2_saveexec_b64 s[46:47], s[46:47]
	s_cbranch_execz .LBB179_201
; %bb.194:                              ;   in Loop: Header=BB179_145 Depth=1
	v_mul_f64 v[13:14], v[39:40], v[39:40]
	s_mov_b32 s10, 0x66666666
	s_mov_b32 s11, 0x3fe66666
                                        ; implicit-def: $vgpr35_vgpr36
	v_fma_f64 v[37:38], v[41:42], v[41:42], v[13:14]
                                        ; implicit-def: $vgpr13_vgpr14
	v_cmp_ge_f64_e32 vcc, s[10:11], v[37:38]
	s_and_saveexec_b64 s[10:11], vcc
	s_xor_b64 s[14:15], exec, s[10:11]
	s_cbranch_execz .LBB179_196
; %bb.195:                              ;   in Loop: Header=BB179_145 Depth=1
	v_frexp_mant_f64_e32 v[13:14], v[37:38]
	v_max_f64 v[43:44], |v[7:8]|, |v[7:8]|
	v_max_f64 v[45:46], |v[5:6]|, |v[5:6]|
	s_mov_b32 s95, s27
	s_mov_b32 s82, s22
	v_cmp_class_f64_e64 s[48:49], v[7:8], s60
	v_cmp_gt_f64_e64 s[10:11], s[26:27], v[13:14]
	v_cndmask_b32_e64 v15, 0, 1, s[10:11]
	v_ldexp_f64 v[13:14], v[13:14], v15
	v_frexp_exp_i32_f64_e32 v15, v[37:38]
	v_add_f64 v[35:36], v[13:14], 1.0
	v_add_f64 v[49:50], v[13:14], -1.0
	v_rcp_f64_e32 v[39:40], v[35:36]
	v_add_f64 v[53:54], v[35:36], -1.0
	v_add_f64 v[13:14], v[13:14], -v[53:54]
	v_fma_f64 v[41:42], -v[35:36], v[39:40], 1.0
	v_fma_f64 v[39:40], v[41:42], v[39:40], v[39:40]
	v_max_f64 v[41:42], v[45:46], v[43:44]
	v_min_f64 v[43:44], v[45:46], v[43:44]
	v_fma_f64 v[45:46], -v[35:36], v[39:40], 1.0
	v_div_scale_f64 v[47:48], s[12:13], v[41:42], v[41:42], v[43:44]
	s_mov_b32 s12, 0xaf56de9b
	s_mov_b32 s13, 0xbf67952d
	v_fma_f64 v[39:40], v[45:46], v[39:40], v[39:40]
	v_mul_f64 v[45:46], v[49:50], v[39:40]
	v_rcp_f64_e32 v[51:52], v[47:48]
	v_mul_f64 v[55:56], v[35:36], v[45:46]
	v_fma_f64 v[35:36], v[45:46], v[35:36], -v[55:56]
	v_fma_f64 v[53:54], -v[47:48], v[51:52], 1.0
	v_fma_f64 v[13:14], v[45:46], v[13:14], v[35:36]
	v_fma_f64 v[35:36], v[51:52], v[53:54], v[51:52]
	v_div_scale_f64 v[53:54], vcc, v[43:44], v[41:42], v[43:44]
	v_add_f64 v[51:52], v[55:56], v[13:14]
	v_fma_f64 v[57:58], -v[47:48], v[35:36], 1.0
	v_add_f64 v[59:60], v[49:50], -v[51:52]
	v_add_f64 v[55:56], v[51:52], -v[55:56]
	v_fma_f64 v[35:36], v[35:36], v[57:58], v[35:36]
	v_add_f64 v[49:50], v[49:50], -v[59:60]
	v_add_f64 v[13:14], v[55:56], -v[13:14]
	v_mul_f64 v[57:58], v[53:54], v[35:36]
	v_add_f64 v[49:50], v[49:50], -v[51:52]
	v_fma_f64 v[47:48], -v[47:48], v[57:58], v[53:54]
	v_add_f64 v[13:14], v[13:14], v[49:50]
	v_div_fmas_f64 v[35:36], v[47:48], v[35:36], v[57:58]
	v_subbrev_co_u32_e64 v15, vcc, 0, v15, s[10:11]
	s_mov_b32 s10, 0xe82d3ff0
	s_mov_b32 s11, 0xbfa59976
	v_cmp_gt_i32_e32 vcc, 0, v6
	v_add_f64 v[13:14], v[59:60], v[13:14]
	v_mul_f64 v[13:14], v[39:40], v[13:14]
	v_div_fixup_f64 v[35:36], v[35:36], v[41:42], v[43:44]
	v_add_f64 v[39:40], v[45:46], v[13:14]
	v_mul_f64 v[41:42], v[35:36], v[35:36]
	v_mul_f64 v[43:44], v[39:40], v[39:40]
	v_fma_f64 v[47:48], v[41:42], s[52:53], v[21:22]
	v_fma_f64 v[49:50], v[43:44], s[28:29], v[19:20]
	v_mul_f64 v[51:52], v[39:40], v[43:44]
	v_fma_f64 v[47:48], v[41:42], v[47:48], s[50:51]
	v_cmp_class_f64_e64 s[50:51], v[5:6], s60
	v_ashrrev_i32_e32 v5, 31, v6
	v_and_b32_e32 v18, 0x54442d18, v5
	v_fma_f64 v[49:50], v[43:44], v[49:50], s[30:31]
	v_fma_f64 v[47:48], v[41:42], v[47:48], s[12:13]
	s_mov_b32 s12, 0xa595c56f
	s_mov_b32 s13, 0x3f7d6d43
	v_fma_f64 v[49:50], v[43:44], v[49:50], s[34:35]
	v_fma_f64 v[47:48], v[41:42], v[47:48], s[12:13]
	s_mov_b32 s12, 0xa57d9582
	s_mov_b32 s13, 0xbf8c6ea4
	;; [unrolled: 4-line block ×4, first 2 shown]
	v_fma_f64 v[43:44], v[43:44], v[49:50], s[94:95]
	v_ldexp_f64 v[49:50], v[39:40], 1
	v_fma_f64 v[47:48], v[41:42], v[47:48], s[12:13]
	s_mov_b32 s12, 0x5711927a
	s_mov_b32 s13, 0x3fa2c15b
	v_add_f64 v[39:40], v[39:40], -v[45:46]
	v_mul_f64 v[43:44], v[51:52], v[43:44]
	v_cvt_f64_i32_e32 v[51:52], v15
	v_fma_f64 v[47:48], v[41:42], v[47:48], s[12:13]
	v_cmp_neq_f64_e64 s[12:13], 0, v[37:38]
	v_cndmask_b32_e32 v15, v66, v67, vcc
	v_mul_f64 v[53:54], v[51:52], s[40:41]
	v_add_f64 v[13:14], v[13:14], -v[39:40]
	v_add_f64 v[45:46], v[49:50], v[43:44]
	v_fma_f64 v[47:48], v[41:42], v[47:48], s[10:11]
	v_cmp_eq_f64_e64 s[10:11], 0, v[7:8]
	v_ldexp_f64 v[13:14], v[13:14], 1
	v_add_f64 v[39:40], v[45:46], -v[49:50]
	v_fma_f64 v[49:50], v[51:52], s[40:41], -v[53:54]
	v_fma_f64 v[47:48], v[41:42], v[47:48], s[62:63]
	v_add_f64 v[39:40], v[43:44], -v[39:40]
	v_fma_f64 v[43:44], v[41:42], v[47:48], s[64:65]
	v_fma_f64 v[47:48], v[51:52], s[42:43], v[49:50]
	v_add_f64 v[13:14], v[13:14], v[39:40]
	v_fma_f64 v[39:40], v[41:42], v[43:44], s[66:67]
	v_add_f64 v[43:44], v[53:54], v[47:48]
	v_add_f64 v[49:50], v[45:46], v[13:14]
	v_fma_f64 v[39:40], v[41:42], v[39:40], s[68:69]
	v_add_f64 v[53:54], v[43:44], -v[53:54]
	v_add_f64 v[51:52], v[43:44], v[49:50]
	v_add_f64 v[45:46], v[49:50], -v[45:46]
	v_fma_f64 v[39:40], v[41:42], v[39:40], s[70:71]
	v_add_f64 v[47:48], v[47:48], -v[53:54]
	v_add_f64 v[55:56], v[51:52], -v[43:44]
	;; [unrolled: 1-line block ×3, first 2 shown]
	v_fma_f64 v[39:40], v[41:42], v[39:40], s[72:73]
	v_add_f64 v[57:58], v[51:52], -v[55:56]
	v_add_f64 v[45:46], v[49:50], -v[55:56]
	v_fma_f64 v[39:40], v[41:42], v[39:40], s[74:75]
	v_add_f64 v[49:50], v[47:48], v[13:14]
	v_add_f64 v[43:44], v[43:44], -v[57:58]
	v_fma_f64 v[39:40], v[41:42], v[39:40], s[76:77]
	v_add_f64 v[43:44], v[45:46], v[43:44]
	;; [unrolled: 3-line block ×3, first 2 shown]
	v_add_f64 v[49:50], v[49:50], -v[45:46]
	v_fma_f64 v[39:40], v[41:42], v[39:40], s[80:81]
	v_add_f64 v[13:14], v[13:14], -v[45:46]
	v_add_f64 v[53:54], v[51:52], v[43:44]
	v_mul_f64 v[39:40], v[41:42], v[39:40]
	v_add_f64 v[41:42], v[47:48], -v[49:50]
	v_add_f64 v[45:46], v[53:54], -v[51:52]
	v_fma_f64 v[35:36], v[35:36], v[39:40], v[35:36]
	v_add_f64 v[13:14], v[13:14], v[41:42]
	v_add_f64 v[39:40], v[43:44], -v[45:46]
	v_add_f64 v[41:42], -v[35:36], s[22:23]
	v_add_f64 v[13:14], v[13:14], v[39:40]
	v_cndmask_b32_e64 v36, v36, v42, s[8:9]
	v_cndmask_b32_e64 v35, v35, v41, s[8:9]
	v_add_f64 v[39:40], -v[35:36], s[82:83]
	v_and_b32_e32 v41, 0x400921fb, v5
	v_add_f64 v[13:14], v[53:54], v[13:14]
	v_cndmask_b32_e32 v35, v35, v39, vcc
	v_cndmask_b32_e32 v39, v68, v69, vcc
	v_cndmask_b32_e64 v18, v35, v18, s[10:11]
	v_mul_f64 v[5:6], v[13:14], 0.5
	v_cndmask_b32_e32 v14, v36, v40, vcc
	v_bfi_b32 v13, s59, v39, v8
	v_cndmask_b32_e64 v14, v14, v41, s[10:11]
	s_and_b64 vcc, s[48:49], s[50:51]
	s_mov_b32 s50, 0x69efb384
	s_mov_b32 s51, 0x3f4b2bb0
	v_cndmask_b32_e32 v14, v14, v13, vcc
	v_cndmask_b32_e64 v36, v65, v6, s[12:13]
	v_cndmask_b32_e64 v35, 0, v5, s[12:13]
	v_cndmask_b32_e32 v13, v18, v15, vcc
                                        ; implicit-def: $vgpr41_vgpr42
                                        ; implicit-def: $vgpr39_vgpr40
.LBB179_196:                            ;   in Loop: Header=BB179_145 Depth=1
	s_andn2_saveexec_b64 s[48:49], s[14:15]
	s_cbranch_execz .LBB179_200
; %bb.197:                              ;   in Loop: Header=BB179_145 Depth=1
	v_and_b32_e32 v18, 0x7ffffff8, v42
	v_and_b32_e32 v36, 0x7ffffff8, v40
	v_mov_b32_e32 v35, v17
	v_add_f64 v[13:14], v[41:42], -v[17:18]
	v_add_f64 v[37:38], v[39:40], -v[35:36]
	v_mov_b32_e32 v41, v17
	v_mov_b32_e32 v49, v17
	v_add_f64 v[45:46], v[17:18], v[17:18]
	v_add_f64 v[47:48], v[35:36], v[35:36]
	v_mul_f64 v[35:36], v[35:36], v[35:36]
	s_mov_b64 s[50:51], 0
	v_and_b32_e32 v42, -8, v14
	v_and_b32_e32 v50, -8, v38
	v_add_f64 v[55:56], v[13:14], -v[41:42]
	v_add_f64 v[57:58], v[37:38], -v[49:50]
	v_add_f64 v[59:60], v[41:42], v[41:42]
	v_add_f64 v[61:62], v[49:50], v[49:50]
	v_mul_f64 v[13:14], v[17:18], v[17:18]
	v_mul_f64 v[39:40], v[45:46], v[41:42]
	;; [unrolled: 1-line block ×11, first 2 shown]
.LBB179_198:                            ;   Parent Loop BB179_145 Depth=1
                                        ; =>  This Inner Loop Header: Depth=2
	v_cmp_nlt_f64_e32 vcc, v[13:14], v[35:36]
	v_cndmask_b32_e32 v58, v14, v36, vcc
	v_cndmask_b32_e32 v57, v13, v35, vcc
	v_cmp_nlt_f64_e64 s[10:11], v[57:58], v[39:40]
	v_cndmask_b32_e32 v14, v36, v14, vcc
	v_cndmask_b32_e32 v13, v35, v13, vcc
	v_cndmask_b32_e64 v60, v58, v40, s[10:11]
	v_cndmask_b32_e64 v59, v57, v39, s[10:11]
	v_cmp_nlt_f64_e64 s[12:13], v[59:60], v[37:38]
	v_cndmask_b32_e64 v36, v40, v58, s[10:11]
	v_cndmask_b32_e64 v35, v39, v57, s[10:11]
	s_and_b64 s[52:53], vcc, s[10:11]
	v_cndmask_b32_e64 v62, v60, v38, s[12:13]
	v_cndmask_b32_e64 v61, v59, v37, s[12:13]
	v_cmp_nlt_f64_e64 s[14:15], v[61:62], v[43:44]
	v_cndmask_b32_e64 v40, v38, v60, s[12:13]
	v_cndmask_b32_e64 v39, v37, v59, s[12:13]
	;; [unrolled: 1-line block ×4, first 2 shown]
	v_cmp_nlt_f64_e32 vcc, v[57:58], v[49:50]
	v_cndmask_b32_e64 v38, v44, v62, s[14:15]
	v_cndmask_b32_e64 v37, v43, v61, s[14:15]
	s_and_b64 s[14:15], s[12:13], s[14:15]
	v_cndmask_b32_e32 v60, v58, v50, vcc
	v_cndmask_b32_e32 v59, v57, v49, vcc
	v_cmp_nlt_f64_e64 s[10:11], v[59:60], v[53:54]
	v_cndmask_b32_e32 v44, v50, v58, vcc
	v_cndmask_b32_e32 v43, v49, v57, vcc
	v_cndmask_b32_e64 v58, v60, v54, s[10:11]
	v_cndmask_b32_e64 v57, v59, v53, s[10:11]
	v_cmp_nlt_f64_e64 s[12:13], v[57:58], v[51:52]
	v_cndmask_b32_e64 v50, v54, v60, s[10:11]
	v_cndmask_b32_e64 v49, v53, v59, s[10:11]
	s_and_b64 s[10:11], vcc, s[10:11]
	v_cndmask_b32_e64 v60, v58, v52, s[12:13]
	v_cndmask_b32_e64 v59, v57, v51, s[12:13]
	v_cmp_nlt_f64_e32 vcc, v[59:60], v[47:48]
	v_cndmask_b32_e64 v54, v52, v58, s[12:13]
	v_cndmask_b32_e64 v53, v51, v57, s[12:13]
	s_and_b64 s[12:13], s[10:11], s[12:13]
	v_cndmask_b32_e32 v58, v60, v48, vcc
	v_cndmask_b32_e32 v57, v59, v47, vcc
	v_cmp_nlt_f64_e64 s[10:11], v[57:58], v[45:46]
	v_cndmask_b32_e32 v52, v48, v60, vcc
	v_cndmask_b32_e32 v51, v47, v59, vcc
	s_and_b64 s[12:13], s[12:13], vcc
	v_cndmask_b32_e64 v60, v58, v46, s[10:11]
	v_cndmask_b32_e64 v59, v57, v45, s[10:11]
	v_cmp_nlt_f64_e32 vcc, v[59:60], v[41:42]
	v_cndmask_b32_e64 v48, v46, v58, s[10:11]
	v_cndmask_b32_e64 v47, v45, v57, s[10:11]
	s_and_b64 s[12:13], s[12:13], s[10:11]
	v_cndmask_b32_e32 v62, v60, v42, vcc
	v_cndmask_b32_e32 v61, v59, v41, vcc
	v_cmp_nlt_f64_e64 s[10:11], v[61:62], v[55:56]
	s_and_b64 s[12:13], s[12:13], vcc
	v_cndmask_b32_e32 v46, v42, v60, vcc
	v_cndmask_b32_e32 v45, v41, v59, vcc
	v_cndmask_b32_e64 v58, v62, v56, s[10:11]
	v_cndmask_b32_e64 v57, v61, v55, s[10:11]
	;; [unrolled: 1-line block ×4, first 2 shown]
	s_and_b64 s[10:11], s[12:13], s[10:11]
	s_and_b64 s[10:11], s[10:11], s[14:15]
	;; [unrolled: 1-line block ×3, first 2 shown]
	s_and_b64 s[10:11], exec, s[10:11]
	v_mov_b32_e32 v55, v57
	s_or_b64 s[50:51], s[10:11], s[50:51]
	v_mov_b32_e32 v56, v58
	s_andn2_b64 exec, exec, s[50:51]
	s_cbranch_execnz .LBB179_198
; %bb.199:                              ;   in Loop: Header=BB179_145 Depth=1
	s_or_b64 exec, exec, s[50:51]
	v_add_f64 v[13:14], v[13:14], -1.0
	s_mov_b32 s95, s27
	s_mov_b32 s82, s22
	;; [unrolled: 1-line block ×4, first 2 shown]
	v_cmp_class_f64_e64 s[52:53], v[5:6], s60
	v_cmp_class_f64_e64 s[50:51], v[7:8], s60
	v_add_f64 v[13:14], v[13:14], v[35:36]
	v_add_f64 v[13:14], v[13:14], v[39:40]
	;; [unrolled: 1-line block ×11, first 2 shown]
	v_add_f64 v[14:15], v[36:37], 1.0
	v_cmp_nge_f64_e64 s[12:13], -1.0, v[36:37]
	v_cmp_neq_f64_e64 s[14:15], s[14:15], v[36:37]
	v_frexp_mant_f64_e32 v[40:41], v[14:15]
	v_frexp_exp_i32_f64_e32 v13, v[14:15]
	v_add_f64 v[38:39], v[14:15], -1.0
	v_cmp_gt_f64_e32 vcc, s[26:27], v[40:41]
	v_add_f64 v[42:43], v[38:39], -v[14:15]
	v_add_f64 v[38:39], v[36:37], -v[38:39]
	v_subbrev_co_u32_e32 v13, vcc, 0, v13, vcc
	v_sub_u32_e32 v18, 0, v13
	v_ldexp_f64 v[14:15], v[14:15], v18
	v_add_f64 v[40:41], v[42:43], 1.0
	v_add_f64 v[42:43], v[14:15], 1.0
	v_add_f64 v[38:39], v[38:39], v[40:41]
	v_add_f64 v[48:49], v[14:15], -1.0
	v_add_f64 v[40:41], v[42:43], -1.0
	v_ldexp_f64 v[38:39], v[38:39], v18
	v_add_f64 v[50:51], v[48:49], 1.0
	v_add_f64 v[40:41], v[14:15], -v[40:41]
	v_add_f64 v[14:15], v[14:15], -v[50:51]
	v_add_f64 v[40:41], v[38:39], v[40:41]
	v_add_f64 v[14:15], v[38:39], v[14:15]
	;; [unrolled: 1-line block ×4, first 2 shown]
	v_rcp_f64_e32 v[46:47], v[44:45]
	v_add_f64 v[42:43], v[44:45], -v[42:43]
	v_add_f64 v[48:49], v[50:51], -v[48:49]
	;; [unrolled: 1-line block ×4, first 2 shown]
	v_fma_f64 v[52:53], -v[44:45], v[46:47], 1.0
	v_fma_f64 v[46:47], v[52:53], v[46:47], v[46:47]
	v_fma_f64 v[38:39], -v[44:45], v[46:47], 1.0
	v_fma_f64 v[38:39], v[38:39], v[46:47], v[46:47]
	v_mul_f64 v[46:47], v[50:51], v[38:39]
	v_mul_f64 v[52:53], v[44:45], v[46:47]
	v_fma_f64 v[42:43], v[46:47], v[44:45], -v[52:53]
	v_fma_f64 v[42:43], v[46:47], v[40:41], v[42:43]
	v_add_f64 v[54:55], v[52:53], v[42:43]
	v_add_f64 v[56:57], v[50:51], -v[54:55]
	v_add_f64 v[48:49], v[54:55], -v[52:53]
	;; [unrolled: 1-line block ×4, first 2 shown]
	v_max_f64 v[48:49], |v[5:6]|, |v[5:6]|
	v_ashrrev_i32_e32 v5, 31, v6
	v_and_b32_e32 v35, 0x54442d18, v5
	v_add_f64 v[50:51], v[50:51], -v[54:55]
	v_add_f64 v[14:15], v[14:15], v[50:51]
	v_add_f64 v[14:15], v[42:43], v[14:15]
	v_max_f64 v[42:43], |v[7:8]|, |v[7:8]|
	v_add_f64 v[50:51], v[56:57], v[14:15]
	v_max_f64 v[52:53], v[48:49], v[42:43]
	v_min_f64 v[42:43], v[48:49], v[42:43]
	v_mul_f64 v[48:49], v[38:39], v[50:51]
	v_add_f64 v[56:57], v[56:57], -v[50:51]
	v_div_scale_f64 v[54:55], s[10:11], v[52:53], v[52:53], v[42:43]
	s_mov_b32 s10, 0xb5e68a13
	s_mov_b32 s11, 0x3eeba404
	v_mul_f64 v[58:59], v[44:45], v[48:49]
	v_add_f64 v[14:15], v[14:15], v[56:57]
	v_fma_f64 v[44:45], v[48:49], v[44:45], -v[58:59]
	v_rcp_f64_e32 v[60:61], v[54:55]
	v_fma_f64 v[40:41], v[48:49], v[40:41], v[44:45]
	v_add_f64 v[44:45], v[58:59], v[40:41]
	v_fma_f64 v[70:71], -v[54:55], v[60:61], 1.0
	v_add_f64 v[72:73], v[50:51], -v[44:45]
	v_add_f64 v[56:57], v[44:45], -v[58:59]
	v_fma_f64 v[60:61], v[60:61], v[70:71], v[60:61]
	v_div_scale_f64 v[70:71], vcc, v[42:43], v[52:53], v[42:43]
	v_add_f64 v[50:51], v[50:51], -v[72:73]
	v_add_f64 v[40:41], v[56:57], -v[40:41]
	v_fma_f64 v[74:75], -v[54:55], v[60:61], 1.0
	v_add_f64 v[56:57], v[46:47], v[48:49]
	v_add_f64 v[44:45], v[50:51], -v[44:45]
	v_fma_f64 v[50:51], v[60:61], v[74:75], v[60:61]
	v_add_f64 v[46:47], v[56:57], -v[46:47]
	v_add_f64 v[14:15], v[14:15], v[44:45]
	v_mul_f64 v[44:45], v[70:71], v[50:51]
	v_add_f64 v[14:15], v[40:41], v[14:15]
	v_fma_f64 v[40:41], -v[54:55], v[44:45], v[70:71]
	v_add_f64 v[14:15], v[72:73], v[14:15]
	v_div_fmas_f64 v[40:41], v[40:41], v[50:51], v[44:45]
	v_add_f64 v[44:45], v[48:49], -v[46:47]
	v_cmp_gt_i32_e32 vcc, 0, v6
	v_cndmask_b32_e32 v18, v68, v69, vcc
	v_mul_f64 v[14:15], v[38:39], v[14:15]
	v_add_f64 v[14:15], v[44:45], v[14:15]
	v_div_fixup_f64 v[38:39], v[40:41], v[52:53], v[42:43]
	v_cvt_f64_i32_e32 v[52:53], v13
	v_mul_f64 v[54:55], v[52:53], s[40:41]
	v_add_f64 v[40:41], v[56:57], v[14:15]
	v_mul_f64 v[42:43], v[38:39], v[38:39]
	v_mul_f64 v[44:45], v[40:41], v[40:41]
	v_fma_f64 v[46:47], v[42:43], s[10:11], v[21:22]
	s_mov_b32 s10, 0x69efb384
	s_mov_b32 s11, 0x3f4b2bb0
	v_fma_f64 v[48:49], v[44:45], s[28:29], v[19:20]
	v_mul_f64 v[50:51], v[40:41], v[44:45]
	v_fma_f64 v[46:47], v[42:43], v[46:47], s[10:11]
	s_mov_b32 s10, 0xaf56de9b
	s_mov_b32 s11, 0xbf67952d
	v_fma_f64 v[48:49], v[44:45], v[48:49], s[30:31]
	v_fma_f64 v[46:47], v[42:43], v[46:47], s[10:11]
	s_mov_b32 s10, 0xa595c56f
	s_mov_b32 s11, 0x3f7d6d43
	v_fma_f64 v[48:49], v[44:45], v[48:49], s[34:35]
	;; [unrolled: 4-line block ×5, first 2 shown]
	v_ldexp_f64 v[48:49], v[40:41], 1
	v_fma_f64 v[46:47], v[42:43], v[46:47], s[10:11]
	s_mov_b32 s10, 0x5711927a
	s_mov_b32 s11, 0x3fa2c15b
	v_add_f64 v[40:41], v[40:41], -v[56:57]
	v_mul_f64 v[44:45], v[50:51], v[44:45]
	v_fma_f64 v[46:47], v[42:43], v[46:47], s[10:11]
	s_mov_b32 s10, 0xe82d3ff0
	s_mov_b32 s11, 0xbfa59976
	v_add_f64 v[13:14], v[14:15], -v[40:41]
	v_cndmask_b32_e32 v15, v66, v67, vcc
	v_add_f64 v[50:51], v[48:49], v[44:45]
	v_fma_f64 v[46:47], v[42:43], v[46:47], s[10:11]
	v_cmp_eq_f64_e64 s[10:11], 0, v[7:8]
	v_ldexp_f64 v[13:14], v[13:14], 1
	v_add_f64 v[40:41], v[50:51], -v[48:49]
	v_fma_f64 v[48:49], v[52:53], s[40:41], -v[54:55]
	v_fma_f64 v[46:47], v[42:43], v[46:47], s[62:63]
	v_add_f64 v[40:41], v[44:45], -v[40:41]
	v_fma_f64 v[44:45], v[42:43], v[46:47], s[64:65]
	v_fma_f64 v[46:47], v[52:53], s[42:43], v[48:49]
	v_add_f64 v[13:14], v[13:14], v[40:41]
	v_fma_f64 v[40:41], v[42:43], v[44:45], s[66:67]
	v_add_f64 v[44:45], v[54:55], v[46:47]
	v_add_f64 v[48:49], v[50:51], v[13:14]
	v_fma_f64 v[40:41], v[42:43], v[40:41], s[68:69]
	v_add_f64 v[54:55], v[44:45], -v[54:55]
	v_add_f64 v[52:53], v[44:45], v[48:49]
	v_add_f64 v[50:51], v[48:49], -v[50:51]
	v_fma_f64 v[40:41], v[42:43], v[40:41], s[70:71]
	v_add_f64 v[46:47], v[46:47], -v[54:55]
	v_add_f64 v[56:57], v[52:53], -v[44:45]
	;; [unrolled: 1-line block ×3, first 2 shown]
	v_fma_f64 v[40:41], v[42:43], v[40:41], s[72:73]
	v_add_f64 v[58:59], v[52:53], -v[56:57]
	v_add_f64 v[48:49], v[48:49], -v[56:57]
	v_fma_f64 v[40:41], v[42:43], v[40:41], s[74:75]
	v_add_f64 v[50:51], v[46:47], v[13:14]
	v_add_f64 v[44:45], v[44:45], -v[58:59]
	v_fma_f64 v[40:41], v[42:43], v[40:41], s[76:77]
	v_add_f64 v[44:45], v[48:49], v[44:45]
	v_add_f64 v[48:49], v[50:51], -v[46:47]
	v_fma_f64 v[40:41], v[42:43], v[40:41], s[78:79]
	v_add_f64 v[44:45], v[50:51], v[44:45]
	v_add_f64 v[50:51], v[50:51], -v[48:49]
	v_fma_f64 v[40:41], v[42:43], v[40:41], s[80:81]
	v_add_f64 v[13:14], v[13:14], -v[48:49]
	v_add_f64 v[54:55], v[52:53], v[44:45]
	v_mul_f64 v[40:41], v[42:43], v[40:41]
	v_add_f64 v[42:43], v[46:47], -v[50:51]
	v_add_f64 v[46:47], v[54:55], -v[52:53]
	v_fma_f64 v[38:39], v[38:39], v[40:41], v[38:39]
	v_add_f64 v[13:14], v[13:14], v[42:43]
	v_add_f64 v[40:41], v[44:45], -v[46:47]
	v_add_f64 v[42:43], -v[38:39], s[22:23]
	v_add_f64 v[13:14], v[13:14], v[40:41]
	v_cndmask_b32_e64 v39, v39, v43, s[8:9]
	v_cndmask_b32_e64 v38, v38, v42, s[8:9]
	v_add_f64 v[40:41], -v[38:39], s[82:83]
	v_add_f64 v[13:14], v[54:55], v[13:14]
	v_cndmask_b32_e32 v38, v38, v40, vcc
	v_and_b32_e32 v40, 0x400921fb, v5
	v_mul_f64 v[5:6], v[13:14], 0.5
	v_cndmask_b32_e32 v14, v39, v41, vcc
	v_bfi_b32 v13, s59, v18, v8
	v_cndmask_b32_e64 v18, v38, v35, s[10:11]
	v_cndmask_b32_e64 v14, v14, v40, s[10:11]
	s_and_b64 s[10:11], s[12:13], s[14:15]
	s_and_b64 vcc, s[50:51], s[52:53]
	s_mov_b32 s50, 0x69efb384
	v_cndmask_b32_e64 v35, 0, v5, s[10:11]
	v_cmp_ngt_f64_e64 s[10:11], -1.0, v[36:37]
	v_cndmask_b32_e64 v6, v63, v6, s[14:15]
	s_mov_b32 s52, 0xb5e68a13
	s_mov_b32 s51, 0x3f4b2bb0
	;; [unrolled: 1-line block ×3, first 2 shown]
	v_cndmask_b32_e32 v14, v14, v13, vcc
	v_cndmask_b32_e32 v13, v18, v15, vcc
	v_cndmask_b32_e64 v5, v64, v6, s[10:11]
	v_cmp_neq_f64_e64 s[10:11], -1.0, v[36:37]
	v_cndmask_b32_e64 v36, v65, v5, s[10:11]
.LBB179_200:                            ;   in Loop: Header=BB179_145 Depth=1
	s_or_b64 exec, exec, s[48:49]
.LBB179_201:                            ;   in Loop: Header=BB179_145 Depth=1
	s_or_b64 exec, exec, s[46:47]
.LBB179_202:                            ;   in Loop: Header=BB179_145 Depth=1
	s_andn2_saveexec_b64 s[14:15], s[44:45]
	s_cbranch_execz .LBB179_204
; %bb.203:                              ;   in Loop: Header=BB179_145 Depth=1
	v_max_f64 v[13:14], |v[7:8]|, |v[7:8]|
	v_max_f64 v[38:39], |v[5:6]|, |v[5:6]|
	v_cmp_class_f64_e64 s[44:45], v[5:6], s60
	v_cmp_class_f64_e64 s[46:47], v[7:8], s60
	s_mov_b32 s95, s27
	s_mov_b32 s82, s22
	v_max_f64 v[40:41], v[38:39], v[13:14]
	v_min_f64 v[13:14], v[38:39], v[13:14]
	v_frexp_exp_i32_f64_e32 v15, v[40:41]
	v_sub_u32_e32 v18, 0, v15
	v_ldexp_f64 v[35:36], |v[7:8]|, v18
	v_ldexp_f64 v[42:43], |v[5:6]|, v18
	v_mul_f64 v[35:36], v[35:36], v[35:36]
	v_fma_f64 v[35:36], v[42:43], v[42:43], v[35:36]
	v_rsq_f64_e32 v[42:43], v[35:36]
	v_cmp_eq_f64_e32 vcc, 0, v[35:36]
	v_mul_f64 v[44:45], v[35:36], v[42:43]
	v_mul_f64 v[42:43], v[42:43], 0.5
	v_fma_f64 v[46:47], -v[42:43], v[44:45], 0.5
	v_fma_f64 v[44:45], v[44:45], v[46:47], v[44:45]
	v_fma_f64 v[42:43], v[42:43], v[46:47], v[42:43]
	v_fma_f64 v[46:47], -v[44:45], v[44:45], v[35:36]
	v_fma_f64 v[42:43], v[46:47], v[42:43], v[44:45]
	v_cndmask_b32_e32 v36, v43, v36, vcc
	v_cndmask_b32_e32 v35, v42, v35, vcc
	v_ldexp_f64 v[35:36], v[35:36], v15
	s_or_b64 vcc, s[46:47], s[44:45]
	v_cndmask_b32_e32 v37, v36, v63, vcc
	v_cndmask_b32_e64 v36, v35, 0, vcc
	v_frexp_mant_f64_e32 v[42:43], v[36:37]
	v_cmp_gt_f64_e64 s[10:11], s[26:27], v[42:43]
	v_cndmask_b32_e64 v5, 0, 1, s[10:11]
	v_ldexp_f64 v[42:43], v[42:43], v5
	v_frexp_exp_i32_f64_e32 v5, v[36:37]
	v_add_f64 v[44:45], v[42:43], 1.0
	v_add_f64 v[50:51], v[42:43], -1.0
	v_rcp_f64_e32 v[46:47], v[44:45]
	v_add_f64 v[54:55], v[44:45], -1.0
	v_add_f64 v[42:43], v[42:43], -v[54:55]
	v_fma_f64 v[48:49], -v[44:45], v[46:47], 1.0
	v_fma_f64 v[38:39], v[48:49], v[46:47], v[46:47]
	v_div_scale_f64 v[46:47], s[12:13], v[40:41], v[40:41], v[13:14]
	s_mov_b32 s12, 0xaf56de9b
	s_mov_b32 s13, 0xbf67952d
	v_fma_f64 v[48:49], -v[44:45], v[38:39], 1.0
	v_fma_f64 v[38:39], v[48:49], v[38:39], v[38:39]
	v_rcp_f64_e32 v[48:49], v[46:47]
	v_mul_f64 v[52:53], v[50:51], v[38:39]
	v_mul_f64 v[56:57], v[44:45], v[52:53]
	v_fma_f64 v[58:59], -v[46:47], v[48:49], 1.0
	v_fma_f64 v[44:45], v[52:53], v[44:45], -v[56:57]
	v_fma_f64 v[48:49], v[48:49], v[58:59], v[48:49]
	v_fma_f64 v[42:43], v[52:53], v[42:43], v[44:45]
	v_div_scale_f64 v[44:45], vcc, v[13:14], v[40:41], v[13:14]
	v_fma_f64 v[54:55], -v[46:47], v[48:49], 1.0
	v_add_f64 v[58:59], v[56:57], v[42:43]
	v_fma_f64 v[48:49], v[48:49], v[54:55], v[48:49]
	v_add_f64 v[54:55], v[50:51], -v[58:59]
	v_add_f64 v[56:57], v[58:59], -v[56:57]
	v_mul_f64 v[60:61], v[44:45], v[48:49]
	v_add_f64 v[50:51], v[50:51], -v[54:55]
	v_add_f64 v[42:43], v[56:57], -v[42:43]
	v_fma_f64 v[44:45], -v[46:47], v[60:61], v[44:45]
	v_add_f64 v[46:47], v[50:51], -v[58:59]
	v_div_fmas_f64 v[44:45], v[44:45], v[48:49], v[60:61]
	v_subbrev_co_u32_e64 v5, vcc, 0, v5, s[10:11]
	v_cmp_eq_f64_e64 s[10:11], 0, v[7:8]
	v_cmp_gt_i32_e32 vcc, 0, v6
	v_add_f64 v[42:43], v[42:43], v[46:47]
	v_cndmask_b32_e32 v35, v68, v69, vcc
	v_cndmask_b32_e32 v15, v66, v67, vcc
	v_bfi_b32 v35, s59, v35, v8
	v_add_f64 v[42:43], v[54:55], v[42:43]
	v_div_fixup_f64 v[13:14], v[44:45], v[40:41], v[13:14]
	v_mul_f64 v[38:39], v[38:39], v[42:43]
	v_mul_f64 v[40:41], v[13:14], v[13:14]
	v_add_f64 v[42:43], v[52:53], v[38:39]
	v_fma_f64 v[44:45], v[40:41], s[52:53], v[21:22]
	v_mul_f64 v[46:47], v[42:43], v[42:43]
	v_fma_f64 v[44:45], v[40:41], v[44:45], s[50:51]
	v_fma_f64 v[48:49], v[46:47], s[28:29], v[19:20]
	v_mul_f64 v[50:51], v[42:43], v[46:47]
	v_fma_f64 v[44:45], v[40:41], v[44:45], s[12:13]
	s_mov_b32 s12, 0xa595c56f
	s_mov_b32 s13, 0x3f7d6d43
	v_fma_f64 v[48:49], v[46:47], v[48:49], s[30:31]
	v_fma_f64 v[44:45], v[40:41], v[44:45], s[12:13]
	s_mov_b32 s12, 0xa57d9582
	s_mov_b32 s13, 0xbf8c6ea4
	v_fma_f64 v[48:49], v[46:47], v[48:49], s[34:35]
	;; [unrolled: 4-line block ×5, first 2 shown]
	v_ldexp_f64 v[48:49], v[42:43], 1
	v_add_f64 v[42:43], v[42:43], -v[52:53]
	v_fma_f64 v[44:45], v[40:41], v[44:45], s[12:13]
	s_mov_b32 s12, 0xe82d3ff0
	s_mov_b32 s13, 0xbfa59976
	v_cvt_f64_i32_e32 v[52:53], v5
	v_ashrrev_i32_e32 v5, 31, v6
	v_mul_f64 v[46:47], v[50:51], v[46:47]
	v_and_b32_e32 v18, 0x54442d18, v5
	v_mul_f64 v[54:55], v[52:53], s[40:41]
	v_fma_f64 v[44:45], v[40:41], v[44:45], s[12:13]
	v_add_f64 v[38:39], v[38:39], -v[42:43]
	v_cmp_class_f64_e64 s[12:13], v[36:37], s60
	v_add_f64 v[50:51], v[48:49], v[46:47]
	v_fma_f64 v[44:45], v[40:41], v[44:45], s[62:63]
	v_ldexp_f64 v[38:39], v[38:39], 1
	v_add_f64 v[42:43], v[50:51], -v[48:49]
	v_fma_f64 v[48:49], v[52:53], s[40:41], -v[54:55]
	v_fma_f64 v[44:45], v[40:41], v[44:45], s[64:65]
	v_add_f64 v[42:43], v[46:47], -v[42:43]
	v_fma_f64 v[46:47], v[52:53], s[42:43], v[48:49]
	v_fma_f64 v[44:45], v[40:41], v[44:45], s[66:67]
	v_add_f64 v[38:39], v[38:39], v[42:43]
	v_fma_f64 v[42:43], v[40:41], v[44:45], s[68:69]
	v_add_f64 v[44:45], v[54:55], v[46:47]
	v_add_f64 v[48:49], v[50:51], v[38:39]
	v_fma_f64 v[42:43], v[40:41], v[42:43], s[70:71]
	v_add_f64 v[54:55], v[44:45], -v[54:55]
	v_add_f64 v[52:53], v[44:45], v[48:49]
	v_add_f64 v[50:51], v[48:49], -v[50:51]
	v_fma_f64 v[42:43], v[40:41], v[42:43], s[72:73]
	v_add_f64 v[46:47], v[46:47], -v[54:55]
	v_add_f64 v[56:57], v[52:53], -v[44:45]
	v_add_f64 v[38:39], v[38:39], -v[50:51]
	v_fma_f64 v[42:43], v[40:41], v[42:43], s[74:75]
	v_add_f64 v[58:59], v[52:53], -v[56:57]
	v_add_f64 v[48:49], v[48:49], -v[56:57]
	v_add_f64 v[50:51], v[46:47], v[38:39]
	v_fma_f64 v[42:43], v[40:41], v[42:43], s[76:77]
	v_add_f64 v[44:45], v[44:45], -v[58:59]
	v_fma_f64 v[42:43], v[40:41], v[42:43], s[78:79]
	v_add_f64 v[44:45], v[48:49], v[44:45]
	v_add_f64 v[48:49], v[50:51], -v[46:47]
	v_fma_f64 v[42:43], v[40:41], v[42:43], s[80:81]
	v_add_f64 v[44:45], v[50:51], v[44:45]
	v_add_f64 v[38:39], v[38:39], -v[48:49]
	v_mul_f64 v[40:41], v[40:41], v[42:43]
	v_add_f64 v[42:43], v[50:51], -v[48:49]
	v_add_f64 v[50:51], v[52:53], v[44:45]
	v_fma_f64 v[13:14], v[13:14], v[40:41], v[13:14]
	v_add_f64 v[40:41], v[46:47], -v[42:43]
	v_add_f64 v[42:43], v[50:51], -v[52:53]
	v_add_f64 v[46:47], -v[13:14], s[22:23]
	v_add_f64 v[38:39], v[38:39], v[40:41]
	v_add_f64 v[40:41], v[44:45], -v[42:43]
	v_cndmask_b32_e64 v14, v14, v47, s[8:9]
	v_cndmask_b32_e64 v13, v13, v46, s[8:9]
	v_add_f64 v[42:43], -v[13:14], s[82:83]
	v_add_f64 v[38:39], v[38:39], v[40:41]
	v_and_b32_e32 v40, 0x400921fb, v5
	v_cndmask_b32_e32 v13, v13, v42, vcc
	v_cndmask_b32_e32 v14, v14, v43, vcc
	v_cndmask_b32_e64 v13, v13, v18, s[10:11]
	v_add_f64 v[5:6], v[50:51], v[38:39]
	v_cndmask_b32_e64 v14, v14, v40, s[10:11]
	v_cmp_ngt_f64_e64 s[10:11], 0, v[36:37]
	s_and_b64 vcc, s[46:47], s[44:45]
	v_cndmask_b32_e32 v14, v14, v35, vcc
	v_cndmask_b32_e32 v13, v13, v15, vcc
	v_cndmask_b32_e64 v6, v6, v37, s[12:13]
	v_cndmask_b32_e64 v5, v5, v36, s[12:13]
	;; [unrolled: 1-line block ×3, first 2 shown]
	v_cmp_nge_f64_e64 s[10:11], 0, v[36:37]
	v_cndmask_b32_e64 v35, 0, v5, s[10:11]
	v_cmp_neq_f64_e64 s[10:11], 0, v[36:37]
	v_cndmask_b32_e64 v36, v65, v6, s[10:11]
.LBB179_204:                            ;   in Loop: Header=BB179_145 Depth=1
	s_or_b64 exec, exec, s[14:15]
                                        ; implicit-def: $vgpr39_vgpr40
.LBB179_205:                            ;   in Loop: Header=BB179_145 Depth=1
	s_andn2_saveexec_b64 s[14:15], s[20:21]
	s_cbranch_execz .LBB179_211
; %bb.206:                              ;   in Loop: Header=BB179_145 Depth=1
	s_mov_b32 s10, 0x6a3f9475
	s_mov_b32 s11, 0x20ca2fe7
	v_cmp_ngt_f64_e32 vcc, s[10:11], v[39:40]
                                        ; implicit-def: $vgpr35_vgpr36
                                        ; implicit-def: $vgpr13_vgpr14
	s_and_saveexec_b64 s[10:11], vcc
	s_xor_b64 s[20:21], exec, s[10:11]
	s_cbranch_execz .LBB179_208
; %bb.207:                              ;   in Loop: Header=BB179_145 Depth=1
	v_mul_f64 v[13:14], v[39:40], v[39:40]
	s_mov_b32 s95, s27
	s_mov_b32 s82, s22
	s_mov_b32 s12, 0
	v_cmp_class_f64_e64 s[44:45], v[7:8], s60
	v_cmp_class_f64_e64 s[46:47], v[5:6], s60
	s_mov_b32 s13, 0x7ff00000
	v_add_f64 v[35:36], v[13:14], 1.0
	v_cmp_neq_f64_e64 s[12:13], s[12:13], v[13:14]
	v_frexp_mant_f64_e32 v[39:40], v[35:36]
	v_frexp_exp_i32_f64_e32 v15, v[35:36]
	v_add_f64 v[37:38], v[35:36], -1.0
	v_cmp_gt_f64_e32 vcc, s[26:27], v[39:40]
	v_add_f64 v[41:42], v[37:38], -v[35:36]
	v_add_f64 v[37:38], v[13:14], -v[37:38]
	v_subbrev_co_u32_e32 v15, vcc, 0, v15, vcc
	v_sub_u32_e32 v18, 0, v15
	v_ldexp_f64 v[35:36], v[35:36], v18
	v_add_f64 v[39:40], v[41:42], 1.0
	v_add_f64 v[41:42], v[35:36], 1.0
	v_add_f64 v[37:38], v[37:38], v[39:40]
	v_add_f64 v[47:48], v[35:36], -1.0
	v_add_f64 v[39:40], v[41:42], -1.0
	v_ldexp_f64 v[37:38], v[37:38], v18
	v_add_f64 v[49:50], v[47:48], 1.0
	v_add_f64 v[39:40], v[35:36], -v[39:40]
	v_add_f64 v[35:36], v[35:36], -v[49:50]
	v_add_f64 v[39:40], v[37:38], v[39:40]
	v_add_f64 v[35:36], v[37:38], v[35:36]
	;; [unrolled: 1-line block ×4, first 2 shown]
	v_rcp_f64_e32 v[45:46], v[43:44]
	v_add_f64 v[41:42], v[41:42], -v[43:44]
	v_add_f64 v[47:48], v[47:48], -v[49:50]
	v_add_f64 v[39:40], v[39:40], v[41:42]
	v_add_f64 v[35:36], v[35:36], v[47:48]
	v_fma_f64 v[51:52], -v[43:44], v[45:46], 1.0
	v_fma_f64 v[45:46], v[51:52], v[45:46], v[45:46]
	v_fma_f64 v[37:38], -v[43:44], v[45:46], 1.0
	v_fma_f64 v[37:38], v[37:38], v[45:46], v[45:46]
	v_mul_f64 v[45:46], v[49:50], v[37:38]
	v_mul_f64 v[51:52], v[43:44], v[45:46]
	v_fma_f64 v[41:42], v[45:46], v[43:44], -v[51:52]
	v_fma_f64 v[41:42], v[45:46], v[39:40], v[41:42]
	v_add_f64 v[53:54], v[51:52], v[41:42]
	v_add_f64 v[55:56], v[49:50], -v[53:54]
	v_add_f64 v[47:48], v[53:54], -v[51:52]
	;; [unrolled: 1-line block ×4, first 2 shown]
	v_max_f64 v[47:48], |v[5:6]|, |v[5:6]|
	v_ashrrev_i32_e32 v5, 31, v6
	v_and_b32_e32 v18, 0x54442d18, v5
	v_add_f64 v[49:50], v[49:50], -v[53:54]
	v_add_f64 v[35:36], v[35:36], v[49:50]
	v_add_f64 v[35:36], v[41:42], v[35:36]
	v_max_f64 v[41:42], |v[7:8]|, |v[7:8]|
	v_add_f64 v[49:50], v[55:56], v[35:36]
	v_max_f64 v[51:52], v[47:48], v[41:42]
	v_min_f64 v[41:42], v[47:48], v[41:42]
	v_mul_f64 v[47:48], v[37:38], v[49:50]
	v_add_f64 v[55:56], v[55:56], -v[49:50]
	v_div_scale_f64 v[53:54], s[10:11], v[51:52], v[51:52], v[41:42]
	s_mov_b32 s10, 0xaf56de9b
	s_mov_b32 s11, 0xbf67952d
	v_mul_f64 v[57:58], v[43:44], v[47:48]
	v_add_f64 v[35:36], v[35:36], v[55:56]
	v_fma_f64 v[43:44], v[47:48], v[43:44], -v[57:58]
	v_rcp_f64_e32 v[59:60], v[53:54]
	v_fma_f64 v[39:40], v[47:48], v[39:40], v[43:44]
	v_add_f64 v[43:44], v[57:58], v[39:40]
	v_fma_f64 v[61:62], -v[53:54], v[59:60], 1.0
	v_add_f64 v[70:71], v[49:50], -v[43:44]
	v_add_f64 v[55:56], v[43:44], -v[57:58]
	v_fma_f64 v[59:60], v[59:60], v[61:62], v[59:60]
	v_div_scale_f64 v[61:62], vcc, v[41:42], v[51:52], v[41:42]
	v_add_f64 v[49:50], v[49:50], -v[70:71]
	v_add_f64 v[39:40], v[55:56], -v[39:40]
	v_fma_f64 v[72:73], -v[53:54], v[59:60], 1.0
	v_add_f64 v[55:56], v[45:46], v[47:48]
	v_add_f64 v[43:44], v[49:50], -v[43:44]
	v_fma_f64 v[49:50], v[59:60], v[72:73], v[59:60]
	v_add_f64 v[45:46], v[55:56], -v[45:46]
	v_add_f64 v[35:36], v[35:36], v[43:44]
	v_mul_f64 v[43:44], v[61:62], v[49:50]
	v_add_f64 v[35:36], v[39:40], v[35:36]
	v_fma_f64 v[39:40], -v[53:54], v[43:44], v[61:62]
	v_add_f64 v[35:36], v[70:71], v[35:36]
	v_div_fmas_f64 v[39:40], v[39:40], v[49:50], v[43:44]
	v_add_f64 v[43:44], v[47:48], -v[45:46]
	v_cmp_gt_i32_e32 vcc, 0, v6
	v_mul_f64 v[35:36], v[37:38], v[35:36]
	v_add_f64 v[35:36], v[43:44], v[35:36]
	v_div_fixup_f64 v[37:38], v[39:40], v[51:52], v[41:42]
	v_cvt_f64_i32_e32 v[51:52], v15
	v_cndmask_b32_e32 v15, v66, v67, vcc
	v_mul_f64 v[53:54], v[51:52], s[40:41]
	v_add_f64 v[39:40], v[55:56], v[35:36]
	v_mul_f64 v[41:42], v[37:38], v[37:38]
	v_mul_f64 v[43:44], v[39:40], v[39:40]
	v_fma_f64 v[45:46], v[41:42], s[52:53], v[21:22]
	v_fma_f64 v[47:48], v[43:44], s[28:29], v[19:20]
	v_mul_f64 v[49:50], v[39:40], v[43:44]
	v_fma_f64 v[45:46], v[41:42], v[45:46], s[50:51]
	v_fma_f64 v[47:48], v[43:44], v[47:48], s[30:31]
	;; [unrolled: 1-line block ×3, first 2 shown]
	s_mov_b32 s10, 0xa595c56f
	s_mov_b32 s11, 0x3f7d6d43
	v_fma_f64 v[47:48], v[43:44], v[47:48], s[34:35]
	v_fma_f64 v[45:46], v[41:42], v[45:46], s[10:11]
	s_mov_b32 s10, 0xa57d9582
	s_mov_b32 s11, 0xbf8c6ea4
	v_fma_f64 v[47:48], v[43:44], v[47:48], s[36:37]
	v_fma_f64 v[45:46], v[41:42], v[45:46], s[10:11]
	s_mov_b32 s10, 0x5f08b19f
	s_mov_b32 s11, 0x3f967e29
	v_fma_f64 v[47:48], v[43:44], v[47:48], s[38:39]
	v_fma_f64 v[45:46], v[41:42], v[45:46], s[10:11]
	s_mov_b32 s10, 0xfc27006a
	s_mov_b32 s11, 0xbf9e9ae6
	v_fma_f64 v[43:44], v[43:44], v[47:48], s[94:95]
	v_ldexp_f64 v[47:48], v[39:40], 1
	v_fma_f64 v[45:46], v[41:42], v[45:46], s[10:11]
	s_mov_b32 s10, 0x5711927a
	s_mov_b32 s11, 0x3fa2c15b
	v_add_f64 v[39:40], v[39:40], -v[55:56]
	v_mul_f64 v[43:44], v[49:50], v[43:44]
	v_fma_f64 v[45:46], v[41:42], v[45:46], s[10:11]
	s_mov_b32 s10, 0xe82d3ff0
	s_mov_b32 s11, 0xbfa59976
	v_add_f64 v[35:36], v[35:36], -v[39:40]
	v_add_f64 v[49:50], v[47:48], v[43:44]
	v_fma_f64 v[45:46], v[41:42], v[45:46], s[10:11]
	v_cmp_eq_f64_e64 s[10:11], 0, v[7:8]
	v_ldexp_f64 v[35:36], v[35:36], 1
	v_add_f64 v[39:40], v[49:50], -v[47:48]
	v_fma_f64 v[47:48], v[51:52], s[40:41], -v[53:54]
	v_fma_f64 v[45:46], v[41:42], v[45:46], s[62:63]
	v_add_f64 v[39:40], v[43:44], -v[39:40]
	v_fma_f64 v[43:44], v[41:42], v[45:46], s[64:65]
	v_fma_f64 v[45:46], v[51:52], s[42:43], v[47:48]
	v_add_f64 v[35:36], v[35:36], v[39:40]
	v_fma_f64 v[39:40], v[41:42], v[43:44], s[66:67]
	v_add_f64 v[43:44], v[53:54], v[45:46]
	v_add_f64 v[47:48], v[49:50], v[35:36]
	v_fma_f64 v[39:40], v[41:42], v[39:40], s[68:69]
	v_add_f64 v[53:54], v[43:44], -v[53:54]
	v_add_f64 v[51:52], v[43:44], v[47:48]
	v_add_f64 v[49:50], v[47:48], -v[49:50]
	v_fma_f64 v[39:40], v[41:42], v[39:40], s[70:71]
	v_add_f64 v[45:46], v[45:46], -v[53:54]
	v_add_f64 v[55:56], v[51:52], -v[43:44]
	;; [unrolled: 1-line block ×3, first 2 shown]
	v_fma_f64 v[39:40], v[41:42], v[39:40], s[72:73]
	v_add_f64 v[57:58], v[51:52], -v[55:56]
	v_add_f64 v[47:48], v[47:48], -v[55:56]
	v_fma_f64 v[39:40], v[41:42], v[39:40], s[74:75]
	v_add_f64 v[49:50], v[45:46], v[35:36]
	v_add_f64 v[43:44], v[43:44], -v[57:58]
	v_fma_f64 v[39:40], v[41:42], v[39:40], s[76:77]
	v_add_f64 v[43:44], v[47:48], v[43:44]
	;; [unrolled: 3-line block ×3, first 2 shown]
	v_add_f64 v[49:50], v[49:50], -v[47:48]
	v_fma_f64 v[39:40], v[41:42], v[39:40], s[80:81]
	v_add_f64 v[35:36], v[35:36], -v[47:48]
	v_add_f64 v[53:54], v[51:52], v[43:44]
	v_mul_f64 v[39:40], v[41:42], v[39:40]
	v_add_f64 v[41:42], v[45:46], -v[49:50]
	v_add_f64 v[45:46], v[53:54], -v[51:52]
	v_fma_f64 v[37:38], v[37:38], v[39:40], v[37:38]
	v_add_f64 v[35:36], v[35:36], v[41:42]
	v_add_f64 v[39:40], v[43:44], -v[45:46]
	v_add_f64 v[41:42], -v[37:38], s[22:23]
	v_add_f64 v[35:36], v[35:36], v[39:40]
	v_cndmask_b32_e64 v38, v38, v42, s[8:9]
	v_cndmask_b32_e64 v37, v37, v41, s[8:9]
	v_add_f64 v[39:40], -v[37:38], s[82:83]
	v_and_b32_e32 v41, 0x400921fb, v5
	v_add_f64 v[35:36], v[53:54], v[35:36]
	v_cndmask_b32_e32 v37, v37, v39, vcc
	v_cndmask_b32_e32 v39, v68, v69, vcc
	;; [unrolled: 1-line block ×3, first 2 shown]
	v_bfi_b32 v13, s59, v39, v8
	v_mul_f64 v[5:6], v[35:36], 0.5
	v_cndmask_b32_e64 v18, v37, v18, s[10:11]
	v_cndmask_b32_e64 v14, v14, v41, s[10:11]
	s_and_b64 vcc, s[44:45], s[46:47]
	v_cndmask_b32_e32 v14, v14, v13, vcc
	v_cndmask_b32_e32 v13, v18, v15, vcc
                                        ; implicit-def: $vgpr39_vgpr40
	v_cndmask_b32_e64 v36, v63, v6, s[12:13]
	v_cndmask_b32_e64 v35, 0, v5, s[12:13]
.LBB179_208:                            ;   in Loop: Header=BB179_145 Depth=1
	s_andn2_saveexec_b64 s[12:13], s[20:21]
	s_cbranch_execz .LBB179_210
; %bb.209:                              ;   in Loop: Header=BB179_145 Depth=1
	v_max_f64 v[13:14], |v[7:8]|, |v[7:8]|
	v_max_f64 v[35:36], |v[5:6]|, |v[5:6]|
	s_mov_b32 s82, s22
	v_cmp_class_f64_e64 s[20:21], v[7:8], s60
	v_cmp_class_f64_e64 s[44:45], v[5:6], s60
	v_ashrrev_i32_e32 v15, 31, v6
	v_max_f64 v[37:38], v[35:36], v[13:14]
	v_min_f64 v[13:14], v[35:36], v[13:14]
	v_div_scale_f64 v[35:36], s[10:11], v[37:38], v[37:38], v[13:14]
	s_mov_b32 s10, 0xaf56de9b
	s_mov_b32 s11, 0xbf67952d
	v_rcp_f64_e32 v[41:42], v[35:36]
	v_fma_f64 v[43:44], -v[35:36], v[41:42], 1.0
	v_fma_f64 v[41:42], v[41:42], v[43:44], v[41:42]
	v_div_scale_f64 v[43:44], vcc, v[13:14], v[37:38], v[13:14]
	v_fma_f64 v[45:46], -v[35:36], v[41:42], 1.0
	v_fma_f64 v[41:42], v[41:42], v[45:46], v[41:42]
	v_mul_f64 v[45:46], v[43:44], v[41:42]
	v_fma_f64 v[35:36], -v[35:36], v[45:46], v[43:44]
	v_div_fmas_f64 v[35:36], v[35:36], v[41:42], v[45:46]
	v_mul_f64 v[41:42], v[39:40], 0.5
	v_cmp_gt_i32_e32 vcc, 0, v6
	v_cndmask_b32_e32 v5, v68, v69, vcc
	v_and_b32_e32 v6, 0x400921fb, v15
	v_cndmask_b32_e32 v18, v66, v67, vcc
	v_bfi_b32 v5, s59, v5, v8
	v_div_fixup_f64 v[13:14], v[35:36], v[37:38], v[13:14]
	v_mul_f64 v[35:36], v[13:14], v[13:14]
	v_fma_f64 v[37:38], v[35:36], s[52:53], v[21:22]
	v_fma_f64 v[37:38], v[35:36], v[37:38], s[50:51]
	;; [unrolled: 1-line block ×3, first 2 shown]
	s_mov_b32 s10, 0xa595c56f
	s_mov_b32 s11, 0x3f7d6d43
	v_fma_f64 v[37:38], v[35:36], v[37:38], s[10:11]
	s_mov_b32 s10, 0xa57d9582
	s_mov_b32 s11, 0xbf8c6ea4
	v_fma_f64 v[37:38], v[35:36], v[37:38], s[10:11]
	;; [unrolled: 3-line block ×6, first 2 shown]
	v_cmp_eq_f64_e64 s[10:11], 0, v[7:8]
	v_fma_f64 v[37:38], v[35:36], v[37:38], s[62:63]
	v_fma_f64 v[37:38], v[35:36], v[37:38], s[64:65]
	v_fma_f64 v[37:38], v[35:36], v[37:38], s[66:67]
	v_fma_f64 v[37:38], v[35:36], v[37:38], s[68:69]
	v_fma_f64 v[37:38], v[35:36], v[37:38], s[70:71]
	v_fma_f64 v[37:38], v[35:36], v[37:38], s[72:73]
	v_fma_f64 v[37:38], v[35:36], v[37:38], s[74:75]
	v_fma_f64 v[37:38], v[35:36], v[37:38], s[76:77]
	v_fma_f64 v[37:38], v[35:36], v[37:38], s[78:79]
	v_fma_f64 v[37:38], v[35:36], v[37:38], s[80:81]
	v_mul_f64 v[35:36], v[35:36], v[37:38]
	v_and_b32_e32 v38, 0x54442d18, v15
	v_fma_f64 v[13:14], v[13:14], v[35:36], v[13:14]
	v_add_f64 v[35:36], -v[13:14], s[22:23]
	v_cndmask_b32_e64 v14, v14, v36, s[8:9]
	v_cndmask_b32_e64 v13, v13, v35, s[8:9]
	v_add_f64 v[36:37], -v[13:14], s[82:83]
	v_cndmask_b32_e32 v13, v13, v36, vcc
	v_mul_f64 v[35:36], v[39:40], v[41:42]
	v_cndmask_b32_e32 v14, v14, v37, vcc
	v_cndmask_b32_e64 v13, v13, v38, s[10:11]
	v_cndmask_b32_e64 v6, v14, v6, s[10:11]
	s_and_b64 vcc, s[20:21], s[44:45]
	v_cndmask_b32_e32 v14, v6, v5, vcc
	v_cndmask_b32_e32 v13, v13, v18, vcc
.LBB179_210:                            ;   in Loop: Header=BB179_145 Depth=1
	s_or_b64 exec, exec, s[12:13]
.LBB179_211:                            ;   in Loop: Header=BB179_145 Depth=1
	s_or_b64 exec, exec, s[14:15]
.LBB179_212:                            ;   in Loop: Header=BB179_145 Depth=1
	s_andn2_saveexec_b64 s[12:13], s[86:87]
	s_cbranch_execz .LBB179_214
; %bb.213:                              ;   in Loop: Header=BB179_145 Depth=1
	v_div_scale_f64 v[13:14], s[10:11], s[88:89], s[88:89], v[5:6]
	v_div_scale_f64 v[35:36], s[10:11], s[88:89], s[88:89], v[7:8]
	;; [unrolled: 1-line block ×3, first 2 shown]
	s_mov_b32 s95, s27
	s_mov_b32 s82, s22
	v_cmp_class_f64_e64 s[20:21], v[5:6], s60
	v_rcp_f64_e32 v[37:38], v[13:14]
	v_rcp_f64_e32 v[39:40], v[35:36]
	v_fma_f64 v[41:42], -v[13:14], v[37:38], 1.0
	v_fma_f64 v[43:44], -v[35:36], v[39:40], 1.0
	v_fma_f64 v[37:38], v[37:38], v[41:42], v[37:38]
	v_div_scale_f64 v[41:42], vcc, v[5:6], s[88:89], v[5:6]
	v_fma_f64 v[39:40], v[39:40], v[43:44], v[39:40]
	v_fma_f64 v[43:44], -v[13:14], v[37:38], 1.0
	v_fma_f64 v[47:48], -v[35:36], v[39:40], 1.0
	v_fma_f64 v[37:38], v[37:38], v[43:44], v[37:38]
	v_fma_f64 v[39:40], v[39:40], v[47:48], v[39:40]
	v_mul_f64 v[43:44], v[41:42], v[37:38]
	v_mul_f64 v[47:48], v[45:46], v[39:40]
	v_fma_f64 v[13:14], -v[13:14], v[43:44], v[41:42]
	v_fma_f64 v[35:36], -v[35:36], v[47:48], v[45:46]
	v_div_fmas_f64 v[13:14], v[13:14], v[37:38], v[43:44]
	s_mov_b64 vcc, s[10:11]
	v_div_fmas_f64 v[35:36], v[35:36], v[39:40], v[47:48]
	v_max_f64 v[46:47], |v[5:6]|, |v[5:6]|
	v_div_fixup_f64 v[13:14], v[13:14], s[88:89], v[5:6]
	v_ashrrev_i32_e32 v5, 31, v6
	v_div_fixup_f64 v[35:36], v[35:36], s[88:89], v[7:8]
	v_cmp_class_f64_e64 s[10:11], v[13:14], s60
	v_max_f64 v[37:38], |v[13:14]|, |v[35:36]|
	v_cmp_class_f64_e64 s[14:15], v[35:36], s60
	v_frexp_exp_i32_f64_e32 v15, v[37:38]
	v_sub_u32_e32 v18, 0, v15
	v_ldexp_f64 v[37:38], |v[35:36]|, v18
	v_ldexp_f64 v[39:40], |v[13:14]|, v18
	v_mul_f64 v[37:38], v[37:38], v[37:38]
	v_fma_f64 v[37:38], v[39:40], v[39:40], v[37:38]
	v_rsq_f64_e32 v[39:40], v[37:38]
	v_cmp_eq_f64_e32 vcc, 0, v[37:38]
	v_mul_f64 v[41:42], v[37:38], v[39:40]
	v_mul_f64 v[39:40], v[39:40], 0.5
	v_fma_f64 v[43:44], -v[39:40], v[41:42], 0.5
	v_fma_f64 v[41:42], v[41:42], v[43:44], v[41:42]
	v_fma_f64 v[39:40], v[39:40], v[43:44], v[39:40]
	v_fma_f64 v[43:44], -v[41:42], v[41:42], v[37:38]
	v_fma_f64 v[39:40], v[43:44], v[39:40], v[41:42]
	v_max_f64 v[44:45], |v[7:8]|, |v[7:8]|
	v_cndmask_b32_e32 v38, v40, v38, vcc
	v_cndmask_b32_e32 v37, v39, v37, vcc
	v_ldexp_f64 v[37:38], v[37:38], v15
	v_cmp_o_f64_e32 vcc, v[13:14], v[35:36]
	v_and_b32_e32 v35, 0x54442d18, v5
	v_cndmask_b32_e32 v13, 0, v37, vcc
	v_cndmask_b32_e32 v14, v64, v38, vcc
	s_or_b64 vcc, s[14:15], s[10:11]
	v_cndmask_b32_e32 v37, v14, v63, vcc
	v_cndmask_b32_e64 v36, v13, 0, vcc
	v_frexp_mant_f64_e32 v[13:14], v[36:37]
	v_cmp_gt_f64_e64 s[10:11], s[26:27], v[13:14]
	v_cndmask_b32_e64 v15, 0, 1, s[10:11]
	v_ldexp_f64 v[13:14], v[13:14], v15
	v_frexp_exp_i32_f64_e32 v15, v[36:37]
	v_add_f64 v[38:39], v[13:14], 1.0
	v_add_f64 v[50:51], v[13:14], -1.0
	v_rcp_f64_e32 v[40:41], v[38:39]
	v_add_f64 v[54:55], v[38:39], -1.0
	v_add_f64 v[13:14], v[13:14], -v[54:55]
	v_fma_f64 v[42:43], -v[38:39], v[40:41], 1.0
	v_fma_f64 v[40:41], v[42:43], v[40:41], v[40:41]
	v_max_f64 v[42:43], v[46:47], v[44:45]
	v_min_f64 v[44:45], v[46:47], v[44:45]
	v_fma_f64 v[46:47], -v[38:39], v[40:41], 1.0
	v_div_scale_f64 v[48:49], s[14:15], v[42:43], v[42:43], v[44:45]
	s_mov_b32 s14, 0xaf56de9b
	s_mov_b32 s15, 0xbf67952d
	v_fma_f64 v[40:41], v[46:47], v[40:41], v[40:41]
	v_mul_f64 v[46:47], v[50:51], v[40:41]
	v_rcp_f64_e32 v[52:53], v[48:49]
	v_mul_f64 v[56:57], v[38:39], v[46:47]
	v_fma_f64 v[38:39], v[46:47], v[38:39], -v[56:57]
	v_fma_f64 v[54:55], -v[48:49], v[52:53], 1.0
	v_fma_f64 v[13:14], v[46:47], v[13:14], v[38:39]
	v_fma_f64 v[38:39], v[52:53], v[54:55], v[52:53]
	v_div_scale_f64 v[54:55], vcc, v[44:45], v[42:43], v[44:45]
	v_add_f64 v[52:53], v[56:57], v[13:14]
	v_fma_f64 v[58:59], -v[48:49], v[38:39], 1.0
	v_add_f64 v[60:61], v[50:51], -v[52:53]
	v_add_f64 v[56:57], v[52:53], -v[56:57]
	v_fma_f64 v[38:39], v[38:39], v[58:59], v[38:39]
	v_add_f64 v[50:51], v[50:51], -v[60:61]
	v_add_f64 v[13:14], v[56:57], -v[13:14]
	v_mul_f64 v[58:59], v[54:55], v[38:39]
	v_add_f64 v[50:51], v[50:51], -v[52:53]
	v_fma_f64 v[48:49], -v[48:49], v[58:59], v[54:55]
	v_add_f64 v[13:14], v[13:14], v[50:51]
	v_div_fmas_f64 v[38:39], v[48:49], v[38:39], v[58:59]
	v_subbrev_co_u32_e64 v15, vcc, 0, v15, s[10:11]
	s_mov_b32 s10, 0xe82d3ff0
	s_mov_b32 s11, 0xbfa59976
	v_cmp_class_f64_e64 vcc, v[36:37], s60
	v_add_f64 v[13:14], v[60:61], v[13:14]
	v_mul_f64 v[13:14], v[40:41], v[13:14]
	v_div_fixup_f64 v[38:39], v[38:39], v[42:43], v[44:45]
	v_add_f64 v[40:41], v[46:47], v[13:14]
	v_mul_f64 v[42:43], v[38:39], v[38:39]
	v_mul_f64 v[44:45], v[40:41], v[40:41]
	v_fma_f64 v[48:49], v[42:43], s[52:53], v[21:22]
	v_fma_f64 v[50:51], v[44:45], s[28:29], v[19:20]
	v_mul_f64 v[52:53], v[40:41], v[44:45]
	v_fma_f64 v[48:49], v[42:43], v[48:49], s[50:51]
	v_fma_f64 v[50:51], v[44:45], v[50:51], s[30:31]
	;; [unrolled: 1-line block ×3, first 2 shown]
	s_mov_b32 s14, 0xa595c56f
	s_mov_b32 s15, 0x3f7d6d43
	v_fma_f64 v[50:51], v[44:45], v[50:51], s[34:35]
	v_fma_f64 v[48:49], v[42:43], v[48:49], s[14:15]
	s_mov_b32 s14, 0xa57d9582
	s_mov_b32 s15, 0xbf8c6ea4
	v_fma_f64 v[50:51], v[44:45], v[50:51], s[36:37]
	v_fma_f64 v[48:49], v[42:43], v[48:49], s[14:15]
	;; [unrolled: 4-line block ×3, first 2 shown]
	s_mov_b32 s14, 0xfc27006a
	s_mov_b32 s15, 0xbf9e9ae6
	v_fma_f64 v[44:45], v[44:45], v[50:51], s[94:95]
	v_ldexp_f64 v[50:51], v[40:41], 1
	v_fma_f64 v[48:49], v[42:43], v[48:49], s[14:15]
	s_mov_b32 s14, 0x5711927a
	s_mov_b32 s15, 0x3fa2c15b
	v_add_f64 v[40:41], v[40:41], -v[46:47]
	v_mul_f64 v[44:45], v[52:53], v[44:45]
	v_cvt_f64_i32_e32 v[52:53], v15
	v_fma_f64 v[48:49], v[42:43], v[48:49], s[14:15]
	v_cmp_class_f64_e64 s[14:15], v[7:8], s60
	v_mul_f64 v[54:55], v[52:53], s[40:41]
	v_add_f64 v[13:14], v[13:14], -v[40:41]
	v_add_f64 v[46:47], v[50:51], v[44:45]
	v_fma_f64 v[48:49], v[42:43], v[48:49], s[10:11]
	v_cmp_eq_f64_e64 s[10:11], 0, v[7:8]
	v_ldexp_f64 v[13:14], v[13:14], 1
	v_add_f64 v[40:41], v[46:47], -v[50:51]
	v_fma_f64 v[50:51], v[52:53], s[40:41], -v[54:55]
	v_fma_f64 v[48:49], v[42:43], v[48:49], s[62:63]
	v_add_f64 v[40:41], v[44:45], -v[40:41]
	v_fma_f64 v[44:45], v[42:43], v[48:49], s[64:65]
	v_fma_f64 v[48:49], v[52:53], s[42:43], v[50:51]
	v_add_f64 v[13:14], v[13:14], v[40:41]
	v_fma_f64 v[40:41], v[42:43], v[44:45], s[66:67]
	v_add_f64 v[44:45], v[54:55], v[48:49]
	v_add_f64 v[50:51], v[46:47], v[13:14]
	v_fma_f64 v[40:41], v[42:43], v[40:41], s[68:69]
	v_add_f64 v[54:55], v[44:45], -v[54:55]
	v_add_f64 v[52:53], v[44:45], v[50:51]
	v_add_f64 v[46:47], v[50:51], -v[46:47]
	v_fma_f64 v[40:41], v[42:43], v[40:41], s[70:71]
	v_add_f64 v[48:49], v[48:49], -v[54:55]
	v_add_f64 v[56:57], v[52:53], -v[44:45]
	;; [unrolled: 1-line block ×3, first 2 shown]
	v_fma_f64 v[40:41], v[42:43], v[40:41], s[72:73]
	v_add_f64 v[58:59], v[52:53], -v[56:57]
	v_add_f64 v[46:47], v[50:51], -v[56:57]
	v_fma_f64 v[40:41], v[42:43], v[40:41], s[74:75]
	v_add_f64 v[50:51], v[48:49], v[13:14]
	v_add_f64 v[44:45], v[44:45], -v[58:59]
	v_fma_f64 v[40:41], v[42:43], v[40:41], s[76:77]
	v_add_f64 v[44:45], v[46:47], v[44:45]
	;; [unrolled: 3-line block ×3, first 2 shown]
	v_add_f64 v[50:51], v[50:51], -v[46:47]
	v_fma_f64 v[40:41], v[42:43], v[40:41], s[80:81]
	v_add_f64 v[13:14], v[13:14], -v[46:47]
	v_add_f64 v[54:55], v[52:53], v[44:45]
	v_mul_f64 v[40:41], v[42:43], v[40:41]
	v_add_f64 v[42:43], v[48:49], -v[50:51]
	v_add_f64 v[46:47], v[54:55], -v[52:53]
	v_fma_f64 v[38:39], v[38:39], v[40:41], v[38:39]
	v_add_f64 v[13:14], v[13:14], v[42:43]
	v_add_f64 v[40:41], v[44:45], -v[46:47]
	v_add_f64 v[42:43], -v[38:39], s[22:23]
	v_add_f64 v[13:14], v[13:14], v[40:41]
	v_cndmask_b32_e64 v39, v39, v43, s[8:9]
	v_cndmask_b32_e64 v38, v38, v42, s[8:9]
	v_add_f64 v[40:41], -v[38:39], s[82:83]
	v_cmp_gt_i32_e64 s[8:9], 0, v6
	v_cndmask_b32_e64 v15, v66, v67, s[8:9]
	v_cndmask_b32_e64 v18, v68, v69, s[8:9]
	v_add_f64 v[13:14], v[54:55], v[13:14]
	v_cndmask_b32_e64 v38, v38, v40, s[8:9]
	v_and_b32_e32 v40, 0x400921fb, v5
	v_cndmask_b32_e32 v6, v14, v37, vcc
	v_cndmask_b32_e32 v5, v13, v36, vcc
	v_add_f64 v[5:6], v[5:6], 1.0
	v_cndmask_b32_e64 v14, v39, v41, s[8:9]
	v_cmp_ngt_f64_e64 s[8:9], 0, v[36:37]
	v_bfi_b32 v13, s59, v18, v8
	v_cndmask_b32_e64 v18, v38, v35, s[10:11]
	v_cndmask_b32_e64 v14, v14, v40, s[10:11]
	s_and_b64 vcc, s[14:15], s[20:21]
	v_cndmask_b32_e32 v14, v14, v13, vcc
	v_cndmask_b32_e32 v13, v18, v15, vcc
	v_cndmask_b32_e64 v6, v64, v6, s[8:9]
	v_cmp_nge_f64_e64 s[8:9], 0, v[36:37]
	v_cndmask_b32_e64 v35, 0, v5, s[8:9]
	v_cmp_neq_f64_e64 s[8:9], 0, v[36:37]
	v_cndmask_b32_e64 v36, v65, v6, s[8:9]
.LBB179_214:                            ;   in Loop: Header=BB179_145 Depth=1
	s_or_b64 exec, exec, s[12:13]
.LBB179_215:                            ;   in Loop: Header=BB179_145 Depth=1
	s_andn2_saveexec_b64 s[8:9], s[24:25]
	s_cbranch_execz .LBB179_221
; %bb.216:                              ;   in Loop: Header=BB179_145 Depth=1
	v_cmp_nlt_f64_e64 s[10:11], |v[5:6]|, s[84:85]
	v_cmp_nlt_f64_e64 s[12:13], |v[7:8]|, s[84:85]
                                        ; implicit-def: $vgpr36_vgpr37
	s_or_b64 s[10:11], s[12:13], s[10:11]
	s_and_saveexec_b64 s[12:13], s[10:11]
	s_xor_b64 s[10:11], exec, s[12:13]
	s_cbranch_execz .LBB179_218
; %bb.217:                              ;   in Loop: Header=BB179_145 Depth=1
	v_mul_f64 v[5:6], v[5:6], v[5:6]
	v_fma_f64 v[36:37], v[7:8], v[7:8], v[5:6]
.LBB179_218:                            ;   in Loop: Header=BB179_145 Depth=1
	s_andn2_saveexec_b64 s[10:11], s[10:11]
	s_cbranch_execz .LBB179_220
; %bb.219:                              ;   in Loop: Header=BB179_145 Depth=1
	v_mul_f64 v[5:6], v[5:6], 4.0
	v_mul_f64 v[13:14], v[7:8], 4.0
	v_mul_f64 v[5:6], v[5:6], v[5:6]
	v_fma_f64 v[5:6], v[13:14], v[13:14], v[5:6]
	v_ldexp_f64 v[36:37], v[5:6], -4
.LBB179_220:                            ;   in Loop: Header=BB179_145 Depth=1
	s_or_b64 exec, exec, s[10:11]
	v_frexp_mant_f64_e32 v[5:6], v[36:37]
	s_mov_b32 s95, s27
	v_cmp_gt_f64_e32 vcc, s[26:27], v[5:6]
	v_cndmask_b32_e64 v7, 0, 1, vcc
	v_ldexp_f64 v[5:6], v[5:6], v7
	v_frexp_exp_i32_f64_e32 v7, v[36:37]
	v_add_f64 v[13:14], v[5:6], 1.0
	v_add_f64 v[42:43], v[5:6], -1.0
	v_subbrev_co_u32_e32 v7, vcc, 0, v7, vcc
	v_cmp_class_f64_e64 vcc, v[36:37], s60
	v_rcp_f64_e32 v[38:39], v[13:14]
	v_add_f64 v[44:45], v[13:14], -1.0
	v_add_f64 v[5:6], v[5:6], -v[44:45]
	v_fma_f64 v[40:41], -v[13:14], v[38:39], 1.0
	v_fma_f64 v[38:39], v[40:41], v[38:39], v[38:39]
	v_fma_f64 v[40:41], -v[13:14], v[38:39], 1.0
	v_fma_f64 v[38:39], v[40:41], v[38:39], v[38:39]
	v_mul_f64 v[40:41], v[42:43], v[38:39]
	v_mul_f64 v[46:47], v[13:14], v[40:41]
	v_fma_f64 v[13:14], v[40:41], v[13:14], -v[46:47]
	v_fma_f64 v[5:6], v[40:41], v[5:6], v[13:14]
	v_add_f64 v[13:14], v[46:47], v[5:6]
	v_add_f64 v[44:45], v[42:43], -v[13:14]
	v_add_f64 v[46:47], v[13:14], -v[46:47]
	;; [unrolled: 1-line block ×5, first 2 shown]
	v_add_f64 v[5:6], v[5:6], v[13:14]
	v_add_f64 v[5:6], v[44:45], v[5:6]
	v_mul_f64 v[5:6], v[38:39], v[5:6]
	v_add_f64 v[13:14], v[40:41], v[5:6]
	v_mul_f64 v[38:39], v[13:14], v[13:14]
	v_fma_f64 v[42:43], v[38:39], s[28:29], v[19:20]
	v_mul_f64 v[44:45], v[13:14], v[38:39]
	v_fma_f64 v[42:43], v[38:39], v[42:43], s[30:31]
	v_fma_f64 v[42:43], v[38:39], v[42:43], s[34:35]
	;; [unrolled: 1-line block ×5, first 2 shown]
	v_ldexp_f64 v[42:43], v[13:14], 1
	v_add_f64 v[13:14], v[13:14], -v[40:41]
	v_mul_f64 v[38:39], v[44:45], v[38:39]
	v_cvt_f64_i32_e32 v[44:45], v7
	v_add_f64 v[5:6], v[5:6], -v[13:14]
	v_mul_f64 v[46:47], v[44:45], s[40:41]
	v_add_f64 v[40:41], v[42:43], v[38:39]
	v_ldexp_f64 v[5:6], v[5:6], 1
	v_add_f64 v[13:14], v[40:41], -v[42:43]
	v_fma_f64 v[42:43], v[44:45], s[40:41], -v[46:47]
	v_add_f64 v[13:14], v[38:39], -v[13:14]
	v_fma_f64 v[38:39], v[44:45], s[42:43], v[42:43]
	v_add_f64 v[5:6], v[5:6], v[13:14]
	v_add_f64 v[13:14], v[46:47], v[38:39]
	;; [unrolled: 1-line block ×3, first 2 shown]
	v_add_f64 v[46:47], v[13:14], -v[46:47]
	v_add_f64 v[44:45], v[13:14], v[42:43]
	v_add_f64 v[40:41], v[42:43], -v[40:41]
	v_add_f64 v[38:39], v[38:39], -v[46:47]
	;; [unrolled: 1-line block ×6, first 2 shown]
	v_add_f64 v[42:43], v[38:39], v[5:6]
	v_add_f64 v[13:14], v[13:14], -v[50:51]
	v_add_f64 v[13:14], v[40:41], v[13:14]
	v_add_f64 v[40:41], v[42:43], -v[38:39]
	;; [unrolled: 2-line block ×3, first 2 shown]
	v_add_f64 v[5:6], v[5:6], -v[40:41]
	v_add_f64 v[46:47], v[44:45], v[13:14]
	v_add_f64 v[38:39], v[38:39], -v[42:43]
	v_add_f64 v[40:41], v[46:47], -v[44:45]
	v_add_f64 v[5:6], v[5:6], v[38:39]
	v_add_f64 v[13:14], v[13:14], -v[40:41]
	v_add_f64 v[5:6], v[5:6], v[13:14]
	v_mov_b32_e32 v13, 0
	v_mov_b32_e32 v14, 0x7ff80000
	v_add_f64 v[5:6], v[46:47], v[5:6]
	v_cndmask_b32_e32 v5, v5, v36, vcc
	v_cndmask_b32_e32 v6, v6, v37, vcc
	v_cmp_ngt_f64_e32 vcc, 0, v[36:37]
	v_cndmask_b32_e32 v6, v64, v6, vcc
	v_cmp_nge_f64_e32 vcc, 0, v[36:37]
	v_cndmask_b32_e32 v35, 0, v5, vcc
	v_cmp_neq_f64_e32 vcc, 0, v[36:37]
	v_cndmask_b32_e32 v36, v65, v6, vcc
.LBB179_221:                            ;   in Loop: Header=BB179_145 Depth=1
	s_or_b64 exec, exec, s[8:9]
	v_cmp_o_f64_e32 vcc, v[9:10], v[11:12]
                                        ; implicit-def: $vgpr37_vgpr38
                                        ; implicit-def: $vgpr5_vgpr6
	s_and_saveexec_b64 s[8:9], vcc
	s_xor_b64 s[24:25], exec, s[8:9]
	s_cbranch_execz .LBB179_249
; %bb.222:                              ;   in Loop: Header=BB179_145 Depth=1
	v_cmp_lt_f64_e64 s[8:9], |v[9:10]|, |v[11:12]|
	v_and_b32_e32 v7, 0x7fffffff, v10
	v_and_b32_e32 v15, 0x7fffffff, v12
	s_mov_b32 s10, 0x85ebc8a0
	s_mov_b32 s11, 0x7fd1ccf3
	v_mov_b32_e32 v18, v11
                                        ; implicit-def: $vgpr37_vgpr38
                                        ; implicit-def: $vgpr5_vgpr6
	v_cndmask_b32_e64 v42, v15, v7, s[8:9]
	v_cndmask_b32_e64 v41, v11, v9, s[8:9]
	v_cmp_nlt_f64_e32 vcc, s[10:11], v[41:42]
	s_and_saveexec_b64 s[10:11], vcc
	s_xor_b64 s[20:21], exec, s[10:11]
	s_cbranch_execz .LBB179_246
; %bb.223:                              ;   in Loop: Header=BB179_145 Depth=1
	v_cndmask_b32_e64 v44, v7, v15, s[8:9]
	v_cndmask_b32_e64 v43, v9, v18, s[8:9]
	v_cmp_neq_f64_e32 vcc, 1.0, v[43:44]
                                        ; implicit-def: $vgpr37_vgpr38
                                        ; implicit-def: $vgpr5_vgpr6
	s_and_saveexec_b64 s[10:11], vcc
	s_xor_b64 s[44:45], exec, s[10:11]
	s_cbranch_execz .LBB179_239
; %bb.224:                              ;   in Loop: Header=BB179_145 Depth=1
	v_max_f64 v[5:6], v[41:42], v[41:42]
	v_max_f64 v[37:38], v[43:44], v[43:44]
	s_mov_b32 s10, 0x4ad4b81f
	s_mov_b32 s11, 0x358dee7a
	v_min_f64 v[39:40], v[37:38], v[5:6]
	v_max_f64 v[5:6], v[37:38], v[5:6]
                                        ; implicit-def: $vgpr37_vgpr38
	v_cmp_ngt_f64_e32 vcc, s[10:11], v[39:40]
	s_mov_b32 s10, 0xc57e649a
	s_mov_b32 s11, 0x4a511b0e
	v_cmp_nlt_f64_e64 s[10:11], s[10:11], v[5:6]
                                        ; implicit-def: $vgpr5_vgpr6
	s_and_b64 s[10:11], s[10:11], vcc
	s_and_saveexec_b64 s[12:13], s[10:11]
	s_xor_b64 s[86:87], exec, s[12:13]
	s_cbranch_execz .LBB179_236
; %bb.225:                              ;   in Loop: Header=BB179_145 Depth=1
	v_cmp_le_f64_e32 vcc, 1.0, v[43:44]
                                        ; implicit-def: $vgpr37_vgpr38
                                        ; implicit-def: $vgpr5_vgpr6
	s_and_saveexec_b64 s[10:11], vcc
	s_xor_b64 s[46:47], exec, s[10:11]
	s_cbranch_execz .LBB179_227
; %bb.226:                              ;   in Loop: Header=BB179_145 Depth=1
	v_add_f64 v[5:6], v[43:44], -1.0
	v_add_f64 v[37:38], v[43:44], 1.0
	s_mov_b32 s95, s27
	s_mov_b32 s82, s22
	;; [unrolled: 1-line block ×4, first 2 shown]
	v_cmp_class_f64_e64 s[48:49], v[11:12], s60
	v_mul_f64 v[5:6], v[5:6], v[37:38]
	v_fma_f64 v[38:39], v[41:42], v[41:42], v[5:6]
	v_add_f64 v[6:7], v[38:39], 1.0
	v_cmp_nge_f64_e64 s[12:13], -1.0, v[38:39]
	v_cmp_neq_f64_e64 s[14:15], s[14:15], v[38:39]
	v_frexp_mant_f64_e32 v[42:43], v[6:7]
	v_frexp_exp_i32_f64_e32 v5, v[6:7]
	v_add_f64 v[40:41], v[6:7], -1.0
	v_cmp_gt_f64_e32 vcc, s[26:27], v[42:43]
	v_add_f64 v[44:45], v[40:41], -v[6:7]
	v_add_f64 v[40:41], v[38:39], -v[40:41]
	v_subbrev_co_u32_e32 v5, vcc, 0, v5, vcc
	v_sub_u32_e32 v15, 0, v5
	v_ldexp_f64 v[6:7], v[6:7], v15
	v_add_f64 v[42:43], v[44:45], 1.0
	v_add_f64 v[44:45], v[6:7], 1.0
	v_add_f64 v[40:41], v[40:41], v[42:43]
	v_add_f64 v[50:51], v[6:7], -1.0
	v_add_f64 v[42:43], v[44:45], -1.0
	v_ldexp_f64 v[40:41], v[40:41], v15
	v_add_f64 v[52:53], v[50:51], 1.0
	v_add_f64 v[42:43], v[6:7], -v[42:43]
	v_add_f64 v[6:7], v[6:7], -v[52:53]
	v_add_f64 v[42:43], v[40:41], v[42:43]
	v_add_f64 v[6:7], v[40:41], v[6:7]
	v_add_f64 v[46:47], v[44:45], v[42:43]
	v_add_f64 v[52:53], v[50:51], v[6:7]
	v_rcp_f64_e32 v[48:49], v[46:47]
	v_add_f64 v[44:45], v[46:47], -v[44:45]
	v_add_f64 v[50:51], v[52:53], -v[50:51]
	;; [unrolled: 1-line block ×4, first 2 shown]
	v_fma_f64 v[54:55], -v[46:47], v[48:49], 1.0
	v_fma_f64 v[48:49], v[54:55], v[48:49], v[48:49]
	v_fma_f64 v[40:41], -v[46:47], v[48:49], 1.0
	v_fma_f64 v[40:41], v[40:41], v[48:49], v[48:49]
	v_mul_f64 v[48:49], v[52:53], v[40:41]
	v_mul_f64 v[54:55], v[46:47], v[48:49]
	v_fma_f64 v[44:45], v[48:49], v[46:47], -v[54:55]
	v_fma_f64 v[44:45], v[48:49], v[42:43], v[44:45]
	v_add_f64 v[56:57], v[54:55], v[44:45]
	v_add_f64 v[58:59], v[52:53], -v[56:57]
	v_add_f64 v[50:51], v[56:57], -v[54:55]
	;; [unrolled: 1-line block ×4, first 2 shown]
	v_max_f64 v[50:51], |v[9:10]|, |v[9:10]|
	v_add_f64 v[52:53], v[52:53], -v[56:57]
	v_add_f64 v[6:7], v[6:7], v[52:53]
	v_add_f64 v[6:7], v[44:45], v[6:7]
	v_max_f64 v[44:45], |v[11:12]|, |v[11:12]|
	v_add_f64 v[52:53], v[58:59], v[6:7]
	v_max_f64 v[54:55], v[50:51], v[44:45]
	v_min_f64 v[44:45], v[50:51], v[44:45]
	v_mul_f64 v[50:51], v[40:41], v[52:53]
	v_add_f64 v[58:59], v[58:59], -v[52:53]
	v_div_scale_f64 v[56:57], s[10:11], v[54:55], v[54:55], v[44:45]
	s_mov_b32 s10, 0xaf56de9b
	s_mov_b32 s11, 0xbf67952d
	v_mul_f64 v[60:61], v[46:47], v[50:51]
	v_add_f64 v[6:7], v[6:7], v[58:59]
	v_fma_f64 v[46:47], v[50:51], v[46:47], -v[60:61]
	v_rcp_f64_e32 v[70:71], v[56:57]
	v_fma_f64 v[42:43], v[50:51], v[42:43], v[46:47]
	v_add_f64 v[46:47], v[60:61], v[42:43]
	v_fma_f64 v[72:73], -v[56:57], v[70:71], 1.0
	v_add_f64 v[74:75], v[52:53], -v[46:47]
	v_add_f64 v[58:59], v[46:47], -v[60:61]
	v_fma_f64 v[70:71], v[70:71], v[72:73], v[70:71]
	v_div_scale_f64 v[72:73], vcc, v[44:45], v[54:55], v[44:45]
	v_add_f64 v[52:53], v[52:53], -v[74:75]
	v_add_f64 v[42:43], v[58:59], -v[42:43]
	v_fma_f64 v[76:77], -v[56:57], v[70:71], 1.0
	v_add_f64 v[58:59], v[48:49], v[50:51]
	v_add_f64 v[46:47], v[52:53], -v[46:47]
	v_fma_f64 v[52:53], v[70:71], v[76:77], v[70:71]
	v_add_f64 v[48:49], v[58:59], -v[48:49]
	v_add_f64 v[6:7], v[6:7], v[46:47]
	v_mul_f64 v[46:47], v[72:73], v[52:53]
	v_add_f64 v[6:7], v[42:43], v[6:7]
	v_fma_f64 v[42:43], -v[56:57], v[46:47], v[72:73]
	v_add_f64 v[6:7], v[74:75], v[6:7]
	v_div_fmas_f64 v[42:43], v[42:43], v[52:53], v[46:47]
	v_add_f64 v[46:47], v[50:51], -v[48:49]
	v_cmp_gt_i32_e32 vcc, 0, v10
	v_cndmask_b32_e32 v18, v68, v69, vcc
	v_cndmask_b32_e32 v15, v66, v67, vcc
	v_mul_f64 v[6:7], v[40:41], v[6:7]
	v_add_f64 v[6:7], v[46:47], v[6:7]
	v_div_fixup_f64 v[40:41], v[42:43], v[54:55], v[44:45]
	v_cvt_f64_i32_e32 v[54:55], v5
	v_mul_f64 v[56:57], v[54:55], s[40:41]
	v_add_f64 v[42:43], v[58:59], v[6:7]
	v_mul_f64 v[44:45], v[40:41], v[40:41]
	v_mul_f64 v[46:47], v[42:43], v[42:43]
	v_fma_f64 v[48:49], v[44:45], s[52:53], v[21:22]
	v_fma_f64 v[50:51], v[46:47], s[28:29], v[19:20]
	v_mul_f64 v[52:53], v[42:43], v[46:47]
	v_fma_f64 v[48:49], v[44:45], v[48:49], s[50:51]
	v_cmp_class_f64_e64 s[50:51], v[9:10], s60
	v_fma_f64 v[50:51], v[46:47], v[50:51], s[30:31]
	v_fma_f64 v[48:49], v[44:45], v[48:49], s[10:11]
	s_mov_b32 s10, 0xa595c56f
	s_mov_b32 s11, 0x3f7d6d43
	v_fma_f64 v[50:51], v[46:47], v[50:51], s[34:35]
	v_fma_f64 v[48:49], v[44:45], v[48:49], s[10:11]
	s_mov_b32 s10, 0xa57d9582
	s_mov_b32 s11, 0xbf8c6ea4
	;; [unrolled: 4-line block ×4, first 2 shown]
	v_fma_f64 v[46:47], v[46:47], v[50:51], s[94:95]
	v_ldexp_f64 v[50:51], v[42:43], 1
	v_fma_f64 v[48:49], v[44:45], v[48:49], s[10:11]
	s_mov_b32 s10, 0x5711927a
	s_mov_b32 s11, 0x3fa2c15b
	v_add_f64 v[42:43], v[42:43], -v[58:59]
	v_mul_f64 v[46:47], v[52:53], v[46:47]
	v_fma_f64 v[48:49], v[44:45], v[48:49], s[10:11]
	s_mov_b32 s10, 0xe82d3ff0
	s_mov_b32 s11, 0xbfa59976
	v_add_f64 v[5:6], v[6:7], -v[42:43]
	v_ashrrev_i32_e32 v7, 31, v10
	v_and_b32_e32 v37, 0x54442d18, v7
	v_add_f64 v[52:53], v[50:51], v[46:47]
	v_and_b32_e32 v7, 0x400921fb, v7
	v_fma_f64 v[48:49], v[44:45], v[48:49], s[10:11]
	v_cmp_eq_f64_e64 s[10:11], 0, v[11:12]
	v_ldexp_f64 v[5:6], v[5:6], 1
	v_add_f64 v[42:43], v[52:53], -v[50:51]
	v_fma_f64 v[50:51], v[54:55], s[40:41], -v[56:57]
	v_fma_f64 v[48:49], v[44:45], v[48:49], s[62:63]
	v_add_f64 v[42:43], v[46:47], -v[42:43]
	v_fma_f64 v[46:47], v[44:45], v[48:49], s[64:65]
	v_fma_f64 v[48:49], v[54:55], s[42:43], v[50:51]
	v_add_f64 v[5:6], v[5:6], v[42:43]
	v_fma_f64 v[42:43], v[44:45], v[46:47], s[66:67]
	v_add_f64 v[46:47], v[56:57], v[48:49]
	v_add_f64 v[50:51], v[52:53], v[5:6]
	v_fma_f64 v[42:43], v[44:45], v[42:43], s[68:69]
	v_add_f64 v[56:57], v[46:47], -v[56:57]
	v_add_f64 v[54:55], v[46:47], v[50:51]
	v_add_f64 v[52:53], v[50:51], -v[52:53]
	v_fma_f64 v[42:43], v[44:45], v[42:43], s[70:71]
	v_add_f64 v[48:49], v[48:49], -v[56:57]
	v_add_f64 v[58:59], v[54:55], -v[46:47]
	;; [unrolled: 1-line block ×3, first 2 shown]
	v_fma_f64 v[42:43], v[44:45], v[42:43], s[72:73]
	v_add_f64 v[60:61], v[54:55], -v[58:59]
	v_add_f64 v[50:51], v[50:51], -v[58:59]
	v_fma_f64 v[42:43], v[44:45], v[42:43], s[74:75]
	v_add_f64 v[52:53], v[48:49], v[5:6]
	v_add_f64 v[46:47], v[46:47], -v[60:61]
	v_fma_f64 v[42:43], v[44:45], v[42:43], s[76:77]
	v_add_f64 v[46:47], v[50:51], v[46:47]
	;; [unrolled: 3-line block ×3, first 2 shown]
	v_add_f64 v[52:53], v[52:53], -v[50:51]
	v_fma_f64 v[42:43], v[44:45], v[42:43], s[80:81]
	v_add_f64 v[5:6], v[5:6], -v[50:51]
	v_add_f64 v[56:57], v[54:55], v[46:47]
	v_mul_f64 v[42:43], v[44:45], v[42:43]
	v_add_f64 v[44:45], v[48:49], -v[52:53]
	v_add_f64 v[48:49], v[56:57], -v[54:55]
	v_fma_f64 v[40:41], v[40:41], v[42:43], v[40:41]
	v_add_f64 v[5:6], v[5:6], v[44:45]
	v_add_f64 v[42:43], v[46:47], -v[48:49]
	v_add_f64 v[44:45], -v[40:41], s[22:23]
	v_add_f64 v[5:6], v[5:6], v[42:43]
	v_cndmask_b32_e64 v41, v41, v45, s[8:9]
	v_cndmask_b32_e64 v40, v40, v44, s[8:9]
	v_add_f64 v[42:43], -v[40:41], s[82:83]
	v_add_f64 v[5:6], v[56:57], v[5:6]
	v_cndmask_b32_e32 v40, v40, v42, vcc
	v_mul_f64 v[9:10], v[5:6], 0.5
	v_cndmask_b32_e32 v6, v41, v43, vcc
	v_bfi_b32 v5, s59, v18, v12
	v_cndmask_b32_e64 v18, v40, v37, s[10:11]
	v_cndmask_b32_e64 v6, v6, v7, s[10:11]
	s_and_b64 s[10:11], s[12:13], s[14:15]
	s_and_b64 vcc, s[48:49], s[50:51]
	v_cndmask_b32_e32 v6, v6, v5, vcc
	v_cndmask_b32_e64 v37, 0, v9, s[10:11]
	v_cmp_ngt_f64_e64 s[10:11], -1.0, v[38:39]
	v_cndmask_b32_e64 v5, v63, v10, s[14:15]
	s_mov_b32 s50, 0x69efb384
	s_mov_b32 s51, 0x3f4b2bb0
                                        ; implicit-def: $vgpr41_vgpr42
                                        ; implicit-def: $vgpr43_vgpr44
	v_cndmask_b32_e64 v5, v64, v5, s[10:11]
	v_cmp_neq_f64_e64 s[10:11], -1.0, v[38:39]
	v_cndmask_b32_e64 v38, v65, v5, s[10:11]
	v_cndmask_b32_e32 v5, v18, v15, vcc
.LBB179_227:                            ;   in Loop: Header=BB179_145 Depth=1
	s_andn2_saveexec_b64 s[46:47], s[46:47]
	s_cbranch_execz .LBB179_235
; %bb.228:                              ;   in Loop: Header=BB179_145 Depth=1
	v_mul_f64 v[5:6], v[41:42], v[41:42]
	s_mov_b32 s10, 0x66666666
	s_mov_b32 s11, 0x3fe66666
                                        ; implicit-def: $vgpr37_vgpr38
	v_fma_f64 v[39:40], v[43:44], v[43:44], v[5:6]
                                        ; implicit-def: $vgpr5_vgpr6
	v_cmp_ge_f64_e32 vcc, s[10:11], v[39:40]
	s_and_saveexec_b64 s[10:11], vcc
	s_xor_b64 s[14:15], exec, s[10:11]
	s_cbranch_execz .LBB179_230
; %bb.229:                              ;   in Loop: Header=BB179_145 Depth=1
	v_frexp_mant_f64_e32 v[5:6], v[39:40]
	v_max_f64 v[45:46], |v[11:12]|, |v[11:12]|
	v_max_f64 v[47:48], |v[9:10]|, |v[9:10]|
	s_mov_b32 s95, s27
	s_mov_b32 s82, s22
	v_cmp_class_f64_e64 s[48:49], v[11:12], s60
	v_cmp_gt_f64_e64 s[10:11], s[26:27], v[5:6]
	v_cndmask_b32_e64 v7, 0, 1, s[10:11]
	v_ldexp_f64 v[5:6], v[5:6], v7
	v_frexp_exp_i32_f64_e32 v7, v[39:40]
	v_add_f64 v[37:38], v[5:6], 1.0
	v_add_f64 v[51:52], v[5:6], -1.0
	v_rcp_f64_e32 v[41:42], v[37:38]
	v_add_f64 v[55:56], v[37:38], -1.0
	v_add_f64 v[5:6], v[5:6], -v[55:56]
	v_fma_f64 v[43:44], -v[37:38], v[41:42], 1.0
	v_fma_f64 v[41:42], v[43:44], v[41:42], v[41:42]
	v_max_f64 v[43:44], v[47:48], v[45:46]
	v_min_f64 v[45:46], v[47:48], v[45:46]
	v_fma_f64 v[47:48], -v[37:38], v[41:42], 1.0
	v_div_scale_f64 v[49:50], s[12:13], v[43:44], v[43:44], v[45:46]
	s_mov_b32 s12, 0xaf56de9b
	s_mov_b32 s13, 0xbf67952d
	v_fma_f64 v[41:42], v[47:48], v[41:42], v[41:42]
	v_mul_f64 v[47:48], v[51:52], v[41:42]
	v_rcp_f64_e32 v[53:54], v[49:50]
	v_mul_f64 v[57:58], v[37:38], v[47:48]
	v_fma_f64 v[37:38], v[47:48], v[37:38], -v[57:58]
	v_fma_f64 v[55:56], -v[49:50], v[53:54], 1.0
	v_fma_f64 v[5:6], v[47:48], v[5:6], v[37:38]
	v_fma_f64 v[37:38], v[53:54], v[55:56], v[53:54]
	v_div_scale_f64 v[55:56], vcc, v[45:46], v[43:44], v[45:46]
	v_add_f64 v[53:54], v[57:58], v[5:6]
	v_fma_f64 v[59:60], -v[49:50], v[37:38], 1.0
	v_add_f64 v[61:62], v[51:52], -v[53:54]
	v_add_f64 v[57:58], v[53:54], -v[57:58]
	v_fma_f64 v[37:38], v[37:38], v[59:60], v[37:38]
	v_add_f64 v[51:52], v[51:52], -v[61:62]
	v_add_f64 v[5:6], v[57:58], -v[5:6]
	v_mul_f64 v[59:60], v[55:56], v[37:38]
	v_add_f64 v[51:52], v[51:52], -v[53:54]
	v_fma_f64 v[49:50], -v[49:50], v[59:60], v[55:56]
	v_add_f64 v[5:6], v[5:6], v[51:52]
	v_div_fmas_f64 v[37:38], v[49:50], v[37:38], v[59:60]
	v_subbrev_co_u32_e64 v7, vcc, 0, v7, s[10:11]
	s_mov_b32 s10, 0xe82d3ff0
	s_mov_b32 s11, 0xbfa59976
	v_cmp_gt_i32_e32 vcc, 0, v10
	v_add_f64 v[5:6], v[61:62], v[5:6]
	v_cndmask_b32_e32 v15, v66, v67, vcc
	v_mul_f64 v[5:6], v[41:42], v[5:6]
	v_div_fixup_f64 v[37:38], v[37:38], v[43:44], v[45:46]
	v_add_f64 v[41:42], v[47:48], v[5:6]
	v_mul_f64 v[43:44], v[37:38], v[37:38]
	v_mul_f64 v[45:46], v[41:42], v[41:42]
	v_fma_f64 v[49:50], v[43:44], s[52:53], v[21:22]
	v_fma_f64 v[51:52], v[45:46], s[28:29], v[19:20]
	v_mul_f64 v[53:54], v[41:42], v[45:46]
	v_fma_f64 v[49:50], v[43:44], v[49:50], s[50:51]
	v_cmp_class_f64_e64 s[50:51], v[9:10], s60
	v_fma_f64 v[51:52], v[45:46], v[51:52], s[30:31]
	v_fma_f64 v[49:50], v[43:44], v[49:50], s[12:13]
	s_mov_b32 s12, 0xa595c56f
	s_mov_b32 s13, 0x3f7d6d43
	v_fma_f64 v[51:52], v[45:46], v[51:52], s[34:35]
	v_fma_f64 v[49:50], v[43:44], v[49:50], s[12:13]
	s_mov_b32 s12, 0xa57d9582
	s_mov_b32 s13, 0xbf8c6ea4
	;; [unrolled: 4-line block ×4, first 2 shown]
	v_fma_f64 v[45:46], v[45:46], v[51:52], s[94:95]
	v_ldexp_f64 v[51:52], v[41:42], 1
	v_fma_f64 v[49:50], v[43:44], v[49:50], s[12:13]
	s_mov_b32 s12, 0x5711927a
	s_mov_b32 s13, 0x3fa2c15b
	v_add_f64 v[41:42], v[41:42], -v[47:48]
	v_mul_f64 v[45:46], v[53:54], v[45:46]
	v_cvt_f64_i32_e32 v[53:54], v7
	v_fma_f64 v[49:50], v[43:44], v[49:50], s[12:13]
	v_ashrrev_i32_e32 v7, 31, v10
	v_cmp_neq_f64_e64 s[12:13], 0, v[39:40]
	v_mul_f64 v[55:56], v[53:54], s[40:41]
	v_add_f64 v[5:6], v[5:6], -v[41:42]
	v_and_b32_e32 v18, 0x54442d18, v7
	v_add_f64 v[47:48], v[51:52], v[45:46]
	v_and_b32_e32 v7, 0x400921fb, v7
	v_fma_f64 v[49:50], v[43:44], v[49:50], s[10:11]
	v_cmp_eq_f64_e64 s[10:11], 0, v[11:12]
	v_ldexp_f64 v[5:6], v[5:6], 1
	v_add_f64 v[41:42], v[47:48], -v[51:52]
	v_fma_f64 v[51:52], v[53:54], s[40:41], -v[55:56]
	v_fma_f64 v[49:50], v[43:44], v[49:50], s[62:63]
	v_add_f64 v[41:42], v[45:46], -v[41:42]
	v_fma_f64 v[45:46], v[43:44], v[49:50], s[64:65]
	v_fma_f64 v[49:50], v[53:54], s[42:43], v[51:52]
	v_add_f64 v[5:6], v[5:6], v[41:42]
	v_fma_f64 v[41:42], v[43:44], v[45:46], s[66:67]
	v_add_f64 v[45:46], v[55:56], v[49:50]
	v_add_f64 v[51:52], v[47:48], v[5:6]
	v_fma_f64 v[41:42], v[43:44], v[41:42], s[68:69]
	v_add_f64 v[55:56], v[45:46], -v[55:56]
	v_add_f64 v[53:54], v[45:46], v[51:52]
	v_add_f64 v[47:48], v[51:52], -v[47:48]
	v_fma_f64 v[41:42], v[43:44], v[41:42], s[70:71]
	v_add_f64 v[49:50], v[49:50], -v[55:56]
	v_add_f64 v[57:58], v[53:54], -v[45:46]
	;; [unrolled: 1-line block ×3, first 2 shown]
	v_fma_f64 v[41:42], v[43:44], v[41:42], s[72:73]
	v_add_f64 v[59:60], v[53:54], -v[57:58]
	v_add_f64 v[47:48], v[51:52], -v[57:58]
	v_fma_f64 v[41:42], v[43:44], v[41:42], s[74:75]
	v_add_f64 v[51:52], v[49:50], v[5:6]
	v_add_f64 v[45:46], v[45:46], -v[59:60]
	v_fma_f64 v[41:42], v[43:44], v[41:42], s[76:77]
	v_add_f64 v[45:46], v[47:48], v[45:46]
	;; [unrolled: 3-line block ×3, first 2 shown]
	v_add_f64 v[51:52], v[51:52], -v[47:48]
	v_fma_f64 v[41:42], v[43:44], v[41:42], s[80:81]
	v_add_f64 v[5:6], v[5:6], -v[47:48]
	v_add_f64 v[55:56], v[53:54], v[45:46]
	v_mul_f64 v[41:42], v[43:44], v[41:42]
	v_add_f64 v[43:44], v[49:50], -v[51:52]
	v_add_f64 v[47:48], v[55:56], -v[53:54]
	v_fma_f64 v[37:38], v[37:38], v[41:42], v[37:38]
	v_add_f64 v[5:6], v[5:6], v[43:44]
	v_add_f64 v[41:42], v[45:46], -v[47:48]
	v_add_f64 v[43:44], -v[37:38], s[22:23]
	v_add_f64 v[5:6], v[5:6], v[41:42]
	v_cndmask_b32_e64 v38, v38, v44, s[8:9]
	v_cndmask_b32_e64 v37, v37, v43, s[8:9]
	v_add_f64 v[41:42], -v[37:38], s[82:83]
                                        ; implicit-def: $vgpr43_vgpr44
	v_add_f64 v[5:6], v[55:56], v[5:6]
	v_cndmask_b32_e32 v37, v37, v41, vcc
	v_cndmask_b32_e32 v41, v68, v69, vcc
	v_cndmask_b32_e64 v18, v37, v18, s[10:11]
	v_mul_f64 v[9:10], v[5:6], 0.5
	v_cndmask_b32_e32 v6, v38, v42, vcc
	v_bfi_b32 v5, s59, v41, v12
	v_cndmask_b32_e64 v6, v6, v7, s[10:11]
	s_and_b64 vcc, s[48:49], s[50:51]
	s_mov_b32 s50, 0x69efb384
	s_mov_b32 s51, 0x3f4b2bb0
	v_cndmask_b32_e32 v6, v6, v5, vcc
	v_cndmask_b32_e64 v38, v65, v10, s[12:13]
	v_cndmask_b32_e64 v37, 0, v9, s[12:13]
	v_cndmask_b32_e32 v5, v18, v15, vcc
                                        ; implicit-def: $vgpr41_vgpr42
.LBB179_230:                            ;   in Loop: Header=BB179_145 Depth=1
	s_andn2_saveexec_b64 s[48:49], s[14:15]
	s_cbranch_execz .LBB179_234
; %bb.231:                              ;   in Loop: Header=BB179_145 Depth=1
	v_and_b32_e32 v18, 0x7ffffff8, v44
	v_and_b32_e32 v38, 0x7ffffff8, v42
	v_mov_b32_e32 v37, v17
	v_add_f64 v[5:6], v[43:44], -v[17:18]
	v_add_f64 v[39:40], v[41:42], -v[37:38]
	v_mov_b32_e32 v43, v17
	v_mov_b32_e32 v51, v17
	v_add_f64 v[47:48], v[17:18], v[17:18]
	v_add_f64 v[49:50], v[37:38], v[37:38]
	v_mul_f64 v[37:38], v[37:38], v[37:38]
	s_mov_b64 s[50:51], 0
	v_and_b32_e32 v44, -8, v6
	v_and_b32_e32 v52, -8, v40
	v_add_f64 v[57:58], v[5:6], -v[43:44]
	v_add_f64 v[59:60], v[39:40], -v[51:52]
	v_add_f64 v[61:62], v[43:44], v[43:44]
	v_add_f64 v[70:71], v[51:52], v[51:52]
	v_mul_f64 v[5:6], v[17:18], v[17:18]
	v_mul_f64 v[41:42], v[47:48], v[43:44]
	;; [unrolled: 1-line block ×11, first 2 shown]
.LBB179_232:                            ;   Parent Loop BB179_145 Depth=1
                                        ; =>  This Inner Loop Header: Depth=2
	v_cmp_nlt_f64_e32 vcc, v[5:6], v[37:38]
	v_cndmask_b32_e32 v60, v6, v38, vcc
	v_cndmask_b32_e32 v59, v5, v37, vcc
	v_cmp_nlt_f64_e64 s[10:11], v[59:60], v[41:42]
	v_cndmask_b32_e32 v6, v38, v6, vcc
	v_cndmask_b32_e32 v5, v37, v5, vcc
	v_cndmask_b32_e64 v62, v60, v42, s[10:11]
	v_cndmask_b32_e64 v61, v59, v41, s[10:11]
	v_cmp_nlt_f64_e64 s[12:13], v[61:62], v[39:40]
	v_cndmask_b32_e64 v38, v42, v60, s[10:11]
	v_cndmask_b32_e64 v37, v41, v59, s[10:11]
	s_and_b64 s[52:53], vcc, s[10:11]
	v_cndmask_b32_e64 v71, v62, v40, s[12:13]
	v_cndmask_b32_e64 v70, v61, v39, s[12:13]
	v_cmp_nlt_f64_e64 s[14:15], v[70:71], v[45:46]
	v_cndmask_b32_e64 v42, v40, v62, s[12:13]
	v_cndmask_b32_e64 v41, v39, v61, s[12:13]
	v_cndmask_b32_e64 v60, v71, v46, s[14:15]
	v_cndmask_b32_e64 v59, v70, v45, s[14:15]
	v_cmp_nlt_f64_e32 vcc, v[59:60], v[51:52]
	v_cndmask_b32_e64 v40, v46, v71, s[14:15]
	v_cndmask_b32_e64 v39, v45, v70, s[14:15]
	s_and_b64 s[14:15], s[12:13], s[14:15]
	v_cndmask_b32_e32 v62, v60, v52, vcc
	v_cndmask_b32_e32 v61, v59, v51, vcc
	v_cmp_nlt_f64_e64 s[10:11], v[61:62], v[55:56]
	v_cndmask_b32_e32 v46, v52, v60, vcc
	v_cndmask_b32_e32 v45, v51, v59, vcc
	v_cndmask_b32_e64 v60, v62, v56, s[10:11]
	v_cndmask_b32_e64 v59, v61, v55, s[10:11]
	v_cmp_nlt_f64_e64 s[12:13], v[59:60], v[53:54]
	v_cndmask_b32_e64 v52, v56, v62, s[10:11]
	v_cndmask_b32_e64 v51, v55, v61, s[10:11]
	s_and_b64 s[10:11], vcc, s[10:11]
	v_cndmask_b32_e64 v62, v60, v54, s[12:13]
	v_cndmask_b32_e64 v61, v59, v53, s[12:13]
	v_cmp_nlt_f64_e32 vcc, v[61:62], v[49:50]
	v_cndmask_b32_e64 v56, v54, v60, s[12:13]
	v_cndmask_b32_e64 v55, v53, v59, s[12:13]
	s_and_b64 s[12:13], s[10:11], s[12:13]
	v_cndmask_b32_e32 v60, v62, v50, vcc
	v_cndmask_b32_e32 v59, v61, v49, vcc
	v_cmp_nlt_f64_e64 s[10:11], v[59:60], v[47:48]
	v_cndmask_b32_e32 v54, v50, v62, vcc
	v_cndmask_b32_e32 v53, v49, v61, vcc
	s_and_b64 s[12:13], s[12:13], vcc
	v_cndmask_b32_e64 v62, v60, v48, s[10:11]
	v_cndmask_b32_e64 v61, v59, v47, s[10:11]
	v_cmp_nlt_f64_e32 vcc, v[61:62], v[43:44]
	v_cndmask_b32_e64 v50, v48, v60, s[10:11]
	v_cndmask_b32_e64 v49, v47, v59, s[10:11]
	s_and_b64 s[12:13], s[12:13], s[10:11]
	v_cndmask_b32_e32 v71, v62, v44, vcc
	v_cndmask_b32_e32 v70, v61, v43, vcc
	v_cmp_nlt_f64_e64 s[10:11], v[70:71], v[57:58]
	s_and_b64 s[12:13], s[12:13], vcc
	v_cndmask_b32_e32 v48, v44, v62, vcc
	v_cndmask_b32_e32 v47, v43, v61, vcc
	v_cndmask_b32_e64 v60, v71, v58, s[10:11]
	v_cndmask_b32_e64 v59, v70, v57, s[10:11]
	v_cndmask_b32_e64 v44, v58, v71, s[10:11]
	v_cndmask_b32_e64 v43, v57, v70, s[10:11]
	s_and_b64 s[10:11], s[12:13], s[10:11]
	s_and_b64 s[10:11], s[10:11], s[14:15]
	;; [unrolled: 1-line block ×3, first 2 shown]
	s_and_b64 s[10:11], exec, s[10:11]
	v_mov_b32_e32 v57, v59
	s_or_b64 s[50:51], s[10:11], s[50:51]
	v_mov_b32_e32 v58, v60
	s_andn2_b64 exec, exec, s[50:51]
	s_cbranch_execnz .LBB179_232
; %bb.233:                              ;   in Loop: Header=BB179_145 Depth=1
	s_or_b64 exec, exec, s[50:51]
	v_add_f64 v[5:6], v[5:6], -1.0
	s_mov_b32 s95, s27
	s_mov_b32 s82, s22
	;; [unrolled: 1-line block ×4, first 2 shown]
	v_cmp_class_f64_e64 s[52:53], v[9:10], s60
	v_cmp_class_f64_e64 s[50:51], v[11:12], s60
	v_add_f64 v[5:6], v[5:6], v[37:38]
	v_add_f64 v[5:6], v[5:6], v[41:42]
	;; [unrolled: 1-line block ×11, first 2 shown]
	v_add_f64 v[6:7], v[38:39], 1.0
	v_cmp_nge_f64_e64 s[12:13], -1.0, v[38:39]
	v_cmp_neq_f64_e64 s[14:15], s[14:15], v[38:39]
	v_frexp_mant_f64_e32 v[42:43], v[6:7]
	v_frexp_exp_i32_f64_e32 v5, v[6:7]
	v_add_f64 v[40:41], v[6:7], -1.0
	v_cmp_gt_f64_e32 vcc, s[26:27], v[42:43]
	v_add_f64 v[44:45], v[40:41], -v[6:7]
	v_add_f64 v[40:41], v[38:39], -v[40:41]
	v_subbrev_co_u32_e32 v5, vcc, 0, v5, vcc
	v_sub_u32_e32 v15, 0, v5
	v_ldexp_f64 v[6:7], v[6:7], v15
	v_add_f64 v[42:43], v[44:45], 1.0
	v_add_f64 v[44:45], v[6:7], 1.0
	v_add_f64 v[40:41], v[40:41], v[42:43]
	v_add_f64 v[50:51], v[6:7], -1.0
	v_add_f64 v[42:43], v[44:45], -1.0
	v_ldexp_f64 v[40:41], v[40:41], v15
	v_add_f64 v[52:53], v[50:51], 1.0
	v_add_f64 v[42:43], v[6:7], -v[42:43]
	v_add_f64 v[6:7], v[6:7], -v[52:53]
	v_add_f64 v[42:43], v[40:41], v[42:43]
	v_add_f64 v[6:7], v[40:41], v[6:7]
	;; [unrolled: 1-line block ×4, first 2 shown]
	v_rcp_f64_e32 v[48:49], v[46:47]
	v_add_f64 v[44:45], v[46:47], -v[44:45]
	v_add_f64 v[50:51], v[52:53], -v[50:51]
	;; [unrolled: 1-line block ×4, first 2 shown]
	v_fma_f64 v[54:55], -v[46:47], v[48:49], 1.0
	v_fma_f64 v[48:49], v[54:55], v[48:49], v[48:49]
	v_fma_f64 v[40:41], -v[46:47], v[48:49], 1.0
	v_fma_f64 v[40:41], v[40:41], v[48:49], v[48:49]
	v_mul_f64 v[48:49], v[52:53], v[40:41]
	v_mul_f64 v[54:55], v[46:47], v[48:49]
	v_fma_f64 v[44:45], v[48:49], v[46:47], -v[54:55]
	v_fma_f64 v[44:45], v[48:49], v[42:43], v[44:45]
	v_add_f64 v[56:57], v[54:55], v[44:45]
	v_add_f64 v[58:59], v[52:53], -v[56:57]
	v_add_f64 v[50:51], v[56:57], -v[54:55]
	;; [unrolled: 1-line block ×4, first 2 shown]
	v_max_f64 v[50:51], |v[9:10]|, |v[9:10]|
	v_add_f64 v[52:53], v[52:53], -v[56:57]
	v_add_f64 v[6:7], v[6:7], v[52:53]
	v_add_f64 v[6:7], v[44:45], v[6:7]
	v_max_f64 v[44:45], |v[11:12]|, |v[11:12]|
	v_add_f64 v[52:53], v[58:59], v[6:7]
	v_max_f64 v[54:55], v[50:51], v[44:45]
	v_min_f64 v[44:45], v[50:51], v[44:45]
	v_mul_f64 v[50:51], v[40:41], v[52:53]
	v_add_f64 v[58:59], v[58:59], -v[52:53]
	v_div_scale_f64 v[56:57], s[10:11], v[54:55], v[54:55], v[44:45]
	s_mov_b32 s10, 0xb5e68a13
	s_mov_b32 s11, 0x3eeba404
	v_mul_f64 v[60:61], v[46:47], v[50:51]
	v_add_f64 v[6:7], v[6:7], v[58:59]
	v_fma_f64 v[46:47], v[50:51], v[46:47], -v[60:61]
	v_rcp_f64_e32 v[70:71], v[56:57]
	v_fma_f64 v[42:43], v[50:51], v[42:43], v[46:47]
	v_add_f64 v[46:47], v[60:61], v[42:43]
	v_fma_f64 v[72:73], -v[56:57], v[70:71], 1.0
	v_add_f64 v[74:75], v[52:53], -v[46:47]
	v_add_f64 v[58:59], v[46:47], -v[60:61]
	v_fma_f64 v[70:71], v[70:71], v[72:73], v[70:71]
	v_div_scale_f64 v[72:73], vcc, v[44:45], v[54:55], v[44:45]
	v_add_f64 v[52:53], v[52:53], -v[74:75]
	v_add_f64 v[42:43], v[58:59], -v[42:43]
	v_fma_f64 v[76:77], -v[56:57], v[70:71], 1.0
	v_add_f64 v[58:59], v[48:49], v[50:51]
	v_add_f64 v[46:47], v[52:53], -v[46:47]
	v_fma_f64 v[52:53], v[70:71], v[76:77], v[70:71]
	v_add_f64 v[48:49], v[58:59], -v[48:49]
	v_add_f64 v[6:7], v[6:7], v[46:47]
	v_mul_f64 v[46:47], v[72:73], v[52:53]
	v_add_f64 v[6:7], v[42:43], v[6:7]
	v_fma_f64 v[42:43], -v[56:57], v[46:47], v[72:73]
	v_add_f64 v[6:7], v[74:75], v[6:7]
	v_div_fmas_f64 v[42:43], v[42:43], v[52:53], v[46:47]
	v_add_f64 v[46:47], v[50:51], -v[48:49]
	v_cmp_gt_i32_e32 vcc, 0, v10
	v_cndmask_b32_e32 v18, v68, v69, vcc
	v_cndmask_b32_e32 v15, v66, v67, vcc
	v_mul_f64 v[6:7], v[40:41], v[6:7]
	v_add_f64 v[6:7], v[46:47], v[6:7]
	v_div_fixup_f64 v[40:41], v[42:43], v[54:55], v[44:45]
	v_cvt_f64_i32_e32 v[54:55], v5
	v_mul_f64 v[56:57], v[54:55], s[40:41]
	v_add_f64 v[42:43], v[58:59], v[6:7]
	v_mul_f64 v[44:45], v[40:41], v[40:41]
	v_mul_f64 v[46:47], v[42:43], v[42:43]
	v_fma_f64 v[48:49], v[44:45], s[10:11], v[21:22]
	s_mov_b32 s10, 0x69efb384
	s_mov_b32 s11, 0x3f4b2bb0
	v_fma_f64 v[50:51], v[46:47], s[28:29], v[19:20]
	v_mul_f64 v[52:53], v[42:43], v[46:47]
	v_fma_f64 v[48:49], v[44:45], v[48:49], s[10:11]
	s_mov_b32 s10, 0xaf56de9b
	s_mov_b32 s11, 0xbf67952d
	v_fma_f64 v[50:51], v[46:47], v[50:51], s[30:31]
	v_fma_f64 v[48:49], v[44:45], v[48:49], s[10:11]
	s_mov_b32 s10, 0xa595c56f
	s_mov_b32 s11, 0x3f7d6d43
	v_fma_f64 v[50:51], v[46:47], v[50:51], s[34:35]
	;; [unrolled: 4-line block ×5, first 2 shown]
	v_ldexp_f64 v[50:51], v[42:43], 1
	v_fma_f64 v[48:49], v[44:45], v[48:49], s[10:11]
	s_mov_b32 s10, 0x5711927a
	s_mov_b32 s11, 0x3fa2c15b
	v_add_f64 v[42:43], v[42:43], -v[58:59]
	v_mul_f64 v[46:47], v[52:53], v[46:47]
	v_fma_f64 v[48:49], v[44:45], v[48:49], s[10:11]
	s_mov_b32 s10, 0xe82d3ff0
	s_mov_b32 s11, 0xbfa59976
	v_add_f64 v[5:6], v[6:7], -v[42:43]
	v_ashrrev_i32_e32 v7, 31, v10
	v_and_b32_e32 v37, 0x54442d18, v7
	v_add_f64 v[52:53], v[50:51], v[46:47]
	v_and_b32_e32 v7, 0x400921fb, v7
	v_fma_f64 v[48:49], v[44:45], v[48:49], s[10:11]
	v_cmp_eq_f64_e64 s[10:11], 0, v[11:12]
	v_ldexp_f64 v[5:6], v[5:6], 1
	v_add_f64 v[42:43], v[52:53], -v[50:51]
	v_fma_f64 v[50:51], v[54:55], s[40:41], -v[56:57]
	v_fma_f64 v[48:49], v[44:45], v[48:49], s[62:63]
	v_add_f64 v[42:43], v[46:47], -v[42:43]
	v_fma_f64 v[46:47], v[44:45], v[48:49], s[64:65]
	v_fma_f64 v[48:49], v[54:55], s[42:43], v[50:51]
	v_add_f64 v[5:6], v[5:6], v[42:43]
	v_fma_f64 v[42:43], v[44:45], v[46:47], s[66:67]
	v_add_f64 v[46:47], v[56:57], v[48:49]
	v_add_f64 v[50:51], v[52:53], v[5:6]
	v_fma_f64 v[42:43], v[44:45], v[42:43], s[68:69]
	v_add_f64 v[56:57], v[46:47], -v[56:57]
	v_add_f64 v[54:55], v[46:47], v[50:51]
	v_add_f64 v[52:53], v[50:51], -v[52:53]
	v_fma_f64 v[42:43], v[44:45], v[42:43], s[70:71]
	v_add_f64 v[48:49], v[48:49], -v[56:57]
	v_add_f64 v[58:59], v[54:55], -v[46:47]
	;; [unrolled: 1-line block ×3, first 2 shown]
	v_fma_f64 v[42:43], v[44:45], v[42:43], s[72:73]
	v_add_f64 v[60:61], v[54:55], -v[58:59]
	v_add_f64 v[50:51], v[50:51], -v[58:59]
	v_fma_f64 v[42:43], v[44:45], v[42:43], s[74:75]
	v_add_f64 v[52:53], v[48:49], v[5:6]
	v_add_f64 v[46:47], v[46:47], -v[60:61]
	v_fma_f64 v[42:43], v[44:45], v[42:43], s[76:77]
	v_add_f64 v[46:47], v[50:51], v[46:47]
	;; [unrolled: 3-line block ×3, first 2 shown]
	v_add_f64 v[52:53], v[52:53], -v[50:51]
	v_fma_f64 v[42:43], v[44:45], v[42:43], s[80:81]
	v_add_f64 v[5:6], v[5:6], -v[50:51]
	v_add_f64 v[56:57], v[54:55], v[46:47]
	v_mul_f64 v[42:43], v[44:45], v[42:43]
	v_add_f64 v[44:45], v[48:49], -v[52:53]
	v_add_f64 v[48:49], v[56:57], -v[54:55]
	v_fma_f64 v[40:41], v[40:41], v[42:43], v[40:41]
	v_add_f64 v[5:6], v[5:6], v[44:45]
	v_add_f64 v[42:43], v[46:47], -v[48:49]
	v_add_f64 v[44:45], -v[40:41], s[22:23]
	v_add_f64 v[5:6], v[5:6], v[42:43]
	v_cndmask_b32_e64 v41, v41, v45, s[8:9]
	v_cndmask_b32_e64 v40, v40, v44, s[8:9]
	v_add_f64 v[42:43], -v[40:41], s[82:83]
	v_add_f64 v[5:6], v[56:57], v[5:6]
	v_cndmask_b32_e32 v40, v40, v42, vcc
	v_mul_f64 v[9:10], v[5:6], 0.5
	v_cndmask_b32_e32 v6, v41, v43, vcc
	v_bfi_b32 v5, s59, v18, v12
	v_cndmask_b32_e64 v18, v40, v37, s[10:11]
	v_cndmask_b32_e64 v6, v6, v7, s[10:11]
	s_and_b64 s[10:11], s[12:13], s[14:15]
	s_and_b64 vcc, s[50:51], s[52:53]
	v_cndmask_b32_e32 v6, v6, v5, vcc
	v_cndmask_b32_e64 v37, 0, v9, s[10:11]
	v_cmp_ngt_f64_e64 s[10:11], -1.0, v[38:39]
	v_cndmask_b32_e64 v5, v63, v10, s[14:15]
	s_mov_b32 s50, 0x69efb384
	s_mov_b32 s52, 0xb5e68a13
	;; [unrolled: 1-line block ×4, first 2 shown]
	v_cndmask_b32_e64 v5, v64, v5, s[10:11]
	v_cmp_neq_f64_e64 s[10:11], -1.0, v[38:39]
	v_cndmask_b32_e64 v38, v65, v5, s[10:11]
	v_cndmask_b32_e32 v5, v18, v15, vcc
.LBB179_234:                            ;   in Loop: Header=BB179_145 Depth=1
	s_or_b64 exec, exec, s[48:49]
.LBB179_235:                            ;   in Loop: Header=BB179_145 Depth=1
	s_or_b64 exec, exec, s[46:47]
.LBB179_236:                            ;   in Loop: Header=BB179_145 Depth=1
	s_andn2_saveexec_b64 s[14:15], s[86:87]
	s_cbranch_execz .LBB179_238
; %bb.237:                              ;   in Loop: Header=BB179_145 Depth=1
	v_max_f64 v[5:6], |v[11:12]|, |v[11:12]|
	v_max_f64 v[40:41], |v[9:10]|, |v[9:10]|
	v_cmp_class_f64_e64 s[46:47], v[9:10], s60
	v_cmp_class_f64_e64 s[48:49], v[11:12], s60
	s_mov_b32 s95, s27
	s_mov_b32 s82, s22
	v_max_f64 v[42:43], v[40:41], v[5:6]
	v_min_f64 v[5:6], v[40:41], v[5:6]
	v_frexp_exp_i32_f64_e32 v7, v[42:43]
	v_sub_u32_e32 v15, 0, v7
	v_ldexp_f64 v[37:38], |v[11:12]|, v15
	v_ldexp_f64 v[44:45], |v[9:10]|, v15
	v_mul_f64 v[37:38], v[37:38], v[37:38]
	v_fma_f64 v[37:38], v[44:45], v[44:45], v[37:38]
	v_rsq_f64_e32 v[44:45], v[37:38]
	v_cmp_eq_f64_e32 vcc, 0, v[37:38]
	v_mul_f64 v[46:47], v[37:38], v[44:45]
	v_mul_f64 v[44:45], v[44:45], 0.5
	v_fma_f64 v[48:49], -v[44:45], v[46:47], 0.5
	v_fma_f64 v[46:47], v[46:47], v[48:49], v[46:47]
	v_fma_f64 v[44:45], v[44:45], v[48:49], v[44:45]
	v_fma_f64 v[48:49], -v[46:47], v[46:47], v[37:38]
	v_fma_f64 v[44:45], v[48:49], v[44:45], v[46:47]
	v_cndmask_b32_e32 v38, v45, v38, vcc
	v_cndmask_b32_e32 v37, v44, v37, vcc
	v_ldexp_f64 v[37:38], v[37:38], v7
	s_or_b64 vcc, s[48:49], s[46:47]
	v_cndmask_b32_e32 v39, v38, v63, vcc
	v_cndmask_b32_e64 v38, v37, 0, vcc
	v_frexp_mant_f64_e32 v[44:45], v[38:39]
	v_cmp_gt_f64_e64 s[10:11], s[26:27], v[44:45]
	v_cndmask_b32_e64 v7, 0, 1, s[10:11]
	v_ldexp_f64 v[44:45], v[44:45], v7
	v_frexp_exp_i32_f64_e32 v7, v[38:39]
	v_add_f64 v[46:47], v[44:45], 1.0
	v_add_f64 v[52:53], v[44:45], -1.0
	v_rcp_f64_e32 v[48:49], v[46:47]
	v_add_f64 v[56:57], v[46:47], -1.0
	v_add_f64 v[44:45], v[44:45], -v[56:57]
	v_fma_f64 v[50:51], -v[46:47], v[48:49], 1.0
	v_fma_f64 v[40:41], v[50:51], v[48:49], v[48:49]
	v_div_scale_f64 v[48:49], s[12:13], v[42:43], v[42:43], v[5:6]
	s_mov_b32 s12, 0xaf56de9b
	s_mov_b32 s13, 0xbf67952d
	v_fma_f64 v[50:51], -v[46:47], v[40:41], 1.0
	v_fma_f64 v[40:41], v[50:51], v[40:41], v[40:41]
	v_rcp_f64_e32 v[50:51], v[48:49]
	v_mul_f64 v[54:55], v[52:53], v[40:41]
	v_mul_f64 v[58:59], v[46:47], v[54:55]
	v_fma_f64 v[60:61], -v[48:49], v[50:51], 1.0
	v_fma_f64 v[46:47], v[54:55], v[46:47], -v[58:59]
	v_fma_f64 v[50:51], v[50:51], v[60:61], v[50:51]
	v_fma_f64 v[44:45], v[54:55], v[44:45], v[46:47]
	v_div_scale_f64 v[46:47], vcc, v[5:6], v[42:43], v[5:6]
	v_fma_f64 v[56:57], -v[48:49], v[50:51], 1.0
	v_add_f64 v[60:61], v[58:59], v[44:45]
	v_fma_f64 v[50:51], v[50:51], v[56:57], v[50:51]
	v_add_f64 v[56:57], v[52:53], -v[60:61]
	v_add_f64 v[58:59], v[60:61], -v[58:59]
	v_mul_f64 v[70:71], v[46:47], v[50:51]
	v_add_f64 v[52:53], v[52:53], -v[56:57]
	v_add_f64 v[44:45], v[58:59], -v[44:45]
	v_fma_f64 v[46:47], -v[48:49], v[70:71], v[46:47]
	v_add_f64 v[48:49], v[52:53], -v[60:61]
	v_div_fmas_f64 v[46:47], v[46:47], v[50:51], v[70:71]
	v_subbrev_co_u32_e64 v7, vcc, 0, v7, s[10:11]
	v_cmp_eq_f64_e64 s[10:11], 0, v[11:12]
	v_cmp_gt_i32_e32 vcc, 0, v10
	v_add_f64 v[44:45], v[44:45], v[48:49]
	v_cndmask_b32_e32 v37, v68, v69, vcc
	v_cndmask_b32_e32 v15, v66, v67, vcc
	v_bfi_b32 v37, s59, v37, v12
	v_add_f64 v[44:45], v[56:57], v[44:45]
	v_div_fixup_f64 v[5:6], v[46:47], v[42:43], v[5:6]
	v_mul_f64 v[40:41], v[40:41], v[44:45]
	v_mul_f64 v[42:43], v[5:6], v[5:6]
	v_add_f64 v[44:45], v[54:55], v[40:41]
	v_fma_f64 v[46:47], v[42:43], s[52:53], v[21:22]
	v_mul_f64 v[48:49], v[44:45], v[44:45]
	v_fma_f64 v[46:47], v[42:43], v[46:47], s[50:51]
	v_fma_f64 v[50:51], v[48:49], s[28:29], v[19:20]
	v_mul_f64 v[52:53], v[44:45], v[48:49]
	v_fma_f64 v[46:47], v[42:43], v[46:47], s[12:13]
	s_mov_b32 s12, 0xa595c56f
	s_mov_b32 s13, 0x3f7d6d43
	v_fma_f64 v[50:51], v[48:49], v[50:51], s[30:31]
	v_fma_f64 v[46:47], v[42:43], v[46:47], s[12:13]
	s_mov_b32 s12, 0xa57d9582
	s_mov_b32 s13, 0xbf8c6ea4
	v_fma_f64 v[50:51], v[48:49], v[50:51], s[34:35]
	;; [unrolled: 4-line block ×5, first 2 shown]
	v_ldexp_f64 v[50:51], v[44:45], 1
	v_add_f64 v[44:45], v[44:45], -v[54:55]
	v_fma_f64 v[46:47], v[42:43], v[46:47], s[12:13]
	s_mov_b32 s12, 0xe82d3ff0
	s_mov_b32 s13, 0xbfa59976
	v_cvt_f64_i32_e32 v[54:55], v7
	v_ashrrev_i32_e32 v7, 31, v10
	v_mul_f64 v[48:49], v[52:53], v[48:49]
	v_and_b32_e32 v18, 0x54442d18, v7
	v_mul_f64 v[56:57], v[54:55], s[40:41]
	v_fma_f64 v[46:47], v[42:43], v[46:47], s[12:13]
	v_add_f64 v[40:41], v[40:41], -v[44:45]
	v_and_b32_e32 v7, 0x400921fb, v7
	v_cmp_class_f64_e64 s[12:13], v[38:39], s60
	v_add_f64 v[52:53], v[50:51], v[48:49]
	v_fma_f64 v[46:47], v[42:43], v[46:47], s[62:63]
	v_ldexp_f64 v[40:41], v[40:41], 1
	v_add_f64 v[44:45], v[52:53], -v[50:51]
	v_fma_f64 v[50:51], v[54:55], s[40:41], -v[56:57]
	v_fma_f64 v[46:47], v[42:43], v[46:47], s[64:65]
	v_add_f64 v[44:45], v[48:49], -v[44:45]
	v_fma_f64 v[48:49], v[54:55], s[42:43], v[50:51]
	v_fma_f64 v[46:47], v[42:43], v[46:47], s[66:67]
	v_add_f64 v[40:41], v[40:41], v[44:45]
	v_fma_f64 v[44:45], v[42:43], v[46:47], s[68:69]
	v_add_f64 v[46:47], v[56:57], v[48:49]
	v_add_f64 v[50:51], v[52:53], v[40:41]
	v_fma_f64 v[44:45], v[42:43], v[44:45], s[70:71]
	v_add_f64 v[56:57], v[46:47], -v[56:57]
	v_add_f64 v[54:55], v[46:47], v[50:51]
	v_add_f64 v[52:53], v[50:51], -v[52:53]
	v_fma_f64 v[44:45], v[42:43], v[44:45], s[72:73]
	v_add_f64 v[48:49], v[48:49], -v[56:57]
	v_add_f64 v[58:59], v[54:55], -v[46:47]
	;; [unrolled: 1-line block ×3, first 2 shown]
	v_fma_f64 v[44:45], v[42:43], v[44:45], s[74:75]
	v_add_f64 v[60:61], v[54:55], -v[58:59]
	v_add_f64 v[50:51], v[50:51], -v[58:59]
	v_add_f64 v[52:53], v[48:49], v[40:41]
	v_fma_f64 v[44:45], v[42:43], v[44:45], s[76:77]
	v_add_f64 v[46:47], v[46:47], -v[60:61]
	v_fma_f64 v[44:45], v[42:43], v[44:45], s[78:79]
	v_add_f64 v[46:47], v[50:51], v[46:47]
	v_add_f64 v[50:51], v[52:53], -v[48:49]
	v_fma_f64 v[44:45], v[42:43], v[44:45], s[80:81]
	v_add_f64 v[46:47], v[52:53], v[46:47]
	v_add_f64 v[40:41], v[40:41], -v[50:51]
	v_mul_f64 v[42:43], v[42:43], v[44:45]
	v_add_f64 v[44:45], v[52:53], -v[50:51]
	v_add_f64 v[52:53], v[54:55], v[46:47]
	v_fma_f64 v[5:6], v[5:6], v[42:43], v[5:6]
	v_add_f64 v[42:43], v[48:49], -v[44:45]
	v_add_f64 v[44:45], v[52:53], -v[54:55]
	v_add_f64 v[48:49], -v[5:6], s[22:23]
	v_add_f64 v[40:41], v[40:41], v[42:43]
	v_add_f64 v[42:43], v[46:47], -v[44:45]
	v_cndmask_b32_e64 v6, v6, v49, s[8:9]
	v_cndmask_b32_e64 v5, v5, v48, s[8:9]
	v_add_f64 v[44:45], -v[5:6], s[82:83]
	v_add_f64 v[40:41], v[40:41], v[42:43]
	v_cndmask_b32_e32 v5, v5, v44, vcc
	v_cndmask_b32_e32 v6, v6, v45, vcc
	v_cndmask_b32_e64 v5, v5, v18, s[10:11]
	v_add_f64 v[9:10], v[52:53], v[40:41]
	v_cndmask_b32_e64 v6, v6, v7, s[10:11]
	v_cmp_ngt_f64_e64 s[10:11], 0, v[38:39]
	s_and_b64 vcc, s[48:49], s[46:47]
	v_cndmask_b32_e32 v6, v6, v37, vcc
	v_cndmask_b32_e32 v5, v5, v15, vcc
	v_cndmask_b32_e64 v7, v9, v38, s[12:13]
	v_cndmask_b32_e64 v9, v10, v39, s[12:13]
	;; [unrolled: 1-line block ×3, first 2 shown]
	v_cmp_nge_f64_e64 s[10:11], 0, v[38:39]
	v_cndmask_b32_e64 v37, 0, v7, s[10:11]
	v_cmp_neq_f64_e64 s[10:11], 0, v[38:39]
	v_cndmask_b32_e64 v38, v65, v9, s[10:11]
.LBB179_238:                            ;   in Loop: Header=BB179_145 Depth=1
	s_or_b64 exec, exec, s[14:15]
                                        ; implicit-def: $vgpr41_vgpr42
.LBB179_239:                            ;   in Loop: Header=BB179_145 Depth=1
	s_andn2_saveexec_b64 s[14:15], s[44:45]
	s_cbranch_execz .LBB179_245
; %bb.240:                              ;   in Loop: Header=BB179_145 Depth=1
	s_mov_b32 s10, 0x6a3f9475
	s_mov_b32 s11, 0x20ca2fe7
	v_cmp_ngt_f64_e32 vcc, s[10:11], v[41:42]
                                        ; implicit-def: $vgpr37_vgpr38
                                        ; implicit-def: $vgpr5_vgpr6
	s_and_saveexec_b64 s[10:11], vcc
	s_xor_b64 s[44:45], exec, s[10:11]
	s_cbranch_execz .LBB179_242
; %bb.241:                              ;   in Loop: Header=BB179_145 Depth=1
	v_mul_f64 v[5:6], v[41:42], v[41:42]
	s_mov_b32 s95, s27
	s_mov_b32 s82, s22
	;; [unrolled: 1-line block ×3, first 2 shown]
	v_cmp_class_f64_e64 s[46:47], v[11:12], s60
	v_cmp_class_f64_e64 s[48:49], v[9:10], s60
	s_mov_b32 s13, 0x7ff00000
	v_add_f64 v[37:38], v[5:6], 1.0
	v_cmp_neq_f64_e64 s[12:13], s[12:13], v[5:6]
	v_frexp_mant_f64_e32 v[41:42], v[37:38]
	v_frexp_exp_i32_f64_e32 v7, v[37:38]
	v_add_f64 v[39:40], v[37:38], -1.0
	v_cmp_gt_f64_e32 vcc, s[26:27], v[41:42]
	v_add_f64 v[43:44], v[39:40], -v[37:38]
	v_add_f64 v[39:40], v[5:6], -v[39:40]
	v_subbrev_co_u32_e32 v7, vcc, 0, v7, vcc
	v_sub_u32_e32 v15, 0, v7
	v_ldexp_f64 v[37:38], v[37:38], v15
	v_add_f64 v[41:42], v[43:44], 1.0
	v_add_f64 v[43:44], v[37:38], 1.0
	v_add_f64 v[39:40], v[39:40], v[41:42]
	v_add_f64 v[49:50], v[37:38], -1.0
	v_add_f64 v[41:42], v[43:44], -1.0
	v_ldexp_f64 v[39:40], v[39:40], v15
	v_add_f64 v[51:52], v[49:50], 1.0
	v_add_f64 v[41:42], v[37:38], -v[41:42]
	v_add_f64 v[37:38], v[37:38], -v[51:52]
	v_add_f64 v[41:42], v[39:40], v[41:42]
	v_add_f64 v[37:38], v[39:40], v[37:38]
	;; [unrolled: 1-line block ×4, first 2 shown]
	v_rcp_f64_e32 v[47:48], v[45:46]
	v_add_f64 v[43:44], v[43:44], -v[45:46]
	v_add_f64 v[49:50], v[49:50], -v[51:52]
	v_add_f64 v[41:42], v[41:42], v[43:44]
	v_add_f64 v[37:38], v[37:38], v[49:50]
	v_fma_f64 v[53:54], -v[45:46], v[47:48], 1.0
	v_fma_f64 v[47:48], v[53:54], v[47:48], v[47:48]
	v_fma_f64 v[39:40], -v[45:46], v[47:48], 1.0
	v_fma_f64 v[39:40], v[39:40], v[47:48], v[47:48]
	v_mul_f64 v[47:48], v[51:52], v[39:40]
	v_mul_f64 v[53:54], v[45:46], v[47:48]
	v_fma_f64 v[43:44], v[47:48], v[45:46], -v[53:54]
	v_fma_f64 v[43:44], v[47:48], v[41:42], v[43:44]
	v_add_f64 v[55:56], v[53:54], v[43:44]
	v_add_f64 v[57:58], v[51:52], -v[55:56]
	v_add_f64 v[49:50], v[55:56], -v[53:54]
	;; [unrolled: 1-line block ×4, first 2 shown]
	v_max_f64 v[49:50], |v[9:10]|, |v[9:10]|
	v_add_f64 v[51:52], v[51:52], -v[55:56]
	v_add_f64 v[37:38], v[37:38], v[51:52]
	v_add_f64 v[37:38], v[43:44], v[37:38]
	v_max_f64 v[43:44], |v[11:12]|, |v[11:12]|
	v_add_f64 v[51:52], v[57:58], v[37:38]
	v_max_f64 v[53:54], v[49:50], v[43:44]
	v_min_f64 v[43:44], v[49:50], v[43:44]
	v_mul_f64 v[49:50], v[39:40], v[51:52]
	v_add_f64 v[57:58], v[57:58], -v[51:52]
	v_div_scale_f64 v[55:56], s[10:11], v[53:54], v[53:54], v[43:44]
	s_mov_b32 s10, 0xaf56de9b
	s_mov_b32 s11, 0xbf67952d
	v_mul_f64 v[59:60], v[45:46], v[49:50]
	v_add_f64 v[37:38], v[37:38], v[57:58]
	v_fma_f64 v[45:46], v[49:50], v[45:46], -v[59:60]
	v_rcp_f64_e32 v[61:62], v[55:56]
	v_fma_f64 v[41:42], v[49:50], v[41:42], v[45:46]
	v_add_f64 v[45:46], v[59:60], v[41:42]
	v_fma_f64 v[70:71], -v[55:56], v[61:62], 1.0
	v_add_f64 v[72:73], v[51:52], -v[45:46]
	v_add_f64 v[57:58], v[45:46], -v[59:60]
	v_fma_f64 v[61:62], v[61:62], v[70:71], v[61:62]
	v_div_scale_f64 v[70:71], vcc, v[43:44], v[53:54], v[43:44]
	v_add_f64 v[51:52], v[51:52], -v[72:73]
	v_add_f64 v[41:42], v[57:58], -v[41:42]
	v_fma_f64 v[74:75], -v[55:56], v[61:62], 1.0
	v_add_f64 v[57:58], v[47:48], v[49:50]
	v_add_f64 v[45:46], v[51:52], -v[45:46]
	v_fma_f64 v[51:52], v[61:62], v[74:75], v[61:62]
	v_add_f64 v[47:48], v[57:58], -v[47:48]
	v_add_f64 v[37:38], v[37:38], v[45:46]
	v_mul_f64 v[45:46], v[70:71], v[51:52]
	v_add_f64 v[37:38], v[41:42], v[37:38]
	v_fma_f64 v[41:42], -v[55:56], v[45:46], v[70:71]
	v_add_f64 v[37:38], v[72:73], v[37:38]
	v_div_fmas_f64 v[41:42], v[41:42], v[51:52], v[45:46]
	v_add_f64 v[45:46], v[49:50], -v[47:48]
	v_cmp_gt_i32_e32 vcc, 0, v10
	v_cndmask_b32_e32 v15, v66, v67, vcc
	v_mul_f64 v[37:38], v[39:40], v[37:38]
	v_add_f64 v[37:38], v[45:46], v[37:38]
	v_div_fixup_f64 v[39:40], v[41:42], v[53:54], v[43:44]
	v_cvt_f64_i32_e32 v[53:54], v7
	v_ashrrev_i32_e32 v7, 31, v10
	v_and_b32_e32 v18, 0x54442d18, v7
	v_and_b32_e32 v7, 0x400921fb, v7
	v_mul_f64 v[55:56], v[53:54], s[40:41]
	v_add_f64 v[41:42], v[57:58], v[37:38]
	v_mul_f64 v[43:44], v[39:40], v[39:40]
	v_mul_f64 v[45:46], v[41:42], v[41:42]
	v_fma_f64 v[47:48], v[43:44], s[52:53], v[21:22]
	v_fma_f64 v[49:50], v[45:46], s[28:29], v[19:20]
	v_mul_f64 v[51:52], v[41:42], v[45:46]
	v_fma_f64 v[47:48], v[43:44], v[47:48], s[50:51]
	v_fma_f64 v[49:50], v[45:46], v[49:50], s[30:31]
	;; [unrolled: 1-line block ×3, first 2 shown]
	s_mov_b32 s10, 0xa595c56f
	s_mov_b32 s11, 0x3f7d6d43
	v_fma_f64 v[49:50], v[45:46], v[49:50], s[34:35]
	v_fma_f64 v[47:48], v[43:44], v[47:48], s[10:11]
	s_mov_b32 s10, 0xa57d9582
	s_mov_b32 s11, 0xbf8c6ea4
	v_fma_f64 v[49:50], v[45:46], v[49:50], s[36:37]
	v_fma_f64 v[47:48], v[43:44], v[47:48], s[10:11]
	;; [unrolled: 4-line block ×3, first 2 shown]
	s_mov_b32 s10, 0xfc27006a
	s_mov_b32 s11, 0xbf9e9ae6
	v_fma_f64 v[45:46], v[45:46], v[49:50], s[94:95]
	v_ldexp_f64 v[49:50], v[41:42], 1
	v_fma_f64 v[47:48], v[43:44], v[47:48], s[10:11]
	s_mov_b32 s10, 0x5711927a
	s_mov_b32 s11, 0x3fa2c15b
	v_add_f64 v[41:42], v[41:42], -v[57:58]
	v_mul_f64 v[45:46], v[51:52], v[45:46]
	v_fma_f64 v[47:48], v[43:44], v[47:48], s[10:11]
	s_mov_b32 s10, 0xe82d3ff0
	s_mov_b32 s11, 0xbfa59976
	v_add_f64 v[37:38], v[37:38], -v[41:42]
	v_add_f64 v[51:52], v[49:50], v[45:46]
	v_fma_f64 v[47:48], v[43:44], v[47:48], s[10:11]
	v_cmp_eq_f64_e64 s[10:11], 0, v[11:12]
	v_ldexp_f64 v[37:38], v[37:38], 1
	v_add_f64 v[41:42], v[51:52], -v[49:50]
	v_fma_f64 v[49:50], v[53:54], s[40:41], -v[55:56]
	v_fma_f64 v[47:48], v[43:44], v[47:48], s[62:63]
	v_add_f64 v[41:42], v[45:46], -v[41:42]
	v_fma_f64 v[45:46], v[43:44], v[47:48], s[64:65]
	v_fma_f64 v[47:48], v[53:54], s[42:43], v[49:50]
	v_add_f64 v[37:38], v[37:38], v[41:42]
	v_fma_f64 v[41:42], v[43:44], v[45:46], s[66:67]
	v_add_f64 v[45:46], v[55:56], v[47:48]
	v_add_f64 v[49:50], v[51:52], v[37:38]
	v_fma_f64 v[41:42], v[43:44], v[41:42], s[68:69]
	v_add_f64 v[55:56], v[45:46], -v[55:56]
	v_add_f64 v[53:54], v[45:46], v[49:50]
	v_add_f64 v[51:52], v[49:50], -v[51:52]
	v_fma_f64 v[41:42], v[43:44], v[41:42], s[70:71]
	v_add_f64 v[47:48], v[47:48], -v[55:56]
	v_add_f64 v[57:58], v[53:54], -v[45:46]
	;; [unrolled: 1-line block ×3, first 2 shown]
	v_fma_f64 v[41:42], v[43:44], v[41:42], s[72:73]
	v_add_f64 v[59:60], v[53:54], -v[57:58]
	v_add_f64 v[49:50], v[49:50], -v[57:58]
	v_fma_f64 v[41:42], v[43:44], v[41:42], s[74:75]
	v_add_f64 v[51:52], v[47:48], v[37:38]
	v_add_f64 v[45:46], v[45:46], -v[59:60]
	v_fma_f64 v[41:42], v[43:44], v[41:42], s[76:77]
	v_add_f64 v[45:46], v[49:50], v[45:46]
	;; [unrolled: 3-line block ×3, first 2 shown]
	v_add_f64 v[51:52], v[51:52], -v[49:50]
	v_fma_f64 v[41:42], v[43:44], v[41:42], s[80:81]
	v_add_f64 v[37:38], v[37:38], -v[49:50]
	v_add_f64 v[55:56], v[53:54], v[45:46]
	v_mul_f64 v[41:42], v[43:44], v[41:42]
	v_add_f64 v[43:44], v[47:48], -v[51:52]
	v_add_f64 v[47:48], v[55:56], -v[53:54]
	v_fma_f64 v[39:40], v[39:40], v[41:42], v[39:40]
	v_add_f64 v[37:38], v[37:38], v[43:44]
	v_add_f64 v[41:42], v[45:46], -v[47:48]
	v_add_f64 v[43:44], -v[39:40], s[22:23]
	v_add_f64 v[37:38], v[37:38], v[41:42]
	v_cndmask_b32_e64 v40, v40, v44, s[8:9]
	v_cndmask_b32_e64 v39, v39, v43, s[8:9]
	v_add_f64 v[41:42], -v[39:40], s[82:83]
	v_add_f64 v[37:38], v[55:56], v[37:38]
	v_cndmask_b32_e32 v39, v39, v41, vcc
	v_cndmask_b32_e32 v41, v68, v69, vcc
	;; [unrolled: 1-line block ×3, first 2 shown]
	v_bfi_b32 v5, s59, v41, v12
	v_mul_f64 v[9:10], v[37:38], 0.5
	v_cndmask_b32_e64 v18, v39, v18, s[10:11]
	v_cndmask_b32_e64 v6, v6, v7, s[10:11]
	s_and_b64 vcc, s[46:47], s[48:49]
	v_cndmask_b32_e32 v6, v6, v5, vcc
	v_cndmask_b32_e32 v5, v18, v15, vcc
                                        ; implicit-def: $vgpr41_vgpr42
	v_cndmask_b32_e64 v38, v63, v10, s[12:13]
	v_cndmask_b32_e64 v37, 0, v9, s[12:13]
.LBB179_242:                            ;   in Loop: Header=BB179_145 Depth=1
	s_andn2_saveexec_b64 s[12:13], s[44:45]
	s_cbranch_execz .LBB179_244
; %bb.243:                              ;   in Loop: Header=BB179_145 Depth=1
	v_max_f64 v[5:6], |v[11:12]|, |v[11:12]|
	v_max_f64 v[37:38], |v[9:10]|, |v[9:10]|
	s_mov_b32 s82, s22
	v_cmp_class_f64_e64 s[44:45], v[11:12], s60
	v_cmp_class_f64_e64 s[46:47], v[9:10], s60
	v_ashrrev_i32_e32 v7, 31, v10
	v_and_b32_e32 v18, 0x54442d18, v7
	v_and_b32_e32 v7, 0x400921fb, v7
	v_max_f64 v[39:40], v[37:38], v[5:6]
	v_min_f64 v[5:6], v[37:38], v[5:6]
	v_div_scale_f64 v[37:38], s[10:11], v[39:40], v[39:40], v[5:6]
	s_mov_b32 s10, 0xaf56de9b
	s_mov_b32 s11, 0xbf67952d
	v_rcp_f64_e32 v[43:44], v[37:38]
	v_fma_f64 v[45:46], -v[37:38], v[43:44], 1.0
	v_fma_f64 v[43:44], v[43:44], v[45:46], v[43:44]
	v_div_scale_f64 v[45:46], vcc, v[5:6], v[39:40], v[5:6]
	v_fma_f64 v[47:48], -v[37:38], v[43:44], 1.0
	v_fma_f64 v[43:44], v[43:44], v[47:48], v[43:44]
	v_mul_f64 v[47:48], v[45:46], v[43:44]
	v_fma_f64 v[37:38], -v[37:38], v[47:48], v[45:46]
	v_div_fmas_f64 v[37:38], v[37:38], v[43:44], v[47:48]
	v_mul_f64 v[43:44], v[41:42], 0.5
	v_cmp_gt_i32_e32 vcc, 0, v10
	v_cndmask_b32_e32 v9, v68, v69, vcc
	v_cndmask_b32_e32 v15, v66, v67, vcc
	v_bfi_b32 v9, s59, v9, v12
	v_div_fixup_f64 v[5:6], v[37:38], v[39:40], v[5:6]
	v_mul_f64 v[37:38], v[5:6], v[5:6]
	v_fma_f64 v[39:40], v[37:38], s[52:53], v[21:22]
	v_fma_f64 v[39:40], v[37:38], v[39:40], s[50:51]
	;; [unrolled: 1-line block ×3, first 2 shown]
	s_mov_b32 s10, 0xa595c56f
	s_mov_b32 s11, 0x3f7d6d43
	v_fma_f64 v[39:40], v[37:38], v[39:40], s[10:11]
	s_mov_b32 s10, 0xa57d9582
	s_mov_b32 s11, 0xbf8c6ea4
	v_fma_f64 v[39:40], v[37:38], v[39:40], s[10:11]
	;; [unrolled: 3-line block ×6, first 2 shown]
	v_cmp_eq_f64_e64 s[10:11], 0, v[11:12]
	v_fma_f64 v[39:40], v[37:38], v[39:40], s[62:63]
	v_fma_f64 v[39:40], v[37:38], v[39:40], s[64:65]
	;; [unrolled: 1-line block ×10, first 2 shown]
	v_mul_f64 v[37:38], v[37:38], v[39:40]
	v_fma_f64 v[5:6], v[5:6], v[37:38], v[5:6]
	v_add_f64 v[37:38], -v[5:6], s[22:23]
	v_cndmask_b32_e64 v6, v6, v38, s[8:9]
	v_cndmask_b32_e64 v5, v5, v37, s[8:9]
	v_add_f64 v[38:39], -v[5:6], s[82:83]
	v_cndmask_b32_e32 v5, v5, v38, vcc
	v_mul_f64 v[37:38], v[41:42], v[43:44]
	v_cndmask_b32_e32 v6, v6, v39, vcc
	v_cndmask_b32_e64 v5, v5, v18, s[10:11]
	v_cndmask_b32_e64 v6, v6, v7, s[10:11]
	s_and_b64 vcc, s[44:45], s[46:47]
	v_cndmask_b32_e32 v6, v6, v9, vcc
	v_cndmask_b32_e32 v5, v5, v15, vcc
.LBB179_244:                            ;   in Loop: Header=BB179_145 Depth=1
	s_or_b64 exec, exec, s[12:13]
.LBB179_245:                            ;   in Loop: Header=BB179_145 Depth=1
	s_or_b64 exec, exec, s[14:15]
.LBB179_246:                            ;   in Loop: Header=BB179_145 Depth=1
	s_andn2_saveexec_b64 s[12:13], s[20:21]
	s_cbranch_execz .LBB179_248
; %bb.247:                              ;   in Loop: Header=BB179_145 Depth=1
	v_div_scale_f64 v[5:6], s[10:11], s[88:89], s[88:89], v[9:10]
	v_div_scale_f64 v[37:38], s[10:11], s[88:89], s[88:89], v[11:12]
	;; [unrolled: 1-line block ×3, first 2 shown]
	s_mov_b32 s95, s27
	s_mov_b32 s82, s22
	v_cmp_class_f64_e64 s[20:21], v[9:10], s60
	v_rcp_f64_e32 v[39:40], v[5:6]
	v_rcp_f64_e32 v[41:42], v[37:38]
	v_fma_f64 v[43:44], -v[5:6], v[39:40], 1.0
	v_fma_f64 v[45:46], -v[37:38], v[41:42], 1.0
	v_fma_f64 v[39:40], v[39:40], v[43:44], v[39:40]
	v_div_scale_f64 v[43:44], vcc, v[9:10], s[88:89], v[9:10]
	v_fma_f64 v[41:42], v[41:42], v[45:46], v[41:42]
	v_fma_f64 v[45:46], -v[5:6], v[39:40], 1.0
	v_fma_f64 v[49:50], -v[37:38], v[41:42], 1.0
	v_fma_f64 v[39:40], v[39:40], v[45:46], v[39:40]
	v_fma_f64 v[41:42], v[41:42], v[49:50], v[41:42]
	v_mul_f64 v[45:46], v[43:44], v[39:40]
	v_mul_f64 v[49:50], v[47:48], v[41:42]
	v_fma_f64 v[5:6], -v[5:6], v[45:46], v[43:44]
	v_fma_f64 v[37:38], -v[37:38], v[49:50], v[47:48]
	v_div_fmas_f64 v[5:6], v[5:6], v[39:40], v[45:46]
	s_mov_b64 vcc, s[10:11]
	v_div_fmas_f64 v[37:38], v[37:38], v[41:42], v[49:50]
	v_max_f64 v[48:49], |v[9:10]|, |v[9:10]|
	v_div_fixup_f64 v[5:6], v[5:6], s[88:89], v[9:10]
	v_div_fixup_f64 v[37:38], v[37:38], s[88:89], v[11:12]
	v_cmp_class_f64_e64 s[10:11], v[5:6], s60
	v_max_f64 v[39:40], |v[5:6]|, |v[37:38]|
	v_cmp_class_f64_e64 s[14:15], v[37:38], s60
	v_frexp_exp_i32_f64_e32 v7, v[39:40]
	v_sub_u32_e32 v15, 0, v7
	v_ldexp_f64 v[39:40], |v[37:38]|, v15
	v_ldexp_f64 v[41:42], |v[5:6]|, v15
	v_mul_f64 v[39:40], v[39:40], v[39:40]
	v_fma_f64 v[39:40], v[41:42], v[41:42], v[39:40]
	v_rsq_f64_e32 v[41:42], v[39:40]
	v_cmp_eq_f64_e32 vcc, 0, v[39:40]
	v_mul_f64 v[43:44], v[39:40], v[41:42]
	v_mul_f64 v[41:42], v[41:42], 0.5
	v_fma_f64 v[45:46], -v[41:42], v[43:44], 0.5
	v_fma_f64 v[43:44], v[43:44], v[45:46], v[43:44]
	v_fma_f64 v[41:42], v[41:42], v[45:46], v[41:42]
	v_fma_f64 v[45:46], -v[43:44], v[43:44], v[39:40]
	v_fma_f64 v[41:42], v[45:46], v[41:42], v[43:44]
	v_max_f64 v[46:47], |v[11:12]|, |v[11:12]|
	v_cndmask_b32_e32 v40, v42, v40, vcc
	v_cndmask_b32_e32 v39, v41, v39, vcc
	v_ldexp_f64 v[39:40], v[39:40], v7
	v_cmp_o_f64_e32 vcc, v[5:6], v[37:38]
	v_cndmask_b32_e32 v5, 0, v39, vcc
	v_cndmask_b32_e32 v6, v64, v40, vcc
	s_or_b64 vcc, s[14:15], s[10:11]
	v_cndmask_b32_e32 v39, v6, v63, vcc
	v_cndmask_b32_e64 v38, v5, 0, vcc
	v_frexp_mant_f64_e32 v[5:6], v[38:39]
	v_cmp_gt_f64_e64 s[10:11], s[26:27], v[5:6]
	v_cndmask_b32_e64 v7, 0, 1, s[10:11]
	v_ldexp_f64 v[5:6], v[5:6], v7
	v_frexp_exp_i32_f64_e32 v7, v[38:39]
	v_add_f64 v[40:41], v[5:6], 1.0
	v_add_f64 v[52:53], v[5:6], -1.0
	v_rcp_f64_e32 v[42:43], v[40:41]
	v_add_f64 v[56:57], v[40:41], -1.0
	v_add_f64 v[5:6], v[5:6], -v[56:57]
	v_fma_f64 v[44:45], -v[40:41], v[42:43], 1.0
	v_fma_f64 v[42:43], v[44:45], v[42:43], v[42:43]
	v_max_f64 v[44:45], v[48:49], v[46:47]
	v_min_f64 v[46:47], v[48:49], v[46:47]
	v_fma_f64 v[48:49], -v[40:41], v[42:43], 1.0
	v_div_scale_f64 v[50:51], s[14:15], v[44:45], v[44:45], v[46:47]
	s_mov_b32 s14, 0xaf56de9b
	s_mov_b32 s15, 0xbf67952d
	v_fma_f64 v[42:43], v[48:49], v[42:43], v[42:43]
	v_mul_f64 v[48:49], v[52:53], v[42:43]
	v_rcp_f64_e32 v[54:55], v[50:51]
	v_mul_f64 v[58:59], v[40:41], v[48:49]
	v_fma_f64 v[40:41], v[48:49], v[40:41], -v[58:59]
	v_fma_f64 v[56:57], -v[50:51], v[54:55], 1.0
	v_fma_f64 v[5:6], v[48:49], v[5:6], v[40:41]
	v_fma_f64 v[40:41], v[54:55], v[56:57], v[54:55]
	v_div_scale_f64 v[56:57], vcc, v[46:47], v[44:45], v[46:47]
	v_add_f64 v[54:55], v[58:59], v[5:6]
	v_fma_f64 v[60:61], -v[50:51], v[40:41], 1.0
	v_add_f64 v[70:71], v[52:53], -v[54:55]
	v_add_f64 v[58:59], v[54:55], -v[58:59]
	v_fma_f64 v[40:41], v[40:41], v[60:61], v[40:41]
	v_add_f64 v[52:53], v[52:53], -v[70:71]
	v_add_f64 v[5:6], v[58:59], -v[5:6]
	v_mul_f64 v[60:61], v[56:57], v[40:41]
	v_add_f64 v[52:53], v[52:53], -v[54:55]
	v_fma_f64 v[50:51], -v[50:51], v[60:61], v[56:57]
	v_add_f64 v[5:6], v[5:6], v[52:53]
	v_div_fmas_f64 v[40:41], v[50:51], v[40:41], v[60:61]
	v_subbrev_co_u32_e64 v7, vcc, 0, v7, s[10:11]
	s_mov_b32 s10, 0xe82d3ff0
	s_mov_b32 s11, 0xbfa59976
	v_cmp_class_f64_e64 vcc, v[38:39], s60
	v_add_f64 v[5:6], v[70:71], v[5:6]
	v_mul_f64 v[5:6], v[42:43], v[5:6]
	v_div_fixup_f64 v[40:41], v[40:41], v[44:45], v[46:47]
	v_add_f64 v[42:43], v[48:49], v[5:6]
	v_mul_f64 v[44:45], v[40:41], v[40:41]
	v_mul_f64 v[46:47], v[42:43], v[42:43]
	v_fma_f64 v[50:51], v[44:45], s[52:53], v[21:22]
	v_fma_f64 v[52:53], v[46:47], s[28:29], v[19:20]
	v_mul_f64 v[54:55], v[42:43], v[46:47]
	v_fma_f64 v[50:51], v[44:45], v[50:51], s[50:51]
	v_fma_f64 v[52:53], v[46:47], v[52:53], s[30:31]
	;; [unrolled: 1-line block ×3, first 2 shown]
	s_mov_b32 s14, 0xa595c56f
	s_mov_b32 s15, 0x3f7d6d43
	v_fma_f64 v[52:53], v[46:47], v[52:53], s[34:35]
	v_fma_f64 v[50:51], v[44:45], v[50:51], s[14:15]
	s_mov_b32 s14, 0xa57d9582
	s_mov_b32 s15, 0xbf8c6ea4
	v_fma_f64 v[52:53], v[46:47], v[52:53], s[36:37]
	v_fma_f64 v[50:51], v[44:45], v[50:51], s[14:15]
	;; [unrolled: 4-line block ×3, first 2 shown]
	s_mov_b32 s14, 0xfc27006a
	s_mov_b32 s15, 0xbf9e9ae6
	v_fma_f64 v[46:47], v[46:47], v[52:53], s[94:95]
	v_ldexp_f64 v[52:53], v[42:43], 1
	v_fma_f64 v[50:51], v[44:45], v[50:51], s[14:15]
	s_mov_b32 s14, 0x5711927a
	s_mov_b32 s15, 0x3fa2c15b
	v_add_f64 v[42:43], v[42:43], -v[48:49]
	v_mul_f64 v[46:47], v[54:55], v[46:47]
	v_cvt_f64_i32_e32 v[54:55], v7
	v_fma_f64 v[50:51], v[44:45], v[50:51], s[14:15]
	v_cmp_class_f64_e64 s[14:15], v[11:12], s60
	v_ashrrev_i32_e32 v7, 31, v10
	v_mul_f64 v[56:57], v[54:55], s[40:41]
	v_add_f64 v[5:6], v[5:6], -v[42:43]
	v_and_b32_e32 v37, 0x54442d18, v7
	v_add_f64 v[48:49], v[52:53], v[46:47]
	v_and_b32_e32 v7, 0x400921fb, v7
	v_fma_f64 v[50:51], v[44:45], v[50:51], s[10:11]
	v_cmp_eq_f64_e64 s[10:11], 0, v[11:12]
	v_ldexp_f64 v[5:6], v[5:6], 1
	v_add_f64 v[42:43], v[48:49], -v[52:53]
	v_fma_f64 v[52:53], v[54:55], s[40:41], -v[56:57]
	v_fma_f64 v[50:51], v[44:45], v[50:51], s[62:63]
	v_add_f64 v[42:43], v[46:47], -v[42:43]
	v_fma_f64 v[46:47], v[44:45], v[50:51], s[64:65]
	v_fma_f64 v[50:51], v[54:55], s[42:43], v[52:53]
	v_add_f64 v[5:6], v[5:6], v[42:43]
	v_fma_f64 v[42:43], v[44:45], v[46:47], s[66:67]
	v_add_f64 v[46:47], v[56:57], v[50:51]
	v_add_f64 v[52:53], v[48:49], v[5:6]
	v_fma_f64 v[42:43], v[44:45], v[42:43], s[68:69]
	v_add_f64 v[56:57], v[46:47], -v[56:57]
	v_add_f64 v[54:55], v[46:47], v[52:53]
	v_add_f64 v[48:49], v[52:53], -v[48:49]
	v_fma_f64 v[42:43], v[44:45], v[42:43], s[70:71]
	v_add_f64 v[50:51], v[50:51], -v[56:57]
	v_add_f64 v[58:59], v[54:55], -v[46:47]
	;; [unrolled: 1-line block ×3, first 2 shown]
	v_fma_f64 v[42:43], v[44:45], v[42:43], s[72:73]
	v_add_f64 v[60:61], v[54:55], -v[58:59]
	v_add_f64 v[48:49], v[52:53], -v[58:59]
	v_fma_f64 v[42:43], v[44:45], v[42:43], s[74:75]
	v_add_f64 v[52:53], v[50:51], v[5:6]
	v_add_f64 v[46:47], v[46:47], -v[60:61]
	v_fma_f64 v[42:43], v[44:45], v[42:43], s[76:77]
	v_add_f64 v[46:47], v[48:49], v[46:47]
	;; [unrolled: 3-line block ×3, first 2 shown]
	v_add_f64 v[52:53], v[52:53], -v[48:49]
	v_fma_f64 v[42:43], v[44:45], v[42:43], s[80:81]
	v_add_f64 v[5:6], v[5:6], -v[48:49]
	v_add_f64 v[56:57], v[54:55], v[46:47]
	v_mul_f64 v[42:43], v[44:45], v[42:43]
	v_add_f64 v[44:45], v[50:51], -v[52:53]
	v_add_f64 v[48:49], v[56:57], -v[54:55]
	v_fma_f64 v[40:41], v[40:41], v[42:43], v[40:41]
	v_add_f64 v[5:6], v[5:6], v[44:45]
	v_add_f64 v[42:43], v[46:47], -v[48:49]
	v_add_f64 v[44:45], -v[40:41], s[22:23]
	v_add_f64 v[5:6], v[5:6], v[42:43]
	v_cndmask_b32_e64 v41, v41, v45, s[8:9]
	v_cndmask_b32_e64 v40, v40, v44, s[8:9]
	v_add_f64 v[42:43], -v[40:41], s[82:83]
	v_cmp_gt_i32_e64 s[8:9], 0, v10
	v_cndmask_b32_e64 v15, v66, v67, s[8:9]
	v_cndmask_b32_e64 v18, v68, v69, s[8:9]
	v_add_f64 v[5:6], v[56:57], v[5:6]
	v_cndmask_b32_e64 v40, v40, v42, s[8:9]
	v_cndmask_b32_e32 v6, v6, v39, vcc
	v_cndmask_b32_e32 v5, v5, v38, vcc
	v_add_f64 v[9:10], v[5:6], 1.0
	v_cndmask_b32_e64 v6, v41, v43, s[8:9]
	v_cmp_ngt_f64_e64 s[8:9], 0, v[38:39]
	v_bfi_b32 v5, s59, v18, v12
	v_cndmask_b32_e64 v6, v6, v7, s[10:11]
	s_and_b64 vcc, s[14:15], s[20:21]
	v_cndmask_b32_e32 v6, v6, v5, vcc
	v_cndmask_b32_e64 v18, v40, v37, s[10:11]
	v_cndmask_b32_e64 v5, v64, v10, s[8:9]
	v_cmp_nge_f64_e64 s[8:9], 0, v[38:39]
	v_cndmask_b32_e64 v37, 0, v9, s[8:9]
	v_cmp_neq_f64_e64 s[8:9], 0, v[38:39]
	v_cndmask_b32_e64 v38, v65, v5, s[8:9]
	v_cndmask_b32_e32 v5, v18, v15, vcc
.LBB179_248:                            ;   in Loop: Header=BB179_145 Depth=1
	s_or_b64 exec, exec, s[12:13]
.LBB179_249:                            ;   in Loop: Header=BB179_145 Depth=1
	s_andn2_saveexec_b64 s[8:9], s[24:25]
	s_cbranch_execz .LBB179_255
; %bb.250:                              ;   in Loop: Header=BB179_145 Depth=1
	v_cmp_nlt_f64_e64 s[10:11], |v[9:10]|, s[84:85]
	v_cmp_nlt_f64_e64 s[12:13], |v[11:12]|, s[84:85]
                                        ; implicit-def: $vgpr38_vgpr39
	s_or_b64 s[10:11], s[12:13], s[10:11]
	s_and_saveexec_b64 s[12:13], s[10:11]
	s_xor_b64 s[10:11], exec, s[12:13]
	s_cbranch_execz .LBB179_252
; %bb.251:                              ;   in Loop: Header=BB179_145 Depth=1
	v_mul_f64 v[5:6], v[9:10], v[9:10]
	v_fma_f64 v[38:39], v[11:12], v[11:12], v[5:6]
.LBB179_252:                            ;   in Loop: Header=BB179_145 Depth=1
	s_andn2_saveexec_b64 s[10:11], s[10:11]
	s_cbranch_execz .LBB179_254
; %bb.253:                              ;   in Loop: Header=BB179_145 Depth=1
	v_mul_f64 v[5:6], v[9:10], 4.0
	v_mul_f64 v[9:10], v[11:12], 4.0
	v_mul_f64 v[5:6], v[5:6], v[5:6]
	v_fma_f64 v[5:6], v[9:10], v[9:10], v[5:6]
	v_ldexp_f64 v[38:39], v[5:6], -4
.LBB179_254:                            ;   in Loop: Header=BB179_145 Depth=1
	s_or_b64 exec, exec, s[10:11]
	v_frexp_mant_f64_e32 v[5:6], v[38:39]
	s_mov_b32 s95, s27
	v_cmp_gt_f64_e32 vcc, s[26:27], v[5:6]
	v_cndmask_b32_e64 v7, 0, 1, vcc
	v_ldexp_f64 v[5:6], v[5:6], v7
	v_frexp_exp_i32_f64_e32 v7, v[38:39]
	v_add_f64 v[9:10], v[5:6], 1.0
	v_add_f64 v[44:45], v[5:6], -1.0
	v_subbrev_co_u32_e32 v7, vcc, 0, v7, vcc
	v_cmp_class_f64_e64 vcc, v[38:39], s60
	v_rcp_f64_e32 v[40:41], v[9:10]
	v_add_f64 v[46:47], v[9:10], -1.0
	v_add_f64 v[5:6], v[5:6], -v[46:47]
	v_fma_f64 v[42:43], -v[9:10], v[40:41], 1.0
	v_fma_f64 v[40:41], v[42:43], v[40:41], v[40:41]
	v_fma_f64 v[42:43], -v[9:10], v[40:41], 1.0
	v_fma_f64 v[40:41], v[42:43], v[40:41], v[40:41]
	v_mul_f64 v[42:43], v[44:45], v[40:41]
	v_mul_f64 v[48:49], v[9:10], v[42:43]
	v_fma_f64 v[9:10], v[42:43], v[9:10], -v[48:49]
	v_fma_f64 v[5:6], v[42:43], v[5:6], v[9:10]
	v_add_f64 v[9:10], v[48:49], v[5:6]
	v_add_f64 v[46:47], v[44:45], -v[9:10]
	v_add_f64 v[48:49], v[9:10], -v[48:49]
	;; [unrolled: 1-line block ×5, first 2 shown]
	v_add_f64 v[5:6], v[5:6], v[9:10]
	v_add_f64 v[5:6], v[46:47], v[5:6]
	v_mul_f64 v[5:6], v[40:41], v[5:6]
	v_add_f64 v[9:10], v[42:43], v[5:6]
	v_mul_f64 v[40:41], v[9:10], v[9:10]
	v_fma_f64 v[44:45], v[40:41], s[28:29], v[19:20]
	v_mul_f64 v[46:47], v[9:10], v[40:41]
	v_fma_f64 v[44:45], v[40:41], v[44:45], s[30:31]
	v_fma_f64 v[44:45], v[40:41], v[44:45], s[34:35]
	;; [unrolled: 1-line block ×5, first 2 shown]
	v_ldexp_f64 v[44:45], v[9:10], 1
	v_add_f64 v[9:10], v[9:10], -v[42:43]
	v_mul_f64 v[40:41], v[46:47], v[40:41]
	v_cvt_f64_i32_e32 v[46:47], v7
	v_add_f64 v[5:6], v[5:6], -v[9:10]
	v_mul_f64 v[48:49], v[46:47], s[40:41]
	v_add_f64 v[42:43], v[44:45], v[40:41]
	v_ldexp_f64 v[5:6], v[5:6], 1
	v_add_f64 v[9:10], v[42:43], -v[44:45]
	v_fma_f64 v[44:45], v[46:47], s[40:41], -v[48:49]
	v_add_f64 v[9:10], v[40:41], -v[9:10]
	v_fma_f64 v[40:41], v[46:47], s[42:43], v[44:45]
	v_add_f64 v[5:6], v[5:6], v[9:10]
	v_add_f64 v[9:10], v[48:49], v[40:41]
	;; [unrolled: 1-line block ×3, first 2 shown]
	v_add_f64 v[48:49], v[9:10], -v[48:49]
	v_add_f64 v[46:47], v[9:10], v[44:45]
	v_add_f64 v[42:43], v[44:45], -v[42:43]
	v_add_f64 v[40:41], v[40:41], -v[48:49]
	;; [unrolled: 1-line block ×6, first 2 shown]
	v_add_f64 v[44:45], v[40:41], v[5:6]
	v_add_f64 v[9:10], v[9:10], -v[52:53]
	v_add_f64 v[9:10], v[42:43], v[9:10]
	v_add_f64 v[42:43], v[44:45], -v[40:41]
	;; [unrolled: 2-line block ×3, first 2 shown]
	v_add_f64 v[5:6], v[5:6], -v[42:43]
	v_add_f64 v[48:49], v[46:47], v[9:10]
	v_add_f64 v[40:41], v[40:41], -v[44:45]
	v_add_f64 v[42:43], v[48:49], -v[46:47]
	v_add_f64 v[5:6], v[5:6], v[40:41]
	v_add_f64 v[9:10], v[9:10], -v[42:43]
	v_add_f64 v[5:6], v[5:6], v[9:10]
	v_add_f64 v[9:10], v[48:49], v[5:6]
	v_mov_b32_e32 v5, 0
	v_mov_b32_e32 v6, 0x7ff80000
	v_cndmask_b32_e32 v7, v9, v38, vcc
	v_cndmask_b32_e32 v9, v10, v39, vcc
	v_cmp_ngt_f64_e32 vcc, 0, v[38:39]
	v_cndmask_b32_e32 v9, v64, v9, vcc
	v_cmp_nge_f64_e32 vcc, 0, v[38:39]
	v_cndmask_b32_e32 v37, 0, v7, vcc
	v_cmp_neq_f64_e32 vcc, 0, v[38:39]
	v_cndmask_b32_e32 v38, v65, v9, vcc
.LBB179_255:                            ;   in Loop: Header=BB179_145 Depth=1
	s_or_b64 exec, exec, s[8:9]
	v_cmp_o_f64_e32 vcc, v[1:2], v[3:4]
                                        ; implicit-def: $vgpr39_vgpr40
                                        ; implicit-def: $vgpr9_vgpr10
	s_and_saveexec_b64 s[8:9], vcc
	s_xor_b64 s[24:25], exec, s[8:9]
	s_cbranch_execnz .LBB179_261
; %bb.256:                              ;   in Loop: Header=BB179_145 Depth=1
	s_andn2_saveexec_b64 s[8:9], s[24:25]
	s_cbranch_execnz .LBB179_288
.LBB179_257:                            ;   in Loop: Header=BB179_145 Depth=1
	s_or_b64 exec, exec, s[8:9]
	s_and_saveexec_b64 s[8:9], s[6:7]
	s_xor_b64 s[8:9], exec, s[8:9]
	s_cbranch_execnz .LBB179_293
.LBB179_258:                            ;   in Loop: Header=BB179_145 Depth=1
	s_or_b64 exec, exec, s[8:9]
	s_and_saveexec_b64 s[6:7], s[4:5]
	s_cbranch_execnz .LBB179_294
.LBB179_259:                            ;   in Loop: Header=BB179_145 Depth=1
	s_or_b64 exec, exec, s[6:7]
	s_and_saveexec_b64 s[4:5], s[2:3]
	s_cbranch_execnz .LBB179_295
.LBB179_260:                            ;   in Loop: Header=BB179_145 Depth=1
	s_or_b64 exec, exec, s[4:5]
	s_and_saveexec_b64 s[2:3], s[0:1]
	s_cbranch_execz .LBB179_144
	s_branch .LBB179_296
.LBB179_261:                            ;   in Loop: Header=BB179_145 Depth=1
	v_cmp_lt_f64_e64 s[8:9], |v[1:2]|, |v[3:4]|
	v_and_b32_e32 v7, 0x7fffffff, v2
	v_and_b32_e32 v11, 0x7fffffff, v4
	s_mov_b32 s10, 0x85ebc8a0
	s_mov_b32 s11, 0x7fd1ccf3
	v_mov_b32_e32 v15, v3
                                        ; implicit-def: $vgpr39_vgpr40
                                        ; implicit-def: $vgpr9_vgpr10
	v_cndmask_b32_e64 v44, v11, v7, s[8:9]
	v_cndmask_b32_e64 v43, v3, v1, s[8:9]
	v_cmp_nlt_f64_e32 vcc, s[10:11], v[43:44]
	s_and_saveexec_b64 s[10:11], vcc
	s_xor_b64 s[20:21], exec, s[10:11]
	s_cbranch_execz .LBB179_285
; %bb.262:                              ;   in Loop: Header=BB179_145 Depth=1
	v_cndmask_b32_e64 v46, v7, v11, s[8:9]
	v_cndmask_b32_e64 v45, v1, v15, s[8:9]
	v_cmp_neq_f64_e32 vcc, 1.0, v[45:46]
                                        ; implicit-def: $vgpr39_vgpr40
                                        ; implicit-def: $vgpr9_vgpr10
	s_and_saveexec_b64 s[10:11], vcc
	s_xor_b64 s[44:45], exec, s[10:11]
	s_cbranch_execz .LBB179_278
; %bb.263:                              ;   in Loop: Header=BB179_145 Depth=1
	v_max_f64 v[9:10], v[43:44], v[43:44]
	v_max_f64 v[39:40], v[45:46], v[45:46]
	s_mov_b32 s10, 0x4ad4b81f
	s_mov_b32 s11, 0x358dee7a
	v_min_f64 v[41:42], v[39:40], v[9:10]
	v_max_f64 v[9:10], v[39:40], v[9:10]
                                        ; implicit-def: $vgpr39_vgpr40
	v_cmp_ngt_f64_e32 vcc, s[10:11], v[41:42]
	s_mov_b32 s10, 0xc57e649a
	s_mov_b32 s11, 0x4a511b0e
	v_cmp_nlt_f64_e64 s[10:11], s[10:11], v[9:10]
                                        ; implicit-def: $vgpr9_vgpr10
	s_and_b64 s[10:11], s[10:11], vcc
	s_and_saveexec_b64 s[12:13], s[10:11]
	s_xor_b64 s[86:87], exec, s[12:13]
	s_cbranch_execz .LBB179_275
; %bb.264:                              ;   in Loop: Header=BB179_145 Depth=1
	v_cmp_le_f64_e32 vcc, 1.0, v[45:46]
                                        ; implicit-def: $vgpr39_vgpr40
                                        ; implicit-def: $vgpr9_vgpr10
	s_and_saveexec_b64 s[10:11], vcc
	s_xor_b64 s[46:47], exec, s[10:11]
	s_cbranch_execz .LBB179_266
; %bb.265:                              ;   in Loop: Header=BB179_145 Depth=1
	v_add_f64 v[9:10], v[45:46], -1.0
	v_add_f64 v[39:40], v[45:46], 1.0
	s_mov_b32 s95, s27
	s_mov_b32 s82, s22
	;; [unrolled: 1-line block ×4, first 2 shown]
	v_cmp_class_f64_e64 s[48:49], v[3:4], s60
	v_mul_f64 v[9:10], v[9:10], v[39:40]
	v_fma_f64 v[40:41], v[43:44], v[43:44], v[9:10]
	v_add_f64 v[9:10], v[40:41], 1.0
	v_cmp_nge_f64_e64 s[12:13], -1.0, v[40:41]
	v_cmp_neq_f64_e64 s[14:15], s[14:15], v[40:41]
	v_frexp_mant_f64_e32 v[44:45], v[9:10]
	v_frexp_exp_i32_f64_e32 v7, v[9:10]
	v_add_f64 v[42:43], v[9:10], -1.0
	v_cmp_gt_f64_e32 vcc, s[26:27], v[44:45]
	v_add_f64 v[46:47], v[42:43], -v[9:10]
	v_add_f64 v[42:43], v[40:41], -v[42:43]
	v_subbrev_co_u32_e32 v7, vcc, 0, v7, vcc
	v_sub_u32_e32 v11, 0, v7
	v_ldexp_f64 v[9:10], v[9:10], v11
	v_add_f64 v[44:45], v[46:47], 1.0
	v_add_f64 v[46:47], v[9:10], 1.0
	v_add_f64 v[42:43], v[42:43], v[44:45]
	v_add_f64 v[52:53], v[9:10], -1.0
	v_add_f64 v[44:45], v[46:47], -1.0
	v_ldexp_f64 v[42:43], v[42:43], v11
	v_add_f64 v[54:55], v[52:53], 1.0
	v_add_f64 v[44:45], v[9:10], -v[44:45]
	v_add_f64 v[9:10], v[9:10], -v[54:55]
	v_add_f64 v[44:45], v[42:43], v[44:45]
	v_add_f64 v[9:10], v[42:43], v[9:10]
	;; [unrolled: 1-line block ×4, first 2 shown]
	v_rcp_f64_e32 v[50:51], v[48:49]
	v_add_f64 v[46:47], v[48:49], -v[46:47]
	v_add_f64 v[52:53], v[54:55], -v[52:53]
	;; [unrolled: 1-line block ×4, first 2 shown]
	v_fma_f64 v[56:57], -v[48:49], v[50:51], 1.0
	v_fma_f64 v[50:51], v[56:57], v[50:51], v[50:51]
	v_fma_f64 v[42:43], -v[48:49], v[50:51], 1.0
	v_fma_f64 v[42:43], v[42:43], v[50:51], v[50:51]
	v_mul_f64 v[50:51], v[54:55], v[42:43]
	v_mul_f64 v[56:57], v[48:49], v[50:51]
	v_fma_f64 v[46:47], v[50:51], v[48:49], -v[56:57]
	v_fma_f64 v[46:47], v[50:51], v[44:45], v[46:47]
	v_add_f64 v[58:59], v[56:57], v[46:47]
	v_add_f64 v[60:61], v[54:55], -v[58:59]
	v_add_f64 v[52:53], v[58:59], -v[56:57]
	;; [unrolled: 1-line block ×4, first 2 shown]
	v_max_f64 v[52:53], |v[1:2]|, |v[1:2]|
	v_add_f64 v[54:55], v[54:55], -v[58:59]
	v_add_f64 v[9:10], v[9:10], v[54:55]
	v_add_f64 v[9:10], v[46:47], v[9:10]
	v_max_f64 v[46:47], |v[3:4]|, |v[3:4]|
	v_add_f64 v[54:55], v[60:61], v[9:10]
	v_max_f64 v[56:57], v[52:53], v[46:47]
	v_min_f64 v[46:47], v[52:53], v[46:47]
	v_mul_f64 v[52:53], v[42:43], v[54:55]
	v_add_f64 v[60:61], v[60:61], -v[54:55]
	v_div_scale_f64 v[58:59], s[10:11], v[56:57], v[56:57], v[46:47]
	s_mov_b32 s10, 0xaf56de9b
	s_mov_b32 s11, 0xbf67952d
	v_mul_f64 v[70:71], v[48:49], v[52:53]
	v_add_f64 v[9:10], v[9:10], v[60:61]
	v_fma_f64 v[48:49], v[52:53], v[48:49], -v[70:71]
	v_rcp_f64_e32 v[72:73], v[58:59]
	v_fma_f64 v[44:45], v[52:53], v[44:45], v[48:49]
	v_add_f64 v[48:49], v[70:71], v[44:45]
	v_fma_f64 v[74:75], -v[58:59], v[72:73], 1.0
	v_add_f64 v[76:77], v[54:55], -v[48:49]
	v_add_f64 v[60:61], v[48:49], -v[70:71]
	v_fma_f64 v[72:73], v[72:73], v[74:75], v[72:73]
	v_div_scale_f64 v[74:75], vcc, v[46:47], v[56:57], v[46:47]
	v_add_f64 v[54:55], v[54:55], -v[76:77]
	v_add_f64 v[44:45], v[60:61], -v[44:45]
	v_fma_f64 v[78:79], -v[58:59], v[72:73], 1.0
	v_add_f64 v[60:61], v[50:51], v[52:53]
	v_add_f64 v[48:49], v[54:55], -v[48:49]
	v_fma_f64 v[54:55], v[72:73], v[78:79], v[72:73]
	v_add_f64 v[50:51], v[60:61], -v[50:51]
	v_add_f64 v[9:10], v[9:10], v[48:49]
	v_mul_f64 v[48:49], v[74:75], v[54:55]
	v_add_f64 v[9:10], v[44:45], v[9:10]
	v_fma_f64 v[44:45], -v[58:59], v[48:49], v[74:75]
	v_add_f64 v[9:10], v[76:77], v[9:10]
	v_div_fmas_f64 v[44:45], v[44:45], v[54:55], v[48:49]
	v_add_f64 v[48:49], v[52:53], -v[50:51]
	v_cmp_gt_i32_e32 vcc, 0, v2
	v_cndmask_b32_e32 v11, v68, v69, vcc
	v_mul_f64 v[9:10], v[42:43], v[9:10]
	v_add_f64 v[9:10], v[48:49], v[9:10]
	v_div_fixup_f64 v[42:43], v[44:45], v[56:57], v[46:47]
	v_cvt_f64_i32_e32 v[56:57], v7
	v_cndmask_b32_e32 v7, v66, v67, vcc
	v_mul_f64 v[58:59], v[56:57], s[40:41]
	v_add_f64 v[44:45], v[60:61], v[9:10]
	v_mul_f64 v[46:47], v[42:43], v[42:43]
	v_mul_f64 v[48:49], v[44:45], v[44:45]
	v_fma_f64 v[50:51], v[46:47], s[52:53], v[21:22]
	v_fma_f64 v[52:53], v[48:49], s[28:29], v[19:20]
	v_mul_f64 v[54:55], v[44:45], v[48:49]
	v_fma_f64 v[50:51], v[46:47], v[50:51], s[50:51]
	v_cmp_class_f64_e64 s[50:51], v[1:2], s60
	v_ashrrev_i32_e32 v1, 31, v2
	v_and_b32_e32 v15, 0x54442d18, v1
	v_and_b32_e32 v39, 0x400921fb, v1
	v_fma_f64 v[52:53], v[48:49], v[52:53], s[30:31]
	v_fma_f64 v[50:51], v[46:47], v[50:51], s[10:11]
	s_mov_b32 s10, 0xa595c56f
	s_mov_b32 s11, 0x3f7d6d43
	v_fma_f64 v[52:53], v[48:49], v[52:53], s[34:35]
	v_fma_f64 v[50:51], v[46:47], v[50:51], s[10:11]
	s_mov_b32 s10, 0xa57d9582
	s_mov_b32 s11, 0xbf8c6ea4
	;; [unrolled: 4-line block ×4, first 2 shown]
	v_fma_f64 v[48:49], v[48:49], v[52:53], s[94:95]
	v_ldexp_f64 v[52:53], v[44:45], 1
	v_fma_f64 v[50:51], v[46:47], v[50:51], s[10:11]
	s_mov_b32 s10, 0x5711927a
	s_mov_b32 s11, 0x3fa2c15b
	v_add_f64 v[44:45], v[44:45], -v[60:61]
	v_mul_f64 v[48:49], v[54:55], v[48:49]
	v_fma_f64 v[50:51], v[46:47], v[50:51], s[10:11]
	s_mov_b32 s10, 0xe82d3ff0
	s_mov_b32 s11, 0xbfa59976
	v_add_f64 v[9:10], v[9:10], -v[44:45]
	v_add_f64 v[54:55], v[52:53], v[48:49]
	v_fma_f64 v[50:51], v[46:47], v[50:51], s[10:11]
	v_cmp_eq_f64_e64 s[10:11], 0, v[3:4]
	v_ldexp_f64 v[9:10], v[9:10], 1
	v_add_f64 v[44:45], v[54:55], -v[52:53]
	v_fma_f64 v[52:53], v[56:57], s[40:41], -v[58:59]
	v_fma_f64 v[50:51], v[46:47], v[50:51], s[62:63]
	v_add_f64 v[44:45], v[48:49], -v[44:45]
	v_fma_f64 v[48:49], v[46:47], v[50:51], s[64:65]
	v_fma_f64 v[50:51], v[56:57], s[42:43], v[52:53]
	v_add_f64 v[9:10], v[9:10], v[44:45]
	v_fma_f64 v[44:45], v[46:47], v[48:49], s[66:67]
	v_add_f64 v[48:49], v[58:59], v[50:51]
	v_add_f64 v[52:53], v[54:55], v[9:10]
	v_fma_f64 v[44:45], v[46:47], v[44:45], s[68:69]
	v_add_f64 v[58:59], v[48:49], -v[58:59]
	v_add_f64 v[56:57], v[48:49], v[52:53]
	v_add_f64 v[54:55], v[52:53], -v[54:55]
	v_fma_f64 v[44:45], v[46:47], v[44:45], s[70:71]
	v_add_f64 v[50:51], v[50:51], -v[58:59]
	v_add_f64 v[60:61], v[56:57], -v[48:49]
	v_add_f64 v[9:10], v[9:10], -v[54:55]
	v_fma_f64 v[44:45], v[46:47], v[44:45], s[72:73]
	v_add_f64 v[70:71], v[56:57], -v[60:61]
	v_add_f64 v[52:53], v[52:53], -v[60:61]
	v_fma_f64 v[44:45], v[46:47], v[44:45], s[74:75]
	v_add_f64 v[54:55], v[50:51], v[9:10]
	v_add_f64 v[48:49], v[48:49], -v[70:71]
	v_fma_f64 v[44:45], v[46:47], v[44:45], s[76:77]
	v_add_f64 v[48:49], v[52:53], v[48:49]
	;; [unrolled: 3-line block ×3, first 2 shown]
	v_add_f64 v[54:55], v[54:55], -v[52:53]
	v_fma_f64 v[44:45], v[46:47], v[44:45], s[80:81]
	v_add_f64 v[9:10], v[9:10], -v[52:53]
	v_add_f64 v[58:59], v[56:57], v[48:49]
	v_mul_f64 v[44:45], v[46:47], v[44:45]
	v_add_f64 v[46:47], v[50:51], -v[54:55]
	v_add_f64 v[50:51], v[58:59], -v[56:57]
	v_fma_f64 v[42:43], v[42:43], v[44:45], v[42:43]
	v_add_f64 v[9:10], v[9:10], v[46:47]
	v_add_f64 v[44:45], v[48:49], -v[50:51]
	v_add_f64 v[46:47], -v[42:43], s[22:23]
	v_add_f64 v[9:10], v[9:10], v[44:45]
	v_cndmask_b32_e64 v43, v43, v47, s[8:9]
	v_cndmask_b32_e64 v42, v42, v46, s[8:9]
	v_add_f64 v[44:45], -v[42:43], s[82:83]
	v_add_f64 v[9:10], v[58:59], v[9:10]
	v_cndmask_b32_e32 v18, v42, v44, vcc
	v_mul_f64 v[1:2], v[9:10], 0.5
	v_cndmask_b32_e32 v10, v43, v45, vcc
	v_bfi_b32 v9, s59, v11, v4
	v_cndmask_b32_e64 v11, v18, v15, s[10:11]
	v_cndmask_b32_e64 v10, v10, v39, s[10:11]
	s_and_b64 s[10:11], s[12:13], s[14:15]
	s_and_b64 vcc, s[48:49], s[50:51]
	s_mov_b32 s50, 0x69efb384
	v_cndmask_b32_e64 v39, 0, v1, s[10:11]
	v_cmp_ngt_f64_e64 s[10:11], -1.0, v[40:41]
	v_cndmask_b32_e64 v2, v63, v2, s[14:15]
	s_mov_b32 s51, 0x3f4b2bb0
	v_cndmask_b32_e32 v10, v10, v9, vcc
	v_cndmask_b32_e32 v9, v11, v7, vcc
                                        ; implicit-def: $vgpr43_vgpr44
                                        ; implicit-def: $vgpr45_vgpr46
	v_cndmask_b32_e64 v1, v64, v2, s[10:11]
	v_cmp_neq_f64_e64 s[10:11], -1.0, v[40:41]
	v_cndmask_b32_e64 v40, v65, v1, s[10:11]
.LBB179_266:                            ;   in Loop: Header=BB179_145 Depth=1
	s_andn2_saveexec_b64 s[46:47], s[46:47]
	s_cbranch_execz .LBB179_274
; %bb.267:                              ;   in Loop: Header=BB179_145 Depth=1
	v_mul_f64 v[9:10], v[43:44], v[43:44]
	s_mov_b32 s10, 0x66666666
	s_mov_b32 s11, 0x3fe66666
                                        ; implicit-def: $vgpr39_vgpr40
	v_fma_f64 v[41:42], v[45:46], v[45:46], v[9:10]
                                        ; implicit-def: $vgpr9_vgpr10
	v_cmp_ge_f64_e32 vcc, s[10:11], v[41:42]
	s_and_saveexec_b64 s[10:11], vcc
	s_xor_b64 s[14:15], exec, s[10:11]
	s_cbranch_execz .LBB179_269
; %bb.268:                              ;   in Loop: Header=BB179_145 Depth=1
	v_frexp_mant_f64_e32 v[9:10], v[41:42]
	v_max_f64 v[47:48], |v[3:4]|, |v[3:4]|
	v_max_f64 v[49:50], |v[1:2]|, |v[1:2]|
	s_mov_b32 s95, s27
	s_mov_b32 s82, s22
	v_cmp_class_f64_e64 s[48:49], v[3:4], s60
	v_cmp_gt_f64_e64 s[10:11], s[26:27], v[9:10]
	v_cndmask_b32_e64 v7, 0, 1, s[10:11]
	v_ldexp_f64 v[9:10], v[9:10], v7
	v_frexp_exp_i32_f64_e32 v7, v[41:42]
	v_add_f64 v[39:40], v[9:10], 1.0
	v_add_f64 v[53:54], v[9:10], -1.0
	v_rcp_f64_e32 v[43:44], v[39:40]
	v_add_f64 v[57:58], v[39:40], -1.0
	v_add_f64 v[9:10], v[9:10], -v[57:58]
	v_fma_f64 v[45:46], -v[39:40], v[43:44], 1.0
	v_fma_f64 v[43:44], v[45:46], v[43:44], v[43:44]
	v_max_f64 v[45:46], v[49:50], v[47:48]
	v_min_f64 v[47:48], v[49:50], v[47:48]
	v_fma_f64 v[49:50], -v[39:40], v[43:44], 1.0
	v_div_scale_f64 v[51:52], s[12:13], v[45:46], v[45:46], v[47:48]
	s_mov_b32 s12, 0xaf56de9b
	s_mov_b32 s13, 0xbf67952d
	v_fma_f64 v[43:44], v[49:50], v[43:44], v[43:44]
	v_mul_f64 v[49:50], v[53:54], v[43:44]
	v_rcp_f64_e32 v[55:56], v[51:52]
	v_mul_f64 v[59:60], v[39:40], v[49:50]
	v_fma_f64 v[39:40], v[49:50], v[39:40], -v[59:60]
	v_fma_f64 v[57:58], -v[51:52], v[55:56], 1.0
	v_fma_f64 v[9:10], v[49:50], v[9:10], v[39:40]
	v_fma_f64 v[39:40], v[55:56], v[57:58], v[55:56]
	v_div_scale_f64 v[57:58], vcc, v[47:48], v[45:46], v[47:48]
	v_add_f64 v[55:56], v[59:60], v[9:10]
	v_fma_f64 v[61:62], -v[51:52], v[39:40], 1.0
	v_add_f64 v[70:71], v[53:54], -v[55:56]
	v_add_f64 v[59:60], v[55:56], -v[59:60]
	v_fma_f64 v[39:40], v[39:40], v[61:62], v[39:40]
	v_add_f64 v[53:54], v[53:54], -v[70:71]
	v_add_f64 v[9:10], v[59:60], -v[9:10]
	v_mul_f64 v[61:62], v[57:58], v[39:40]
	v_add_f64 v[53:54], v[53:54], -v[55:56]
	v_fma_f64 v[51:52], -v[51:52], v[61:62], v[57:58]
	v_add_f64 v[9:10], v[9:10], v[53:54]
	v_div_fmas_f64 v[39:40], v[51:52], v[39:40], v[61:62]
	v_subbrev_co_u32_e64 v7, vcc, 0, v7, s[10:11]
	s_mov_b32 s10, 0xe82d3ff0
	s_mov_b32 s11, 0xbfa59976
	v_cmp_gt_i32_e32 vcc, 0, v2
	v_add_f64 v[9:10], v[70:71], v[9:10]
	v_cndmask_b32_e32 v18, v68, v69, vcc
	v_mul_f64 v[9:10], v[43:44], v[9:10]
	v_div_fixup_f64 v[39:40], v[39:40], v[45:46], v[47:48]
	v_add_f64 v[43:44], v[49:50], v[9:10]
	v_mul_f64 v[45:46], v[39:40], v[39:40]
	v_mul_f64 v[47:48], v[43:44], v[43:44]
	v_fma_f64 v[51:52], v[45:46], s[52:53], v[21:22]
	v_fma_f64 v[53:54], v[47:48], s[28:29], v[19:20]
	v_mul_f64 v[55:56], v[43:44], v[47:48]
	v_fma_f64 v[51:52], v[45:46], v[51:52], s[50:51]
	v_cmp_class_f64_e64 s[50:51], v[1:2], s60
	v_ashrrev_i32_e32 v1, 31, v2
	v_and_b32_e32 v11, 0x54442d18, v1
	v_fma_f64 v[53:54], v[47:48], v[53:54], s[30:31]
	v_fma_f64 v[51:52], v[45:46], v[51:52], s[12:13]
	s_mov_b32 s12, 0xa595c56f
	s_mov_b32 s13, 0x3f7d6d43
	v_fma_f64 v[53:54], v[47:48], v[53:54], s[34:35]
	v_fma_f64 v[51:52], v[45:46], v[51:52], s[12:13]
	s_mov_b32 s12, 0xa57d9582
	s_mov_b32 s13, 0xbf8c6ea4
	v_fma_f64 v[53:54], v[47:48], v[53:54], s[36:37]
	v_fma_f64 v[51:52], v[45:46], v[51:52], s[12:13]
	s_mov_b32 s12, 0x5f08b19f
	s_mov_b32 s13, 0x3f967e29
	v_fma_f64 v[53:54], v[47:48], v[53:54], s[38:39]
	v_fma_f64 v[51:52], v[45:46], v[51:52], s[12:13]
	s_mov_b32 s12, 0xfc27006a
	s_mov_b32 s13, 0xbf9e9ae6
	v_fma_f64 v[47:48], v[47:48], v[53:54], s[94:95]
	v_ldexp_f64 v[53:54], v[43:44], 1
	v_fma_f64 v[51:52], v[45:46], v[51:52], s[12:13]
	s_mov_b32 s12, 0x5711927a
	s_mov_b32 s13, 0x3fa2c15b
	v_add_f64 v[43:44], v[43:44], -v[49:50]
	v_mul_f64 v[47:48], v[55:56], v[47:48]
	v_cvt_f64_i32_e32 v[55:56], v7
	v_fma_f64 v[51:52], v[45:46], v[51:52], s[12:13]
	v_cmp_neq_f64_e64 s[12:13], 0, v[41:42]
	v_cndmask_b32_e32 v7, v66, v67, vcc
	v_mul_f64 v[57:58], v[55:56], s[40:41]
	v_add_f64 v[9:10], v[9:10], -v[43:44]
	v_add_f64 v[49:50], v[53:54], v[47:48]
	v_fma_f64 v[51:52], v[45:46], v[51:52], s[10:11]
	v_cmp_eq_f64_e64 s[10:11], 0, v[3:4]
	v_ldexp_f64 v[9:10], v[9:10], 1
	v_add_f64 v[43:44], v[49:50], -v[53:54]
	v_fma_f64 v[53:54], v[55:56], s[40:41], -v[57:58]
	v_fma_f64 v[51:52], v[45:46], v[51:52], s[62:63]
	v_add_f64 v[43:44], v[47:48], -v[43:44]
	v_fma_f64 v[47:48], v[45:46], v[51:52], s[64:65]
	v_fma_f64 v[51:52], v[55:56], s[42:43], v[53:54]
	v_add_f64 v[9:10], v[9:10], v[43:44]
	v_fma_f64 v[43:44], v[45:46], v[47:48], s[66:67]
	v_add_f64 v[47:48], v[57:58], v[51:52]
	v_add_f64 v[53:54], v[49:50], v[9:10]
	v_fma_f64 v[43:44], v[45:46], v[43:44], s[68:69]
	v_add_f64 v[57:58], v[47:48], -v[57:58]
	v_add_f64 v[55:56], v[47:48], v[53:54]
	v_add_f64 v[49:50], v[53:54], -v[49:50]
	v_fma_f64 v[43:44], v[45:46], v[43:44], s[70:71]
	v_add_f64 v[51:52], v[51:52], -v[57:58]
	v_add_f64 v[59:60], v[55:56], -v[47:48]
	;; [unrolled: 1-line block ×3, first 2 shown]
	v_fma_f64 v[43:44], v[45:46], v[43:44], s[72:73]
	v_add_f64 v[61:62], v[55:56], -v[59:60]
	v_add_f64 v[49:50], v[53:54], -v[59:60]
	v_fma_f64 v[43:44], v[45:46], v[43:44], s[74:75]
	v_add_f64 v[53:54], v[51:52], v[9:10]
	v_add_f64 v[47:48], v[47:48], -v[61:62]
	v_fma_f64 v[43:44], v[45:46], v[43:44], s[76:77]
	v_add_f64 v[47:48], v[49:50], v[47:48]
	;; [unrolled: 3-line block ×3, first 2 shown]
	v_add_f64 v[53:54], v[53:54], -v[49:50]
	v_fma_f64 v[43:44], v[45:46], v[43:44], s[80:81]
	v_add_f64 v[9:10], v[9:10], -v[49:50]
	v_add_f64 v[57:58], v[55:56], v[47:48]
	v_mul_f64 v[43:44], v[45:46], v[43:44]
	v_add_f64 v[45:46], v[51:52], -v[53:54]
	v_add_f64 v[49:50], v[57:58], -v[55:56]
	v_fma_f64 v[39:40], v[39:40], v[43:44], v[39:40]
	v_add_f64 v[9:10], v[9:10], v[45:46]
	v_add_f64 v[43:44], v[47:48], -v[49:50]
	v_add_f64 v[45:46], -v[39:40], s[22:23]
	v_add_f64 v[9:10], v[9:10], v[43:44]
	v_cndmask_b32_e64 v40, v40, v46, s[8:9]
	v_cndmask_b32_e64 v39, v39, v45, s[8:9]
	v_add_f64 v[43:44], -v[39:40], s[82:83]
                                        ; implicit-def: $vgpr45_vgpr46
	v_add_f64 v[9:10], v[57:58], v[9:10]
	v_cndmask_b32_e32 v15, v39, v43, vcc
	v_and_b32_e32 v39, 0x400921fb, v1
	v_cndmask_b32_e64 v11, v15, v11, s[10:11]
	v_mul_f64 v[1:2], v[9:10], 0.5
	v_cndmask_b32_e32 v10, v40, v44, vcc
	v_bfi_b32 v9, s59, v18, v4
	v_cndmask_b32_e64 v10, v10, v39, s[10:11]
	s_and_b64 vcc, s[48:49], s[50:51]
	s_mov_b32 s50, 0x69efb384
	s_mov_b32 s51, 0x3f4b2bb0
	v_cndmask_b32_e32 v10, v10, v9, vcc
	v_cndmask_b32_e64 v40, v65, v2, s[12:13]
	v_cndmask_b32_e64 v39, 0, v1, s[12:13]
	v_cndmask_b32_e32 v9, v11, v7, vcc
                                        ; implicit-def: $vgpr43_vgpr44
.LBB179_269:                            ;   in Loop: Header=BB179_145 Depth=1
	s_andn2_saveexec_b64 s[48:49], s[14:15]
	s_cbranch_execz .LBB179_273
; %bb.270:                              ;   in Loop: Header=BB179_145 Depth=1
	v_and_b32_e32 v18, 0x7ffffff8, v46
	v_and_b32_e32 v40, 0x7ffffff8, v44
	v_mov_b32_e32 v39, v17
	v_add_f64 v[9:10], v[45:46], -v[17:18]
	v_add_f64 v[41:42], v[43:44], -v[39:40]
	v_mov_b32_e32 v45, v17
	v_mov_b32_e32 v53, v17
	v_add_f64 v[49:50], v[17:18], v[17:18]
	v_add_f64 v[51:52], v[39:40], v[39:40]
	v_mul_f64 v[39:40], v[39:40], v[39:40]
	s_mov_b64 s[50:51], 0
	v_and_b32_e32 v46, -8, v10
	v_and_b32_e32 v54, -8, v42
	v_add_f64 v[59:60], v[9:10], -v[45:46]
	v_add_f64 v[61:62], v[41:42], -v[53:54]
	v_add_f64 v[70:71], v[45:46], v[45:46]
	v_add_f64 v[72:73], v[53:54], v[53:54]
	v_mul_f64 v[9:10], v[17:18], v[17:18]
	v_mul_f64 v[43:44], v[49:50], v[45:46]
	;; [unrolled: 1-line block ×11, first 2 shown]
.LBB179_271:                            ;   Parent Loop BB179_145 Depth=1
                                        ; =>  This Inner Loop Header: Depth=2
	v_cmp_nlt_f64_e32 vcc, v[9:10], v[39:40]
	v_cndmask_b32_e32 v62, v10, v40, vcc
	v_cndmask_b32_e32 v61, v9, v39, vcc
	v_cmp_nlt_f64_e64 s[10:11], v[61:62], v[43:44]
	v_cndmask_b32_e32 v10, v40, v10, vcc
	v_cndmask_b32_e32 v9, v39, v9, vcc
	v_cndmask_b32_e64 v71, v62, v44, s[10:11]
	v_cndmask_b32_e64 v70, v61, v43, s[10:11]
	v_cmp_nlt_f64_e64 s[12:13], v[70:71], v[41:42]
	v_cndmask_b32_e64 v40, v44, v62, s[10:11]
	v_cndmask_b32_e64 v39, v43, v61, s[10:11]
	s_and_b64 s[52:53], vcc, s[10:11]
	v_cndmask_b32_e64 v73, v71, v42, s[12:13]
	v_cndmask_b32_e64 v72, v70, v41, s[12:13]
	v_cmp_nlt_f64_e64 s[14:15], v[72:73], v[47:48]
	v_cndmask_b32_e64 v44, v42, v71, s[12:13]
	v_cndmask_b32_e64 v43, v41, v70, s[12:13]
	;; [unrolled: 1-line block ×4, first 2 shown]
	v_cmp_nlt_f64_e32 vcc, v[61:62], v[53:54]
	v_cndmask_b32_e64 v42, v48, v73, s[14:15]
	v_cndmask_b32_e64 v41, v47, v72, s[14:15]
	s_and_b64 s[14:15], s[12:13], s[14:15]
	v_cndmask_b32_e32 v71, v62, v54, vcc
	v_cndmask_b32_e32 v70, v61, v53, vcc
	v_cmp_nlt_f64_e64 s[10:11], v[70:71], v[57:58]
	v_cndmask_b32_e32 v48, v54, v62, vcc
	v_cndmask_b32_e32 v47, v53, v61, vcc
	v_cndmask_b32_e64 v62, v71, v58, s[10:11]
	v_cndmask_b32_e64 v61, v70, v57, s[10:11]
	v_cmp_nlt_f64_e64 s[12:13], v[61:62], v[55:56]
	v_cndmask_b32_e64 v54, v58, v71, s[10:11]
	v_cndmask_b32_e64 v53, v57, v70, s[10:11]
	s_and_b64 s[10:11], vcc, s[10:11]
	v_cndmask_b32_e64 v71, v62, v56, s[12:13]
	v_cndmask_b32_e64 v70, v61, v55, s[12:13]
	v_cmp_nlt_f64_e32 vcc, v[70:71], v[51:52]
	v_cndmask_b32_e64 v58, v56, v62, s[12:13]
	v_cndmask_b32_e64 v57, v55, v61, s[12:13]
	s_and_b64 s[12:13], s[10:11], s[12:13]
	v_cndmask_b32_e32 v62, v71, v52, vcc
	v_cndmask_b32_e32 v61, v70, v51, vcc
	v_cmp_nlt_f64_e64 s[10:11], v[61:62], v[49:50]
	v_cndmask_b32_e32 v56, v52, v71, vcc
	v_cndmask_b32_e32 v55, v51, v70, vcc
	s_and_b64 s[12:13], s[12:13], vcc
	v_cndmask_b32_e64 v71, v62, v50, s[10:11]
	v_cndmask_b32_e64 v70, v61, v49, s[10:11]
	v_cmp_nlt_f64_e32 vcc, v[70:71], v[45:46]
	v_cndmask_b32_e64 v52, v50, v62, s[10:11]
	v_cndmask_b32_e64 v51, v49, v61, s[10:11]
	s_and_b64 s[12:13], s[12:13], s[10:11]
	v_cndmask_b32_e32 v73, v71, v46, vcc
	v_cndmask_b32_e32 v72, v70, v45, vcc
	v_cmp_nlt_f64_e64 s[10:11], v[72:73], v[59:60]
	s_and_b64 s[12:13], s[12:13], vcc
	v_cndmask_b32_e32 v50, v46, v71, vcc
	v_cndmask_b32_e32 v49, v45, v70, vcc
	v_cndmask_b32_e64 v62, v73, v60, s[10:11]
	v_cndmask_b32_e64 v61, v72, v59, s[10:11]
	;; [unrolled: 1-line block ×4, first 2 shown]
	s_and_b64 s[10:11], s[12:13], s[10:11]
	s_and_b64 s[10:11], s[10:11], s[14:15]
	;; [unrolled: 1-line block ×3, first 2 shown]
	s_and_b64 s[10:11], exec, s[10:11]
	v_mov_b32_e32 v59, v61
	s_or_b64 s[50:51], s[10:11], s[50:51]
	v_mov_b32_e32 v60, v62
	s_andn2_b64 exec, exec, s[50:51]
	s_cbranch_execnz .LBB179_271
; %bb.272:                              ;   in Loop: Header=BB179_145 Depth=1
	s_or_b64 exec, exec, s[50:51]
	v_add_f64 v[9:10], v[9:10], -1.0
	s_mov_b32 s95, s27
	s_mov_b32 s82, s22
	s_mov_b32 s14, 0
	s_mov_b32 s15, 0x7ff00000
	v_cmp_class_f64_e64 s[52:53], v[1:2], s60
	v_cmp_class_f64_e64 s[50:51], v[3:4], s60
	v_add_f64 v[9:10], v[9:10], v[39:40]
	v_add_f64 v[9:10], v[9:10], v[43:44]
	;; [unrolled: 1-line block ×11, first 2 shown]
	v_add_f64 v[9:10], v[40:41], 1.0
	v_cmp_nge_f64_e64 s[12:13], -1.0, v[40:41]
	v_cmp_neq_f64_e64 s[14:15], s[14:15], v[40:41]
	v_frexp_mant_f64_e32 v[44:45], v[9:10]
	v_frexp_exp_i32_f64_e32 v7, v[9:10]
	v_add_f64 v[42:43], v[9:10], -1.0
	v_cmp_gt_f64_e32 vcc, s[26:27], v[44:45]
	v_add_f64 v[46:47], v[42:43], -v[9:10]
	v_add_f64 v[42:43], v[40:41], -v[42:43]
	v_subbrev_co_u32_e32 v7, vcc, 0, v7, vcc
	v_sub_u32_e32 v11, 0, v7
	v_ldexp_f64 v[9:10], v[9:10], v11
	v_add_f64 v[44:45], v[46:47], 1.0
	v_add_f64 v[46:47], v[9:10], 1.0
	v_add_f64 v[42:43], v[42:43], v[44:45]
	v_add_f64 v[52:53], v[9:10], -1.0
	v_add_f64 v[44:45], v[46:47], -1.0
	v_ldexp_f64 v[42:43], v[42:43], v11
	v_add_f64 v[54:55], v[52:53], 1.0
	v_add_f64 v[44:45], v[9:10], -v[44:45]
	v_add_f64 v[9:10], v[9:10], -v[54:55]
	v_add_f64 v[44:45], v[42:43], v[44:45]
	v_add_f64 v[9:10], v[42:43], v[9:10]
	;; [unrolled: 1-line block ×4, first 2 shown]
	v_rcp_f64_e32 v[50:51], v[48:49]
	v_add_f64 v[46:47], v[48:49], -v[46:47]
	v_add_f64 v[52:53], v[54:55], -v[52:53]
	;; [unrolled: 1-line block ×4, first 2 shown]
	v_fma_f64 v[56:57], -v[48:49], v[50:51], 1.0
	v_fma_f64 v[50:51], v[56:57], v[50:51], v[50:51]
	v_fma_f64 v[42:43], -v[48:49], v[50:51], 1.0
	v_fma_f64 v[42:43], v[42:43], v[50:51], v[50:51]
	v_mul_f64 v[50:51], v[54:55], v[42:43]
	v_mul_f64 v[56:57], v[48:49], v[50:51]
	v_fma_f64 v[46:47], v[50:51], v[48:49], -v[56:57]
	v_fma_f64 v[46:47], v[50:51], v[44:45], v[46:47]
	v_add_f64 v[58:59], v[56:57], v[46:47]
	v_add_f64 v[60:61], v[54:55], -v[58:59]
	v_add_f64 v[52:53], v[58:59], -v[56:57]
	;; [unrolled: 1-line block ×4, first 2 shown]
	v_max_f64 v[52:53], |v[1:2]|, |v[1:2]|
	v_ashrrev_i32_e32 v1, 31, v2
	v_and_b32_e32 v15, 0x54442d18, v1
	v_and_b32_e32 v39, 0x400921fb, v1
	v_add_f64 v[54:55], v[54:55], -v[58:59]
	v_add_f64 v[9:10], v[9:10], v[54:55]
	v_add_f64 v[9:10], v[46:47], v[9:10]
	v_max_f64 v[46:47], |v[3:4]|, |v[3:4]|
	v_add_f64 v[54:55], v[60:61], v[9:10]
	v_max_f64 v[56:57], v[52:53], v[46:47]
	v_min_f64 v[46:47], v[52:53], v[46:47]
	v_mul_f64 v[52:53], v[42:43], v[54:55]
	v_add_f64 v[60:61], v[60:61], -v[54:55]
	v_div_scale_f64 v[58:59], s[10:11], v[56:57], v[56:57], v[46:47]
	s_mov_b32 s10, 0xb5e68a13
	s_mov_b32 s11, 0x3eeba404
	v_mul_f64 v[70:71], v[48:49], v[52:53]
	v_add_f64 v[9:10], v[9:10], v[60:61]
	v_fma_f64 v[48:49], v[52:53], v[48:49], -v[70:71]
	v_rcp_f64_e32 v[72:73], v[58:59]
	v_fma_f64 v[44:45], v[52:53], v[44:45], v[48:49]
	v_add_f64 v[48:49], v[70:71], v[44:45]
	v_fma_f64 v[74:75], -v[58:59], v[72:73], 1.0
	v_add_f64 v[76:77], v[54:55], -v[48:49]
	v_add_f64 v[60:61], v[48:49], -v[70:71]
	v_fma_f64 v[72:73], v[72:73], v[74:75], v[72:73]
	v_div_scale_f64 v[74:75], vcc, v[46:47], v[56:57], v[46:47]
	v_add_f64 v[54:55], v[54:55], -v[76:77]
	v_add_f64 v[44:45], v[60:61], -v[44:45]
	v_fma_f64 v[78:79], -v[58:59], v[72:73], 1.0
	v_add_f64 v[60:61], v[50:51], v[52:53]
	v_add_f64 v[48:49], v[54:55], -v[48:49]
	v_fma_f64 v[54:55], v[72:73], v[78:79], v[72:73]
	v_add_f64 v[50:51], v[60:61], -v[50:51]
	v_add_f64 v[9:10], v[9:10], v[48:49]
	v_mul_f64 v[48:49], v[74:75], v[54:55]
	v_add_f64 v[9:10], v[44:45], v[9:10]
	v_fma_f64 v[44:45], -v[58:59], v[48:49], v[74:75]
	v_add_f64 v[9:10], v[76:77], v[9:10]
	v_div_fmas_f64 v[44:45], v[44:45], v[54:55], v[48:49]
	v_add_f64 v[48:49], v[52:53], -v[50:51]
	v_cmp_gt_i32_e32 vcc, 0, v2
	v_cndmask_b32_e32 v11, v68, v69, vcc
	v_mul_f64 v[9:10], v[42:43], v[9:10]
	v_add_f64 v[9:10], v[48:49], v[9:10]
	v_div_fixup_f64 v[42:43], v[44:45], v[56:57], v[46:47]
	v_cvt_f64_i32_e32 v[56:57], v7
	v_cndmask_b32_e32 v7, v66, v67, vcc
	v_mul_f64 v[58:59], v[56:57], s[40:41]
	v_add_f64 v[44:45], v[60:61], v[9:10]
	v_mul_f64 v[46:47], v[42:43], v[42:43]
	v_mul_f64 v[48:49], v[44:45], v[44:45]
	v_fma_f64 v[50:51], v[46:47], s[10:11], v[21:22]
	s_mov_b32 s10, 0x69efb384
	s_mov_b32 s11, 0x3f4b2bb0
	v_fma_f64 v[52:53], v[48:49], s[28:29], v[19:20]
	v_mul_f64 v[54:55], v[44:45], v[48:49]
	v_fma_f64 v[50:51], v[46:47], v[50:51], s[10:11]
	s_mov_b32 s10, 0xaf56de9b
	s_mov_b32 s11, 0xbf67952d
	v_fma_f64 v[52:53], v[48:49], v[52:53], s[30:31]
	v_fma_f64 v[50:51], v[46:47], v[50:51], s[10:11]
	s_mov_b32 s10, 0xa595c56f
	s_mov_b32 s11, 0x3f7d6d43
	v_fma_f64 v[52:53], v[48:49], v[52:53], s[34:35]
	;; [unrolled: 4-line block ×5, first 2 shown]
	v_ldexp_f64 v[52:53], v[44:45], 1
	v_fma_f64 v[50:51], v[46:47], v[50:51], s[10:11]
	s_mov_b32 s10, 0x5711927a
	s_mov_b32 s11, 0x3fa2c15b
	v_add_f64 v[44:45], v[44:45], -v[60:61]
	v_mul_f64 v[48:49], v[54:55], v[48:49]
	v_fma_f64 v[50:51], v[46:47], v[50:51], s[10:11]
	s_mov_b32 s10, 0xe82d3ff0
	s_mov_b32 s11, 0xbfa59976
	v_add_f64 v[9:10], v[9:10], -v[44:45]
	v_add_f64 v[54:55], v[52:53], v[48:49]
	v_fma_f64 v[50:51], v[46:47], v[50:51], s[10:11]
	v_cmp_eq_f64_e64 s[10:11], 0, v[3:4]
	v_ldexp_f64 v[9:10], v[9:10], 1
	v_add_f64 v[44:45], v[54:55], -v[52:53]
	v_fma_f64 v[52:53], v[56:57], s[40:41], -v[58:59]
	v_fma_f64 v[50:51], v[46:47], v[50:51], s[62:63]
	v_add_f64 v[44:45], v[48:49], -v[44:45]
	v_fma_f64 v[48:49], v[46:47], v[50:51], s[64:65]
	v_fma_f64 v[50:51], v[56:57], s[42:43], v[52:53]
	v_add_f64 v[9:10], v[9:10], v[44:45]
	v_fma_f64 v[44:45], v[46:47], v[48:49], s[66:67]
	v_add_f64 v[48:49], v[58:59], v[50:51]
	v_add_f64 v[52:53], v[54:55], v[9:10]
	v_fma_f64 v[44:45], v[46:47], v[44:45], s[68:69]
	v_add_f64 v[58:59], v[48:49], -v[58:59]
	v_add_f64 v[56:57], v[48:49], v[52:53]
	v_add_f64 v[54:55], v[52:53], -v[54:55]
	v_fma_f64 v[44:45], v[46:47], v[44:45], s[70:71]
	v_add_f64 v[50:51], v[50:51], -v[58:59]
	v_add_f64 v[60:61], v[56:57], -v[48:49]
	;; [unrolled: 1-line block ×3, first 2 shown]
	v_fma_f64 v[44:45], v[46:47], v[44:45], s[72:73]
	v_add_f64 v[70:71], v[56:57], -v[60:61]
	v_add_f64 v[52:53], v[52:53], -v[60:61]
	v_fma_f64 v[44:45], v[46:47], v[44:45], s[74:75]
	v_add_f64 v[54:55], v[50:51], v[9:10]
	v_add_f64 v[48:49], v[48:49], -v[70:71]
	v_fma_f64 v[44:45], v[46:47], v[44:45], s[76:77]
	v_add_f64 v[48:49], v[52:53], v[48:49]
	;; [unrolled: 3-line block ×3, first 2 shown]
	v_add_f64 v[54:55], v[54:55], -v[52:53]
	v_fma_f64 v[44:45], v[46:47], v[44:45], s[80:81]
	v_add_f64 v[9:10], v[9:10], -v[52:53]
	v_add_f64 v[58:59], v[56:57], v[48:49]
	v_mul_f64 v[44:45], v[46:47], v[44:45]
	v_add_f64 v[46:47], v[50:51], -v[54:55]
	v_add_f64 v[50:51], v[58:59], -v[56:57]
	v_fma_f64 v[42:43], v[42:43], v[44:45], v[42:43]
	v_add_f64 v[9:10], v[9:10], v[46:47]
	v_add_f64 v[44:45], v[48:49], -v[50:51]
	v_add_f64 v[46:47], -v[42:43], s[22:23]
	v_add_f64 v[9:10], v[9:10], v[44:45]
	v_cndmask_b32_e64 v43, v43, v47, s[8:9]
	v_cndmask_b32_e64 v42, v42, v46, s[8:9]
	v_add_f64 v[44:45], -v[42:43], s[82:83]
	v_add_f64 v[9:10], v[58:59], v[9:10]
	v_cndmask_b32_e32 v18, v42, v44, vcc
	v_mul_f64 v[1:2], v[9:10], 0.5
	v_cndmask_b32_e32 v10, v43, v45, vcc
	v_bfi_b32 v9, s59, v11, v4
	v_cndmask_b32_e64 v11, v18, v15, s[10:11]
	v_cndmask_b32_e64 v10, v10, v39, s[10:11]
	s_and_b64 s[10:11], s[12:13], s[14:15]
	s_and_b64 vcc, s[50:51], s[52:53]
	s_mov_b32 s50, 0x69efb384
	v_cndmask_b32_e64 v39, 0, v1, s[10:11]
	v_cmp_ngt_f64_e64 s[10:11], -1.0, v[40:41]
	v_cndmask_b32_e64 v2, v63, v2, s[14:15]
	s_mov_b32 s52, 0xb5e68a13
	s_mov_b32 s51, 0x3f4b2bb0
	;; [unrolled: 1-line block ×3, first 2 shown]
	v_cndmask_b32_e32 v10, v10, v9, vcc
	v_cndmask_b32_e32 v9, v11, v7, vcc
	v_cndmask_b32_e64 v1, v64, v2, s[10:11]
	v_cmp_neq_f64_e64 s[10:11], -1.0, v[40:41]
	v_cndmask_b32_e64 v40, v65, v1, s[10:11]
.LBB179_273:                            ;   in Loop: Header=BB179_145 Depth=1
	s_or_b64 exec, exec, s[48:49]
.LBB179_274:                            ;   in Loop: Header=BB179_145 Depth=1
	s_or_b64 exec, exec, s[46:47]
.LBB179_275:                            ;   in Loop: Header=BB179_145 Depth=1
	s_andn2_saveexec_b64 s[14:15], s[86:87]
	s_cbranch_execz .LBB179_277
; %bb.276:                              ;   in Loop: Header=BB179_145 Depth=1
	v_max_f64 v[9:10], |v[3:4]|, |v[3:4]|
	v_max_f64 v[42:43], |v[1:2]|, |v[1:2]|
	v_cmp_class_f64_e64 s[46:47], v[1:2], s60
	v_cmp_class_f64_e64 s[48:49], v[3:4], s60
	s_mov_b32 s95, s27
	s_mov_b32 s82, s22
	v_max_f64 v[44:45], v[42:43], v[9:10]
	v_min_f64 v[9:10], v[42:43], v[9:10]
	v_frexp_exp_i32_f64_e32 v7, v[44:45]
	v_sub_u32_e32 v11, 0, v7
	v_ldexp_f64 v[39:40], |v[3:4]|, v11
	v_ldexp_f64 v[46:47], |v[1:2]|, v11
	v_mul_f64 v[39:40], v[39:40], v[39:40]
	v_fma_f64 v[39:40], v[46:47], v[46:47], v[39:40]
	v_rsq_f64_e32 v[46:47], v[39:40]
	v_cmp_eq_f64_e32 vcc, 0, v[39:40]
	v_mul_f64 v[48:49], v[39:40], v[46:47]
	v_mul_f64 v[46:47], v[46:47], 0.5
	v_fma_f64 v[50:51], -v[46:47], v[48:49], 0.5
	v_fma_f64 v[48:49], v[48:49], v[50:51], v[48:49]
	v_fma_f64 v[46:47], v[46:47], v[50:51], v[46:47]
	v_fma_f64 v[50:51], -v[48:49], v[48:49], v[39:40]
	v_fma_f64 v[46:47], v[50:51], v[46:47], v[48:49]
	v_cndmask_b32_e32 v40, v47, v40, vcc
	v_cndmask_b32_e32 v39, v46, v39, vcc
	v_ldexp_f64 v[39:40], v[39:40], v7
	s_or_b64 vcc, s[48:49], s[46:47]
	v_cndmask_b32_e32 v41, v40, v63, vcc
	v_cndmask_b32_e64 v40, v39, 0, vcc
	v_frexp_mant_f64_e32 v[46:47], v[40:41]
	v_cmp_gt_f64_e64 s[10:11], s[26:27], v[46:47]
	v_cndmask_b32_e64 v1, 0, 1, s[10:11]
	v_ldexp_f64 v[46:47], v[46:47], v1
	v_frexp_exp_i32_f64_e32 v1, v[40:41]
	v_add_f64 v[48:49], v[46:47], 1.0
	v_add_f64 v[54:55], v[46:47], -1.0
	v_rcp_f64_e32 v[50:51], v[48:49]
	v_add_f64 v[58:59], v[48:49], -1.0
	v_add_f64 v[46:47], v[46:47], -v[58:59]
	v_fma_f64 v[52:53], -v[48:49], v[50:51], 1.0
	v_fma_f64 v[42:43], v[52:53], v[50:51], v[50:51]
	v_div_scale_f64 v[50:51], s[12:13], v[44:45], v[44:45], v[9:10]
	s_mov_b32 s12, 0xaf56de9b
	s_mov_b32 s13, 0xbf67952d
	v_fma_f64 v[52:53], -v[48:49], v[42:43], 1.0
	v_fma_f64 v[42:43], v[52:53], v[42:43], v[42:43]
	v_rcp_f64_e32 v[52:53], v[50:51]
	v_mul_f64 v[56:57], v[54:55], v[42:43]
	v_mul_f64 v[60:61], v[48:49], v[56:57]
	v_fma_f64 v[70:71], -v[50:51], v[52:53], 1.0
	v_fma_f64 v[48:49], v[56:57], v[48:49], -v[60:61]
	v_fma_f64 v[52:53], v[52:53], v[70:71], v[52:53]
	v_fma_f64 v[46:47], v[56:57], v[46:47], v[48:49]
	v_div_scale_f64 v[48:49], vcc, v[9:10], v[44:45], v[9:10]
	v_fma_f64 v[58:59], -v[50:51], v[52:53], 1.0
	v_add_f64 v[70:71], v[60:61], v[46:47]
	v_fma_f64 v[52:53], v[52:53], v[58:59], v[52:53]
	v_add_f64 v[58:59], v[54:55], -v[70:71]
	v_add_f64 v[60:61], v[70:71], -v[60:61]
	v_mul_f64 v[72:73], v[48:49], v[52:53]
	v_add_f64 v[54:55], v[54:55], -v[58:59]
	v_add_f64 v[46:47], v[60:61], -v[46:47]
	v_fma_f64 v[48:49], -v[50:51], v[72:73], v[48:49]
	v_add_f64 v[50:51], v[54:55], -v[70:71]
	v_div_fmas_f64 v[48:49], v[48:49], v[52:53], v[72:73]
	v_subbrev_co_u32_e64 v1, vcc, 0, v1, s[10:11]
	v_cmp_eq_f64_e64 s[10:11], 0, v[3:4]
	v_cmp_gt_i32_e32 vcc, 0, v2
	v_add_f64 v[46:47], v[46:47], v[50:51]
	v_cndmask_b32_e32 v15, v68, v69, vcc
	v_cndmask_b32_e32 v7, v66, v67, vcc
	v_bfi_b32 v15, s59, v15, v4
	v_add_f64 v[46:47], v[58:59], v[46:47]
	v_div_fixup_f64 v[9:10], v[48:49], v[44:45], v[9:10]
	v_mul_f64 v[42:43], v[42:43], v[46:47]
	v_mul_f64 v[44:45], v[9:10], v[9:10]
	v_add_f64 v[46:47], v[56:57], v[42:43]
	v_fma_f64 v[48:49], v[44:45], s[52:53], v[21:22]
	v_mul_f64 v[50:51], v[46:47], v[46:47]
	v_fma_f64 v[48:49], v[44:45], v[48:49], s[50:51]
	v_fma_f64 v[52:53], v[50:51], s[28:29], v[19:20]
	v_mul_f64 v[54:55], v[46:47], v[50:51]
	v_fma_f64 v[48:49], v[44:45], v[48:49], s[12:13]
	s_mov_b32 s12, 0xa595c56f
	s_mov_b32 s13, 0x3f7d6d43
	v_fma_f64 v[52:53], v[50:51], v[52:53], s[30:31]
	v_fma_f64 v[48:49], v[44:45], v[48:49], s[12:13]
	s_mov_b32 s12, 0xa57d9582
	s_mov_b32 s13, 0xbf8c6ea4
	v_fma_f64 v[52:53], v[50:51], v[52:53], s[34:35]
	;; [unrolled: 4-line block ×5, first 2 shown]
	v_ldexp_f64 v[52:53], v[46:47], 1
	v_add_f64 v[46:47], v[46:47], -v[56:57]
	v_fma_f64 v[48:49], v[44:45], v[48:49], s[12:13]
	s_mov_b32 s12, 0xe82d3ff0
	s_mov_b32 s13, 0xbfa59976
	v_cvt_f64_i32_e32 v[56:57], v1
	v_ashrrev_i32_e32 v1, 31, v2
	v_mul_f64 v[50:51], v[54:55], v[50:51]
	v_and_b32_e32 v11, 0x54442d18, v1
	v_mul_f64 v[58:59], v[56:57], s[40:41]
	v_fma_f64 v[48:49], v[44:45], v[48:49], s[12:13]
	v_add_f64 v[42:43], v[42:43], -v[46:47]
	v_and_b32_e32 v18, 0x400921fb, v1
	v_cmp_class_f64_e64 s[12:13], v[40:41], s60
	v_add_f64 v[54:55], v[52:53], v[50:51]
	v_fma_f64 v[48:49], v[44:45], v[48:49], s[62:63]
	v_ldexp_f64 v[42:43], v[42:43], 1
	v_add_f64 v[46:47], v[54:55], -v[52:53]
	v_fma_f64 v[52:53], v[56:57], s[40:41], -v[58:59]
	v_fma_f64 v[48:49], v[44:45], v[48:49], s[64:65]
	v_add_f64 v[46:47], v[50:51], -v[46:47]
	v_fma_f64 v[50:51], v[56:57], s[42:43], v[52:53]
	v_fma_f64 v[48:49], v[44:45], v[48:49], s[66:67]
	v_add_f64 v[42:43], v[42:43], v[46:47]
	v_fma_f64 v[46:47], v[44:45], v[48:49], s[68:69]
	v_add_f64 v[48:49], v[58:59], v[50:51]
	v_add_f64 v[52:53], v[54:55], v[42:43]
	v_fma_f64 v[46:47], v[44:45], v[46:47], s[70:71]
	v_add_f64 v[58:59], v[48:49], -v[58:59]
	v_add_f64 v[56:57], v[48:49], v[52:53]
	v_add_f64 v[54:55], v[52:53], -v[54:55]
	v_fma_f64 v[46:47], v[44:45], v[46:47], s[72:73]
	v_add_f64 v[50:51], v[50:51], -v[58:59]
	v_add_f64 v[60:61], v[56:57], -v[48:49]
	;; [unrolled: 1-line block ×3, first 2 shown]
	v_fma_f64 v[46:47], v[44:45], v[46:47], s[74:75]
	v_add_f64 v[70:71], v[56:57], -v[60:61]
	v_add_f64 v[52:53], v[52:53], -v[60:61]
	v_add_f64 v[54:55], v[50:51], v[42:43]
	v_fma_f64 v[46:47], v[44:45], v[46:47], s[76:77]
	v_add_f64 v[48:49], v[48:49], -v[70:71]
	v_fma_f64 v[46:47], v[44:45], v[46:47], s[78:79]
	v_add_f64 v[48:49], v[52:53], v[48:49]
	v_add_f64 v[52:53], v[54:55], -v[50:51]
	v_fma_f64 v[46:47], v[44:45], v[46:47], s[80:81]
	v_add_f64 v[48:49], v[54:55], v[48:49]
	v_add_f64 v[42:43], v[42:43], -v[52:53]
	v_mul_f64 v[44:45], v[44:45], v[46:47]
	v_add_f64 v[46:47], v[54:55], -v[52:53]
	v_add_f64 v[54:55], v[56:57], v[48:49]
	v_fma_f64 v[9:10], v[9:10], v[44:45], v[9:10]
	v_add_f64 v[44:45], v[50:51], -v[46:47]
	v_add_f64 v[46:47], v[54:55], -v[56:57]
	v_add_f64 v[50:51], -v[9:10], s[22:23]
	v_add_f64 v[42:43], v[42:43], v[44:45]
	v_add_f64 v[44:45], v[48:49], -v[46:47]
	v_cndmask_b32_e64 v10, v10, v51, s[8:9]
	v_cndmask_b32_e64 v9, v9, v50, s[8:9]
	v_add_f64 v[46:47], -v[9:10], s[82:83]
	v_add_f64 v[42:43], v[42:43], v[44:45]
	v_cndmask_b32_e32 v9, v9, v46, vcc
	v_cndmask_b32_e32 v10, v10, v47, vcc
	v_cndmask_b32_e64 v9, v9, v11, s[10:11]
	v_add_f64 v[1:2], v[54:55], v[42:43]
	v_cndmask_b32_e64 v10, v10, v18, s[10:11]
	v_cmp_ngt_f64_e64 s[10:11], 0, v[40:41]
	s_and_b64 vcc, s[48:49], s[46:47]
	v_cndmask_b32_e32 v10, v10, v15, vcc
	v_cndmask_b32_e32 v9, v9, v7, vcc
	v_cndmask_b32_e64 v2, v2, v41, s[12:13]
	v_cndmask_b32_e64 v1, v1, v40, s[12:13]
	v_cndmask_b32_e64 v2, v64, v2, s[10:11]
	v_cmp_nge_f64_e64 s[10:11], 0, v[40:41]
	v_cndmask_b32_e64 v39, 0, v1, s[10:11]
	v_cmp_neq_f64_e64 s[10:11], 0, v[40:41]
	v_cndmask_b32_e64 v40, v65, v2, s[10:11]
.LBB179_277:                            ;   in Loop: Header=BB179_145 Depth=1
	s_or_b64 exec, exec, s[14:15]
                                        ; implicit-def: $vgpr43_vgpr44
.LBB179_278:                            ;   in Loop: Header=BB179_145 Depth=1
	s_andn2_saveexec_b64 s[14:15], s[44:45]
	s_cbranch_execz .LBB179_284
; %bb.279:                              ;   in Loop: Header=BB179_145 Depth=1
	s_mov_b32 s10, 0x6a3f9475
	s_mov_b32 s11, 0x20ca2fe7
	v_cmp_ngt_f64_e32 vcc, s[10:11], v[43:44]
                                        ; implicit-def: $vgpr39_vgpr40
                                        ; implicit-def: $vgpr9_vgpr10
	s_and_saveexec_b64 s[10:11], vcc
	s_xor_b64 s[44:45], exec, s[10:11]
	s_cbranch_execz .LBB179_281
; %bb.280:                              ;   in Loop: Header=BB179_145 Depth=1
	v_mul_f64 v[9:10], v[43:44], v[43:44]
	s_mov_b32 s95, s27
	s_mov_b32 s82, s22
	;; [unrolled: 1-line block ×3, first 2 shown]
	v_cmp_class_f64_e64 s[46:47], v[3:4], s60
	v_cmp_class_f64_e64 s[48:49], v[1:2], s60
	s_mov_b32 s13, 0x7ff00000
	v_add_f64 v[39:40], v[9:10], 1.0
	v_cmp_neq_f64_e64 s[12:13], s[12:13], v[9:10]
	v_frexp_mant_f64_e32 v[43:44], v[39:40]
	v_frexp_exp_i32_f64_e32 v7, v[39:40]
	v_add_f64 v[41:42], v[39:40], -1.0
	v_cmp_gt_f64_e32 vcc, s[26:27], v[43:44]
	v_add_f64 v[45:46], v[41:42], -v[39:40]
	v_add_f64 v[41:42], v[9:10], -v[41:42]
	v_subbrev_co_u32_e32 v7, vcc, 0, v7, vcc
	v_sub_u32_e32 v11, 0, v7
	v_ldexp_f64 v[39:40], v[39:40], v11
	v_add_f64 v[43:44], v[45:46], 1.0
	v_add_f64 v[45:46], v[39:40], 1.0
	v_add_f64 v[41:42], v[41:42], v[43:44]
	v_add_f64 v[51:52], v[39:40], -1.0
	v_add_f64 v[43:44], v[45:46], -1.0
	v_ldexp_f64 v[41:42], v[41:42], v11
	v_add_f64 v[53:54], v[51:52], 1.0
	v_add_f64 v[43:44], v[39:40], -v[43:44]
	v_add_f64 v[39:40], v[39:40], -v[53:54]
	v_add_f64 v[43:44], v[41:42], v[43:44]
	v_add_f64 v[39:40], v[41:42], v[39:40]
	;; [unrolled: 1-line block ×4, first 2 shown]
	v_rcp_f64_e32 v[49:50], v[47:48]
	v_add_f64 v[45:46], v[45:46], -v[47:48]
	v_add_f64 v[51:52], v[51:52], -v[53:54]
	v_add_f64 v[43:44], v[43:44], v[45:46]
	v_add_f64 v[39:40], v[39:40], v[51:52]
	v_fma_f64 v[55:56], -v[47:48], v[49:50], 1.0
	v_fma_f64 v[49:50], v[55:56], v[49:50], v[49:50]
	v_fma_f64 v[41:42], -v[47:48], v[49:50], 1.0
	v_fma_f64 v[41:42], v[41:42], v[49:50], v[49:50]
	v_mul_f64 v[49:50], v[53:54], v[41:42]
	v_mul_f64 v[55:56], v[47:48], v[49:50]
	v_fma_f64 v[45:46], v[49:50], v[47:48], -v[55:56]
	v_fma_f64 v[45:46], v[49:50], v[43:44], v[45:46]
	v_add_f64 v[57:58], v[55:56], v[45:46]
	v_add_f64 v[59:60], v[53:54], -v[57:58]
	v_add_f64 v[51:52], v[57:58], -v[55:56]
	;; [unrolled: 1-line block ×4, first 2 shown]
	v_max_f64 v[51:52], |v[1:2]|, |v[1:2]|
	v_ashrrev_i32_e32 v1, 31, v2
	v_and_b32_e32 v11, 0x54442d18, v1
	v_add_f64 v[53:54], v[53:54], -v[57:58]
	v_add_f64 v[39:40], v[39:40], v[53:54]
	v_add_f64 v[39:40], v[45:46], v[39:40]
	v_max_f64 v[45:46], |v[3:4]|, |v[3:4]|
	v_add_f64 v[53:54], v[59:60], v[39:40]
	v_max_f64 v[55:56], v[51:52], v[45:46]
	v_min_f64 v[45:46], v[51:52], v[45:46]
	v_mul_f64 v[51:52], v[41:42], v[53:54]
	v_add_f64 v[59:60], v[59:60], -v[53:54]
	v_div_scale_f64 v[57:58], s[10:11], v[55:56], v[55:56], v[45:46]
	s_mov_b32 s10, 0xaf56de9b
	s_mov_b32 s11, 0xbf67952d
	v_mul_f64 v[61:62], v[47:48], v[51:52]
	v_add_f64 v[39:40], v[39:40], v[59:60]
	v_fma_f64 v[47:48], v[51:52], v[47:48], -v[61:62]
	v_rcp_f64_e32 v[70:71], v[57:58]
	v_fma_f64 v[43:44], v[51:52], v[43:44], v[47:48]
	v_add_f64 v[47:48], v[61:62], v[43:44]
	v_fma_f64 v[72:73], -v[57:58], v[70:71], 1.0
	v_add_f64 v[74:75], v[53:54], -v[47:48]
	v_add_f64 v[59:60], v[47:48], -v[61:62]
	v_fma_f64 v[70:71], v[70:71], v[72:73], v[70:71]
	v_div_scale_f64 v[72:73], vcc, v[45:46], v[55:56], v[45:46]
	v_add_f64 v[53:54], v[53:54], -v[74:75]
	v_add_f64 v[43:44], v[59:60], -v[43:44]
	v_fma_f64 v[76:77], -v[57:58], v[70:71], 1.0
	v_add_f64 v[59:60], v[49:50], v[51:52]
	v_add_f64 v[47:48], v[53:54], -v[47:48]
	v_fma_f64 v[53:54], v[70:71], v[76:77], v[70:71]
	v_add_f64 v[49:50], v[59:60], -v[49:50]
	v_add_f64 v[39:40], v[39:40], v[47:48]
	v_mul_f64 v[47:48], v[72:73], v[53:54]
	v_add_f64 v[39:40], v[43:44], v[39:40]
	v_fma_f64 v[43:44], -v[57:58], v[47:48], v[72:73]
	v_add_f64 v[39:40], v[74:75], v[39:40]
	v_div_fmas_f64 v[43:44], v[43:44], v[53:54], v[47:48]
	v_add_f64 v[47:48], v[51:52], -v[49:50]
	v_cmp_gt_i32_e32 vcc, 0, v2
	v_cndmask_b32_e32 v18, v68, v69, vcc
	v_bfi_b32 v9, s59, v18, v4
	v_mul_f64 v[39:40], v[41:42], v[39:40]
	v_add_f64 v[39:40], v[47:48], v[39:40]
	v_div_fixup_f64 v[41:42], v[43:44], v[55:56], v[45:46]
	v_cvt_f64_i32_e32 v[55:56], v7
	v_cndmask_b32_e32 v7, v66, v67, vcc
	v_mul_f64 v[57:58], v[55:56], s[40:41]
	v_add_f64 v[43:44], v[59:60], v[39:40]
	v_mul_f64 v[45:46], v[41:42], v[41:42]
	v_mul_f64 v[47:48], v[43:44], v[43:44]
	v_fma_f64 v[49:50], v[45:46], s[52:53], v[21:22]
	v_fma_f64 v[51:52], v[47:48], s[28:29], v[19:20]
	v_mul_f64 v[53:54], v[43:44], v[47:48]
	v_fma_f64 v[49:50], v[45:46], v[49:50], s[50:51]
	v_fma_f64 v[51:52], v[47:48], v[51:52], s[30:31]
	;; [unrolled: 1-line block ×3, first 2 shown]
	s_mov_b32 s10, 0xa595c56f
	s_mov_b32 s11, 0x3f7d6d43
	v_fma_f64 v[51:52], v[47:48], v[51:52], s[34:35]
	v_fma_f64 v[49:50], v[45:46], v[49:50], s[10:11]
	s_mov_b32 s10, 0xa57d9582
	s_mov_b32 s11, 0xbf8c6ea4
	v_fma_f64 v[51:52], v[47:48], v[51:52], s[36:37]
	v_fma_f64 v[49:50], v[45:46], v[49:50], s[10:11]
	;; [unrolled: 4-line block ×3, first 2 shown]
	s_mov_b32 s10, 0xfc27006a
	s_mov_b32 s11, 0xbf9e9ae6
	v_fma_f64 v[47:48], v[47:48], v[51:52], s[94:95]
	v_ldexp_f64 v[51:52], v[43:44], 1
	v_fma_f64 v[49:50], v[45:46], v[49:50], s[10:11]
	s_mov_b32 s10, 0x5711927a
	s_mov_b32 s11, 0x3fa2c15b
	v_add_f64 v[43:44], v[43:44], -v[59:60]
	v_mul_f64 v[47:48], v[53:54], v[47:48]
	v_fma_f64 v[49:50], v[45:46], v[49:50], s[10:11]
	s_mov_b32 s10, 0xe82d3ff0
	s_mov_b32 s11, 0xbfa59976
	v_add_f64 v[39:40], v[39:40], -v[43:44]
	v_add_f64 v[53:54], v[51:52], v[47:48]
	v_fma_f64 v[49:50], v[45:46], v[49:50], s[10:11]
	v_cmp_eq_f64_e64 s[10:11], 0, v[3:4]
	v_ldexp_f64 v[39:40], v[39:40], 1
	v_add_f64 v[43:44], v[53:54], -v[51:52]
	v_fma_f64 v[51:52], v[55:56], s[40:41], -v[57:58]
	v_fma_f64 v[49:50], v[45:46], v[49:50], s[62:63]
	v_add_f64 v[43:44], v[47:48], -v[43:44]
	v_fma_f64 v[47:48], v[45:46], v[49:50], s[64:65]
	v_fma_f64 v[49:50], v[55:56], s[42:43], v[51:52]
	v_add_f64 v[39:40], v[39:40], v[43:44]
	v_fma_f64 v[43:44], v[45:46], v[47:48], s[66:67]
	v_add_f64 v[47:48], v[57:58], v[49:50]
	v_add_f64 v[51:52], v[53:54], v[39:40]
	v_fma_f64 v[43:44], v[45:46], v[43:44], s[68:69]
	v_add_f64 v[57:58], v[47:48], -v[57:58]
	v_add_f64 v[55:56], v[47:48], v[51:52]
	v_add_f64 v[53:54], v[51:52], -v[53:54]
	v_fma_f64 v[43:44], v[45:46], v[43:44], s[70:71]
	v_add_f64 v[49:50], v[49:50], -v[57:58]
	v_add_f64 v[59:60], v[55:56], -v[47:48]
	;; [unrolled: 1-line block ×3, first 2 shown]
	v_fma_f64 v[43:44], v[45:46], v[43:44], s[72:73]
	v_add_f64 v[61:62], v[55:56], -v[59:60]
	v_add_f64 v[51:52], v[51:52], -v[59:60]
	v_fma_f64 v[43:44], v[45:46], v[43:44], s[74:75]
	v_add_f64 v[53:54], v[49:50], v[39:40]
	v_add_f64 v[47:48], v[47:48], -v[61:62]
	v_fma_f64 v[43:44], v[45:46], v[43:44], s[76:77]
	v_add_f64 v[47:48], v[51:52], v[47:48]
	;; [unrolled: 3-line block ×3, first 2 shown]
	v_add_f64 v[53:54], v[53:54], -v[51:52]
	v_fma_f64 v[43:44], v[45:46], v[43:44], s[80:81]
	v_add_f64 v[39:40], v[39:40], -v[51:52]
	v_add_f64 v[57:58], v[55:56], v[47:48]
	v_mul_f64 v[43:44], v[45:46], v[43:44]
	v_add_f64 v[45:46], v[49:50], -v[53:54]
	v_add_f64 v[49:50], v[57:58], -v[55:56]
	v_fma_f64 v[41:42], v[41:42], v[43:44], v[41:42]
	v_add_f64 v[39:40], v[39:40], v[45:46]
	v_add_f64 v[43:44], v[47:48], -v[49:50]
	v_add_f64 v[45:46], -v[41:42], s[22:23]
	v_add_f64 v[39:40], v[39:40], v[43:44]
	v_cndmask_b32_e64 v42, v42, v46, s[8:9]
	v_cndmask_b32_e64 v41, v41, v45, s[8:9]
	v_add_f64 v[43:44], -v[41:42], s[82:83]
	v_add_f64 v[39:40], v[57:58], v[39:40]
	v_cndmask_b32_e32 v15, v41, v43, vcc
	v_and_b32_e32 v41, 0x400921fb, v1
	v_cndmask_b32_e32 v10, v42, v44, vcc
	v_cndmask_b32_e64 v11, v15, v11, s[10:11]
	v_mul_f64 v[1:2], v[39:40], 0.5
	v_cndmask_b32_e64 v10, v10, v41, s[10:11]
	s_and_b64 vcc, s[46:47], s[48:49]
	v_cndmask_b32_e32 v10, v10, v9, vcc
	v_cndmask_b32_e32 v9, v11, v7, vcc
                                        ; implicit-def: $vgpr43_vgpr44
	v_cndmask_b32_e64 v40, v63, v2, s[12:13]
	v_cndmask_b32_e64 v39, 0, v1, s[12:13]
.LBB179_281:                            ;   in Loop: Header=BB179_145 Depth=1
	s_andn2_saveexec_b64 s[12:13], s[44:45]
	s_cbranch_execz .LBB179_283
; %bb.282:                              ;   in Loop: Header=BB179_145 Depth=1
	v_max_f64 v[9:10], |v[3:4]|, |v[3:4]|
	v_max_f64 v[39:40], |v[1:2]|, |v[1:2]|
	s_mov_b32 s82, s22
	v_cmp_class_f64_e64 s[44:45], v[3:4], s60
	v_cmp_class_f64_e64 s[46:47], v[1:2], s60
	v_ashrrev_i32_e32 v7, 31, v2
	v_and_b32_e32 v15, 0x54442d18, v7
	v_max_f64 v[41:42], v[39:40], v[9:10]
	v_min_f64 v[9:10], v[39:40], v[9:10]
	v_div_scale_f64 v[39:40], s[10:11], v[41:42], v[41:42], v[9:10]
	s_mov_b32 s10, 0xaf56de9b
	s_mov_b32 s11, 0xbf67952d
	v_rcp_f64_e32 v[45:46], v[39:40]
	v_fma_f64 v[47:48], -v[39:40], v[45:46], 1.0
	v_fma_f64 v[45:46], v[45:46], v[47:48], v[45:46]
	v_div_scale_f64 v[47:48], vcc, v[9:10], v[41:42], v[9:10]
	v_fma_f64 v[49:50], -v[39:40], v[45:46], 1.0
	v_fma_f64 v[45:46], v[45:46], v[49:50], v[45:46]
	v_mul_f64 v[49:50], v[47:48], v[45:46]
	v_fma_f64 v[39:40], -v[39:40], v[49:50], v[47:48]
	v_div_fmas_f64 v[39:40], v[39:40], v[45:46], v[49:50]
	v_mul_f64 v[45:46], v[43:44], 0.5
	v_cmp_gt_i32_e32 vcc, 0, v2
	v_cndmask_b32_e32 v1, v68, v69, vcc
	v_and_b32_e32 v2, 0x400921fb, v7
	v_cndmask_b32_e32 v11, v66, v67, vcc
	v_bfi_b32 v1, s59, v1, v4
	v_div_fixup_f64 v[9:10], v[39:40], v[41:42], v[9:10]
	v_mul_f64 v[39:40], v[9:10], v[9:10]
	v_fma_f64 v[41:42], v[39:40], s[52:53], v[21:22]
	v_fma_f64 v[41:42], v[39:40], v[41:42], s[50:51]
	;; [unrolled: 1-line block ×3, first 2 shown]
	s_mov_b32 s10, 0xa595c56f
	s_mov_b32 s11, 0x3f7d6d43
	v_fma_f64 v[41:42], v[39:40], v[41:42], s[10:11]
	s_mov_b32 s10, 0xa57d9582
	s_mov_b32 s11, 0xbf8c6ea4
	v_fma_f64 v[41:42], v[39:40], v[41:42], s[10:11]
	s_mov_b32 s10, 0x5f08b19f
	s_mov_b32 s11, 0x3f967e29
	v_fma_f64 v[41:42], v[39:40], v[41:42], s[10:11]
	s_mov_b32 s10, 0xfc27006a
	s_mov_b32 s11, 0xbf9e9ae6
	v_fma_f64 v[41:42], v[39:40], v[41:42], s[10:11]
	s_mov_b32 s10, 0x5711927a
	s_mov_b32 s11, 0x3fa2c15b
	v_fma_f64 v[41:42], v[39:40], v[41:42], s[10:11]
	s_mov_b32 s10, 0xe82d3ff0
	s_mov_b32 s11, 0xbfa59976
	v_fma_f64 v[41:42], v[39:40], v[41:42], s[10:11]
	v_cmp_eq_f64_e64 s[10:11], 0, v[3:4]
	v_fma_f64 v[41:42], v[39:40], v[41:42], s[62:63]
	v_fma_f64 v[41:42], v[39:40], v[41:42], s[64:65]
	;; [unrolled: 1-line block ×10, first 2 shown]
	v_mul_f64 v[39:40], v[39:40], v[41:42]
	v_fma_f64 v[9:10], v[9:10], v[39:40], v[9:10]
	v_add_f64 v[39:40], -v[9:10], s[22:23]
	v_cndmask_b32_e64 v10, v10, v40, s[8:9]
	v_cndmask_b32_e64 v9, v9, v39, s[8:9]
	v_add_f64 v[40:41], -v[9:10], s[82:83]
	v_cndmask_b32_e32 v9, v9, v40, vcc
	v_mul_f64 v[39:40], v[43:44], v[45:46]
	v_cndmask_b32_e32 v7, v10, v41, vcc
	v_cndmask_b32_e64 v9, v9, v15, s[10:11]
	v_cndmask_b32_e64 v2, v7, v2, s[10:11]
	s_and_b64 vcc, s[44:45], s[46:47]
	v_cndmask_b32_e32 v10, v2, v1, vcc
	v_cndmask_b32_e32 v9, v9, v11, vcc
.LBB179_283:                            ;   in Loop: Header=BB179_145 Depth=1
	s_or_b64 exec, exec, s[12:13]
.LBB179_284:                            ;   in Loop: Header=BB179_145 Depth=1
	s_or_b64 exec, exec, s[14:15]
.LBB179_285:                            ;   in Loop: Header=BB179_145 Depth=1
	s_andn2_saveexec_b64 s[12:13], s[20:21]
	s_cbranch_execz .LBB179_287
; %bb.286:                              ;   in Loop: Header=BB179_145 Depth=1
	v_div_scale_f64 v[9:10], s[10:11], s[88:89], s[88:89], v[1:2]
	v_div_scale_f64 v[39:40], s[10:11], s[88:89], s[88:89], v[3:4]
	;; [unrolled: 1-line block ×3, first 2 shown]
	s_mov_b32 s95, s27
	s_mov_b32 s82, s22
	v_cmp_class_f64_e64 s[20:21], v[1:2], s60
	v_rcp_f64_e32 v[41:42], v[9:10]
	v_rcp_f64_e32 v[43:44], v[39:40]
	v_fma_f64 v[45:46], -v[9:10], v[41:42], 1.0
	v_fma_f64 v[47:48], -v[39:40], v[43:44], 1.0
	v_fma_f64 v[41:42], v[41:42], v[45:46], v[41:42]
	v_div_scale_f64 v[45:46], vcc, v[1:2], s[88:89], v[1:2]
	v_fma_f64 v[43:44], v[43:44], v[47:48], v[43:44]
	v_fma_f64 v[47:48], -v[9:10], v[41:42], 1.0
	v_fma_f64 v[51:52], -v[39:40], v[43:44], 1.0
	v_fma_f64 v[41:42], v[41:42], v[47:48], v[41:42]
	v_fma_f64 v[43:44], v[43:44], v[51:52], v[43:44]
	v_mul_f64 v[47:48], v[45:46], v[41:42]
	v_mul_f64 v[51:52], v[49:50], v[43:44]
	v_fma_f64 v[9:10], -v[9:10], v[47:48], v[45:46]
	v_fma_f64 v[39:40], -v[39:40], v[51:52], v[49:50]
	v_div_fmas_f64 v[9:10], v[9:10], v[41:42], v[47:48]
	s_mov_b64 vcc, s[10:11]
	v_div_fmas_f64 v[39:40], v[39:40], v[43:44], v[51:52]
	v_max_f64 v[50:51], |v[1:2]|, |v[1:2]|
	v_div_fixup_f64 v[9:10], v[9:10], s[88:89], v[1:2]
	v_ashrrev_i32_e32 v1, 31, v2
	v_and_b32_e32 v15, 0x54442d18, v1
	v_div_fixup_f64 v[39:40], v[39:40], s[88:89], v[3:4]
	v_cmp_class_f64_e64 s[10:11], v[9:10], s60
	v_max_f64 v[41:42], |v[9:10]|, |v[39:40]|
	v_cmp_class_f64_e64 s[14:15], v[39:40], s60
	v_frexp_exp_i32_f64_e32 v7, v[41:42]
	v_sub_u32_e32 v11, 0, v7
	v_ldexp_f64 v[41:42], |v[39:40]|, v11
	v_ldexp_f64 v[43:44], |v[9:10]|, v11
	v_mul_f64 v[41:42], v[41:42], v[41:42]
	v_fma_f64 v[41:42], v[43:44], v[43:44], v[41:42]
	v_rsq_f64_e32 v[43:44], v[41:42]
	v_cmp_eq_f64_e32 vcc, 0, v[41:42]
	v_mul_f64 v[45:46], v[41:42], v[43:44]
	v_mul_f64 v[43:44], v[43:44], 0.5
	v_fma_f64 v[47:48], -v[43:44], v[45:46], 0.5
	v_fma_f64 v[45:46], v[45:46], v[47:48], v[45:46]
	v_fma_f64 v[43:44], v[43:44], v[47:48], v[43:44]
	v_fma_f64 v[47:48], -v[45:46], v[45:46], v[41:42]
	v_fma_f64 v[43:44], v[47:48], v[43:44], v[45:46]
	v_max_f64 v[48:49], |v[3:4]|, |v[3:4]|
	v_cndmask_b32_e32 v42, v44, v42, vcc
	v_cndmask_b32_e32 v41, v43, v41, vcc
	v_ldexp_f64 v[41:42], v[41:42], v7
	v_cmp_o_f64_e32 vcc, v[9:10], v[39:40]
	v_and_b32_e32 v39, 0x400921fb, v1
	v_cndmask_b32_e32 v7, 0, v41, vcc
	v_cndmask_b32_e32 v9, v64, v42, vcc
	s_or_b64 vcc, s[14:15], s[10:11]
	v_cndmask_b32_e32 v41, v9, v63, vcc
	v_cndmask_b32_e64 v40, v7, 0, vcc
	v_frexp_mant_f64_e32 v[9:10], v[40:41]
	v_cmp_gt_f64_e64 s[10:11], s[26:27], v[9:10]
	v_cndmask_b32_e64 v7, 0, 1, s[10:11]
	v_ldexp_f64 v[9:10], v[9:10], v7
	v_frexp_exp_i32_f64_e32 v7, v[40:41]
	v_add_f64 v[42:43], v[9:10], 1.0
	v_add_f64 v[54:55], v[9:10], -1.0
	v_rcp_f64_e32 v[44:45], v[42:43]
	v_add_f64 v[58:59], v[42:43], -1.0
	v_add_f64 v[9:10], v[9:10], -v[58:59]
	v_fma_f64 v[46:47], -v[42:43], v[44:45], 1.0
	v_fma_f64 v[44:45], v[46:47], v[44:45], v[44:45]
	v_max_f64 v[46:47], v[50:51], v[48:49]
	v_min_f64 v[48:49], v[50:51], v[48:49]
	v_fma_f64 v[50:51], -v[42:43], v[44:45], 1.0
	v_div_scale_f64 v[52:53], s[14:15], v[46:47], v[46:47], v[48:49]
	s_mov_b32 s14, 0xaf56de9b
	s_mov_b32 s15, 0xbf67952d
	v_fma_f64 v[44:45], v[50:51], v[44:45], v[44:45]
	v_mul_f64 v[50:51], v[54:55], v[44:45]
	v_rcp_f64_e32 v[56:57], v[52:53]
	v_mul_f64 v[60:61], v[42:43], v[50:51]
	v_fma_f64 v[42:43], v[50:51], v[42:43], -v[60:61]
	v_fma_f64 v[58:59], -v[52:53], v[56:57], 1.0
	v_fma_f64 v[9:10], v[50:51], v[9:10], v[42:43]
	v_fma_f64 v[42:43], v[56:57], v[58:59], v[56:57]
	v_div_scale_f64 v[58:59], vcc, v[48:49], v[46:47], v[48:49]
	v_add_f64 v[56:57], v[60:61], v[9:10]
	v_fma_f64 v[70:71], -v[52:53], v[42:43], 1.0
	v_add_f64 v[72:73], v[54:55], -v[56:57]
	v_add_f64 v[60:61], v[56:57], -v[60:61]
	v_fma_f64 v[42:43], v[42:43], v[70:71], v[42:43]
	v_add_f64 v[54:55], v[54:55], -v[72:73]
	v_add_f64 v[9:10], v[60:61], -v[9:10]
	v_mul_f64 v[70:71], v[58:59], v[42:43]
	v_add_f64 v[54:55], v[54:55], -v[56:57]
	v_fma_f64 v[52:53], -v[52:53], v[70:71], v[58:59]
	v_add_f64 v[9:10], v[9:10], v[54:55]
	v_div_fmas_f64 v[42:43], v[52:53], v[42:43], v[70:71]
	v_subbrev_co_u32_e64 v7, vcc, 0, v7, s[10:11]
	s_mov_b32 s10, 0xe82d3ff0
	s_mov_b32 s11, 0xbfa59976
	v_cmp_class_f64_e64 vcc, v[40:41], s60
	v_add_f64 v[9:10], v[72:73], v[9:10]
	v_mul_f64 v[9:10], v[44:45], v[9:10]
	v_div_fixup_f64 v[42:43], v[42:43], v[46:47], v[48:49]
	v_add_f64 v[44:45], v[50:51], v[9:10]
	v_mul_f64 v[46:47], v[42:43], v[42:43]
	v_mul_f64 v[48:49], v[44:45], v[44:45]
	v_fma_f64 v[52:53], v[46:47], s[52:53], v[21:22]
	v_fma_f64 v[54:55], v[48:49], s[28:29], v[19:20]
	v_mul_f64 v[56:57], v[44:45], v[48:49]
	v_fma_f64 v[52:53], v[46:47], v[52:53], s[50:51]
	v_fma_f64 v[54:55], v[48:49], v[54:55], s[30:31]
	;; [unrolled: 1-line block ×3, first 2 shown]
	s_mov_b32 s14, 0xa595c56f
	s_mov_b32 s15, 0x3f7d6d43
	v_fma_f64 v[54:55], v[48:49], v[54:55], s[34:35]
	v_fma_f64 v[52:53], v[46:47], v[52:53], s[14:15]
	s_mov_b32 s14, 0xa57d9582
	s_mov_b32 s15, 0xbf8c6ea4
	v_fma_f64 v[54:55], v[48:49], v[54:55], s[36:37]
	v_fma_f64 v[52:53], v[46:47], v[52:53], s[14:15]
	;; [unrolled: 4-line block ×3, first 2 shown]
	s_mov_b32 s14, 0xfc27006a
	s_mov_b32 s15, 0xbf9e9ae6
	v_fma_f64 v[48:49], v[48:49], v[54:55], s[94:95]
	v_ldexp_f64 v[54:55], v[44:45], 1
	v_fma_f64 v[52:53], v[46:47], v[52:53], s[14:15]
	s_mov_b32 s14, 0x5711927a
	s_mov_b32 s15, 0x3fa2c15b
	v_add_f64 v[44:45], v[44:45], -v[50:51]
	v_mul_f64 v[48:49], v[56:57], v[48:49]
	v_cvt_f64_i32_e32 v[56:57], v7
	v_fma_f64 v[52:53], v[46:47], v[52:53], s[14:15]
	v_cmp_class_f64_e64 s[14:15], v[3:4], s60
	v_mul_f64 v[58:59], v[56:57], s[40:41]
	v_add_f64 v[9:10], v[9:10], -v[44:45]
	v_add_f64 v[50:51], v[54:55], v[48:49]
	v_fma_f64 v[52:53], v[46:47], v[52:53], s[10:11]
	v_cmp_eq_f64_e64 s[10:11], 0, v[3:4]
	v_ldexp_f64 v[9:10], v[9:10], 1
	v_add_f64 v[44:45], v[50:51], -v[54:55]
	v_fma_f64 v[54:55], v[56:57], s[40:41], -v[58:59]
	v_fma_f64 v[52:53], v[46:47], v[52:53], s[62:63]
	v_add_f64 v[44:45], v[48:49], -v[44:45]
	v_fma_f64 v[48:49], v[46:47], v[52:53], s[64:65]
	v_fma_f64 v[52:53], v[56:57], s[42:43], v[54:55]
	v_add_f64 v[9:10], v[9:10], v[44:45]
	v_fma_f64 v[44:45], v[46:47], v[48:49], s[66:67]
	v_add_f64 v[48:49], v[58:59], v[52:53]
	v_add_f64 v[54:55], v[50:51], v[9:10]
	v_fma_f64 v[44:45], v[46:47], v[44:45], s[68:69]
	v_add_f64 v[58:59], v[48:49], -v[58:59]
	v_add_f64 v[56:57], v[48:49], v[54:55]
	v_add_f64 v[50:51], v[54:55], -v[50:51]
	v_fma_f64 v[44:45], v[46:47], v[44:45], s[70:71]
	v_add_f64 v[52:53], v[52:53], -v[58:59]
	v_add_f64 v[60:61], v[56:57], -v[48:49]
	;; [unrolled: 1-line block ×3, first 2 shown]
	v_fma_f64 v[44:45], v[46:47], v[44:45], s[72:73]
	v_add_f64 v[70:71], v[56:57], -v[60:61]
	v_add_f64 v[50:51], v[54:55], -v[60:61]
	v_fma_f64 v[44:45], v[46:47], v[44:45], s[74:75]
	v_add_f64 v[54:55], v[52:53], v[9:10]
	v_add_f64 v[48:49], v[48:49], -v[70:71]
	v_fma_f64 v[44:45], v[46:47], v[44:45], s[76:77]
	v_add_f64 v[48:49], v[50:51], v[48:49]
	;; [unrolled: 3-line block ×3, first 2 shown]
	v_add_f64 v[54:55], v[54:55], -v[50:51]
	v_fma_f64 v[44:45], v[46:47], v[44:45], s[80:81]
	v_add_f64 v[9:10], v[9:10], -v[50:51]
	v_add_f64 v[58:59], v[56:57], v[48:49]
	v_mul_f64 v[44:45], v[46:47], v[44:45]
	v_add_f64 v[46:47], v[52:53], -v[54:55]
	v_add_f64 v[50:51], v[58:59], -v[56:57]
	v_fma_f64 v[42:43], v[42:43], v[44:45], v[42:43]
	v_add_f64 v[9:10], v[9:10], v[46:47]
	v_add_f64 v[44:45], v[48:49], -v[50:51]
	v_add_f64 v[46:47], -v[42:43], s[22:23]
	v_add_f64 v[9:10], v[9:10], v[44:45]
	v_cndmask_b32_e64 v43, v43, v47, s[8:9]
	v_cndmask_b32_e64 v42, v42, v46, s[8:9]
	v_add_f64 v[44:45], -v[42:43], s[82:83]
	v_cmp_gt_i32_e64 s[8:9], 0, v2
	v_cndmask_b32_e64 v7, v66, v67, s[8:9]
	v_cndmask_b32_e64 v11, v68, v69, s[8:9]
	v_add_f64 v[9:10], v[58:59], v[9:10]
	v_cndmask_b32_e64 v18, v42, v44, s[8:9]
	v_cndmask_b32_e32 v2, v10, v41, vcc
	v_cndmask_b32_e32 v1, v9, v40, vcc
	v_add_f64 v[1:2], v[1:2], 1.0
	v_cndmask_b32_e64 v10, v43, v45, s[8:9]
	v_cmp_ngt_f64_e64 s[8:9], 0, v[40:41]
	v_cndmask_b32_e64 v10, v10, v39, s[10:11]
	v_bfi_b32 v9, s59, v11, v4
	v_cndmask_b32_e64 v11, v18, v15, s[10:11]
	s_and_b64 vcc, s[14:15], s[20:21]
	v_cndmask_b32_e32 v10, v10, v9, vcc
	v_cndmask_b32_e32 v9, v11, v7, vcc
	v_cndmask_b32_e64 v2, v64, v2, s[8:9]
	v_cmp_nge_f64_e64 s[8:9], 0, v[40:41]
	v_cndmask_b32_e64 v39, 0, v1, s[8:9]
	v_cmp_neq_f64_e64 s[8:9], 0, v[40:41]
	v_cndmask_b32_e64 v40, v65, v2, s[8:9]
.LBB179_287:                            ;   in Loop: Header=BB179_145 Depth=1
	s_or_b64 exec, exec, s[12:13]
	s_andn2_saveexec_b64 s[8:9], s[24:25]
	s_cbranch_execz .LBB179_257
.LBB179_288:                            ;   in Loop: Header=BB179_145 Depth=1
	v_cmp_nlt_f64_e64 s[10:11], |v[1:2]|, s[84:85]
	v_cmp_nlt_f64_e64 s[12:13], |v[3:4]|, s[84:85]
                                        ; implicit-def: $vgpr40_vgpr41
	s_or_b64 s[10:11], s[12:13], s[10:11]
	s_and_saveexec_b64 s[12:13], s[10:11]
	s_xor_b64 s[10:11], exec, s[12:13]
	s_cbranch_execz .LBB179_290
; %bb.289:                              ;   in Loop: Header=BB179_145 Depth=1
	v_mul_f64 v[1:2], v[1:2], v[1:2]
	v_fma_f64 v[40:41], v[3:4], v[3:4], v[1:2]
.LBB179_290:                            ;   in Loop: Header=BB179_145 Depth=1
	s_andn2_saveexec_b64 s[10:11], s[10:11]
	s_cbranch_execz .LBB179_292
; %bb.291:                              ;   in Loop: Header=BB179_145 Depth=1
	v_mul_f64 v[1:2], v[1:2], 4.0
	v_mul_f64 v[9:10], v[3:4], 4.0
	v_mul_f64 v[1:2], v[1:2], v[1:2]
	v_fma_f64 v[1:2], v[9:10], v[9:10], v[1:2]
	v_ldexp_f64 v[40:41], v[1:2], -4
.LBB179_292:                            ;   in Loop: Header=BB179_145 Depth=1
	s_or_b64 exec, exec, s[10:11]
	v_frexp_mant_f64_e32 v[1:2], v[40:41]
	s_mov_b32 s95, s27
	v_cmp_gt_f64_e32 vcc, s[26:27], v[1:2]
	v_cndmask_b32_e64 v3, 0, 1, vcc
	v_ldexp_f64 v[1:2], v[1:2], v3
	v_frexp_exp_i32_f64_e32 v3, v[40:41]
	v_add_f64 v[9:10], v[1:2], 1.0
	v_add_f64 v[46:47], v[1:2], -1.0
	v_subbrev_co_u32_e32 v3, vcc, 0, v3, vcc
	v_cmp_class_f64_e64 vcc, v[40:41], s60
	v_rcp_f64_e32 v[42:43], v[9:10]
	v_add_f64 v[48:49], v[9:10], -1.0
	v_add_f64 v[1:2], v[1:2], -v[48:49]
	v_fma_f64 v[44:45], -v[9:10], v[42:43], 1.0
	v_fma_f64 v[42:43], v[44:45], v[42:43], v[42:43]
	v_fma_f64 v[44:45], -v[9:10], v[42:43], 1.0
	v_fma_f64 v[42:43], v[44:45], v[42:43], v[42:43]
	v_mul_f64 v[44:45], v[46:47], v[42:43]
	v_mul_f64 v[50:51], v[9:10], v[44:45]
	v_fma_f64 v[9:10], v[44:45], v[9:10], -v[50:51]
	v_fma_f64 v[1:2], v[44:45], v[1:2], v[9:10]
	v_add_f64 v[9:10], v[50:51], v[1:2]
	v_add_f64 v[48:49], v[46:47], -v[9:10]
	v_add_f64 v[50:51], v[9:10], -v[50:51]
	;; [unrolled: 1-line block ×5, first 2 shown]
	v_add_f64 v[1:2], v[1:2], v[9:10]
	v_add_f64 v[1:2], v[48:49], v[1:2]
	v_mul_f64 v[1:2], v[42:43], v[1:2]
	v_add_f64 v[9:10], v[44:45], v[1:2]
	v_mul_f64 v[42:43], v[9:10], v[9:10]
	v_fma_f64 v[46:47], v[42:43], s[28:29], v[19:20]
	v_mul_f64 v[48:49], v[9:10], v[42:43]
	v_fma_f64 v[46:47], v[42:43], v[46:47], s[30:31]
	v_fma_f64 v[46:47], v[42:43], v[46:47], s[34:35]
	;; [unrolled: 1-line block ×5, first 2 shown]
	v_ldexp_f64 v[46:47], v[9:10], 1
	v_add_f64 v[9:10], v[9:10], -v[44:45]
	v_mul_f64 v[42:43], v[48:49], v[42:43]
	v_cvt_f64_i32_e32 v[48:49], v3
	v_add_f64 v[1:2], v[1:2], -v[9:10]
	v_mul_f64 v[50:51], v[48:49], s[40:41]
	v_add_f64 v[44:45], v[46:47], v[42:43]
	v_ldexp_f64 v[1:2], v[1:2], 1
	v_add_f64 v[9:10], v[44:45], -v[46:47]
	v_fma_f64 v[46:47], v[48:49], s[40:41], -v[50:51]
	v_add_f64 v[9:10], v[42:43], -v[9:10]
	v_fma_f64 v[42:43], v[48:49], s[42:43], v[46:47]
	v_add_f64 v[1:2], v[1:2], v[9:10]
	v_add_f64 v[9:10], v[50:51], v[42:43]
	v_add_f64 v[46:47], v[44:45], v[1:2]
	v_add_f64 v[50:51], v[9:10], -v[50:51]
	v_add_f64 v[48:49], v[9:10], v[46:47]
	v_add_f64 v[44:45], v[46:47], -v[44:45]
	v_add_f64 v[42:43], v[42:43], -v[50:51]
	;; [unrolled: 1-line block ×6, first 2 shown]
	v_add_f64 v[46:47], v[42:43], v[1:2]
	v_add_f64 v[9:10], v[9:10], -v[54:55]
	v_add_f64 v[9:10], v[44:45], v[9:10]
	v_add_f64 v[44:45], v[46:47], -v[42:43]
	v_add_f64 v[9:10], v[46:47], v[9:10]
	v_add_f64 v[46:47], v[46:47], -v[44:45]
	v_add_f64 v[1:2], v[1:2], -v[44:45]
	v_add_f64 v[50:51], v[48:49], v[9:10]
	v_add_f64 v[42:43], v[42:43], -v[46:47]
	v_add_f64 v[44:45], v[50:51], -v[48:49]
	v_add_f64 v[1:2], v[1:2], v[42:43]
	v_add_f64 v[9:10], v[9:10], -v[44:45]
	v_add_f64 v[1:2], v[1:2], v[9:10]
	v_mov_b32_e32 v9, 0
	v_mov_b32_e32 v10, 0x7ff80000
	v_add_f64 v[1:2], v[50:51], v[1:2]
	v_cndmask_b32_e32 v1, v1, v40, vcc
	v_cndmask_b32_e32 v2, v2, v41, vcc
	v_cmp_ngt_f64_e32 vcc, 0, v[40:41]
	v_cndmask_b32_e32 v2, v64, v2, vcc
	v_cmp_nge_f64_e32 vcc, 0, v[40:41]
	v_cndmask_b32_e32 v39, 0, v1, vcc
	v_cmp_neq_f64_e32 vcc, 0, v[40:41]
	v_cndmask_b32_e32 v40, v65, v2, vcc
	s_or_b64 exec, exec, s[8:9]
	s_and_saveexec_b64 s[8:9], s[6:7]
	s_xor_b64 s[8:9], exec, s[8:9]
	s_cbranch_execz .LBB179_258
.LBB179_293:                            ;   in Loop: Header=BB179_145 Depth=1
	v_div_scale_f64 v[1:2], s[6:7], s[90:91], s[90:91], v[33:34]
	v_bfi_b32 v32, s59, v32, v16
	v_div_scale_f64 v[15:16], s[6:7], s[90:91], s[90:91], v[31:32]
	v_div_scale_f64 v[49:50], s[6:7], v[31:32], s[90:91], v[31:32]
	v_mov_b32_e32 v3, s55
	v_rcp_f64_e32 v[41:42], v[1:2]
	v_rcp_f64_e32 v[43:44], v[15:16]
	v_fma_f64 v[45:46], -v[1:2], v[41:42], 1.0
	v_fma_f64 v[47:48], -v[15:16], v[43:44], 1.0
	v_fma_f64 v[41:42], v[41:42], v[45:46], v[41:42]
	v_div_scale_f64 v[45:46], vcc, v[33:34], s[90:91], v[33:34]
	v_fma_f64 v[43:44], v[43:44], v[47:48], v[43:44]
	v_fma_f64 v[47:48], -v[1:2], v[41:42], 1.0
	v_fma_f64 v[51:52], -v[15:16], v[43:44], 1.0
	v_fma_f64 v[41:42], v[41:42], v[47:48], v[41:42]
	v_fma_f64 v[43:44], v[43:44], v[51:52], v[43:44]
	v_mul_f64 v[47:48], v[45:46], v[41:42]
	v_mul_f64 v[51:52], v[49:50], v[43:44]
	v_fma_f64 v[1:2], -v[1:2], v[47:48], v[45:46]
	v_fma_f64 v[15:16], -v[15:16], v[51:52], v[49:50]
	v_div_fmas_f64 v[1:2], v[1:2], v[41:42], v[47:48]
	s_mov_b64 vcc, s[6:7]
	v_div_fmas_f64 v[15:16], v[15:16], v[43:44], v[51:52]
	v_div_fixup_f64 v[41:42], v[1:2], s[90:91], v[33:34]
	v_lshlrev_b64 v[1:2], 4, v[29:30]
	v_div_fixup_f64 v[43:44], v[15:16], s[90:91], v[31:32]
	v_add_co_u32_e32 v1, vcc, s54, v1
	v_addc_co_u32_e32 v2, vcc, v3, v2, vcc
	global_store_dwordx4 v[1:2], v[41:44], off
	s_or_b64 exec, exec, s[8:9]
	s_and_saveexec_b64 s[6:7], s[4:5]
	s_cbranch_execz .LBB179_259
.LBB179_294:                            ;   in Loop: Header=BB179_145 Depth=1
	v_div_scale_f64 v[1:2], s[4:5], s[90:91], s[90:91], v[35:36]
	v_bfi_b32 v14, s59, v14, v8
	v_div_scale_f64 v[7:8], s[4:5], s[90:91], s[90:91], v[13:14]
	v_div_scale_f64 v[41:42], s[4:5], v[13:14], s[90:91], v[13:14]
	v_mov_b32_e32 v3, s55
	v_rcp_f64_e32 v[15:16], v[1:2]
	v_rcp_f64_e32 v[29:30], v[7:8]
	v_fma_f64 v[31:32], -v[1:2], v[15:16], 1.0
	v_fma_f64 v[33:34], -v[7:8], v[29:30], 1.0
	v_fma_f64 v[15:16], v[15:16], v[31:32], v[15:16]
	v_div_scale_f64 v[31:32], vcc, v[35:36], s[90:91], v[35:36]
	v_fma_f64 v[29:30], v[29:30], v[33:34], v[29:30]
	v_fma_f64 v[33:34], -v[1:2], v[15:16], 1.0
	v_fma_f64 v[43:44], -v[7:8], v[29:30], 1.0
	v_fma_f64 v[15:16], v[15:16], v[33:34], v[15:16]
	v_fma_f64 v[29:30], v[29:30], v[43:44], v[29:30]
	v_mul_f64 v[33:34], v[31:32], v[15:16]
	v_mul_f64 v[43:44], v[41:42], v[29:30]
	v_fma_f64 v[1:2], -v[1:2], v[33:34], v[31:32]
	v_fma_f64 v[7:8], -v[7:8], v[43:44], v[41:42]
	v_div_fmas_f64 v[1:2], v[1:2], v[15:16], v[33:34]
	s_mov_b64 vcc, s[4:5]
	v_div_fmas_f64 v[7:8], v[7:8], v[29:30], v[43:44]
	v_div_fixup_f64 v[29:30], v[1:2], s[90:91], v[35:36]
	v_lshlrev_b64 v[1:2], 4, v[27:28]
	v_div_fixup_f64 v[31:32], v[7:8], s[90:91], v[13:14]
	v_add_co_u32_e32 v1, vcc, s54, v1
	v_addc_co_u32_e32 v2, vcc, v3, v2, vcc
	global_store_dwordx4 v[1:2], v[29:32], off
	s_or_b64 exec, exec, s[6:7]
	s_and_saveexec_b64 s[4:5], s[2:3]
	s_cbranch_execz .LBB179_260
.LBB179_295:                            ;   in Loop: Header=BB179_145 Depth=1
	v_div_scale_f64 v[1:2], s[2:3], s[90:91], s[90:91], v[37:38]
	v_bfi_b32 v6, s59, v6, v12
	v_div_scale_f64 v[7:8], s[2:3], s[90:91], s[90:91], v[5:6]
	v_div_scale_f64 v[29:30], s[2:3], v[5:6], s[90:91], v[5:6]
	v_mov_b32_e32 v3, s55
	v_rcp_f64_e32 v[11:12], v[1:2]
	v_rcp_f64_e32 v[13:14], v[7:8]
	v_fma_f64 v[15:16], -v[1:2], v[11:12], 1.0
	v_fma_f64 v[27:28], -v[7:8], v[13:14], 1.0
	v_fma_f64 v[11:12], v[11:12], v[15:16], v[11:12]
	v_div_scale_f64 v[15:16], vcc, v[37:38], s[90:91], v[37:38]
	v_fma_f64 v[13:14], v[13:14], v[27:28], v[13:14]
	v_fma_f64 v[27:28], -v[1:2], v[11:12], 1.0
	v_fma_f64 v[31:32], -v[7:8], v[13:14], 1.0
	v_fma_f64 v[11:12], v[11:12], v[27:28], v[11:12]
	v_fma_f64 v[13:14], v[13:14], v[31:32], v[13:14]
	v_mul_f64 v[27:28], v[15:16], v[11:12]
	v_mul_f64 v[31:32], v[29:30], v[13:14]
	v_fma_f64 v[1:2], -v[1:2], v[27:28], v[15:16]
	v_fma_f64 v[7:8], -v[7:8], v[31:32], v[29:30]
	v_div_fmas_f64 v[1:2], v[1:2], v[11:12], v[27:28]
	s_mov_b64 vcc, s[2:3]
	v_div_fmas_f64 v[7:8], v[7:8], v[13:14], v[31:32]
	v_div_fixup_f64 v[11:12], v[1:2], s[90:91], v[37:38]
	v_lshlrev_b64 v[1:2], 4, v[25:26]
	v_div_fixup_f64 v[13:14], v[7:8], s[90:91], v[5:6]
	v_add_co_u32_e32 v1, vcc, s54, v1
	v_addc_co_u32_e32 v2, vcc, v3, v2, vcc
	global_store_dwordx4 v[1:2], v[11:14], off
	s_or_b64 exec, exec, s[4:5]
	s_and_saveexec_b64 s[2:3], s[0:1]
	s_cbranch_execz .LBB179_144
.LBB179_296:                            ;   in Loop: Header=BB179_145 Depth=1
	v_div_scale_f64 v[1:2], s[0:1], s[90:91], s[90:91], v[39:40]
	v_bfi_b32 v10, s59, v10, v4
	v_div_scale_f64 v[3:4], s[0:1], s[90:91], s[90:91], v[9:10]
	v_div_scale_f64 v[15:16], s[0:1], v[9:10], s[90:91], v[9:10]
	v_rcp_f64_e32 v[5:6], v[1:2]
	v_rcp_f64_e32 v[7:8], v[3:4]
	v_fma_f64 v[11:12], -v[1:2], v[5:6], 1.0
	v_fma_f64 v[13:14], -v[3:4], v[7:8], 1.0
	v_fma_f64 v[5:6], v[5:6], v[11:12], v[5:6]
	v_div_scale_f64 v[11:12], vcc, v[39:40], s[90:91], v[39:40]
	v_fma_f64 v[7:8], v[7:8], v[13:14], v[7:8]
	v_fma_f64 v[13:14], -v[1:2], v[5:6], 1.0
	v_fma_f64 v[25:26], -v[3:4], v[7:8], 1.0
	v_fma_f64 v[5:6], v[5:6], v[13:14], v[5:6]
	v_fma_f64 v[7:8], v[7:8], v[25:26], v[7:8]
	v_mul_f64 v[13:14], v[11:12], v[5:6]
	v_mul_f64 v[25:26], v[15:16], v[7:8]
	v_fma_f64 v[1:2], -v[1:2], v[13:14], v[11:12]
	v_fma_f64 v[3:4], -v[3:4], v[25:26], v[15:16]
	v_div_fmas_f64 v[1:2], v[1:2], v[5:6], v[13:14]
	s_mov_b64 vcc, s[0:1]
	v_lshlrev_b64 v[5:6], 4, v[23:24]
	v_div_fmas_f64 v[3:4], v[3:4], v[7:8], v[25:26]
	v_mov_b32_e32 v7, s55
	v_add_co_u32_e32 v5, vcc, s54, v5
	v_addc_co_u32_e32 v6, vcc, v7, v6, vcc
	v_div_fixup_f64 v[1:2], v[1:2], s[90:91], v[39:40]
	v_div_fixup_f64 v[3:4], v[3:4], s[90:91], v[9:10]
	global_store_dwordx4 v[5:6], v[1:4], off
	s_branch .LBB179_144
.LBB179_297:
	s_endpgm
	.section	.rodata,"a",@progbits
	.p2align	6, 0x0
	.amdhsa_kernel _ZN2at6native12_GLOBAL__N_125multi_tensor_apply_kernelINS1_18TensorListMetadataILi2EEENS1_14UnaryOpFunctorIN3c107complexIdEELi2ELi1ELi1EEEJNS0_5Log10IS8_EEEEEvT_T0_DpT1_
		.amdhsa_group_segment_fixed_size 0
		.amdhsa_private_segment_fixed_size 0
		.amdhsa_kernarg_size 3408
		.amdhsa_user_sgpr_count 6
		.amdhsa_user_sgpr_private_segment_buffer 1
		.amdhsa_user_sgpr_dispatch_ptr 0
		.amdhsa_user_sgpr_queue_ptr 0
		.amdhsa_user_sgpr_kernarg_segment_ptr 1
		.amdhsa_user_sgpr_dispatch_id 0
		.amdhsa_user_sgpr_flat_scratch_init 0
		.amdhsa_user_sgpr_private_segment_size 0
		.amdhsa_uses_dynamic_stack 0
		.amdhsa_system_sgpr_private_segment_wavefront_offset 0
		.amdhsa_system_sgpr_workgroup_id_x 1
		.amdhsa_system_sgpr_workgroup_id_y 0
		.amdhsa_system_sgpr_workgroup_id_z 0
		.amdhsa_system_sgpr_workgroup_info 0
		.amdhsa_system_vgpr_workitem_id 0
		.amdhsa_next_free_vgpr 81
		.amdhsa_next_free_sgpr 96
		.amdhsa_reserve_vcc 1
		.amdhsa_reserve_flat_scratch 0
		.amdhsa_float_round_mode_32 0
		.amdhsa_float_round_mode_16_64 0
		.amdhsa_float_denorm_mode_32 3
		.amdhsa_float_denorm_mode_16_64 3
		.amdhsa_dx10_clamp 1
		.amdhsa_ieee_mode 1
		.amdhsa_fp16_overflow 0
		.amdhsa_exception_fp_ieee_invalid_op 0
		.amdhsa_exception_fp_denorm_src 0
		.amdhsa_exception_fp_ieee_div_zero 0
		.amdhsa_exception_fp_ieee_overflow 0
		.amdhsa_exception_fp_ieee_underflow 0
		.amdhsa_exception_fp_ieee_inexact 0
		.amdhsa_exception_int_div_zero 0
	.end_amdhsa_kernel
	.section	.text._ZN2at6native12_GLOBAL__N_125multi_tensor_apply_kernelINS1_18TensorListMetadataILi2EEENS1_14UnaryOpFunctorIN3c107complexIdEELi2ELi1ELi1EEEJNS0_5Log10IS8_EEEEEvT_T0_DpT1_,"axG",@progbits,_ZN2at6native12_GLOBAL__N_125multi_tensor_apply_kernelINS1_18TensorListMetadataILi2EEENS1_14UnaryOpFunctorIN3c107complexIdEELi2ELi1ELi1EEEJNS0_5Log10IS8_EEEEEvT_T0_DpT1_,comdat
.Lfunc_end179:
	.size	_ZN2at6native12_GLOBAL__N_125multi_tensor_apply_kernelINS1_18TensorListMetadataILi2EEENS1_14UnaryOpFunctorIN3c107complexIdEELi2ELi1ELi1EEEJNS0_5Log10IS8_EEEEEvT_T0_DpT1_, .Lfunc_end179-_ZN2at6native12_GLOBAL__N_125multi_tensor_apply_kernelINS1_18TensorListMetadataILi2EEENS1_14UnaryOpFunctorIN3c107complexIdEELi2ELi1ELi1EEEJNS0_5Log10IS8_EEEEEvT_T0_DpT1_
                                        ; -- End function
	.set _ZN2at6native12_GLOBAL__N_125multi_tensor_apply_kernelINS1_18TensorListMetadataILi2EEENS1_14UnaryOpFunctorIN3c107complexIdEELi2ELi1ELi1EEEJNS0_5Log10IS8_EEEEEvT_T0_DpT1_.num_vgpr, 81
	.set _ZN2at6native12_GLOBAL__N_125multi_tensor_apply_kernelINS1_18TensorListMetadataILi2EEENS1_14UnaryOpFunctorIN3c107complexIdEELi2ELi1ELi1EEEJNS0_5Log10IS8_EEEEEvT_T0_DpT1_.num_agpr, 0
	.set _ZN2at6native12_GLOBAL__N_125multi_tensor_apply_kernelINS1_18TensorListMetadataILi2EEENS1_14UnaryOpFunctorIN3c107complexIdEELi2ELi1ELi1EEEJNS0_5Log10IS8_EEEEEvT_T0_DpT1_.numbered_sgpr, 96
	.set _ZN2at6native12_GLOBAL__N_125multi_tensor_apply_kernelINS1_18TensorListMetadataILi2EEENS1_14UnaryOpFunctorIN3c107complexIdEELi2ELi1ELi1EEEJNS0_5Log10IS8_EEEEEvT_T0_DpT1_.num_named_barrier, 0
	.set _ZN2at6native12_GLOBAL__N_125multi_tensor_apply_kernelINS1_18TensorListMetadataILi2EEENS1_14UnaryOpFunctorIN3c107complexIdEELi2ELi1ELi1EEEJNS0_5Log10IS8_EEEEEvT_T0_DpT1_.private_seg_size, 0
	.set _ZN2at6native12_GLOBAL__N_125multi_tensor_apply_kernelINS1_18TensorListMetadataILi2EEENS1_14UnaryOpFunctorIN3c107complexIdEELi2ELi1ELi1EEEJNS0_5Log10IS8_EEEEEvT_T0_DpT1_.uses_vcc, 1
	.set _ZN2at6native12_GLOBAL__N_125multi_tensor_apply_kernelINS1_18TensorListMetadataILi2EEENS1_14UnaryOpFunctorIN3c107complexIdEELi2ELi1ELi1EEEJNS0_5Log10IS8_EEEEEvT_T0_DpT1_.uses_flat_scratch, 0
	.set _ZN2at6native12_GLOBAL__N_125multi_tensor_apply_kernelINS1_18TensorListMetadataILi2EEENS1_14UnaryOpFunctorIN3c107complexIdEELi2ELi1ELi1EEEJNS0_5Log10IS8_EEEEEvT_T0_DpT1_.has_dyn_sized_stack, 0
	.set _ZN2at6native12_GLOBAL__N_125multi_tensor_apply_kernelINS1_18TensorListMetadataILi2EEENS1_14UnaryOpFunctorIN3c107complexIdEELi2ELi1ELi1EEEJNS0_5Log10IS8_EEEEEvT_T0_DpT1_.has_recursion, 0
	.set _ZN2at6native12_GLOBAL__N_125multi_tensor_apply_kernelINS1_18TensorListMetadataILi2EEENS1_14UnaryOpFunctorIN3c107complexIdEELi2ELi1ELi1EEEJNS0_5Log10IS8_EEEEEvT_T0_DpT1_.has_indirect_call, 0
	.section	.AMDGPU.csdata,"",@progbits
; Kernel info:
; codeLenInByte = 89244
; TotalNumSgprs: 100
; NumVgprs: 81
; ScratchSize: 0
; MemoryBound: 1
; FloatMode: 240
; IeeeMode: 1
; LDSByteSize: 0 bytes/workgroup (compile time only)
; SGPRBlocks: 12
; VGPRBlocks: 20
; NumSGPRsForWavesPerEU: 100
; NumVGPRsForWavesPerEU: 81
; Occupancy: 3
; WaveLimiterHint : 0
; COMPUTE_PGM_RSRC2:SCRATCH_EN: 0
; COMPUTE_PGM_RSRC2:USER_SGPR: 6
; COMPUTE_PGM_RSRC2:TRAP_HANDLER: 0
; COMPUTE_PGM_RSRC2:TGID_X_EN: 1
; COMPUTE_PGM_RSRC2:TGID_Y_EN: 0
; COMPUTE_PGM_RSRC2:TGID_Z_EN: 0
; COMPUTE_PGM_RSRC2:TIDIG_COMP_CNT: 0
	.section	.text._ZN2at6native12_GLOBAL__N_125multi_tensor_apply_kernelINS1_18TensorListMetadataILi2EEENS1_14UnaryOpFunctorIN3c107complexIfEELi2ELi1ELi1EEEJNS0_5Log10IS8_EEEEEvT_T0_DpT1_,"axG",@progbits,_ZN2at6native12_GLOBAL__N_125multi_tensor_apply_kernelINS1_18TensorListMetadataILi2EEENS1_14UnaryOpFunctorIN3c107complexIfEELi2ELi1ELi1EEEJNS0_5Log10IS8_EEEEEvT_T0_DpT1_,comdat
	.globl	_ZN2at6native12_GLOBAL__N_125multi_tensor_apply_kernelINS1_18TensorListMetadataILi2EEENS1_14UnaryOpFunctorIN3c107complexIfEELi2ELi1ELi1EEEJNS0_5Log10IS8_EEEEEvT_T0_DpT1_ ; -- Begin function _ZN2at6native12_GLOBAL__N_125multi_tensor_apply_kernelINS1_18TensorListMetadataILi2EEENS1_14UnaryOpFunctorIN3c107complexIfEELi2ELi1ELi1EEEJNS0_5Log10IS8_EEEEEvT_T0_DpT1_
	.p2align	8
	.type	_ZN2at6native12_GLOBAL__N_125multi_tensor_apply_kernelINS1_18TensorListMetadataILi2EEENS1_14UnaryOpFunctorIN3c107complexIfEELi2ELi1ELi1EEEJNS0_5Log10IS8_EEEEEvT_T0_DpT1_,@function
_ZN2at6native12_GLOBAL__N_125multi_tensor_apply_kernelINS1_18TensorListMetadataILi2EEENS1_14UnaryOpFunctorIN3c107complexIfEELi2ELi1ELi1EEEJNS0_5Log10IS8_EEEEEvT_T0_DpT1_: ; @_ZN2at6native12_GLOBAL__N_125multi_tensor_apply_kernelINS1_18TensorListMetadataILi2EEENS1_14UnaryOpFunctorIN3c107complexIfEELi2ELi1ELi1EEEJNS0_5Log10IS8_EEEEEvT_T0_DpT1_
; %bb.0:
	v_mov_b32_e32 v1, s6
	global_load_ubyte v1, v1, s[4:5] offset:1536
	s_add_u32 s0, s4, s6
	s_mul_hi_u32 s2, s6, 3
	s_mul_i32 s6, s6, 3
	s_addc_u32 s7, s5, 0
	s_add_u32 s6, s0, s6
	s_addc_u32 s7, s7, s2
	s_load_dword s6, s[6:7], 0x740
	s_mov_b32 s1, 0
	s_mov_b32 s3, s1
	s_waitcnt lgkmcnt(0)
	s_ashr_i32 s7, s6, 31
	s_lshl_b64 s[14:15], s[6:7], 19
	s_waitcnt vmcnt(0)
	v_readfirstlane_b32 s0, v1
	s_lshl_b32 s0, s0, 3
	s_load_dwordx2 s[8:9], s[4:5], s0 offset:0x0
	s_load_dwordx2 s[10:11], s[4:5], s0 offset:0x400
	s_load_dwordx2 s[12:13], s[4:5], s0 offset:0x200
	s_waitcnt lgkmcnt(0)
	s_add_u32 s33, s8, s14
	s_addc_u32 s34, s9, s15
	s_and_b32 s0, s33, 31
	s_add_u32 s35, s12, s14
	s_addc_u32 s36, s13, s15
	s_lshl_b64 s[6:7], s[6:7], 16
	s_and_b32 s2, s35, 31
	s_sub_u32 s8, s10, s6
	s_subb_u32 s9, s11, s7
	s_and_b32 s6, s10, 3
	s_mov_b32 s7, s1
	s_or_b64 s[2:3], s[2:3], s[6:7]
	s_or_b64 s[0:1], s[2:3], s[0:1]
	s_cmp_eq_u64 s[0:1], 0
	s_mov_b64 s[0:1], -1
	s_cbranch_scc0 .LBB180_141
; %bb.1:
	v_mov_b32_e32 v1, 0x10000
	v_mov_b32_e32 v2, 0
	v_cmp_lt_i64_e32 vcc, s[8:9], v[1:2]
	v_mov_b32_e32 v2, 0
	s_and_b64 s[0:1], vcc, exec
	s_cselect_b32 s11, s9, 0
	s_cselect_b32 s10, s8, 0x10000
	v_lshlrev_b32_e32 v1, 2, v0
	v_cmp_gt_i64_e32 vcc, s[10:11], v[1:2]
	s_and_saveexec_b64 s[12:13], vcc
	s_cbranch_execz .LBB180_140
; %bb.2:
	s_load_dword s0, s[4:5], 0xc5c
	v_mov_b32_e32 v1, v2
	v_mov_b32_e32 v10, v1
	s_mov_b64 s[14:15], 0
	v_mov_b32_e32 v13, s34
	s_brev_b32 s28, -2
	s_waitcnt lgkmcnt(0)
	s_and_b32 s29, s0, 0xffff
	s_mov_b32 s30, 0x77f684df
	s_mov_b32 s31, 0x358637bd
	s_mov_b32 s37, 0x49742400
	s_mov_b32 s38, 0x3f2aaaab
	v_mov_b32_e32 v14, 0x3f2aaada
	s_mov_b32 s39, 0x3f317218
	s_mov_b32 s40, 0x7f800000
	;; [unrolled: 1-line block ×3, first 2 shown]
	v_mov_b32_e32 v15, 0x3d29fb3f
	v_mov_b32_e32 v16, 0xbd97d4d7
	;; [unrolled: 1-line block ×6, first 2 shown]
	s_movk_i32 s42, 0x204
	s_mov_b32 s43, 0x3f333333
	s_mov_b32 s44, 0x800000
	;; [unrolled: 1-line block ×5, first 2 shown]
	s_brev_b32 s48, 4
	s_mov_b32 s49, 0x40135d8e
	v_mov_b32_e32 v21, 0x7f800000
	v_mov_b32_e32 v22, 0x7fc00000
	;; [unrolled: 1-line block ×8, first 2 shown]
	s_branch .LBB180_5
.LBB180_3:                              ;   in Loop: Header=BB180_5 Depth=1
	s_or_b64 exec, exec, s[2:3]
	v_cmp_gt_f32_e32 vcc, s44, v1
	v_cndmask_b32_e64 v3, 0, 32, vcc
	v_ldexp_f32 v1, v1, v3
	v_log_f32_e32 v1, v1
	v_cndmask_b32_e32 v3, 0, v27, vcc
	v_mul_f32_e32 v32, 0x3f317217, v1
	v_fma_f32 v32, v1, s45, -v32
	v_fmac_f32_e32 v32, 0x3377d1cf, v1
	v_fmac_f32_e32 v32, 0x3f317217, v1
	v_cmp_lt_f32_e64 vcc, |v1|, s40
	v_cndmask_b32_e32 v1, v1, v32, vcc
	v_sub_f32_e32 v1, v1, v3
	v_mov_b32_e32 v32, 0x7fc00000
.LBB180_4:                              ;   in Loop: Header=BB180_5 Depth=1
	s_or_b64 exec, exec, s[0:1]
	v_bfi_b32 v3, s28, v31, v2
	v_div_scale_f32 v2, s[0:1], s49, s49, v7
	v_div_scale_f32 v31, s[0:1], s49, s49, v3
	v_div_scale_f32 v33, vcc, v7, s49, v7
	v_div_scale_f32 v35, s[2:3], s49, s49, v5
	v_div_scale_f32 v34, s[0:1], v3, s49, v3
	;; [unrolled: 1-line block ×3, first 2 shown]
	v_bfi_b32 v8, s28, v30, v8
	v_div_scale_f32 v30, s[6:7], s49, s49, v8
	v_bfi_b32 v6, s28, v29, v6
	v_rcp_f32_e32 v36, v2
	v_bfi_b32 v32, s28, v32, v4
	v_rcp_f32_e32 v37, v31
	v_fma_f32 v39, -v2, v36, 1.0
	v_fmac_f32_e32 v36, v39, v36
	v_fma_f32 v39, -v31, v37, 1.0
	v_mul_f32_e32 v40, v33, v36
	v_fmac_f32_e32 v37, v39, v37
	v_fma_f32 v39, -v2, v40, v33
	v_fmac_f32_e32 v40, v39, v36
	v_fma_f32 v2, -v2, v40, v33
	v_div_fmas_f32 v2, v2, v36, v40
	v_rcp_f32_e32 v33, v35
	s_mov_b64 vcc, s[0:1]
	v_div_scale_f32 v36, s[0:1], v8, s49, v8
	v_mul_f32_e32 v41, v34, v37
	v_fma_f32 v39, -v31, v41, v34
	v_fmac_f32_e32 v41, v39, v37
	v_div_scale_f32 v39, s[6:7], s49, s49, v28
	v_fma_f32 v31, -v31, v41, v34
	v_fma_f32 v34, -v35, v33, 1.0
	v_fmac_f32_e32 v33, v34, v33
	v_mul_f32_e32 v34, v38, v33
	v_div_fmas_f32 v31, v31, v37, v41
	v_fma_f32 v37, -v35, v34, v38
	v_fmac_f32_e32 v34, v37, v33
	v_fma_f32 v35, -v35, v34, v38
	v_div_scale_f32 v38, s[6:7], v28, s49, v28
	v_rcp_f32_e32 v37, v30
	s_mov_b64 vcc, s[2:3]
	v_div_scale_f32 v29, s[2:3], s49, s49, v6
	v_div_fmas_f32 v33, v35, v33, v34
	v_fma_f32 v34, -v30, v37, 1.0
	v_fmac_f32_e32 v37, v34, v37
	v_mul_f32_e32 v34, v36, v37
	v_fma_f32 v35, -v30, v34, v36
	v_fmac_f32_e32 v34, v35, v37
	v_rcp_f32_e32 v35, v39
	v_fma_f32 v30, -v30, v34, v36
	s_mov_b64 vcc, s[0:1]
	v_div_scale_f32 v36, s[0:1], v6, s49, v6
	v_div_fmas_f32 v34, v30, v37, v34
	v_fma_f32 v30, -v39, v35, 1.0
	v_div_scale_f32 v40, s[2:3], s49, s49, v1
	v_fmac_f32_e32 v35, v30, v35
	v_mul_f32_e32 v30, v38, v35
	v_fma_f32 v37, -v39, v30, v38
	v_fmac_f32_e32 v30, v37, v35
	v_fma_f32 v38, -v39, v30, v38
	s_mov_b64 vcc, s[6:7]
	v_rcp_f32_e32 v37, v29
	v_div_fmas_f32 v35, v38, v35, v30
	v_div_scale_f32 v38, s[2:3], v1, s49, v1
	v_div_scale_f32 v4, s[6:7], s49, s49, v32
	v_fma_f32 v30, -v29, v37, 1.0
	v_fmac_f32_e32 v37, v30, v37
	v_mul_f32_e32 v30, v36, v37
	v_fma_f32 v39, -v29, v30, v36
	v_fmac_f32_e32 v30, v39, v37
	v_div_scale_f32 v39, s[6:7], v32, s49, v32
	v_rcp_f32_e32 v41, v40
	v_fma_f32 v29, -v29, v30, v36
	s_mov_b64 vcc, s[0:1]
	v_div_fmas_f32 v29, v29, v37, v30
	v_fma_f32 v30, -v40, v41, 1.0
	v_fmac_f32_e32 v41, v30, v41
	v_mul_f32_e32 v30, v38, v41
	v_fma_f32 v36, -v40, v30, v38
	v_fmac_f32_e32 v30, v36, v41
	v_rcp_f32_e32 v36, v4
	v_fma_f32 v37, -v40, v30, v38
	s_mov_b64 vcc, s[2:3]
	v_div_fmas_f32 v37, v37, v41, v30
	v_fma_f32 v30, -v4, v36, 1.0
	v_fmac_f32_e32 v36, v30, v36
	v_mul_f32_e32 v30, v39, v36
	v_fma_f32 v38, -v4, v30, v39
	v_fmac_f32_e32 v30, v38, v36
	v_fma_f32 v4, -v4, v30, v39
	s_mov_b64 vcc, s[6:7]
	v_div_fmas_f32 v36, v4, v36, v30
	v_add_co_u32_e32 v9, vcc, s29, v9
	v_addc_co_u32_e32 v10, vcc, 0, v10, vcc
	v_div_fixup_f32 v2, v2, s49, v7
	v_div_fixup_f32 v29, v29, s49, v6
	v_lshlrev_b64 v[6:7], 2, v[9:10]
	v_div_fixup_f32 v4, v37, s49, v1
	v_mov_b32_e32 v1, s36
	v_add_co_u32_e32 v11, vcc, s35, v11
	v_addc_co_u32_e32 v12, vcc, v1, v12, vcc
	v_cmp_le_i64_e32 vcc, s[10:11], v[6:7]
	v_div_fixup_f32 v3, v31, s49, v3
	v_div_fixup_f32 v30, v33, s49, v5
	;; [unrolled: 1-line block ×5, first 2 shown]
	s_or_b64 s[14:15], vcc, s[14:15]
	global_store_dwordx4 v[11:12], v[28:31], off
	global_store_dwordx4 v[11:12], v[2:5], off offset:16
	s_andn2_b64 exec, exec, s[14:15]
	s_cbranch_execz .LBB180_140
.LBB180_5:                              ; =>This Loop Header: Depth=1
                                        ;     Child Loop BB180_16 Depth 2
                                        ;     Child Loop BB180_50 Depth 2
	;; [unrolled: 1-line block ×4, first 2 shown]
	v_lshlrev_b64 v[11:12], 5, v[9:10]
	v_add_co_u32_e32 v28, vcc, s33, v11
	v_addc_co_u32_e32 v29, vcc, v13, v12, vcc
	global_load_dwordx4 v[5:8], v[28:29], off
	global_load_dwordx4 v[1:4], v[28:29], off offset:16
                                        ; implicit-def: $vgpr28
                                        ; implicit-def: $vgpr29
	s_waitcnt vmcnt(1)
	v_cmp_o_f32_e32 vcc, v6, v5
	s_and_saveexec_b64 s[0:1], vcc
	s_xor_b64 s[6:7], exec, s[0:1]
	s_cbranch_execz .LBB180_33
; %bb.6:                                ;   in Loop: Header=BB180_5 Depth=1
	v_cmp_lt_f32_e64 s[0:1], |v5|, |v6|
	v_cndmask_b32_e64 v30, |v6|, |v5|, s[0:1]
	v_cmp_nlt_f32_e32 vcc, s30, v30
                                        ; implicit-def: $vgpr28
                                        ; implicit-def: $vgpr29
	s_and_saveexec_b64 s[2:3], vcc
	s_xor_b64 s[16:17], exec, s[2:3]
	s_cbranch_execz .LBB180_30
; %bb.7:                                ;   in Loop: Header=BB180_5 Depth=1
	v_and_b32_e32 v28, 0x7fffffff, v6
	v_cndmask_b32_e64 v31, |v5|, v28, s[0:1]
	v_cmp_neq_f32_e32 vcc, 1.0, v31
                                        ; implicit-def: $vgpr28
                                        ; implicit-def: $vgpr29
	s_and_saveexec_b64 s[2:3], vcc
	s_xor_b64 s[18:19], exec, s[2:3]
	s_cbranch_execz .LBB180_23
; %bb.8:                                ;   in Loop: Header=BB180_5 Depth=1
	v_max_f32_e32 v28, v30, v30
	v_max_f32_e32 v29, v31, v31
	v_min_f32_e32 v32, v29, v28
	v_max_f32_e32 v28, v29, v28
	v_cmp_ngt_f32_e32 vcc, s31, v32
	v_cmp_nlt_f32_e64 s[2:3], s37, v28
	s_and_b64 s[2:3], s[2:3], vcc
                                        ; implicit-def: $vgpr28
                                        ; implicit-def: $vgpr29
	s_and_saveexec_b64 s[20:21], s[2:3]
	s_xor_b64 s[20:21], exec, s[20:21]
	s_cbranch_execz .LBB180_20
; %bb.9:                                ;   in Loop: Header=BB180_5 Depth=1
	v_cmp_le_f32_e32 vcc, 1.0, v31
                                        ; implicit-def: $vgpr28
                                        ; implicit-def: $vgpr29
	s_and_saveexec_b64 s[2:3], vcc
	s_xor_b64 s[22:23], exec, s[2:3]
	s_cbranch_execz .LBB180_11
; %bb.10:                               ;   in Loop: Header=BB180_5 Depth=1
	v_add_f32_e32 v28, -1.0, v31
	v_add_f32_e32 v29, 1.0, v31
	v_mul_f32_e32 v31, v28, v29
	v_fmac_f32_e32 v31, v30, v30
	v_add_f32_e32 v30, 1.0, v31
	v_cvt_f64_f32_e32 v[28:29], v30
	v_add_f32_e32 v32, -1.0, v30
	v_sub_f32_e32 v33, v32, v30
	v_sub_f32_e32 v32, v31, v32
	v_frexp_exp_i32_f64_e32 v28, v[28:29]
	v_frexp_mant_f32_e32 v29, v30
	v_cmp_gt_f32_e32 vcc, s38, v29
	v_add_f32_e32 v33, 1.0, v33
	v_add_f32_e32 v32, v32, v33
	v_cmp_gt_i32_e64 s[2:3], 0, v5
	v_cmp_class_f32_e64 s[24:25], v6, s42
	v_subbrev_co_u32_e32 v28, vcc, 0, v28, vcc
	v_sub_u32_e32 v29, 0, v28
	v_ldexp_f32 v30, v30, v29
	v_ldexp_f32 v29, v32, v29
	v_add_f32_e32 v32, -1.0, v30
	v_add_f32_e32 v35, 1.0, v30
	v_add_f32_e32 v33, 1.0, v32
	v_add_f32_e32 v36, -1.0, v35
	v_sub_f32_e32 v33, v30, v33
	v_sub_f32_e32 v30, v30, v36
	v_add_f32_e32 v33, v29, v33
	v_add_f32_e32 v29, v29, v30
	;; [unrolled: 1-line block ×3, first 2 shown]
	v_rcp_f32_e32 v36, v30
	v_add_f32_e32 v34, v32, v33
	v_sub_f32_e32 v32, v34, v32
	v_sub_f32_e32 v32, v33, v32
	;; [unrolled: 1-line block ×4, first 2 shown]
	v_mul_f32_e32 v33, v34, v36
	v_mul_f32_e32 v35, v30, v33
	v_fma_f32 v37, v33, v30, -v35
	v_fmac_f32_e32 v37, v33, v29
	v_add_f32_e32 v38, v35, v37
	v_sub_f32_e32 v39, v34, v38
	v_sub_f32_e32 v34, v34, v39
	;; [unrolled: 1-line block ×4, first 2 shown]
	v_add_f32_e32 v32, v32, v34
	v_sub_f32_e32 v34, v35, v37
	v_add_f32_e32 v32, v34, v32
	v_add_f32_e32 v34, v39, v32
	v_mul_f32_e32 v35, v36, v34
	v_mul_f32_e32 v37, v30, v35
	v_fma_f32 v30, v35, v30, -v37
	v_fmac_f32_e32 v30, v35, v29
	v_sub_f32_e32 v29, v39, v34
	v_add_f32_e32 v29, v32, v29
	v_add_f32_e32 v32, v37, v30
	v_sub_f32_e32 v38, v34, v32
	v_sub_f32_e32 v34, v34, v38
	;; [unrolled: 1-line block ×4, first 2 shown]
	v_add_f32_e32 v29, v29, v32
	v_sub_f32_e32 v30, v37, v30
	v_cvt_f32_i32_e32 v28, v28
	v_add_f32_e32 v29, v30, v29
	v_add_f32_e32 v30, v33, v35
	;; [unrolled: 1-line block ×3, first 2 shown]
	v_sub_f32_e32 v32, v30, v33
	v_mul_f32_e32 v29, v36, v29
	v_sub_f32_e32 v32, v35, v32
	v_add_f32_e32 v29, v32, v29
	v_mul_f32_e32 v35, 0x3f317218, v28
	v_add_f32_e32 v32, v30, v29
	v_fma_f32 v36, v28, s39, -v35
	v_mul_f32_e32 v33, v32, v32
	v_mov_b32_e32 v34, 0x3ecc95a3
	v_fmac_f32_e32 v36, 0xb102e308, v28
	v_sub_f32_e32 v28, v32, v30
	v_fmac_f32_e32 v34, 0x3e9b6dac, v33
	v_sub_f32_e32 v28, v29, v28
	v_add_f32_e32 v29, v35, v36
	v_fma_f32 v34, v33, v34, v14
	v_sub_f32_e32 v30, v29, v35
	v_ldexp_f32 v35, v32, 1
	v_mul_f32_e32 v32, v32, v33
	v_mul_f32_e32 v32, v32, v34
	v_add_f32_e32 v33, v35, v32
	v_sub_f32_e32 v34, v33, v35
	v_ldexp_f32 v28, v28, 1
	v_sub_f32_e32 v32, v32, v34
	v_add_f32_e32 v28, v28, v32
	v_add_f32_e32 v32, v33, v28
	v_sub_f32_e32 v33, v32, v33
	v_sub_f32_e32 v28, v28, v33
	v_add_f32_e32 v33, v29, v32
	v_sub_f32_e32 v34, v33, v29
	v_sub_f32_e32 v35, v33, v34
	;; [unrolled: 1-line block ×5, first 2 shown]
	v_add_f32_e32 v29, v32, v29
	v_add_f32_e32 v32, v30, v28
	v_sub_f32_e32 v34, v32, v30
	v_sub_f32_e32 v35, v32, v34
	;; [unrolled: 1-line block ×4, first 2 shown]
	v_add_f32_e32 v29, v32, v29
	v_add_f32_e32 v28, v28, v30
	v_add_f32_e32 v30, v33, v29
	v_sub_f32_e32 v32, v30, v33
	v_sub_f32_e32 v29, v29, v32
	v_add_f32_e32 v28, v28, v29
	v_add_f32_e32 v28, v30, v28
	v_cmp_neq_f32_e32 vcc, s40, v31
	v_cndmask_b32_e32 v28, v21, v28, vcc
	v_cmp_ngt_f32_e32 vcc, -1.0, v31
	v_cndmask_b32_e32 v28, v22, v28, vcc
	v_cmp_neq_f32_e32 vcc, -1.0, v31
	v_cndmask_b32_e32 v28, v23, v28, vcc
	v_cmp_lt_f32_e64 vcc, |v31|, s41
	v_max_f32_e64 v29, |v6|, |v6|
	v_max_f32_e64 v30, |v5|, |v5|
	v_cndmask_b32_e32 v28, v28, v31, vcc
	v_min_f32_e32 v31, v30, v29
	v_max_f32_e32 v29, v30, v29
	v_frexp_mant_f32_e32 v30, v29
	v_rcp_f32_e32 v30, v30
	v_frexp_exp_i32_f32_e32 v29, v29
	v_frexp_exp_i32_f32_e32 v32, v31
	v_frexp_mant_f32_e32 v31, v31
	v_mul_f32_e32 v30, v31, v30
	v_sub_u32_e32 v29, v32, v29
	v_ldexp_f32 v29, v30, v29
	v_mul_f32_e32 v30, v29, v29
	v_mov_b32_e32 v31, 0xbc7a590c
	v_fmac_f32_e32 v31, 0x3b2d2a58, v30
	v_fma_f32 v31, v30, v31, v15
	v_fma_f32 v31, v30, v31, v16
	v_fma_f32 v31, v30, v31, v17
	v_fma_f32 v31, v30, v31, v18
	v_fma_f32 v31, v30, v31, v19
	v_fma_f32 v31, v30, v31, v20
	v_mul_f32_e32 v30, v30, v31
	v_fmac_f32_e32 v29, v29, v30
	v_sub_f32_e32 v30, 0x3fc90fdb, v29
	v_cndmask_b32_e64 v29, v29, v30, s[0:1]
	v_sub_f32_e32 v30, 0x40490fdb, v29
	v_cmp_gt_f32_e32 vcc, 0, v5
	v_cndmask_b32_e32 v29, v29, v30, vcc
	v_cndmask_b32_e64 v30, 0, v24, s[2:3]
	v_cmp_eq_f32_e64 s[2:3], 0, v6
	v_cndmask_b32_e64 v29, v29, v30, s[2:3]
	v_cmp_class_f32_e64 s[2:3], v5, s42
	v_cndmask_b32_e32 v30, v25, v26, vcc
	s_and_b64 vcc, s[2:3], s[24:25]
	v_mul_f32_e32 v28, 0.5, v28
	v_cndmask_b32_e32 v29, v29, v30, vcc
                                        ; implicit-def: $vgpr30
                                        ; implicit-def: $vgpr31
.LBB180_11:                             ;   in Loop: Header=BB180_5 Depth=1
	s_andn2_saveexec_b64 s[22:23], s[22:23]
	s_cbranch_execz .LBB180_19
; %bb.12:                               ;   in Loop: Header=BB180_5 Depth=1
	v_mul_f32_e32 v32, v30, v30
	v_fmac_f32_e32 v32, v31, v31
	v_cmp_ge_f32_e32 vcc, s43, v32
                                        ; implicit-def: $vgpr28
                                        ; implicit-def: $vgpr29
	s_and_saveexec_b64 s[2:3], vcc
	s_xor_b64 s[24:25], exec, s[2:3]
	s_cbranch_execz .LBB180_14
; %bb.13:                               ;   in Loop: Header=BB180_5 Depth=1
	v_cmp_gt_f32_e32 vcc, s44, v32
	v_cndmask_b32_e64 v28, 0, 32, vcc
	v_ldexp_f32 v28, v32, v28
	v_log_f32_e32 v28, v28
	v_cndmask_b32_e32 v29, 0, v27, vcc
	v_cmp_gt_i32_e64 s[2:3], 0, v5
	v_cmp_class_f32_e64 s[26:27], v6, s42
	v_mul_f32_e32 v30, 0x3f317217, v28
	v_fma_f32 v30, v28, s45, -v30
	v_fmac_f32_e32 v30, 0x3377d1cf, v28
	v_fmac_f32_e32 v30, 0x3f317217, v28
	v_cmp_lt_f32_e64 vcc, |v28|, s40
	v_cndmask_b32_e32 v28, v28, v30, vcc
	v_sub_f32_e32 v28, v28, v29
	v_max_f32_e64 v29, |v6|, |v6|
	v_max_f32_e64 v30, |v5|, |v5|
	v_min_f32_e32 v31, v30, v29
	v_max_f32_e32 v29, v30, v29
	v_frexp_mant_f32_e32 v30, v29
	v_rcp_f32_e32 v30, v30
	v_frexp_exp_i32_f32_e32 v29, v29
	v_frexp_exp_i32_f32_e32 v32, v31
	v_frexp_mant_f32_e32 v31, v31
	v_mul_f32_e32 v30, v31, v30
	v_sub_u32_e32 v29, v32, v29
	v_ldexp_f32 v29, v30, v29
	v_mul_f32_e32 v30, v29, v29
	v_mov_b32_e32 v31, 0xbc7a590c
	v_fmac_f32_e32 v31, 0x3b2d2a58, v30
	v_fma_f32 v31, v30, v31, v15
	v_fma_f32 v31, v30, v31, v16
	v_fma_f32 v31, v30, v31, v17
	v_fma_f32 v31, v30, v31, v18
	v_fma_f32 v31, v30, v31, v19
	v_fma_f32 v31, v30, v31, v20
	v_mul_f32_e32 v30, v30, v31
	v_fmac_f32_e32 v29, v29, v30
	v_sub_f32_e32 v30, 0x3fc90fdb, v29
	v_cndmask_b32_e64 v29, v29, v30, s[0:1]
	v_sub_f32_e32 v30, 0x40490fdb, v29
	v_cmp_gt_f32_e32 vcc, 0, v5
	v_cndmask_b32_e32 v29, v29, v30, vcc
	v_cndmask_b32_e64 v30, 0, v24, s[2:3]
	v_cmp_eq_f32_e64 s[2:3], 0, v6
	v_cndmask_b32_e64 v29, v29, v30, s[2:3]
	v_cmp_class_f32_e64 s[2:3], v5, s42
	v_cndmask_b32_e32 v30, v25, v26, vcc
	s_and_b64 vcc, s[2:3], s[26:27]
	v_mul_f32_e32 v28, 0.5, v28
	v_cndmask_b32_e32 v29, v29, v30, vcc
                                        ; implicit-def: $vgpr31
                                        ; implicit-def: $vgpr30
.LBB180_14:                             ;   in Loop: Header=BB180_5 Depth=1
	s_andn2_saveexec_b64 s[24:25], s[24:25]
	s_cbranch_execz .LBB180_18
; %bb.15:                               ;   in Loop: Header=BB180_5 Depth=1
	v_and_b32_e32 v32, 0x7fff0000, v31
	v_sub_f32_e32 v28, v31, v32
	v_and_b32_e32 v36, 0xffff0000, v28
	v_and_b32_e32 v31, 0x7fff0000, v30
	v_sub_f32_e32 v38, v28, v36
	v_sub_f32_e32 v28, v30, v31
	v_and_b32_e32 v37, 0xffff0000, v28
	v_add_f32_e32 v33, v32, v32
	v_add_f32_e32 v40, v31, v31
	v_sub_f32_e32 v39, v28, v37
	v_mul_f32_e32 v28, v32, v32
	v_mul_f32_e32 v29, v31, v31
	;; [unrolled: 1-line block ×6, first 2 shown]
	v_add_f32_e32 v36, v36, v36
	v_add_f32_e32 v37, v37, v37
	v_mul_f32_e32 v34, v33, v38
	v_mul_f32_e32 v33, v40, v39
	;; [unrolled: 1-line block ×6, first 2 shown]
	s_mov_b64 s[26:27], 0
.LBB180_16:                             ;   Parent Loop BB180_5 Depth=1
                                        ; =>  This Inner Loop Header: Depth=2
	v_cmp_nlt_f32_e32 vcc, v28, v29
	v_mov_b32_e32 v40, v39
	v_cndmask_b32_e32 v39, v28, v29, vcc
	v_cmp_nlt_f32_e64 s[2:3], v39, v32
	v_cndmask_b32_e64 v41, v39, v32, s[2:3]
	v_cndmask_b32_e32 v28, v29, v28, vcc
	s_and_b64 s[50:51], vcc, s[2:3]
	v_cmp_nlt_f32_e32 vcc, v41, v31
	v_cndmask_b32_e64 v29, v32, v39, s[2:3]
	v_cndmask_b32_e32 v39, v41, v31, vcc
	v_cmp_nlt_f32_e64 s[2:3], v39, v35
	v_cndmask_b32_e32 v32, v31, v41, vcc
	v_cndmask_b32_e64 v41, v39, v35, s[2:3]
	s_and_b64 s[52:53], vcc, s[2:3]
	v_cmp_nlt_f32_e32 vcc, v41, v30
	v_cndmask_b32_e64 v31, v35, v39, s[2:3]
	v_cndmask_b32_e32 v39, v41, v30, vcc
	v_cmp_nlt_f32_e64 s[2:3], v39, v34
	v_cndmask_b32_e32 v35, v30, v41, vcc
	v_cndmask_b32_e64 v41, v39, v34, s[2:3]
	v_cndmask_b32_e64 v30, v34, v39, s[2:3]
	s_and_b64 s[2:3], vcc, s[2:3]
	v_cmp_nlt_f32_e32 vcc, v41, v33
	v_cndmask_b32_e32 v39, v41, v33, vcc
	v_cndmask_b32_e32 v34, v33, v41, vcc
	s_and_b64 s[2:3], s[2:3], vcc
	v_cmp_nlt_f32_e32 vcc, v39, v36
	v_cndmask_b32_e32 v41, v39, v36, vcc
	v_cndmask_b32_e32 v33, v36, v39, vcc
	s_and_b64 s[2:3], s[2:3], vcc
	v_cmp_nlt_f32_e32 vcc, v41, v37
	v_cndmask_b32_e32 v39, v41, v37, vcc
	v_cndmask_b32_e32 v36, v37, v41, vcc
	s_and_b64 s[2:3], s[2:3], vcc
	v_cmp_nlt_f32_e32 vcc, v39, v38
	v_cndmask_b32_e32 v41, v39, v38, vcc
	v_cndmask_b32_e32 v37, v38, v39, vcc
	s_and_b64 s[2:3], s[2:3], vcc
	v_cmp_nlt_f32_e32 vcc, v41, v40
	s_and_b64 s[2:3], s[2:3], vcc
	s_and_b64 s[2:3], s[2:3], s[52:53]
	s_and_b64 s[2:3], s[2:3], s[50:51]
	s_and_b64 s[2:3], exec, s[2:3]
	v_cndmask_b32_e32 v39, v41, v40, vcc
	s_or_b64 s[26:27], s[2:3], s[26:27]
	v_cndmask_b32_e32 v38, v40, v41, vcc
	s_andn2_b64 exec, exec, s[26:27]
	s_cbranch_execnz .LBB180_16
; %bb.17:                               ;   in Loop: Header=BB180_5 Depth=1
	s_or_b64 exec, exec, s[26:27]
	v_add_f32_e32 v28, -1.0, v28
	v_add_f32_e32 v28, v28, v29
	v_add_f32_e32 v28, v28, v32
	;; [unrolled: 1-line block ×11, first 2 shown]
	v_add_f32_e32 v31, 1.0, v30
	v_cvt_f64_f32_e32 v[28:29], v31
	v_add_f32_e32 v32, -1.0, v31
	v_sub_f32_e32 v33, v32, v31
	v_sub_f32_e32 v32, v30, v32
	v_frexp_exp_i32_f64_e32 v28, v[28:29]
	v_frexp_mant_f32_e32 v29, v31
	v_cmp_gt_f32_e32 vcc, s38, v29
	v_add_f32_e32 v33, 1.0, v33
	v_add_f32_e32 v32, v32, v33
	v_cmp_gt_i32_e64 s[2:3], 0, v5
	v_cmp_class_f32_e64 s[26:27], v6, s42
	v_subbrev_co_u32_e32 v28, vcc, 0, v28, vcc
	v_sub_u32_e32 v29, 0, v28
	v_ldexp_f32 v31, v31, v29
	v_ldexp_f32 v29, v32, v29
	v_add_f32_e32 v32, -1.0, v31
	v_add_f32_e32 v33, 1.0, v31
	v_add_f32_e32 v34, 1.0, v32
	v_add_f32_e32 v36, -1.0, v33
	v_sub_f32_e32 v34, v31, v34
	v_sub_f32_e32 v31, v31, v36
	v_add_f32_e32 v34, v29, v34
	v_add_f32_e32 v29, v29, v31
	;; [unrolled: 1-line block ×3, first 2 shown]
	v_rcp_f32_e32 v36, v31
	v_add_f32_e32 v35, v32, v34
	v_sub_f32_e32 v33, v31, v33
	v_sub_f32_e32 v32, v35, v32
	;; [unrolled: 1-line block ×3, first 2 shown]
	v_mul_f32_e32 v33, v35, v36
	v_sub_f32_e32 v32, v34, v32
	v_mul_f32_e32 v34, v31, v33
	v_fma_f32 v37, v33, v31, -v34
	v_fmac_f32_e32 v37, v33, v29
	v_add_f32_e32 v38, v34, v37
	v_sub_f32_e32 v39, v35, v38
	v_sub_f32_e32 v35, v35, v39
	;; [unrolled: 1-line block ×4, first 2 shown]
	v_add_f32_e32 v32, v32, v35
	v_sub_f32_e32 v34, v34, v37
	v_add_f32_e32 v32, v34, v32
	v_add_f32_e32 v34, v39, v32
	v_mul_f32_e32 v35, v36, v34
	v_mul_f32_e32 v37, v31, v35
	v_fma_f32 v31, v35, v31, -v37
	v_fmac_f32_e32 v31, v35, v29
	v_sub_f32_e32 v29, v39, v34
	v_add_f32_e32 v29, v32, v29
	v_add_f32_e32 v32, v37, v31
	v_sub_f32_e32 v38, v34, v32
	v_sub_f32_e32 v34, v34, v38
	;; [unrolled: 1-line block ×4, first 2 shown]
	v_add_f32_e32 v29, v29, v32
	v_sub_f32_e32 v31, v37, v31
	v_cvt_f32_i32_e32 v28, v28
	v_add_f32_e32 v29, v31, v29
	v_add_f32_e32 v31, v33, v35
	;; [unrolled: 1-line block ×3, first 2 shown]
	v_sub_f32_e32 v32, v31, v33
	v_mul_f32_e32 v29, v36, v29
	v_sub_f32_e32 v32, v35, v32
	v_add_f32_e32 v29, v32, v29
	v_mul_f32_e32 v35, 0x3f317218, v28
	v_add_f32_e32 v32, v31, v29
	v_fma_f32 v36, v28, s39, -v35
	v_mul_f32_e32 v33, v32, v32
	v_mov_b32_e32 v34, 0x3ecc95a3
	v_fmac_f32_e32 v36, 0xb102e308, v28
	v_sub_f32_e32 v28, v32, v31
	v_fmac_f32_e32 v34, 0x3e9b6dac, v33
	v_sub_f32_e32 v28, v29, v28
	v_add_f32_e32 v29, v35, v36
	v_fma_f32 v34, v33, v34, v14
	v_sub_f32_e32 v31, v29, v35
	v_ldexp_f32 v35, v32, 1
	v_mul_f32_e32 v32, v32, v33
	v_mul_f32_e32 v32, v32, v34
	v_add_f32_e32 v33, v35, v32
	v_sub_f32_e32 v34, v33, v35
	v_ldexp_f32 v28, v28, 1
	v_sub_f32_e32 v32, v32, v34
	v_add_f32_e32 v28, v28, v32
	v_add_f32_e32 v32, v33, v28
	v_sub_f32_e32 v33, v32, v33
	v_sub_f32_e32 v28, v28, v33
	v_add_f32_e32 v33, v29, v32
	v_sub_f32_e32 v34, v33, v29
	v_sub_f32_e32 v35, v33, v34
	;; [unrolled: 1-line block ×5, first 2 shown]
	v_add_f32_e32 v29, v32, v29
	v_add_f32_e32 v32, v31, v28
	v_sub_f32_e32 v34, v32, v31
	v_sub_f32_e32 v35, v32, v34
	v_sub_f32_e32 v31, v31, v35
	v_sub_f32_e32 v28, v28, v34
	v_add_f32_e32 v29, v32, v29
	v_add_f32_e32 v28, v28, v31
	v_add_f32_e32 v31, v33, v29
	v_sub_f32_e32 v32, v31, v33
	v_sub_f32_e32 v29, v29, v32
	v_add_f32_e32 v28, v28, v29
	v_add_f32_e32 v28, v31, v28
	v_cmp_neq_f32_e32 vcc, s40, v30
	v_cndmask_b32_e32 v28, v21, v28, vcc
	v_cmp_ngt_f32_e32 vcc, -1.0, v30
	v_cndmask_b32_e32 v28, v22, v28, vcc
	v_cmp_neq_f32_e32 vcc, -1.0, v30
	v_cndmask_b32_e32 v28, v23, v28, vcc
	v_cmp_lt_f32_e64 vcc, |v30|, s41
	v_cndmask_b32_e32 v28, v28, v30, vcc
	v_max_f32_e64 v29, |v6|, |v6|
	v_max_f32_e64 v30, |v5|, |v5|
	v_min_f32_e32 v31, v30, v29
	v_max_f32_e32 v29, v30, v29
	v_frexp_mant_f32_e32 v30, v29
	v_rcp_f32_e32 v30, v30
	v_frexp_exp_i32_f32_e32 v29, v29
	v_frexp_exp_i32_f32_e32 v32, v31
	v_frexp_mant_f32_e32 v31, v31
	v_mul_f32_e32 v30, v31, v30
	v_sub_u32_e32 v29, v32, v29
	v_ldexp_f32 v29, v30, v29
	v_mul_f32_e32 v30, v29, v29
	v_mov_b32_e32 v31, 0xbc7a590c
	v_fmac_f32_e32 v31, 0x3b2d2a58, v30
	v_fma_f32 v31, v30, v31, v15
	v_fma_f32 v31, v30, v31, v16
	;; [unrolled: 1-line block ×6, first 2 shown]
	v_mul_f32_e32 v30, v30, v31
	v_fmac_f32_e32 v29, v29, v30
	v_sub_f32_e32 v30, 0x3fc90fdb, v29
	v_cndmask_b32_e64 v29, v29, v30, s[0:1]
	v_sub_f32_e32 v30, 0x40490fdb, v29
	v_cmp_gt_f32_e32 vcc, 0, v5
	v_cndmask_b32_e32 v29, v29, v30, vcc
	v_cndmask_b32_e64 v30, 0, v24, s[2:3]
	v_cmp_eq_f32_e64 s[2:3], 0, v6
	v_cndmask_b32_e64 v29, v29, v30, s[2:3]
	v_cmp_class_f32_e64 s[2:3], v5, s42
	v_cndmask_b32_e32 v30, v25, v26, vcc
	s_and_b64 vcc, s[2:3], s[26:27]
	v_mul_f32_e32 v28, 0.5, v28
	v_cndmask_b32_e32 v29, v29, v30, vcc
.LBB180_18:                             ;   in Loop: Header=BB180_5 Depth=1
	s_or_b64 exec, exec, s[24:25]
.LBB180_19:                             ;   in Loop: Header=BB180_5 Depth=1
	s_or_b64 exec, exec, s[22:23]
.LBB180_20:                             ;   in Loop: Header=BB180_5 Depth=1
	s_andn2_saveexec_b64 s[20:21], s[20:21]
	s_cbranch_execz .LBB180_22
; %bb.21:                               ;   in Loop: Header=BB180_5 Depth=1
	v_max_f32_e64 v30, |v6|, |v6|
	v_max_f32_e64 v31, |v5|, |v5|
	v_max_f32_e32 v32, v31, v30
	v_cvt_f64_f32_e32 v[28:29], v32
	v_cmp_neq_f32_e32 vcc, s40, v32
	v_cmp_gt_i32_e64 s[2:3], 0, v5
	v_cmp_class_f32_e64 s[22:23], v6, s42
	v_frexp_exp_i32_f64_e32 v28, v[28:29]
	v_min_f32_e32 v29, v31, v30
	v_frexp_mant_f32_e32 v31, v32
	v_rcp_f32_e32 v31, v31
	v_frexp_exp_i32_f32_e32 v33, v29
	v_frexp_mant_f32_e32 v29, v29
	v_frexp_exp_i32_f32_e32 v30, v32
	v_mul_f32_e32 v29, v29, v31
	v_sub_u32_e32 v34, 0, v28
	v_ldexp_f32 v35, |v5|, v34
	v_ldexp_f32 v34, |v6|, v34
	v_mul_f32_e32 v34, v34, v34
	v_fmac_f32_e32 v34, v35, v35
	v_sqrt_f32_e32 v34, v34
	v_sub_u32_e32 v30, v33, v30
	v_ldexp_f32 v29, v29, v30
	v_mul_f32_e32 v30, v29, v29
	v_ldexp_f32 v28, v34, v28
	v_cndmask_b32_e32 v28, v21, v28, vcc
	v_cmp_gt_f32_e32 vcc, s44, v28
	v_cndmask_b32_e64 v31, 0, 32, vcc
	v_ldexp_f32 v28, v28, v31
	v_log_f32_e32 v28, v28
	v_cndmask_b32_e32 v31, 0, v27, vcc
	v_mul_f32_e32 v32, 0x3f317217, v28
	v_fma_f32 v32, v28, s45, -v32
	v_fmac_f32_e32 v32, 0x3377d1cf, v28
	v_fmac_f32_e32 v32, 0x3f317217, v28
	v_cmp_lt_f32_e64 vcc, |v28|, s40
	v_cndmask_b32_e32 v28, v28, v32, vcc
	v_sub_f32_e32 v28, v28, v31
	v_mov_b32_e32 v31, 0xbc7a590c
	v_fmac_f32_e32 v31, 0x3b2d2a58, v30
	v_fma_f32 v31, v30, v31, v15
	v_fma_f32 v31, v30, v31, v16
	;; [unrolled: 1-line block ×6, first 2 shown]
	v_mul_f32_e32 v30, v30, v31
	v_fmac_f32_e32 v29, v29, v30
	v_sub_f32_e32 v30, 0x3fc90fdb, v29
	v_cndmask_b32_e64 v29, v29, v30, s[0:1]
	v_sub_f32_e32 v30, 0x40490fdb, v29
	v_cmp_gt_f32_e32 vcc, 0, v5
	v_cndmask_b32_e32 v29, v29, v30, vcc
	v_cndmask_b32_e64 v30, 0, v24, s[2:3]
	v_cmp_eq_f32_e64 s[2:3], 0, v6
	v_cndmask_b32_e64 v29, v29, v30, s[2:3]
	v_cmp_class_f32_e64 s[2:3], v5, s42
	v_cndmask_b32_e32 v30, v25, v26, vcc
	s_and_b64 vcc, s[2:3], s[22:23]
	v_cndmask_b32_e32 v29, v29, v30, vcc
.LBB180_22:                             ;   in Loop: Header=BB180_5 Depth=1
	s_or_b64 exec, exec, s[20:21]
                                        ; implicit-def: $vgpr30
.LBB180_23:                             ;   in Loop: Header=BB180_5 Depth=1
	s_andn2_saveexec_b64 s[18:19], s[18:19]
	s_cbranch_execz .LBB180_29
; %bb.24:                               ;   in Loop: Header=BB180_5 Depth=1
	v_cmp_ngt_f32_e32 vcc, s46, v30
                                        ; implicit-def: $vgpr28
                                        ; implicit-def: $vgpr29
	s_and_saveexec_b64 s[2:3], vcc
	s_xor_b64 s[20:21], exec, s[2:3]
	s_cbranch_execz .LBB180_26
; %bb.25:                               ;   in Loop: Header=BB180_5 Depth=1
	v_mul_f32_e32 v30, v30, v30
	v_add_f32_e32 v31, 1.0, v30
	v_cvt_f64_f32_e32 v[28:29], v31
	v_add_f32_e32 v32, -1.0, v31
	v_sub_f32_e32 v33, v32, v31
	v_sub_f32_e32 v32, v30, v32
	v_frexp_exp_i32_f64_e32 v28, v[28:29]
	v_frexp_mant_f32_e32 v29, v31
	v_cmp_gt_f32_e32 vcc, s38, v29
	v_add_f32_e32 v33, 1.0, v33
	v_add_f32_e32 v32, v32, v33
	v_cmp_gt_i32_e64 s[2:3], 0, v5
	v_cmp_class_f32_e64 s[22:23], v6, s42
	v_subbrev_co_u32_e32 v28, vcc, 0, v28, vcc
	v_sub_u32_e32 v29, 0, v28
	v_ldexp_f32 v31, v31, v29
	v_ldexp_f32 v29, v32, v29
	v_add_f32_e32 v32, -1.0, v31
	v_add_f32_e32 v33, 1.0, v31
	v_add_f32_e32 v34, 1.0, v32
	v_add_f32_e32 v36, -1.0, v33
	v_sub_f32_e32 v34, v31, v34
	v_sub_f32_e32 v31, v31, v36
	v_add_f32_e32 v34, v29, v34
	v_add_f32_e32 v29, v29, v31
	;; [unrolled: 1-line block ×3, first 2 shown]
	v_rcp_f32_e32 v36, v31
	v_add_f32_e32 v35, v32, v34
	v_sub_f32_e32 v33, v33, v31
	v_sub_f32_e32 v32, v32, v35
	v_add_f32_e32 v29, v29, v33
	v_mul_f32_e32 v33, v35, v36
	v_add_f32_e32 v32, v34, v32
	v_mul_f32_e32 v34, v31, v33
	v_fma_f32 v37, v33, v31, -v34
	v_fmac_f32_e32 v37, v33, v29
	v_add_f32_e32 v38, v34, v37
	v_sub_f32_e32 v39, v35, v38
	v_sub_f32_e32 v35, v35, v39
	;; [unrolled: 1-line block ×4, first 2 shown]
	v_add_f32_e32 v32, v32, v35
	v_sub_f32_e32 v34, v34, v37
	v_add_f32_e32 v32, v34, v32
	v_add_f32_e32 v34, v39, v32
	v_mul_f32_e32 v35, v36, v34
	v_mul_f32_e32 v37, v31, v35
	v_fma_f32 v31, v35, v31, -v37
	v_fmac_f32_e32 v31, v35, v29
	v_sub_f32_e32 v29, v39, v34
	v_add_f32_e32 v29, v32, v29
	v_add_f32_e32 v32, v37, v31
	v_sub_f32_e32 v38, v34, v32
	v_sub_f32_e32 v34, v34, v38
	;; [unrolled: 1-line block ×4, first 2 shown]
	v_add_f32_e32 v29, v29, v32
	v_sub_f32_e32 v31, v37, v31
	v_cvt_f32_i32_e32 v28, v28
	v_add_f32_e32 v29, v31, v29
	v_add_f32_e32 v31, v33, v35
	;; [unrolled: 1-line block ×3, first 2 shown]
	v_sub_f32_e32 v32, v31, v33
	v_mul_f32_e32 v29, v36, v29
	v_sub_f32_e32 v32, v35, v32
	v_add_f32_e32 v29, v32, v29
	v_mul_f32_e32 v35, 0x3f317218, v28
	v_add_f32_e32 v32, v31, v29
	v_fma_f32 v36, v28, s39, -v35
	v_mul_f32_e32 v33, v32, v32
	v_mov_b32_e32 v34, 0x3ecc95a3
	v_fmac_f32_e32 v36, 0xb102e308, v28
	v_sub_f32_e32 v28, v32, v31
	v_fmac_f32_e32 v34, 0x3e9b6dac, v33
	v_sub_f32_e32 v28, v29, v28
	v_add_f32_e32 v29, v35, v36
	v_fma_f32 v34, v33, v34, v14
	v_sub_f32_e32 v31, v29, v35
	v_ldexp_f32 v35, v32, 1
	v_mul_f32_e32 v32, v32, v33
	v_mul_f32_e32 v32, v32, v34
	v_add_f32_e32 v33, v35, v32
	v_sub_f32_e32 v34, v33, v35
	v_ldexp_f32 v28, v28, 1
	v_sub_f32_e32 v32, v32, v34
	v_add_f32_e32 v28, v28, v32
	v_add_f32_e32 v32, v33, v28
	v_sub_f32_e32 v33, v32, v33
	v_sub_f32_e32 v28, v28, v33
	v_add_f32_e32 v33, v29, v32
	v_sub_f32_e32 v34, v33, v29
	v_sub_f32_e32 v35, v33, v34
	;; [unrolled: 1-line block ×5, first 2 shown]
	v_add_f32_e32 v29, v32, v29
	v_add_f32_e32 v32, v31, v28
	v_sub_f32_e32 v34, v32, v31
	v_sub_f32_e32 v35, v32, v34
	;; [unrolled: 1-line block ×4, first 2 shown]
	v_add_f32_e32 v29, v32, v29
	v_add_f32_e32 v28, v28, v31
	;; [unrolled: 1-line block ×3, first 2 shown]
	v_sub_f32_e32 v32, v31, v33
	v_sub_f32_e32 v29, v29, v32
	v_add_f32_e32 v28, v28, v29
	v_add_f32_e32 v28, v31, v28
	v_cmp_neq_f32_e32 vcc, s40, v30
	v_cndmask_b32_e32 v28, v21, v28, vcc
	v_cmp_lt_f32_e64 vcc, |v30|, s41
	v_cndmask_b32_e32 v28, v28, v30, vcc
	v_max_f32_e64 v29, |v6|, |v6|
	v_max_f32_e64 v30, |v5|, |v5|
	v_min_f32_e32 v31, v30, v29
	v_max_f32_e32 v29, v30, v29
	v_frexp_mant_f32_e32 v30, v29
	v_rcp_f32_e32 v30, v30
	v_frexp_exp_i32_f32_e32 v29, v29
	v_frexp_exp_i32_f32_e32 v32, v31
	v_frexp_mant_f32_e32 v31, v31
	v_mul_f32_e32 v30, v31, v30
	v_sub_u32_e32 v29, v32, v29
	v_ldexp_f32 v29, v30, v29
	v_mul_f32_e32 v30, v29, v29
	v_mov_b32_e32 v31, 0xbc7a590c
	v_fmac_f32_e32 v31, 0x3b2d2a58, v30
	v_fma_f32 v31, v30, v31, v15
	v_fma_f32 v31, v30, v31, v16
	;; [unrolled: 1-line block ×6, first 2 shown]
	v_mul_f32_e32 v30, v30, v31
	v_fmac_f32_e32 v29, v29, v30
	v_sub_f32_e32 v30, 0x3fc90fdb, v29
	v_cndmask_b32_e64 v29, v29, v30, s[0:1]
	v_sub_f32_e32 v30, 0x40490fdb, v29
	v_cmp_gt_f32_e32 vcc, 0, v5
	v_cndmask_b32_e32 v29, v29, v30, vcc
	v_cndmask_b32_e64 v30, 0, v24, s[2:3]
	v_cmp_eq_f32_e64 s[2:3], 0, v6
	v_cndmask_b32_e64 v29, v29, v30, s[2:3]
	v_cmp_class_f32_e64 s[2:3], v5, s42
	v_cndmask_b32_e32 v30, v25, v26, vcc
	s_and_b64 vcc, s[2:3], s[22:23]
	v_mul_f32_e32 v28, 0.5, v28
	v_cndmask_b32_e32 v29, v29, v30, vcc
                                        ; implicit-def: $vgpr30
.LBB180_26:                             ;   in Loop: Header=BB180_5 Depth=1
	s_andn2_saveexec_b64 s[20:21], s[20:21]
	s_cbranch_execz .LBB180_28
; %bb.27:                               ;   in Loop: Header=BB180_5 Depth=1
	v_mul_f32_e32 v28, 0.5, v30
	v_mul_f32_e32 v28, v30, v28
	v_max_f32_e64 v29, |v6|, |v6|
	v_max_f32_e64 v30, |v5|, |v5|
	v_min_f32_e32 v31, v30, v29
	v_max_f32_e32 v29, v30, v29
	v_frexp_mant_f32_e32 v30, v29
	v_rcp_f32_e32 v30, v30
	v_frexp_exp_i32_f32_e32 v29, v29
	v_frexp_exp_i32_f32_e32 v32, v31
	v_frexp_mant_f32_e32 v31, v31
	v_mul_f32_e32 v30, v31, v30
	v_sub_u32_e32 v29, v32, v29
	v_ldexp_f32 v29, v30, v29
	v_mul_f32_e32 v30, v29, v29
	v_mov_b32_e32 v31, 0xbc7a590c
	v_fmac_f32_e32 v31, 0x3b2d2a58, v30
	v_fma_f32 v31, v30, v31, v15
	v_fma_f32 v31, v30, v31, v16
	;; [unrolled: 1-line block ×6, first 2 shown]
	v_mul_f32_e32 v30, v30, v31
	v_fmac_f32_e32 v29, v29, v30
	v_sub_f32_e32 v30, 0x3fc90fdb, v29
	v_cndmask_b32_e64 v29, v29, v30, s[0:1]
	v_sub_f32_e32 v30, 0x40490fdb, v29
	v_cmp_gt_f32_e32 vcc, 0, v5
	v_cmp_gt_i32_e64 s[2:3], 0, v5
	v_cndmask_b32_e32 v29, v29, v30, vcc
	v_cndmask_b32_e64 v30, 0, v24, s[2:3]
	v_cmp_eq_f32_e64 s[2:3], 0, v6
	v_cndmask_b32_e64 v29, v29, v30, s[2:3]
	v_cmp_class_f32_e64 s[2:3], v5, s42
	v_cmp_class_f32_e64 s[22:23], v6, s42
	v_cndmask_b32_e32 v30, v25, v26, vcc
	s_and_b64 vcc, s[2:3], s[22:23]
	v_cndmask_b32_e32 v29, v29, v30, vcc
.LBB180_28:                             ;   in Loop: Header=BB180_5 Depth=1
	s_or_b64 exec, exec, s[20:21]
.LBB180_29:                             ;   in Loop: Header=BB180_5 Depth=1
	s_or_b64 exec, exec, s[18:19]
.LBB180_30:                             ;   in Loop: Header=BB180_5 Depth=1
	s_andn2_saveexec_b64 s[16:17], s[16:17]
	s_cbranch_execz .LBB180_32
; %bb.31:                               ;   in Loop: Header=BB180_5 Depth=1
	v_div_scale_f32 v28, s[2:3], s47, s47, v5
	v_div_scale_f32 v29, s[2:3], s47, s47, v6
	v_div_scale_f32 v30, vcc, v5, s47, v5
	v_div_scale_f32 v31, s[2:3], v6, s47, v6
	v_rcp_f32_e32 v32, v28
	v_rcp_f32_e32 v33, v29
	v_fma_f32 v34, -v28, v32, 1.0
	v_fmac_f32_e32 v32, v34, v32
	v_fma_f32 v35, -v29, v33, 1.0
	v_fmac_f32_e32 v33, v35, v33
	v_mul_f32_e32 v34, v30, v32
	v_mul_f32_e32 v35, v31, v33
	v_fma_f32 v36, -v28, v34, v30
	v_fma_f32 v37, -v29, v35, v31
	v_fmac_f32_e32 v34, v36, v32
	v_fmac_f32_e32 v35, v37, v33
	v_fma_f32 v28, -v28, v34, v30
	v_fma_f32 v29, -v29, v35, v31
	v_div_fmas_f32 v28, v28, v32, v34
	s_mov_b64 vcc, s[2:3]
	v_div_fmas_f32 v29, v29, v33, v35
	v_max_f32_e64 v30, |v6|, |v6|
	v_max_f32_e64 v31, |v5|, |v5|
	v_min_f32_e32 v33, v31, v30
	v_max_f32_e32 v30, v31, v30
	v_frexp_exp_i32_f32_e32 v31, v30
	v_frexp_exp_i32_f32_e32 v34, v33
	v_sub_u32_e32 v31, v34, v31
	v_frexp_mant_f32_e32 v30, v30
	v_rcp_f32_e32 v30, v30
	v_frexp_mant_f32_e32 v33, v33
	v_mov_b32_e32 v32, 0xbc7a590c
	v_cmp_class_f32_e64 s[2:3], v6, s42
	v_mul_f32_e32 v30, v33, v30
	v_div_fixup_f32 v34, v28, s47, v5
	v_ldexp_f32 v30, v30, v31
	v_div_fixup_f32 v35, v29, s47, v6
	v_max_f32_e64 v36, |v34|, |v35|
	v_cvt_f64_f32_e32 v[28:29], v36
	v_mul_f32_e32 v31, v30, v30
	v_fmac_f32_e32 v32, 0x3b2d2a58, v31
	v_cmp_neq_f32_e32 vcc, s40, v36
	v_frexp_exp_i32_f64_e32 v28, v[28:29]
	v_fma_f32 v29, v31, v32, v15
	v_fma_f32 v29, v31, v29, v16
	;; [unrolled: 1-line block ×6, first 2 shown]
	v_mul_f32_e32 v29, v31, v29
	v_sub_u32_e32 v32, 0, v28
	v_ldexp_f32 v33, |v34|, v32
	v_ldexp_f32 v32, |v35|, v32
	v_mul_f32_e32 v32, v32, v32
	v_fmac_f32_e32 v32, v33, v33
	v_sqrt_f32_e32 v32, v32
	v_fmac_f32_e32 v30, v30, v29
	v_sub_f32_e32 v29, 0x3fc90fdb, v30
	v_cndmask_b32_e64 v29, v30, v29, s[0:1]
	v_ldexp_f32 v28, v32, v28
	v_cndmask_b32_e32 v28, v21, v28, vcc
	v_cmp_gt_f32_e32 vcc, s44, v28
	v_cndmask_b32_e64 v31, 0, 32, vcc
	v_ldexp_f32 v28, v28, v31
	v_log_f32_e32 v28, v28
	v_cndmask_b32_e32 v31, 0, v27, vcc
	v_sub_f32_e32 v30, 0x40490fdb, v29
	v_cmp_gt_i32_e64 s[0:1], 0, v5
	v_mul_f32_e32 v32, 0x3f317217, v28
	v_fma_f32 v32, v28, s45, -v32
	v_fmac_f32_e32 v32, 0x3377d1cf, v28
	v_fmac_f32_e32 v32, 0x3f317217, v28
	v_cmp_lt_f32_e64 vcc, |v28|, s40
	v_cndmask_b32_e32 v28, v28, v32, vcc
	v_cmp_gt_f32_e32 vcc, 0, v5
	v_cndmask_b32_e32 v29, v29, v30, vcc
	v_cndmask_b32_e64 v30, 0, v24, s[0:1]
	v_cmp_eq_f32_e64 s[0:1], 0, v6
	v_cndmask_b32_e64 v29, v29, v30, s[0:1]
	v_cmp_class_f32_e64 s[0:1], v5, s42
	v_sub_f32_e32 v28, v28, v31
	v_cndmask_b32_e32 v30, v25, v26, vcc
	s_and_b64 vcc, s[0:1], s[2:3]
	v_add_f32_e32 v28, 1.0, v28
	v_cndmask_b32_e32 v29, v29, v30, vcc
.LBB180_32:                             ;   in Loop: Header=BB180_5 Depth=1
	s_or_b64 exec, exec, s[16:17]
.LBB180_33:                             ;   in Loop: Header=BB180_5 Depth=1
	s_andn2_saveexec_b64 s[0:1], s[6:7]
	s_cbranch_execz .LBB180_39
; %bb.34:                               ;   in Loop: Header=BB180_5 Depth=1
	v_cmp_nlt_f32_e64 s[2:3], |v5|, s48
	v_cmp_nlt_f32_e64 s[6:7], |v6|, s48
	s_or_b64 s[2:3], s[2:3], s[6:7]
                                        ; implicit-def: $vgpr28
	s_and_saveexec_b64 s[6:7], s[2:3]
	s_xor_b64 s[2:3], exec, s[6:7]
; %bb.35:                               ;   in Loop: Header=BB180_5 Depth=1
	v_mul_f32_e32 v28, v6, v6
	v_fmac_f32_e32 v28, v5, v5
; %bb.36:                               ;   in Loop: Header=BB180_5 Depth=1
	s_andn2_saveexec_b64 s[2:3], s[2:3]
; %bb.37:                               ;   in Loop: Header=BB180_5 Depth=1
	v_mul_f32_e32 v28, 4.0, v6
	v_mul_f32_e32 v5, 4.0, v5
	v_mul_f32_e32 v28, v28, v28
	v_fmac_f32_e32 v28, v5, v5
	v_mul_f32_e32 v28, 0x3d800000, v28
; %bb.38:                               ;   in Loop: Header=BB180_5 Depth=1
	s_or_b64 exec, exec, s[2:3]
	v_cmp_gt_f32_e32 vcc, s44, v28
	v_cndmask_b32_e64 v5, 0, 32, vcc
	v_ldexp_f32 v5, v28, v5
	v_log_f32_e32 v5, v5
	v_cndmask_b32_e32 v28, 0, v27, vcc
	v_mul_f32_e32 v29, 0x3f317217, v5
	v_fma_f32 v29, v5, s45, -v29
	v_fmac_f32_e32 v29, 0x3377d1cf, v5
	v_fmac_f32_e32 v29, 0x3f317217, v5
	v_cmp_lt_f32_e64 vcc, |v5|, s40
	v_cndmask_b32_e32 v5, v5, v29, vcc
	v_sub_f32_e32 v28, v5, v28
	v_mov_b32_e32 v29, 0x7fc00000
.LBB180_39:                             ;   in Loop: Header=BB180_5 Depth=1
	s_or_b64 exec, exec, s[0:1]
	v_cmp_o_f32_e32 vcc, v8, v7
                                        ; implicit-def: $vgpr5
                                        ; implicit-def: $vgpr30
	s_and_saveexec_b64 s[0:1], vcc
	s_xor_b64 s[6:7], exec, s[0:1]
	s_cbranch_execz .LBB180_67
; %bb.40:                               ;   in Loop: Header=BB180_5 Depth=1
	v_cmp_lt_f32_e64 s[0:1], |v7|, |v8|
	v_cndmask_b32_e64 v31, |v8|, |v7|, s[0:1]
	v_cmp_nlt_f32_e32 vcc, s30, v31
                                        ; implicit-def: $vgpr5
                                        ; implicit-def: $vgpr30
	s_and_saveexec_b64 s[2:3], vcc
	s_xor_b64 s[16:17], exec, s[2:3]
	s_cbranch_execz .LBB180_64
; %bb.41:                               ;   in Loop: Header=BB180_5 Depth=1
	v_and_b32_e32 v5, 0x7fffffff, v8
	v_cndmask_b32_e64 v32, |v7|, v5, s[0:1]
	v_cmp_neq_f32_e32 vcc, 1.0, v32
                                        ; implicit-def: $vgpr5
                                        ; implicit-def: $vgpr30
	s_and_saveexec_b64 s[2:3], vcc
	s_xor_b64 s[18:19], exec, s[2:3]
	s_cbranch_execz .LBB180_57
; %bb.42:                               ;   in Loop: Header=BB180_5 Depth=1
	v_max_f32_e32 v5, v31, v31
	v_max_f32_e32 v30, v32, v32
	v_min_f32_e32 v33, v30, v5
	v_max_f32_e32 v5, v30, v5
	v_cmp_ngt_f32_e32 vcc, s31, v33
	v_cmp_nlt_f32_e64 s[2:3], s37, v5
	s_and_b64 s[2:3], s[2:3], vcc
                                        ; implicit-def: $vgpr5
                                        ; implicit-def: $vgpr30
	s_and_saveexec_b64 s[20:21], s[2:3]
	s_xor_b64 s[20:21], exec, s[20:21]
	s_cbranch_execz .LBB180_54
; %bb.43:                               ;   in Loop: Header=BB180_5 Depth=1
	v_cmp_le_f32_e32 vcc, 1.0, v32
                                        ; implicit-def: $vgpr5
                                        ; implicit-def: $vgpr30
	s_and_saveexec_b64 s[2:3], vcc
	s_xor_b64 s[22:23], exec, s[2:3]
	s_cbranch_execz .LBB180_45
; %bb.44:                               ;   in Loop: Header=BB180_5 Depth=1
	v_add_f32_e32 v5, -1.0, v32
	v_add_f32_e32 v30, 1.0, v32
	v_mul_f32_e32 v5, v5, v30
	v_fmac_f32_e32 v5, v31, v31
	v_add_f32_e32 v32, 1.0, v5
	v_cvt_f64_f32_e32 v[30:31], v32
	v_add_f32_e32 v33, -1.0, v32
	v_sub_f32_e32 v34, v33, v32
	v_sub_f32_e32 v33, v5, v33
	v_frexp_exp_i32_f64_e32 v30, v[30:31]
	v_frexp_mant_f32_e32 v31, v32
	v_cmp_gt_f32_e32 vcc, s38, v31
	v_add_f32_e32 v34, 1.0, v34
	v_add_f32_e32 v33, v33, v34
	v_cmp_gt_i32_e64 s[2:3], 0, v7
	v_cmp_class_f32_e64 s[24:25], v8, s42
	v_subbrev_co_u32_e32 v30, vcc, 0, v30, vcc
	v_sub_u32_e32 v31, 0, v30
	v_ldexp_f32 v32, v32, v31
	v_ldexp_f32 v31, v33, v31
	v_add_f32_e32 v33, -1.0, v32
	v_add_f32_e32 v36, 1.0, v32
	v_add_f32_e32 v34, 1.0, v33
	v_add_f32_e32 v37, -1.0, v36
	v_sub_f32_e32 v34, v32, v34
	v_sub_f32_e32 v32, v32, v37
	v_add_f32_e32 v34, v31, v34
	v_add_f32_e32 v31, v31, v32
	;; [unrolled: 1-line block ×3, first 2 shown]
	v_rcp_f32_e32 v37, v32
	v_add_f32_e32 v35, v33, v34
	v_sub_f32_e32 v33, v35, v33
	v_sub_f32_e32 v33, v34, v33
	;; [unrolled: 1-line block ×4, first 2 shown]
	v_mul_f32_e32 v34, v35, v37
	v_mul_f32_e32 v36, v32, v34
	v_fma_f32 v38, v34, v32, -v36
	v_fmac_f32_e32 v38, v34, v31
	v_add_f32_e32 v39, v36, v38
	v_sub_f32_e32 v40, v35, v39
	v_sub_f32_e32 v35, v35, v40
	;; [unrolled: 1-line block ×4, first 2 shown]
	v_add_f32_e32 v33, v33, v35
	v_sub_f32_e32 v35, v36, v38
	v_add_f32_e32 v33, v35, v33
	v_add_f32_e32 v35, v40, v33
	v_mul_f32_e32 v36, v37, v35
	v_mul_f32_e32 v38, v32, v36
	v_fma_f32 v32, v36, v32, -v38
	v_fmac_f32_e32 v32, v36, v31
	v_sub_f32_e32 v31, v40, v35
	v_add_f32_e32 v31, v33, v31
	v_add_f32_e32 v33, v38, v32
	v_sub_f32_e32 v39, v35, v33
	v_sub_f32_e32 v35, v35, v39
	;; [unrolled: 1-line block ×4, first 2 shown]
	v_add_f32_e32 v31, v31, v33
	v_sub_f32_e32 v32, v38, v32
	v_cvt_f32_i32_e32 v30, v30
	v_add_f32_e32 v31, v32, v31
	v_add_f32_e32 v32, v34, v36
	;; [unrolled: 1-line block ×3, first 2 shown]
	v_sub_f32_e32 v33, v32, v34
	v_mul_f32_e32 v31, v37, v31
	v_sub_f32_e32 v33, v36, v33
	v_add_f32_e32 v31, v33, v31
	v_mul_f32_e32 v36, 0x3f317218, v30
	v_add_f32_e32 v33, v32, v31
	v_fma_f32 v37, v30, s39, -v36
	v_mul_f32_e32 v34, v33, v33
	v_mov_b32_e32 v35, 0x3ecc95a3
	v_fmac_f32_e32 v37, 0xb102e308, v30
	v_sub_f32_e32 v30, v33, v32
	v_fmac_f32_e32 v35, 0x3e9b6dac, v34
	v_sub_f32_e32 v30, v31, v30
	v_add_f32_e32 v31, v36, v37
	v_fma_f32 v35, v34, v35, v14
	v_sub_f32_e32 v32, v31, v36
	v_ldexp_f32 v36, v33, 1
	v_mul_f32_e32 v33, v33, v34
	v_mul_f32_e32 v33, v33, v35
	v_add_f32_e32 v34, v36, v33
	v_sub_f32_e32 v35, v34, v36
	v_ldexp_f32 v30, v30, 1
	v_sub_f32_e32 v33, v33, v35
	v_add_f32_e32 v30, v30, v33
	v_add_f32_e32 v33, v34, v30
	v_sub_f32_e32 v34, v33, v34
	v_sub_f32_e32 v30, v30, v34
	v_add_f32_e32 v34, v31, v33
	v_sub_f32_e32 v35, v34, v31
	v_sub_f32_e32 v36, v34, v35
	;; [unrolled: 1-line block ×5, first 2 shown]
	v_add_f32_e32 v31, v33, v31
	v_add_f32_e32 v33, v32, v30
	v_sub_f32_e32 v35, v33, v32
	v_sub_f32_e32 v36, v33, v35
	v_sub_f32_e32 v32, v32, v36
	v_sub_f32_e32 v30, v30, v35
	v_add_f32_e32 v31, v33, v31
	v_add_f32_e32 v30, v30, v32
	;; [unrolled: 1-line block ×3, first 2 shown]
	v_sub_f32_e32 v33, v32, v34
	v_sub_f32_e32 v31, v31, v33
	v_add_f32_e32 v30, v30, v31
	v_add_f32_e32 v30, v32, v30
	v_cmp_neq_f32_e32 vcc, s40, v5
	v_cndmask_b32_e32 v30, v21, v30, vcc
	v_cmp_ngt_f32_e32 vcc, -1.0, v5
	v_cndmask_b32_e32 v30, v22, v30, vcc
	v_cmp_neq_f32_e32 vcc, -1.0, v5
	v_cndmask_b32_e32 v30, v23, v30, vcc
	v_cmp_lt_f32_e64 vcc, |v5|, s41
	v_cndmask_b32_e32 v5, v30, v5, vcc
	v_max_f32_e64 v30, |v8|, |v8|
	v_max_f32_e64 v31, |v7|, |v7|
	v_min_f32_e32 v32, v31, v30
	v_max_f32_e32 v30, v31, v30
	v_frexp_mant_f32_e32 v31, v30
	v_rcp_f32_e32 v31, v31
	v_frexp_exp_i32_f32_e32 v30, v30
	v_frexp_exp_i32_f32_e32 v33, v32
	v_frexp_mant_f32_e32 v32, v32
	v_mul_f32_e32 v31, v32, v31
	v_sub_u32_e32 v30, v33, v30
	v_ldexp_f32 v30, v31, v30
	v_mul_f32_e32 v31, v30, v30
	v_mov_b32_e32 v32, 0xbc7a590c
	v_fmac_f32_e32 v32, 0x3b2d2a58, v31
	v_fma_f32 v32, v31, v32, v15
	v_fma_f32 v32, v31, v32, v16
	;; [unrolled: 1-line block ×6, first 2 shown]
	v_mul_f32_e32 v31, v31, v32
	v_fmac_f32_e32 v30, v30, v31
	v_sub_f32_e32 v31, 0x3fc90fdb, v30
	v_cndmask_b32_e64 v30, v30, v31, s[0:1]
	v_sub_f32_e32 v31, 0x40490fdb, v30
	v_cmp_gt_f32_e32 vcc, 0, v7
	v_cndmask_b32_e32 v30, v30, v31, vcc
	v_cndmask_b32_e64 v31, 0, v24, s[2:3]
	v_cmp_eq_f32_e64 s[2:3], 0, v8
	v_cndmask_b32_e64 v30, v30, v31, s[2:3]
	v_cmp_class_f32_e64 s[2:3], v7, s42
	v_cndmask_b32_e32 v31, v25, v26, vcc
	s_and_b64 vcc, s[2:3], s[24:25]
	v_mul_f32_e32 v5, 0.5, v5
	v_cndmask_b32_e32 v30, v30, v31, vcc
                                        ; implicit-def: $vgpr31
                                        ; implicit-def: $vgpr32
.LBB180_45:                             ;   in Loop: Header=BB180_5 Depth=1
	s_andn2_saveexec_b64 s[22:23], s[22:23]
	s_cbranch_execz .LBB180_53
; %bb.46:                               ;   in Loop: Header=BB180_5 Depth=1
	v_mul_f32_e32 v33, v31, v31
	v_fmac_f32_e32 v33, v32, v32
	v_cmp_ge_f32_e32 vcc, s43, v33
                                        ; implicit-def: $vgpr5
                                        ; implicit-def: $vgpr30
	s_and_saveexec_b64 s[2:3], vcc
	s_xor_b64 s[24:25], exec, s[2:3]
	s_cbranch_execz .LBB180_48
; %bb.47:                               ;   in Loop: Header=BB180_5 Depth=1
	v_cmp_gt_f32_e32 vcc, s44, v33
	v_cndmask_b32_e64 v5, 0, 32, vcc
	v_ldexp_f32 v5, v33, v5
	v_log_f32_e32 v5, v5
	v_cndmask_b32_e32 v30, 0, v27, vcc
	v_cmp_gt_i32_e64 s[2:3], 0, v7
	v_cmp_class_f32_e64 s[26:27], v8, s42
	v_mul_f32_e32 v31, 0x3f317217, v5
	v_fma_f32 v31, v5, s45, -v31
	v_fmac_f32_e32 v31, 0x3377d1cf, v5
	v_fmac_f32_e32 v31, 0x3f317217, v5
	v_cmp_lt_f32_e64 vcc, |v5|, s40
	v_cndmask_b32_e32 v5, v5, v31, vcc
	v_sub_f32_e32 v5, v5, v30
	v_max_f32_e64 v30, |v8|, |v8|
	v_max_f32_e64 v31, |v7|, |v7|
	v_min_f32_e32 v32, v31, v30
	v_max_f32_e32 v30, v31, v30
	v_frexp_mant_f32_e32 v31, v30
	v_rcp_f32_e32 v31, v31
	v_frexp_exp_i32_f32_e32 v30, v30
	v_frexp_exp_i32_f32_e32 v33, v32
	v_frexp_mant_f32_e32 v32, v32
	v_mul_f32_e32 v31, v32, v31
	v_sub_u32_e32 v30, v33, v30
	v_ldexp_f32 v30, v31, v30
	v_mul_f32_e32 v31, v30, v30
	v_mov_b32_e32 v32, 0xbc7a590c
	v_fmac_f32_e32 v32, 0x3b2d2a58, v31
	v_fma_f32 v32, v31, v32, v15
	v_fma_f32 v32, v31, v32, v16
	;; [unrolled: 1-line block ×6, first 2 shown]
	v_mul_f32_e32 v31, v31, v32
	v_fmac_f32_e32 v30, v30, v31
	v_sub_f32_e32 v31, 0x3fc90fdb, v30
	v_cndmask_b32_e64 v30, v30, v31, s[0:1]
	v_sub_f32_e32 v31, 0x40490fdb, v30
	v_cmp_gt_f32_e32 vcc, 0, v7
	v_cndmask_b32_e32 v30, v30, v31, vcc
	v_cndmask_b32_e64 v31, 0, v24, s[2:3]
	v_cmp_eq_f32_e64 s[2:3], 0, v8
	v_cndmask_b32_e64 v30, v30, v31, s[2:3]
	v_cmp_class_f32_e64 s[2:3], v7, s42
	v_cndmask_b32_e32 v31, v25, v26, vcc
	s_and_b64 vcc, s[2:3], s[26:27]
	v_mul_f32_e32 v5, 0.5, v5
	v_cndmask_b32_e32 v30, v30, v31, vcc
                                        ; implicit-def: $vgpr32
                                        ; implicit-def: $vgpr31
.LBB180_48:                             ;   in Loop: Header=BB180_5 Depth=1
	s_andn2_saveexec_b64 s[24:25], s[24:25]
	s_cbranch_execz .LBB180_52
; %bb.49:                               ;   in Loop: Header=BB180_5 Depth=1
	v_and_b32_e32 v33, 0x7fff0000, v32
	v_sub_f32_e32 v5, v32, v33
	v_and_b32_e32 v37, 0xffff0000, v5
	v_and_b32_e32 v32, 0x7fff0000, v31
	v_sub_f32_e32 v39, v5, v37
	v_sub_f32_e32 v5, v31, v32
	v_and_b32_e32 v38, 0xffff0000, v5
	v_add_f32_e32 v34, v33, v33
	v_add_f32_e32 v41, v32, v32
	v_sub_f32_e32 v40, v5, v38
	v_mul_f32_e32 v5, v33, v33
	v_mul_f32_e32 v30, v32, v32
	;; [unrolled: 1-line block ×6, first 2 shown]
	v_add_f32_e32 v37, v37, v37
	v_add_f32_e32 v38, v38, v38
	v_mul_f32_e32 v35, v34, v39
	v_mul_f32_e32 v34, v41, v40
	;; [unrolled: 1-line block ×6, first 2 shown]
	s_mov_b64 s[26:27], 0
.LBB180_50:                             ;   Parent Loop BB180_5 Depth=1
                                        ; =>  This Inner Loop Header: Depth=2
	v_cmp_nlt_f32_e32 vcc, v5, v30
	v_mov_b32_e32 v41, v40
	v_cndmask_b32_e32 v40, v5, v30, vcc
	v_cmp_nlt_f32_e64 s[2:3], v40, v33
	v_cndmask_b32_e64 v42, v40, v33, s[2:3]
	v_cndmask_b32_e32 v5, v30, v5, vcc
	s_and_b64 s[50:51], vcc, s[2:3]
	v_cmp_nlt_f32_e32 vcc, v42, v32
	v_cndmask_b32_e64 v30, v33, v40, s[2:3]
	v_cndmask_b32_e32 v40, v42, v32, vcc
	v_cmp_nlt_f32_e64 s[2:3], v40, v36
	v_cndmask_b32_e32 v33, v32, v42, vcc
	v_cndmask_b32_e64 v42, v40, v36, s[2:3]
	s_and_b64 s[52:53], vcc, s[2:3]
	v_cmp_nlt_f32_e32 vcc, v42, v31
	v_cndmask_b32_e64 v32, v36, v40, s[2:3]
	v_cndmask_b32_e32 v40, v42, v31, vcc
	v_cmp_nlt_f32_e64 s[2:3], v40, v35
	v_cndmask_b32_e32 v36, v31, v42, vcc
	v_cndmask_b32_e64 v42, v40, v35, s[2:3]
	v_cndmask_b32_e64 v31, v35, v40, s[2:3]
	s_and_b64 s[2:3], vcc, s[2:3]
	v_cmp_nlt_f32_e32 vcc, v42, v34
	v_cndmask_b32_e32 v40, v42, v34, vcc
	v_cndmask_b32_e32 v35, v34, v42, vcc
	s_and_b64 s[2:3], s[2:3], vcc
	v_cmp_nlt_f32_e32 vcc, v40, v37
	v_cndmask_b32_e32 v42, v40, v37, vcc
	v_cndmask_b32_e32 v34, v37, v40, vcc
	s_and_b64 s[2:3], s[2:3], vcc
	;; [unrolled: 4-line block ×4, first 2 shown]
	v_cmp_nlt_f32_e32 vcc, v42, v41
	s_and_b64 s[2:3], s[2:3], vcc
	s_and_b64 s[2:3], s[2:3], s[52:53]
	s_and_b64 s[2:3], s[2:3], s[50:51]
	s_and_b64 s[2:3], exec, s[2:3]
	v_cndmask_b32_e32 v40, v42, v41, vcc
	s_or_b64 s[26:27], s[2:3], s[26:27]
	v_cndmask_b32_e32 v39, v41, v42, vcc
	s_andn2_b64 exec, exec, s[26:27]
	s_cbranch_execnz .LBB180_50
; %bb.51:                               ;   in Loop: Header=BB180_5 Depth=1
	s_or_b64 exec, exec, s[26:27]
	v_add_f32_e32 v5, -1.0, v5
	v_add_f32_e32 v5, v5, v30
	v_add_f32_e32 v5, v5, v33
	;; [unrolled: 1-line block ×11, first 2 shown]
	v_add_f32_e32 v32, 1.0, v5
	v_cvt_f64_f32_e32 v[30:31], v32
	v_add_f32_e32 v33, -1.0, v32
	v_sub_f32_e32 v34, v33, v32
	v_sub_f32_e32 v33, v5, v33
	v_frexp_exp_i32_f64_e32 v30, v[30:31]
	v_frexp_mant_f32_e32 v31, v32
	v_cmp_gt_f32_e32 vcc, s38, v31
	v_add_f32_e32 v34, 1.0, v34
	v_add_f32_e32 v33, v33, v34
	v_cmp_gt_i32_e64 s[2:3], 0, v7
	v_cmp_class_f32_e64 s[26:27], v8, s42
	v_subbrev_co_u32_e32 v30, vcc, 0, v30, vcc
	v_sub_u32_e32 v31, 0, v30
	v_ldexp_f32 v32, v32, v31
	v_ldexp_f32 v31, v33, v31
	v_add_f32_e32 v33, -1.0, v32
	v_add_f32_e32 v34, 1.0, v32
	v_add_f32_e32 v35, 1.0, v33
	v_add_f32_e32 v37, -1.0, v34
	v_sub_f32_e32 v35, v32, v35
	v_sub_f32_e32 v32, v32, v37
	v_add_f32_e32 v35, v31, v35
	v_add_f32_e32 v31, v31, v32
	;; [unrolled: 1-line block ×3, first 2 shown]
	v_rcp_f32_e32 v37, v32
	v_add_f32_e32 v36, v33, v35
	v_sub_f32_e32 v34, v32, v34
	v_sub_f32_e32 v33, v36, v33
	;; [unrolled: 1-line block ×3, first 2 shown]
	v_mul_f32_e32 v34, v36, v37
	v_sub_f32_e32 v33, v35, v33
	v_mul_f32_e32 v35, v32, v34
	v_fma_f32 v38, v34, v32, -v35
	v_fmac_f32_e32 v38, v34, v31
	v_add_f32_e32 v39, v35, v38
	v_sub_f32_e32 v40, v36, v39
	v_sub_f32_e32 v36, v36, v40
	;; [unrolled: 1-line block ×4, first 2 shown]
	v_add_f32_e32 v33, v33, v36
	v_sub_f32_e32 v35, v35, v38
	v_add_f32_e32 v33, v35, v33
	v_add_f32_e32 v35, v40, v33
	v_mul_f32_e32 v36, v37, v35
	v_mul_f32_e32 v38, v32, v36
	v_fma_f32 v32, v36, v32, -v38
	v_fmac_f32_e32 v32, v36, v31
	v_sub_f32_e32 v31, v40, v35
	v_add_f32_e32 v31, v33, v31
	v_add_f32_e32 v33, v38, v32
	v_sub_f32_e32 v39, v35, v33
	v_sub_f32_e32 v35, v35, v39
	;; [unrolled: 1-line block ×4, first 2 shown]
	v_add_f32_e32 v31, v31, v33
	v_sub_f32_e32 v32, v38, v32
	v_cvt_f32_i32_e32 v30, v30
	v_add_f32_e32 v31, v32, v31
	v_add_f32_e32 v32, v34, v36
	;; [unrolled: 1-line block ×3, first 2 shown]
	v_sub_f32_e32 v33, v32, v34
	v_mul_f32_e32 v31, v37, v31
	v_sub_f32_e32 v33, v36, v33
	v_add_f32_e32 v31, v33, v31
	v_mul_f32_e32 v36, 0x3f317218, v30
	v_add_f32_e32 v33, v32, v31
	v_fma_f32 v37, v30, s39, -v36
	v_mul_f32_e32 v34, v33, v33
	v_mov_b32_e32 v35, 0x3ecc95a3
	v_fmac_f32_e32 v37, 0xb102e308, v30
	v_sub_f32_e32 v30, v33, v32
	v_fmac_f32_e32 v35, 0x3e9b6dac, v34
	v_sub_f32_e32 v30, v31, v30
	v_add_f32_e32 v31, v36, v37
	v_fma_f32 v35, v34, v35, v14
	v_sub_f32_e32 v32, v31, v36
	v_ldexp_f32 v36, v33, 1
	v_mul_f32_e32 v33, v33, v34
	v_mul_f32_e32 v33, v33, v35
	v_add_f32_e32 v34, v36, v33
	v_sub_f32_e32 v35, v34, v36
	v_ldexp_f32 v30, v30, 1
	v_sub_f32_e32 v33, v33, v35
	v_add_f32_e32 v30, v30, v33
	v_add_f32_e32 v33, v34, v30
	v_sub_f32_e32 v34, v33, v34
	v_sub_f32_e32 v30, v30, v34
	v_add_f32_e32 v34, v31, v33
	v_sub_f32_e32 v35, v34, v31
	v_sub_f32_e32 v36, v34, v35
	;; [unrolled: 1-line block ×5, first 2 shown]
	v_add_f32_e32 v31, v33, v31
	v_add_f32_e32 v33, v32, v30
	v_sub_f32_e32 v35, v33, v32
	v_sub_f32_e32 v36, v33, v35
	;; [unrolled: 1-line block ×4, first 2 shown]
	v_add_f32_e32 v31, v33, v31
	v_add_f32_e32 v30, v30, v32
	;; [unrolled: 1-line block ×3, first 2 shown]
	v_sub_f32_e32 v33, v32, v34
	v_sub_f32_e32 v31, v31, v33
	v_add_f32_e32 v30, v30, v31
	v_add_f32_e32 v30, v32, v30
	v_cmp_neq_f32_e32 vcc, s40, v5
	v_cndmask_b32_e32 v30, v21, v30, vcc
	v_cmp_ngt_f32_e32 vcc, -1.0, v5
	v_cndmask_b32_e32 v30, v22, v30, vcc
	v_cmp_neq_f32_e32 vcc, -1.0, v5
	v_cndmask_b32_e32 v30, v23, v30, vcc
	v_cmp_lt_f32_e64 vcc, |v5|, s41
	v_cndmask_b32_e32 v5, v30, v5, vcc
	v_max_f32_e64 v30, |v8|, |v8|
	v_max_f32_e64 v31, |v7|, |v7|
	v_min_f32_e32 v32, v31, v30
	v_max_f32_e32 v30, v31, v30
	v_frexp_mant_f32_e32 v31, v30
	v_rcp_f32_e32 v31, v31
	v_frexp_exp_i32_f32_e32 v30, v30
	v_frexp_exp_i32_f32_e32 v33, v32
	v_frexp_mant_f32_e32 v32, v32
	v_mul_f32_e32 v31, v32, v31
	v_sub_u32_e32 v30, v33, v30
	v_ldexp_f32 v30, v31, v30
	v_mul_f32_e32 v31, v30, v30
	v_mov_b32_e32 v32, 0xbc7a590c
	v_fmac_f32_e32 v32, 0x3b2d2a58, v31
	v_fma_f32 v32, v31, v32, v15
	v_fma_f32 v32, v31, v32, v16
	;; [unrolled: 1-line block ×6, first 2 shown]
	v_mul_f32_e32 v31, v31, v32
	v_fmac_f32_e32 v30, v30, v31
	v_sub_f32_e32 v31, 0x3fc90fdb, v30
	v_cndmask_b32_e64 v30, v30, v31, s[0:1]
	v_sub_f32_e32 v31, 0x40490fdb, v30
	v_cmp_gt_f32_e32 vcc, 0, v7
	v_cndmask_b32_e32 v30, v30, v31, vcc
	v_cndmask_b32_e64 v31, 0, v24, s[2:3]
	v_cmp_eq_f32_e64 s[2:3], 0, v8
	v_cndmask_b32_e64 v30, v30, v31, s[2:3]
	v_cmp_class_f32_e64 s[2:3], v7, s42
	v_cndmask_b32_e32 v31, v25, v26, vcc
	s_and_b64 vcc, s[2:3], s[26:27]
	v_mul_f32_e32 v5, 0.5, v5
	v_cndmask_b32_e32 v30, v30, v31, vcc
.LBB180_52:                             ;   in Loop: Header=BB180_5 Depth=1
	s_or_b64 exec, exec, s[24:25]
.LBB180_53:                             ;   in Loop: Header=BB180_5 Depth=1
	s_or_b64 exec, exec, s[22:23]
.LBB180_54:                             ;   in Loop: Header=BB180_5 Depth=1
	s_andn2_saveexec_b64 s[20:21], s[20:21]
	s_cbranch_execz .LBB180_56
; %bb.55:                               ;   in Loop: Header=BB180_5 Depth=1
	v_max_f32_e64 v5, |v8|, |v8|
	v_max_f32_e64 v32, |v7|, |v7|
	v_max_f32_e32 v33, v32, v5
	v_cvt_f64_f32_e32 v[30:31], v33
	v_min_f32_e32 v5, v32, v5
	v_frexp_mant_f32_e32 v32, v33
	v_rcp_f32_e32 v32, v32
	v_frexp_exp_i32_f64_e32 v30, v[30:31]
	v_cmp_neq_f32_e32 vcc, s40, v33
	v_frexp_exp_i32_f32_e32 v34, v5
	v_frexp_mant_f32_e32 v5, v5
	v_mul_f32_e32 v5, v5, v32
	v_frexp_exp_i32_f32_e32 v31, v33
	v_sub_u32_e32 v31, v34, v31
	v_ldexp_f32 v31, v5, v31
	v_sub_u32_e32 v35, 0, v30
	v_ldexp_f32 v36, |v7|, v35
	v_ldexp_f32 v35, |v8|, v35
	v_mul_f32_e32 v35, v35, v35
	v_fmac_f32_e32 v35, v36, v36
	v_sqrt_f32_e32 v35, v35
	v_cmp_gt_i32_e64 s[2:3], 0, v7
	v_cmp_class_f32_e64 s[22:23], v8, s42
	v_ldexp_f32 v30, v35, v30
	v_cndmask_b32_e32 v30, v21, v30, vcc
	v_cmp_gt_f32_e32 vcc, s44, v30
	v_cndmask_b32_e64 v32, 0, 32, vcc
	v_ldexp_f32 v30, v30, v32
	v_log_f32_e32 v30, v30
	v_cndmask_b32_e32 v5, 0, v27, vcc
	v_mul_f32_e32 v32, v31, v31
	v_mul_f32_e32 v33, 0x3f317217, v30
	v_fma_f32 v33, v30, s45, -v33
	v_fmac_f32_e32 v33, 0x3377d1cf, v30
	v_fmac_f32_e32 v33, 0x3f317217, v30
	v_cmp_lt_f32_e64 vcc, |v30|, s40
	v_cndmask_b32_e32 v30, v30, v33, vcc
	v_sub_f32_e32 v5, v30, v5
	v_mov_b32_e32 v30, 0xbc7a590c
	v_fmac_f32_e32 v30, 0x3b2d2a58, v32
	v_fma_f32 v30, v32, v30, v15
	v_fma_f32 v30, v32, v30, v16
	;; [unrolled: 1-line block ×6, first 2 shown]
	v_mul_f32_e32 v30, v32, v30
	v_fmac_f32_e32 v31, v31, v30
	v_sub_f32_e32 v30, 0x3fc90fdb, v31
	v_cndmask_b32_e64 v30, v31, v30, s[0:1]
	v_sub_f32_e32 v31, 0x40490fdb, v30
	v_cmp_gt_f32_e32 vcc, 0, v7
	v_cndmask_b32_e32 v30, v30, v31, vcc
	v_cndmask_b32_e64 v31, 0, v24, s[2:3]
	v_cmp_eq_f32_e64 s[2:3], 0, v8
	v_cndmask_b32_e64 v30, v30, v31, s[2:3]
	v_cmp_class_f32_e64 s[2:3], v7, s42
	v_cndmask_b32_e32 v31, v25, v26, vcc
	s_and_b64 vcc, s[2:3], s[22:23]
	v_cndmask_b32_e32 v30, v30, v31, vcc
.LBB180_56:                             ;   in Loop: Header=BB180_5 Depth=1
	s_or_b64 exec, exec, s[20:21]
                                        ; implicit-def: $vgpr31
.LBB180_57:                             ;   in Loop: Header=BB180_5 Depth=1
	s_andn2_saveexec_b64 s[18:19], s[18:19]
	s_cbranch_execz .LBB180_63
; %bb.58:                               ;   in Loop: Header=BB180_5 Depth=1
	v_cmp_ngt_f32_e32 vcc, s46, v31
                                        ; implicit-def: $vgpr5
                                        ; implicit-def: $vgpr30
	s_and_saveexec_b64 s[2:3], vcc
	s_xor_b64 s[20:21], exec, s[2:3]
	s_cbranch_execz .LBB180_60
; %bb.59:                               ;   in Loop: Header=BB180_5 Depth=1
	v_mul_f32_e32 v5, v31, v31
	v_add_f32_e32 v32, 1.0, v5
	v_cvt_f64_f32_e32 v[30:31], v32
	v_add_f32_e32 v33, -1.0, v32
	v_sub_f32_e32 v34, v33, v32
	v_sub_f32_e32 v33, v5, v33
	v_frexp_exp_i32_f64_e32 v30, v[30:31]
	v_frexp_mant_f32_e32 v31, v32
	v_cmp_gt_f32_e32 vcc, s38, v31
	v_add_f32_e32 v34, 1.0, v34
	v_add_f32_e32 v33, v33, v34
	v_cmp_gt_i32_e64 s[2:3], 0, v7
	v_cmp_class_f32_e64 s[22:23], v8, s42
	v_subbrev_co_u32_e32 v30, vcc, 0, v30, vcc
	v_sub_u32_e32 v31, 0, v30
	v_ldexp_f32 v32, v32, v31
	v_ldexp_f32 v31, v33, v31
	v_add_f32_e32 v33, -1.0, v32
	v_add_f32_e32 v34, 1.0, v32
	v_add_f32_e32 v35, 1.0, v33
	v_add_f32_e32 v37, -1.0, v34
	v_sub_f32_e32 v35, v32, v35
	v_sub_f32_e32 v32, v32, v37
	v_add_f32_e32 v35, v31, v35
	v_add_f32_e32 v31, v31, v32
	;; [unrolled: 1-line block ×3, first 2 shown]
	v_rcp_f32_e32 v37, v32
	v_add_f32_e32 v36, v33, v35
	v_sub_f32_e32 v34, v34, v32
	v_sub_f32_e32 v33, v33, v36
	v_add_f32_e32 v31, v31, v34
	v_mul_f32_e32 v34, v36, v37
	v_add_f32_e32 v33, v35, v33
	v_mul_f32_e32 v35, v32, v34
	v_fma_f32 v38, v34, v32, -v35
	v_fmac_f32_e32 v38, v34, v31
	v_add_f32_e32 v39, v35, v38
	v_sub_f32_e32 v40, v36, v39
	v_sub_f32_e32 v36, v36, v40
	;; [unrolled: 1-line block ×4, first 2 shown]
	v_add_f32_e32 v33, v33, v36
	v_sub_f32_e32 v35, v35, v38
	v_add_f32_e32 v33, v35, v33
	v_add_f32_e32 v35, v40, v33
	v_mul_f32_e32 v36, v37, v35
	v_mul_f32_e32 v38, v32, v36
	v_fma_f32 v32, v36, v32, -v38
	v_fmac_f32_e32 v32, v36, v31
	v_sub_f32_e32 v31, v40, v35
	v_add_f32_e32 v31, v33, v31
	v_add_f32_e32 v33, v38, v32
	v_sub_f32_e32 v39, v35, v33
	v_sub_f32_e32 v35, v35, v39
	;; [unrolled: 1-line block ×4, first 2 shown]
	v_add_f32_e32 v31, v31, v33
	v_sub_f32_e32 v32, v38, v32
	v_cvt_f32_i32_e32 v30, v30
	v_add_f32_e32 v31, v32, v31
	v_add_f32_e32 v32, v34, v36
	;; [unrolled: 1-line block ×3, first 2 shown]
	v_sub_f32_e32 v33, v32, v34
	v_mul_f32_e32 v31, v37, v31
	v_sub_f32_e32 v33, v36, v33
	v_add_f32_e32 v31, v33, v31
	v_mul_f32_e32 v36, 0x3f317218, v30
	v_add_f32_e32 v33, v32, v31
	v_fma_f32 v37, v30, s39, -v36
	v_mul_f32_e32 v34, v33, v33
	v_mov_b32_e32 v35, 0x3ecc95a3
	v_fmac_f32_e32 v37, 0xb102e308, v30
	v_sub_f32_e32 v30, v33, v32
	v_fmac_f32_e32 v35, 0x3e9b6dac, v34
	v_sub_f32_e32 v30, v31, v30
	v_add_f32_e32 v31, v36, v37
	v_fma_f32 v35, v34, v35, v14
	v_sub_f32_e32 v32, v31, v36
	v_ldexp_f32 v36, v33, 1
	v_mul_f32_e32 v33, v33, v34
	v_mul_f32_e32 v33, v33, v35
	v_add_f32_e32 v34, v36, v33
	v_sub_f32_e32 v35, v34, v36
	v_ldexp_f32 v30, v30, 1
	v_sub_f32_e32 v33, v33, v35
	v_add_f32_e32 v30, v30, v33
	v_add_f32_e32 v33, v34, v30
	v_sub_f32_e32 v34, v33, v34
	v_sub_f32_e32 v30, v30, v34
	v_add_f32_e32 v34, v31, v33
	v_sub_f32_e32 v35, v34, v31
	v_sub_f32_e32 v36, v34, v35
	v_sub_f32_e32 v32, v37, v32
	v_sub_f32_e32 v31, v31, v36
	v_sub_f32_e32 v33, v33, v35
	v_add_f32_e32 v31, v33, v31
	v_add_f32_e32 v33, v32, v30
	v_sub_f32_e32 v35, v33, v32
	v_sub_f32_e32 v36, v33, v35
	;; [unrolled: 1-line block ×4, first 2 shown]
	v_add_f32_e32 v31, v33, v31
	v_add_f32_e32 v30, v30, v32
	;; [unrolled: 1-line block ×3, first 2 shown]
	v_sub_f32_e32 v33, v32, v34
	v_sub_f32_e32 v31, v31, v33
	v_add_f32_e32 v30, v30, v31
	v_add_f32_e32 v30, v32, v30
	v_cmp_neq_f32_e32 vcc, s40, v5
	v_cndmask_b32_e32 v30, v21, v30, vcc
	v_cmp_lt_f32_e64 vcc, |v5|, s41
	v_cndmask_b32_e32 v5, v30, v5, vcc
	v_max_f32_e64 v30, |v8|, |v8|
	v_max_f32_e64 v31, |v7|, |v7|
	v_min_f32_e32 v32, v31, v30
	v_max_f32_e32 v30, v31, v30
	v_frexp_mant_f32_e32 v31, v30
	v_rcp_f32_e32 v31, v31
	v_frexp_exp_i32_f32_e32 v30, v30
	v_frexp_exp_i32_f32_e32 v33, v32
	v_frexp_mant_f32_e32 v32, v32
	v_mul_f32_e32 v31, v32, v31
	v_sub_u32_e32 v30, v33, v30
	v_ldexp_f32 v30, v31, v30
	v_mul_f32_e32 v31, v30, v30
	v_mov_b32_e32 v32, 0xbc7a590c
	v_fmac_f32_e32 v32, 0x3b2d2a58, v31
	v_fma_f32 v32, v31, v32, v15
	v_fma_f32 v32, v31, v32, v16
	;; [unrolled: 1-line block ×6, first 2 shown]
	v_mul_f32_e32 v31, v31, v32
	v_fmac_f32_e32 v30, v30, v31
	v_sub_f32_e32 v31, 0x3fc90fdb, v30
	v_cndmask_b32_e64 v30, v30, v31, s[0:1]
	v_sub_f32_e32 v31, 0x40490fdb, v30
	v_cmp_gt_f32_e32 vcc, 0, v7
	v_cndmask_b32_e32 v30, v30, v31, vcc
	v_cndmask_b32_e64 v31, 0, v24, s[2:3]
	v_cmp_eq_f32_e64 s[2:3], 0, v8
	v_cndmask_b32_e64 v30, v30, v31, s[2:3]
	v_cmp_class_f32_e64 s[2:3], v7, s42
	v_cndmask_b32_e32 v31, v25, v26, vcc
	s_and_b64 vcc, s[2:3], s[22:23]
	v_mul_f32_e32 v5, 0.5, v5
	v_cndmask_b32_e32 v30, v30, v31, vcc
                                        ; implicit-def: $vgpr31
.LBB180_60:                             ;   in Loop: Header=BB180_5 Depth=1
	s_andn2_saveexec_b64 s[20:21], s[20:21]
	s_cbranch_execz .LBB180_62
; %bb.61:                               ;   in Loop: Header=BB180_5 Depth=1
	v_mul_f32_e32 v5, 0.5, v31
	v_mul_f32_e32 v5, v31, v5
	v_max_f32_e64 v30, |v8|, |v8|
	v_max_f32_e64 v31, |v7|, |v7|
	v_min_f32_e32 v32, v31, v30
	v_max_f32_e32 v30, v31, v30
	v_frexp_mant_f32_e32 v31, v30
	v_rcp_f32_e32 v31, v31
	v_frexp_exp_i32_f32_e32 v30, v30
	v_frexp_exp_i32_f32_e32 v33, v32
	v_frexp_mant_f32_e32 v32, v32
	v_mul_f32_e32 v31, v32, v31
	v_sub_u32_e32 v30, v33, v30
	v_ldexp_f32 v30, v31, v30
	v_mul_f32_e32 v31, v30, v30
	v_mov_b32_e32 v32, 0xbc7a590c
	v_fmac_f32_e32 v32, 0x3b2d2a58, v31
	v_fma_f32 v32, v31, v32, v15
	v_fma_f32 v32, v31, v32, v16
	;; [unrolled: 1-line block ×6, first 2 shown]
	v_mul_f32_e32 v31, v31, v32
	v_fmac_f32_e32 v30, v30, v31
	v_sub_f32_e32 v31, 0x3fc90fdb, v30
	v_cndmask_b32_e64 v30, v30, v31, s[0:1]
	v_sub_f32_e32 v31, 0x40490fdb, v30
	v_cmp_gt_f32_e32 vcc, 0, v7
	v_cmp_gt_i32_e64 s[2:3], 0, v7
	v_cndmask_b32_e32 v30, v30, v31, vcc
	v_cndmask_b32_e64 v31, 0, v24, s[2:3]
	v_cmp_eq_f32_e64 s[2:3], 0, v8
	v_cndmask_b32_e64 v30, v30, v31, s[2:3]
	v_cmp_class_f32_e64 s[2:3], v7, s42
	v_cmp_class_f32_e64 s[22:23], v8, s42
	v_cndmask_b32_e32 v31, v25, v26, vcc
	s_and_b64 vcc, s[2:3], s[22:23]
	v_cndmask_b32_e32 v30, v30, v31, vcc
.LBB180_62:                             ;   in Loop: Header=BB180_5 Depth=1
	s_or_b64 exec, exec, s[20:21]
.LBB180_63:                             ;   in Loop: Header=BB180_5 Depth=1
	s_or_b64 exec, exec, s[18:19]
.LBB180_64:                             ;   in Loop: Header=BB180_5 Depth=1
	s_andn2_saveexec_b64 s[16:17], s[16:17]
	s_cbranch_execz .LBB180_66
; %bb.65:                               ;   in Loop: Header=BB180_5 Depth=1
	v_div_scale_f32 v5, s[2:3], s47, s47, v7
	v_div_scale_f32 v30, s[2:3], s47, s47, v8
	v_div_scale_f32 v31, vcc, v7, s47, v7
	v_div_scale_f32 v32, s[2:3], v8, s47, v8
	v_rcp_f32_e32 v33, v5
	v_rcp_f32_e32 v34, v30
	v_fma_f32 v35, -v5, v33, 1.0
	v_fmac_f32_e32 v33, v35, v33
	v_fma_f32 v36, -v30, v34, 1.0
	v_fmac_f32_e32 v34, v36, v34
	v_mul_f32_e32 v35, v31, v33
	v_mul_f32_e32 v36, v32, v34
	v_fma_f32 v37, -v5, v35, v31
	v_fma_f32 v38, -v30, v36, v32
	v_fmac_f32_e32 v35, v37, v33
	v_fmac_f32_e32 v36, v38, v34
	v_fma_f32 v5, -v5, v35, v31
	v_fma_f32 v30, -v30, v36, v32
	v_div_fmas_f32 v5, v5, v33, v35
	s_mov_b64 vcc, s[2:3]
	v_div_fmas_f32 v30, v30, v34, v36
	v_max_f32_e64 v31, |v8|, |v8|
	v_max_f32_e64 v32, |v7|, |v7|
	v_min_f32_e32 v34, v32, v31
	v_max_f32_e32 v31, v32, v31
	v_frexp_exp_i32_f32_e32 v32, v31
	v_frexp_exp_i32_f32_e32 v35, v34
	v_sub_u32_e32 v32, v35, v32
	v_frexp_mant_f32_e32 v31, v31
	v_rcp_f32_e32 v36, v31
	v_frexp_mant_f32_e32 v34, v34
	v_mov_b32_e32 v33, 0xbc7a590c
	v_cmp_class_f32_e64 s[2:3], v8, s42
	v_mul_f32_e32 v34, v34, v36
	v_div_fixup_f32 v5, v5, s47, v7
	v_ldexp_f32 v32, v34, v32
	v_div_fixup_f32 v35, v30, s47, v8
	v_max_f32_e64 v37, |v5|, |v35|
	v_cvt_f64_f32_e32 v[30:31], v37
	v_mul_f32_e32 v34, v32, v32
	v_fmac_f32_e32 v33, 0x3b2d2a58, v34
	v_cmp_neq_f32_e32 vcc, s40, v37
	v_frexp_exp_i32_f64_e32 v30, v[30:31]
	v_fma_f32 v31, v34, v33, v15
	v_fma_f32 v31, v34, v31, v16
	;; [unrolled: 1-line block ×6, first 2 shown]
	v_mul_f32_e32 v31, v34, v31
	v_sub_u32_e32 v33, 0, v30
	v_ldexp_f32 v5, |v5|, v33
	v_ldexp_f32 v33, |v35|, v33
	v_mul_f32_e32 v33, v33, v33
	v_fmac_f32_e32 v33, v5, v5
	v_sqrt_f32_e32 v5, v33
	v_fmac_f32_e32 v32, v32, v31
	v_sub_f32_e32 v31, 0x3fc90fdb, v32
	v_ldexp_f32 v5, v5, v30
	v_cndmask_b32_e32 v5, v21, v5, vcc
	v_cmp_gt_f32_e32 vcc, s44, v5
	v_cndmask_b32_e64 v30, 0, 32, vcc
	v_ldexp_f32 v5, v5, v30
	v_log_f32_e32 v5, v5
	v_cndmask_b32_e64 v30, v32, v31, s[0:1]
	v_cndmask_b32_e32 v32, 0, v27, vcc
	v_sub_f32_e32 v31, 0x40490fdb, v30
	v_mul_f32_e32 v33, 0x3f317217, v5
	v_fma_f32 v33, v5, s45, -v33
	v_fmac_f32_e32 v33, 0x3377d1cf, v5
	v_fmac_f32_e32 v33, 0x3f317217, v5
	v_cmp_lt_f32_e64 vcc, |v5|, s40
	v_cndmask_b32_e32 v5, v5, v33, vcc
	v_cmp_gt_f32_e32 vcc, 0, v7
	v_cmp_gt_i32_e64 s[0:1], 0, v7
	v_cndmask_b32_e32 v30, v30, v31, vcc
	v_cndmask_b32_e64 v31, 0, v24, s[0:1]
	v_cmp_eq_f32_e64 s[0:1], 0, v8
	v_cndmask_b32_e64 v30, v30, v31, s[0:1]
	v_cmp_class_f32_e64 s[0:1], v7, s42
	v_sub_f32_e32 v5, v5, v32
	v_cndmask_b32_e32 v31, v25, v26, vcc
	s_and_b64 vcc, s[0:1], s[2:3]
	v_add_f32_e32 v5, 1.0, v5
	v_cndmask_b32_e32 v30, v30, v31, vcc
.LBB180_66:                             ;   in Loop: Header=BB180_5 Depth=1
	s_or_b64 exec, exec, s[16:17]
.LBB180_67:                             ;   in Loop: Header=BB180_5 Depth=1
	s_andn2_saveexec_b64 s[0:1], s[6:7]
	s_cbranch_execz .LBB180_73
; %bb.68:                               ;   in Loop: Header=BB180_5 Depth=1
	v_cmp_nlt_f32_e64 s[2:3], |v7|, s48
	v_cmp_nlt_f32_e64 s[6:7], |v8|, s48
	s_or_b64 s[2:3], s[2:3], s[6:7]
                                        ; implicit-def: $vgpr5
	s_and_saveexec_b64 s[6:7], s[2:3]
	s_xor_b64 s[2:3], exec, s[6:7]
; %bb.69:                               ;   in Loop: Header=BB180_5 Depth=1
	v_mul_f32_e32 v5, v8, v8
	v_fmac_f32_e32 v5, v7, v7
; %bb.70:                               ;   in Loop: Header=BB180_5 Depth=1
	s_andn2_saveexec_b64 s[2:3], s[2:3]
; %bb.71:                               ;   in Loop: Header=BB180_5 Depth=1
	v_mul_f32_e32 v5, 4.0, v7
	v_mul_f32_e32 v7, 4.0, v8
	v_mul_f32_e32 v7, v7, v7
	v_fmac_f32_e32 v7, v5, v5
	v_mul_f32_e32 v5, 0x3d800000, v7
; %bb.72:                               ;   in Loop: Header=BB180_5 Depth=1
	s_or_b64 exec, exec, s[2:3]
	v_cmp_gt_f32_e32 vcc, s44, v5
	v_cndmask_b32_e64 v7, 0, 32, vcc
	v_ldexp_f32 v5, v5, v7
	v_log_f32_e32 v5, v5
	v_cndmask_b32_e32 v7, 0, v27, vcc
	v_mul_f32_e32 v30, 0x3f317217, v5
	v_fma_f32 v30, v5, s45, -v30
	v_fmac_f32_e32 v30, 0x3377d1cf, v5
	v_fmac_f32_e32 v30, 0x3f317217, v5
	v_cmp_lt_f32_e64 vcc, |v5|, s40
	v_cndmask_b32_e32 v5, v5, v30, vcc
	v_sub_f32_e32 v5, v5, v7
	v_mov_b32_e32 v30, 0x7fc00000
.LBB180_73:                             ;   in Loop: Header=BB180_5 Depth=1
	s_or_b64 exec, exec, s[0:1]
	s_waitcnt vmcnt(0)
	v_cmp_o_f32_e32 vcc, v2, v1
                                        ; implicit-def: $vgpr7
                                        ; implicit-def: $vgpr31
	s_and_saveexec_b64 s[0:1], vcc
	s_xor_b64 s[6:7], exec, s[0:1]
	s_cbranch_execz .LBB180_101
; %bb.74:                               ;   in Loop: Header=BB180_5 Depth=1
	v_cmp_lt_f32_e64 s[0:1], |v1|, |v2|
	v_cndmask_b32_e64 v32, |v2|, |v1|, s[0:1]
	v_cmp_nlt_f32_e32 vcc, s30, v32
                                        ; implicit-def: $vgpr7
                                        ; implicit-def: $vgpr31
	s_and_saveexec_b64 s[2:3], vcc
	s_xor_b64 s[16:17], exec, s[2:3]
	s_cbranch_execz .LBB180_98
; %bb.75:                               ;   in Loop: Header=BB180_5 Depth=1
	v_and_b32_e32 v7, 0x7fffffff, v2
	v_cndmask_b32_e64 v33, |v1|, v7, s[0:1]
	v_cmp_neq_f32_e32 vcc, 1.0, v33
                                        ; implicit-def: $vgpr7
                                        ; implicit-def: $vgpr31
	s_and_saveexec_b64 s[2:3], vcc
	s_xor_b64 s[18:19], exec, s[2:3]
	s_cbranch_execz .LBB180_91
; %bb.76:                               ;   in Loop: Header=BB180_5 Depth=1
	v_max_f32_e32 v7, v32, v32
	v_max_f32_e32 v31, v33, v33
	v_min_f32_e32 v34, v31, v7
	v_max_f32_e32 v7, v31, v7
	v_cmp_ngt_f32_e32 vcc, s31, v34
	v_cmp_nlt_f32_e64 s[2:3], s37, v7
	s_and_b64 s[2:3], s[2:3], vcc
                                        ; implicit-def: $vgpr7
                                        ; implicit-def: $vgpr31
	s_and_saveexec_b64 s[20:21], s[2:3]
	s_xor_b64 s[20:21], exec, s[20:21]
	s_cbranch_execz .LBB180_88
; %bb.77:                               ;   in Loop: Header=BB180_5 Depth=1
	v_cmp_le_f32_e32 vcc, 1.0, v33
                                        ; implicit-def: $vgpr7
                                        ; implicit-def: $vgpr31
	s_and_saveexec_b64 s[2:3], vcc
	s_xor_b64 s[22:23], exec, s[2:3]
	s_cbranch_execz .LBB180_79
; %bb.78:                               ;   in Loop: Header=BB180_5 Depth=1
	v_add_f32_e32 v7, -1.0, v33
	v_add_f32_e32 v31, 1.0, v33
	v_mul_f32_e32 v7, v7, v31
	v_fmac_f32_e32 v7, v32, v32
	v_add_f32_e32 v33, 1.0, v7
	v_cvt_f64_f32_e32 v[31:32], v33
	v_add_f32_e32 v34, -1.0, v33
	v_sub_f32_e32 v35, v34, v33
	v_sub_f32_e32 v34, v7, v34
	v_frexp_exp_i32_f64_e32 v31, v[31:32]
	v_frexp_mant_f32_e32 v32, v33
	v_cmp_gt_f32_e32 vcc, s38, v32
	v_add_f32_e32 v35, 1.0, v35
	v_add_f32_e32 v34, v34, v35
	v_cmp_gt_i32_e64 s[2:3], 0, v1
	v_cmp_class_f32_e64 s[24:25], v2, s42
	v_subbrev_co_u32_e32 v31, vcc, 0, v31, vcc
	v_sub_u32_e32 v32, 0, v31
	v_ldexp_f32 v33, v33, v32
	v_ldexp_f32 v32, v34, v32
	v_add_f32_e32 v34, -1.0, v33
	v_add_f32_e32 v37, 1.0, v33
	v_add_f32_e32 v35, 1.0, v34
	v_add_f32_e32 v38, -1.0, v37
	v_sub_f32_e32 v35, v33, v35
	v_sub_f32_e32 v33, v33, v38
	v_add_f32_e32 v35, v32, v35
	v_add_f32_e32 v32, v32, v33
	;; [unrolled: 1-line block ×3, first 2 shown]
	v_rcp_f32_e32 v38, v33
	v_add_f32_e32 v36, v34, v35
	v_sub_f32_e32 v34, v36, v34
	v_sub_f32_e32 v34, v35, v34
	;; [unrolled: 1-line block ×4, first 2 shown]
	v_mul_f32_e32 v35, v36, v38
	v_mul_f32_e32 v37, v33, v35
	v_fma_f32 v39, v35, v33, -v37
	v_fmac_f32_e32 v39, v35, v32
	v_add_f32_e32 v40, v37, v39
	v_sub_f32_e32 v41, v36, v40
	v_sub_f32_e32 v36, v36, v41
	v_sub_f32_e32 v37, v40, v37
	v_sub_f32_e32 v36, v36, v40
	v_add_f32_e32 v34, v34, v36
	v_sub_f32_e32 v36, v37, v39
	v_add_f32_e32 v34, v36, v34
	v_add_f32_e32 v36, v41, v34
	v_mul_f32_e32 v37, v38, v36
	v_mul_f32_e32 v39, v33, v37
	v_fma_f32 v33, v37, v33, -v39
	v_fmac_f32_e32 v33, v37, v32
	v_sub_f32_e32 v32, v41, v36
	v_add_f32_e32 v32, v34, v32
	v_add_f32_e32 v34, v39, v33
	v_sub_f32_e32 v40, v36, v34
	v_sub_f32_e32 v36, v36, v40
	;; [unrolled: 1-line block ×4, first 2 shown]
	v_add_f32_e32 v32, v32, v34
	v_sub_f32_e32 v33, v39, v33
	v_cvt_f32_i32_e32 v31, v31
	v_add_f32_e32 v32, v33, v32
	v_add_f32_e32 v33, v35, v37
	;; [unrolled: 1-line block ×3, first 2 shown]
	v_sub_f32_e32 v34, v33, v35
	v_mul_f32_e32 v32, v38, v32
	v_sub_f32_e32 v34, v37, v34
	v_add_f32_e32 v32, v34, v32
	v_mul_f32_e32 v37, 0x3f317218, v31
	v_add_f32_e32 v34, v33, v32
	v_fma_f32 v38, v31, s39, -v37
	v_mul_f32_e32 v35, v34, v34
	v_mov_b32_e32 v36, 0x3ecc95a3
	v_fmac_f32_e32 v38, 0xb102e308, v31
	v_sub_f32_e32 v31, v34, v33
	v_fmac_f32_e32 v36, 0x3e9b6dac, v35
	v_sub_f32_e32 v31, v32, v31
	v_add_f32_e32 v32, v37, v38
	v_fma_f32 v36, v35, v36, v14
	v_sub_f32_e32 v33, v32, v37
	v_ldexp_f32 v37, v34, 1
	v_mul_f32_e32 v34, v34, v35
	v_mul_f32_e32 v34, v34, v36
	v_add_f32_e32 v35, v37, v34
	v_sub_f32_e32 v36, v35, v37
	v_ldexp_f32 v31, v31, 1
	v_sub_f32_e32 v34, v34, v36
	v_add_f32_e32 v31, v31, v34
	v_add_f32_e32 v34, v35, v31
	v_sub_f32_e32 v35, v34, v35
	v_sub_f32_e32 v31, v31, v35
	v_add_f32_e32 v35, v32, v34
	v_sub_f32_e32 v36, v35, v32
	v_sub_f32_e32 v37, v35, v36
	;; [unrolled: 1-line block ×5, first 2 shown]
	v_add_f32_e32 v32, v34, v32
	v_add_f32_e32 v34, v33, v31
	v_sub_f32_e32 v36, v34, v33
	v_sub_f32_e32 v37, v34, v36
	;; [unrolled: 1-line block ×4, first 2 shown]
	v_add_f32_e32 v32, v34, v32
	v_add_f32_e32 v31, v31, v33
	;; [unrolled: 1-line block ×3, first 2 shown]
	v_sub_f32_e32 v34, v33, v35
	v_sub_f32_e32 v32, v32, v34
	v_add_f32_e32 v31, v31, v32
	v_add_f32_e32 v31, v33, v31
	v_cmp_neq_f32_e32 vcc, s40, v7
	v_cndmask_b32_e32 v31, v21, v31, vcc
	v_cmp_ngt_f32_e32 vcc, -1.0, v7
	v_cndmask_b32_e32 v31, v22, v31, vcc
	v_cmp_neq_f32_e32 vcc, -1.0, v7
	v_cndmask_b32_e32 v31, v23, v31, vcc
	v_cmp_lt_f32_e64 vcc, |v7|, s41
	v_cndmask_b32_e32 v7, v31, v7, vcc
	v_max_f32_e64 v31, |v2|, |v2|
	v_max_f32_e64 v32, |v1|, |v1|
	v_min_f32_e32 v33, v32, v31
	v_max_f32_e32 v31, v32, v31
	v_frexp_mant_f32_e32 v32, v31
	v_rcp_f32_e32 v32, v32
	v_frexp_exp_i32_f32_e32 v31, v31
	v_frexp_exp_i32_f32_e32 v34, v33
	v_frexp_mant_f32_e32 v33, v33
	v_mul_f32_e32 v32, v33, v32
	v_sub_u32_e32 v31, v34, v31
	v_ldexp_f32 v31, v32, v31
	v_mul_f32_e32 v32, v31, v31
	v_mov_b32_e32 v33, 0xbc7a590c
	v_fmac_f32_e32 v33, 0x3b2d2a58, v32
	v_fma_f32 v33, v32, v33, v15
	v_fma_f32 v33, v32, v33, v16
	;; [unrolled: 1-line block ×6, first 2 shown]
	v_mul_f32_e32 v32, v32, v33
	v_fmac_f32_e32 v31, v31, v32
	v_sub_f32_e32 v32, 0x3fc90fdb, v31
	v_cndmask_b32_e64 v31, v31, v32, s[0:1]
	v_sub_f32_e32 v32, 0x40490fdb, v31
	v_cmp_gt_f32_e32 vcc, 0, v1
	v_cndmask_b32_e32 v31, v31, v32, vcc
	v_cndmask_b32_e64 v32, 0, v24, s[2:3]
	v_cmp_eq_f32_e64 s[2:3], 0, v2
	v_cndmask_b32_e64 v31, v31, v32, s[2:3]
	v_cmp_class_f32_e64 s[2:3], v1, s42
	v_cndmask_b32_e32 v32, v25, v26, vcc
	s_and_b64 vcc, s[2:3], s[24:25]
	v_mul_f32_e32 v7, 0.5, v7
	v_cndmask_b32_e32 v31, v31, v32, vcc
                                        ; implicit-def: $vgpr32
                                        ; implicit-def: $vgpr33
.LBB180_79:                             ;   in Loop: Header=BB180_5 Depth=1
	s_andn2_saveexec_b64 s[22:23], s[22:23]
	s_cbranch_execz .LBB180_87
; %bb.80:                               ;   in Loop: Header=BB180_5 Depth=1
	v_mul_f32_e32 v34, v32, v32
	v_fmac_f32_e32 v34, v33, v33
	v_cmp_ge_f32_e32 vcc, s43, v34
                                        ; implicit-def: $vgpr7
                                        ; implicit-def: $vgpr31
	s_and_saveexec_b64 s[2:3], vcc
	s_xor_b64 s[24:25], exec, s[2:3]
	s_cbranch_execz .LBB180_82
; %bb.81:                               ;   in Loop: Header=BB180_5 Depth=1
	v_cmp_gt_f32_e32 vcc, s44, v34
	v_cndmask_b32_e64 v7, 0, 32, vcc
	v_ldexp_f32 v7, v34, v7
	v_log_f32_e32 v7, v7
	v_cndmask_b32_e32 v31, 0, v27, vcc
	v_cmp_gt_i32_e64 s[2:3], 0, v1
	v_cmp_class_f32_e64 s[26:27], v2, s42
	v_mul_f32_e32 v32, 0x3f317217, v7
	v_fma_f32 v32, v7, s45, -v32
	v_fmac_f32_e32 v32, 0x3377d1cf, v7
	v_fmac_f32_e32 v32, 0x3f317217, v7
	v_cmp_lt_f32_e64 vcc, |v7|, s40
	v_cndmask_b32_e32 v7, v7, v32, vcc
	v_sub_f32_e32 v7, v7, v31
	v_max_f32_e64 v31, |v2|, |v2|
	v_max_f32_e64 v32, |v1|, |v1|
	v_min_f32_e32 v33, v32, v31
	v_max_f32_e32 v31, v32, v31
	v_frexp_mant_f32_e32 v32, v31
	v_rcp_f32_e32 v32, v32
	v_frexp_exp_i32_f32_e32 v31, v31
	v_frexp_exp_i32_f32_e32 v34, v33
	v_frexp_mant_f32_e32 v33, v33
	v_mul_f32_e32 v32, v33, v32
	v_sub_u32_e32 v31, v34, v31
	v_ldexp_f32 v31, v32, v31
	v_mul_f32_e32 v32, v31, v31
	v_mov_b32_e32 v33, 0xbc7a590c
	v_fmac_f32_e32 v33, 0x3b2d2a58, v32
	v_fma_f32 v33, v32, v33, v15
	v_fma_f32 v33, v32, v33, v16
	;; [unrolled: 1-line block ×6, first 2 shown]
	v_mul_f32_e32 v32, v32, v33
	v_fmac_f32_e32 v31, v31, v32
	v_sub_f32_e32 v32, 0x3fc90fdb, v31
	v_cndmask_b32_e64 v31, v31, v32, s[0:1]
	v_sub_f32_e32 v32, 0x40490fdb, v31
	v_cmp_gt_f32_e32 vcc, 0, v1
	v_cndmask_b32_e32 v31, v31, v32, vcc
	v_cndmask_b32_e64 v32, 0, v24, s[2:3]
	v_cmp_eq_f32_e64 s[2:3], 0, v2
	v_cndmask_b32_e64 v31, v31, v32, s[2:3]
	v_cmp_class_f32_e64 s[2:3], v1, s42
	v_cndmask_b32_e32 v32, v25, v26, vcc
	s_and_b64 vcc, s[2:3], s[26:27]
	v_mul_f32_e32 v7, 0.5, v7
	v_cndmask_b32_e32 v31, v31, v32, vcc
                                        ; implicit-def: $vgpr33
                                        ; implicit-def: $vgpr32
.LBB180_82:                             ;   in Loop: Header=BB180_5 Depth=1
	s_andn2_saveexec_b64 s[24:25], s[24:25]
	s_cbranch_execz .LBB180_86
; %bb.83:                               ;   in Loop: Header=BB180_5 Depth=1
	v_and_b32_e32 v34, 0x7fff0000, v33
	v_sub_f32_e32 v7, v33, v34
	v_and_b32_e32 v38, 0xffff0000, v7
	v_and_b32_e32 v33, 0x7fff0000, v32
	v_sub_f32_e32 v40, v7, v38
	v_sub_f32_e32 v7, v32, v33
	v_and_b32_e32 v39, 0xffff0000, v7
	v_add_f32_e32 v35, v34, v34
	v_add_f32_e32 v42, v33, v33
	v_sub_f32_e32 v41, v7, v39
	v_mul_f32_e32 v7, v34, v34
	v_mul_f32_e32 v31, v33, v33
	;; [unrolled: 1-line block ×6, first 2 shown]
	v_add_f32_e32 v38, v38, v38
	v_add_f32_e32 v39, v39, v39
	v_mul_f32_e32 v36, v35, v40
	v_mul_f32_e32 v35, v42, v41
	;; [unrolled: 1-line block ×6, first 2 shown]
	s_mov_b64 s[26:27], 0
.LBB180_84:                             ;   Parent Loop BB180_5 Depth=1
                                        ; =>  This Inner Loop Header: Depth=2
	v_cmp_nlt_f32_e32 vcc, v7, v31
	v_mov_b32_e32 v42, v41
	v_cndmask_b32_e32 v41, v7, v31, vcc
	v_cmp_nlt_f32_e64 s[2:3], v41, v34
	v_cndmask_b32_e64 v43, v41, v34, s[2:3]
	v_cndmask_b32_e32 v7, v31, v7, vcc
	s_and_b64 s[50:51], vcc, s[2:3]
	v_cmp_nlt_f32_e32 vcc, v43, v33
	v_cndmask_b32_e64 v31, v34, v41, s[2:3]
	v_cndmask_b32_e32 v41, v43, v33, vcc
	v_cmp_nlt_f32_e64 s[2:3], v41, v37
	v_cndmask_b32_e32 v34, v33, v43, vcc
	v_cndmask_b32_e64 v43, v41, v37, s[2:3]
	s_and_b64 s[52:53], vcc, s[2:3]
	v_cmp_nlt_f32_e32 vcc, v43, v32
	v_cndmask_b32_e64 v33, v37, v41, s[2:3]
	v_cndmask_b32_e32 v41, v43, v32, vcc
	v_cmp_nlt_f32_e64 s[2:3], v41, v36
	v_cndmask_b32_e32 v37, v32, v43, vcc
	v_cndmask_b32_e64 v43, v41, v36, s[2:3]
	v_cndmask_b32_e64 v32, v36, v41, s[2:3]
	s_and_b64 s[2:3], vcc, s[2:3]
	v_cmp_nlt_f32_e32 vcc, v43, v35
	v_cndmask_b32_e32 v41, v43, v35, vcc
	v_cndmask_b32_e32 v36, v35, v43, vcc
	s_and_b64 s[2:3], s[2:3], vcc
	v_cmp_nlt_f32_e32 vcc, v41, v38
	v_cndmask_b32_e32 v43, v41, v38, vcc
	v_cndmask_b32_e32 v35, v38, v41, vcc
	s_and_b64 s[2:3], s[2:3], vcc
	;; [unrolled: 4-line block ×4, first 2 shown]
	v_cmp_nlt_f32_e32 vcc, v43, v42
	s_and_b64 s[2:3], s[2:3], vcc
	s_and_b64 s[2:3], s[2:3], s[52:53]
	s_and_b64 s[2:3], s[2:3], s[50:51]
	s_and_b64 s[2:3], exec, s[2:3]
	v_cndmask_b32_e32 v41, v43, v42, vcc
	s_or_b64 s[26:27], s[2:3], s[26:27]
	v_cndmask_b32_e32 v40, v42, v43, vcc
	s_andn2_b64 exec, exec, s[26:27]
	s_cbranch_execnz .LBB180_84
; %bb.85:                               ;   in Loop: Header=BB180_5 Depth=1
	s_or_b64 exec, exec, s[26:27]
	v_add_f32_e32 v7, -1.0, v7
	v_add_f32_e32 v7, v7, v31
	v_add_f32_e32 v7, v7, v34
	;; [unrolled: 1-line block ×11, first 2 shown]
	v_add_f32_e32 v33, 1.0, v7
	v_cvt_f64_f32_e32 v[31:32], v33
	v_add_f32_e32 v34, -1.0, v33
	v_sub_f32_e32 v35, v34, v33
	v_sub_f32_e32 v34, v7, v34
	v_frexp_exp_i32_f64_e32 v31, v[31:32]
	v_frexp_mant_f32_e32 v32, v33
	v_cmp_gt_f32_e32 vcc, s38, v32
	v_add_f32_e32 v35, 1.0, v35
	v_add_f32_e32 v34, v34, v35
	v_cmp_gt_i32_e64 s[2:3], 0, v1
	v_cmp_class_f32_e64 s[26:27], v2, s42
	v_subbrev_co_u32_e32 v31, vcc, 0, v31, vcc
	v_sub_u32_e32 v32, 0, v31
	v_ldexp_f32 v33, v33, v32
	v_ldexp_f32 v32, v34, v32
	v_add_f32_e32 v34, -1.0, v33
	v_add_f32_e32 v35, 1.0, v33
	v_add_f32_e32 v36, 1.0, v34
	v_add_f32_e32 v38, -1.0, v35
	v_sub_f32_e32 v36, v33, v36
	v_sub_f32_e32 v33, v33, v38
	v_add_f32_e32 v36, v32, v36
	v_add_f32_e32 v32, v32, v33
	;; [unrolled: 1-line block ×3, first 2 shown]
	v_rcp_f32_e32 v38, v33
	v_add_f32_e32 v37, v34, v36
	v_sub_f32_e32 v35, v33, v35
	v_sub_f32_e32 v34, v37, v34
	;; [unrolled: 1-line block ×3, first 2 shown]
	v_mul_f32_e32 v35, v37, v38
	v_sub_f32_e32 v34, v36, v34
	v_mul_f32_e32 v36, v33, v35
	v_fma_f32 v39, v35, v33, -v36
	v_fmac_f32_e32 v39, v35, v32
	v_add_f32_e32 v40, v36, v39
	v_sub_f32_e32 v41, v37, v40
	v_sub_f32_e32 v37, v37, v41
	;; [unrolled: 1-line block ×4, first 2 shown]
	v_add_f32_e32 v34, v34, v37
	v_sub_f32_e32 v36, v36, v39
	v_add_f32_e32 v34, v36, v34
	v_add_f32_e32 v36, v41, v34
	v_mul_f32_e32 v37, v38, v36
	v_mul_f32_e32 v39, v33, v37
	v_fma_f32 v33, v37, v33, -v39
	v_fmac_f32_e32 v33, v37, v32
	v_sub_f32_e32 v32, v41, v36
	v_add_f32_e32 v32, v34, v32
	v_add_f32_e32 v34, v39, v33
	v_sub_f32_e32 v40, v36, v34
	v_sub_f32_e32 v36, v36, v40
	;; [unrolled: 1-line block ×4, first 2 shown]
	v_add_f32_e32 v32, v32, v34
	v_sub_f32_e32 v33, v39, v33
	v_cvt_f32_i32_e32 v31, v31
	v_add_f32_e32 v32, v33, v32
	v_add_f32_e32 v33, v35, v37
	v_add_f32_e32 v32, v40, v32
	v_sub_f32_e32 v34, v33, v35
	v_mul_f32_e32 v32, v38, v32
	v_sub_f32_e32 v34, v37, v34
	v_add_f32_e32 v32, v34, v32
	v_mul_f32_e32 v37, 0x3f317218, v31
	v_add_f32_e32 v34, v33, v32
	v_fma_f32 v38, v31, s39, -v37
	v_mul_f32_e32 v35, v34, v34
	v_mov_b32_e32 v36, 0x3ecc95a3
	v_fmac_f32_e32 v38, 0xb102e308, v31
	v_sub_f32_e32 v31, v34, v33
	v_fmac_f32_e32 v36, 0x3e9b6dac, v35
	v_sub_f32_e32 v31, v32, v31
	v_add_f32_e32 v32, v37, v38
	v_fma_f32 v36, v35, v36, v14
	v_sub_f32_e32 v33, v32, v37
	v_ldexp_f32 v37, v34, 1
	v_mul_f32_e32 v34, v34, v35
	v_mul_f32_e32 v34, v34, v36
	v_add_f32_e32 v35, v37, v34
	v_sub_f32_e32 v36, v35, v37
	v_ldexp_f32 v31, v31, 1
	v_sub_f32_e32 v34, v34, v36
	v_add_f32_e32 v31, v31, v34
	v_add_f32_e32 v34, v35, v31
	v_sub_f32_e32 v35, v34, v35
	v_sub_f32_e32 v31, v31, v35
	v_add_f32_e32 v35, v32, v34
	v_sub_f32_e32 v36, v35, v32
	v_sub_f32_e32 v37, v35, v36
	;; [unrolled: 1-line block ×5, first 2 shown]
	v_add_f32_e32 v32, v34, v32
	v_add_f32_e32 v34, v33, v31
	v_sub_f32_e32 v36, v34, v33
	v_sub_f32_e32 v37, v34, v36
	;; [unrolled: 1-line block ×4, first 2 shown]
	v_add_f32_e32 v32, v34, v32
	v_add_f32_e32 v31, v31, v33
	;; [unrolled: 1-line block ×3, first 2 shown]
	v_sub_f32_e32 v34, v33, v35
	v_sub_f32_e32 v32, v32, v34
	v_add_f32_e32 v31, v31, v32
	v_add_f32_e32 v31, v33, v31
	v_cmp_neq_f32_e32 vcc, s40, v7
	v_cndmask_b32_e32 v31, v21, v31, vcc
	v_cmp_ngt_f32_e32 vcc, -1.0, v7
	v_cndmask_b32_e32 v31, v22, v31, vcc
	v_cmp_neq_f32_e32 vcc, -1.0, v7
	v_cndmask_b32_e32 v31, v23, v31, vcc
	v_cmp_lt_f32_e64 vcc, |v7|, s41
	v_cndmask_b32_e32 v7, v31, v7, vcc
	v_max_f32_e64 v31, |v2|, |v2|
	v_max_f32_e64 v32, |v1|, |v1|
	v_min_f32_e32 v33, v32, v31
	v_max_f32_e32 v31, v32, v31
	v_frexp_mant_f32_e32 v32, v31
	v_rcp_f32_e32 v32, v32
	v_frexp_exp_i32_f32_e32 v31, v31
	v_frexp_exp_i32_f32_e32 v34, v33
	v_frexp_mant_f32_e32 v33, v33
	v_mul_f32_e32 v32, v33, v32
	v_sub_u32_e32 v31, v34, v31
	v_ldexp_f32 v31, v32, v31
	v_mul_f32_e32 v32, v31, v31
	v_mov_b32_e32 v33, 0xbc7a590c
	v_fmac_f32_e32 v33, 0x3b2d2a58, v32
	v_fma_f32 v33, v32, v33, v15
	v_fma_f32 v33, v32, v33, v16
	;; [unrolled: 1-line block ×6, first 2 shown]
	v_mul_f32_e32 v32, v32, v33
	v_fmac_f32_e32 v31, v31, v32
	v_sub_f32_e32 v32, 0x3fc90fdb, v31
	v_cndmask_b32_e64 v31, v31, v32, s[0:1]
	v_sub_f32_e32 v32, 0x40490fdb, v31
	v_cmp_gt_f32_e32 vcc, 0, v1
	v_cndmask_b32_e32 v31, v31, v32, vcc
	v_cndmask_b32_e64 v32, 0, v24, s[2:3]
	v_cmp_eq_f32_e64 s[2:3], 0, v2
	v_cndmask_b32_e64 v31, v31, v32, s[2:3]
	v_cmp_class_f32_e64 s[2:3], v1, s42
	v_cndmask_b32_e32 v32, v25, v26, vcc
	s_and_b64 vcc, s[2:3], s[26:27]
	v_mul_f32_e32 v7, 0.5, v7
	v_cndmask_b32_e32 v31, v31, v32, vcc
.LBB180_86:                             ;   in Loop: Header=BB180_5 Depth=1
	s_or_b64 exec, exec, s[24:25]
.LBB180_87:                             ;   in Loop: Header=BB180_5 Depth=1
	s_or_b64 exec, exec, s[22:23]
.LBB180_88:                             ;   in Loop: Header=BB180_5 Depth=1
	s_andn2_saveexec_b64 s[20:21], s[20:21]
	s_cbranch_execz .LBB180_90
; %bb.89:                               ;   in Loop: Header=BB180_5 Depth=1
	v_max_f32_e64 v7, |v2|, |v2|
	v_max_f32_e64 v33, |v1|, |v1|
	v_max_f32_e32 v34, v33, v7
	v_cvt_f64_f32_e32 v[31:32], v34
	v_min_f32_e32 v7, v33, v7
	v_frexp_mant_f32_e32 v33, v34
	v_rcp_f32_e32 v33, v33
	v_frexp_exp_i32_f64_e32 v31, v[31:32]
	v_cmp_neq_f32_e32 vcc, s40, v34
	v_frexp_exp_i32_f32_e32 v35, v7
	v_frexp_mant_f32_e32 v7, v7
	v_mul_f32_e32 v7, v7, v33
	v_frexp_exp_i32_f32_e32 v32, v34
	v_sub_u32_e32 v32, v35, v32
	v_ldexp_f32 v32, v7, v32
	v_sub_u32_e32 v36, 0, v31
	v_ldexp_f32 v37, |v1|, v36
	v_ldexp_f32 v36, |v2|, v36
	v_mul_f32_e32 v36, v36, v36
	v_fmac_f32_e32 v36, v37, v37
	v_sqrt_f32_e32 v36, v36
	v_cmp_gt_i32_e64 s[2:3], 0, v1
	v_cmp_class_f32_e64 s[22:23], v2, s42
	v_ldexp_f32 v31, v36, v31
	v_cndmask_b32_e32 v31, v21, v31, vcc
	v_cmp_gt_f32_e32 vcc, s44, v31
	v_cndmask_b32_e64 v33, 0, 32, vcc
	v_ldexp_f32 v31, v31, v33
	v_log_f32_e32 v31, v31
	v_cndmask_b32_e32 v7, 0, v27, vcc
	v_mul_f32_e32 v33, v32, v32
	v_mul_f32_e32 v34, 0x3f317217, v31
	v_fma_f32 v34, v31, s45, -v34
	v_fmac_f32_e32 v34, 0x3377d1cf, v31
	v_fmac_f32_e32 v34, 0x3f317217, v31
	v_cmp_lt_f32_e64 vcc, |v31|, s40
	v_cndmask_b32_e32 v31, v31, v34, vcc
	v_sub_f32_e32 v7, v31, v7
	v_mov_b32_e32 v31, 0xbc7a590c
	v_fmac_f32_e32 v31, 0x3b2d2a58, v33
	v_fma_f32 v31, v33, v31, v15
	v_fma_f32 v31, v33, v31, v16
	;; [unrolled: 1-line block ×6, first 2 shown]
	v_mul_f32_e32 v31, v33, v31
	v_fmac_f32_e32 v32, v32, v31
	v_sub_f32_e32 v31, 0x3fc90fdb, v32
	v_cndmask_b32_e64 v31, v32, v31, s[0:1]
	v_sub_f32_e32 v32, 0x40490fdb, v31
	v_cmp_gt_f32_e32 vcc, 0, v1
	v_cndmask_b32_e32 v31, v31, v32, vcc
	v_cndmask_b32_e64 v32, 0, v24, s[2:3]
	v_cmp_eq_f32_e64 s[2:3], 0, v2
	v_cndmask_b32_e64 v31, v31, v32, s[2:3]
	v_cmp_class_f32_e64 s[2:3], v1, s42
	v_cndmask_b32_e32 v32, v25, v26, vcc
	s_and_b64 vcc, s[2:3], s[22:23]
	v_cndmask_b32_e32 v31, v31, v32, vcc
.LBB180_90:                             ;   in Loop: Header=BB180_5 Depth=1
	s_or_b64 exec, exec, s[20:21]
                                        ; implicit-def: $vgpr32
.LBB180_91:                             ;   in Loop: Header=BB180_5 Depth=1
	s_andn2_saveexec_b64 s[18:19], s[18:19]
	s_cbranch_execz .LBB180_97
; %bb.92:                               ;   in Loop: Header=BB180_5 Depth=1
	v_cmp_ngt_f32_e32 vcc, s46, v32
                                        ; implicit-def: $vgpr7
                                        ; implicit-def: $vgpr31
	s_and_saveexec_b64 s[2:3], vcc
	s_xor_b64 s[20:21], exec, s[2:3]
	s_cbranch_execz .LBB180_94
; %bb.93:                               ;   in Loop: Header=BB180_5 Depth=1
	v_mul_f32_e32 v7, v32, v32
	v_add_f32_e32 v33, 1.0, v7
	v_cvt_f64_f32_e32 v[31:32], v33
	v_add_f32_e32 v34, -1.0, v33
	v_sub_f32_e32 v35, v34, v33
	v_sub_f32_e32 v34, v7, v34
	v_frexp_exp_i32_f64_e32 v31, v[31:32]
	v_frexp_mant_f32_e32 v32, v33
	v_cmp_gt_f32_e32 vcc, s38, v32
	v_add_f32_e32 v35, 1.0, v35
	v_add_f32_e32 v34, v34, v35
	v_cmp_gt_i32_e64 s[2:3], 0, v1
	v_cmp_class_f32_e64 s[22:23], v2, s42
	v_subbrev_co_u32_e32 v31, vcc, 0, v31, vcc
	v_sub_u32_e32 v32, 0, v31
	v_ldexp_f32 v33, v33, v32
	v_ldexp_f32 v32, v34, v32
	v_add_f32_e32 v34, -1.0, v33
	v_add_f32_e32 v35, 1.0, v33
	v_add_f32_e32 v36, 1.0, v34
	v_add_f32_e32 v38, -1.0, v35
	v_sub_f32_e32 v36, v33, v36
	v_sub_f32_e32 v33, v33, v38
	v_add_f32_e32 v36, v32, v36
	v_add_f32_e32 v32, v32, v33
	;; [unrolled: 1-line block ×3, first 2 shown]
	v_rcp_f32_e32 v38, v33
	v_add_f32_e32 v37, v34, v36
	v_sub_f32_e32 v35, v35, v33
	v_sub_f32_e32 v34, v34, v37
	v_add_f32_e32 v32, v32, v35
	v_mul_f32_e32 v35, v37, v38
	v_add_f32_e32 v34, v36, v34
	v_mul_f32_e32 v36, v33, v35
	v_fma_f32 v39, v35, v33, -v36
	v_fmac_f32_e32 v39, v35, v32
	v_add_f32_e32 v40, v36, v39
	v_sub_f32_e32 v41, v37, v40
	v_sub_f32_e32 v37, v37, v41
	;; [unrolled: 1-line block ×4, first 2 shown]
	v_add_f32_e32 v34, v34, v37
	v_sub_f32_e32 v36, v36, v39
	v_add_f32_e32 v34, v36, v34
	v_add_f32_e32 v36, v41, v34
	v_mul_f32_e32 v37, v38, v36
	v_mul_f32_e32 v39, v33, v37
	v_fma_f32 v33, v37, v33, -v39
	v_fmac_f32_e32 v33, v37, v32
	v_sub_f32_e32 v32, v41, v36
	v_add_f32_e32 v32, v34, v32
	v_add_f32_e32 v34, v39, v33
	v_sub_f32_e32 v40, v36, v34
	v_sub_f32_e32 v36, v36, v40
	;; [unrolled: 1-line block ×4, first 2 shown]
	v_add_f32_e32 v32, v32, v34
	v_sub_f32_e32 v33, v39, v33
	v_cvt_f32_i32_e32 v31, v31
	v_add_f32_e32 v32, v33, v32
	v_add_f32_e32 v33, v35, v37
	;; [unrolled: 1-line block ×3, first 2 shown]
	v_sub_f32_e32 v34, v33, v35
	v_mul_f32_e32 v32, v38, v32
	v_sub_f32_e32 v34, v37, v34
	v_add_f32_e32 v32, v34, v32
	v_mul_f32_e32 v37, 0x3f317218, v31
	v_add_f32_e32 v34, v33, v32
	v_fma_f32 v38, v31, s39, -v37
	v_mul_f32_e32 v35, v34, v34
	v_mov_b32_e32 v36, 0x3ecc95a3
	v_fmac_f32_e32 v38, 0xb102e308, v31
	v_sub_f32_e32 v31, v34, v33
	v_fmac_f32_e32 v36, 0x3e9b6dac, v35
	v_sub_f32_e32 v31, v32, v31
	v_add_f32_e32 v32, v37, v38
	v_fma_f32 v36, v35, v36, v14
	v_sub_f32_e32 v33, v32, v37
	v_ldexp_f32 v37, v34, 1
	v_mul_f32_e32 v34, v34, v35
	v_mul_f32_e32 v34, v34, v36
	v_add_f32_e32 v35, v37, v34
	v_sub_f32_e32 v36, v35, v37
	v_ldexp_f32 v31, v31, 1
	v_sub_f32_e32 v34, v34, v36
	v_add_f32_e32 v31, v31, v34
	v_add_f32_e32 v34, v35, v31
	v_sub_f32_e32 v35, v34, v35
	v_sub_f32_e32 v31, v31, v35
	v_add_f32_e32 v35, v32, v34
	v_sub_f32_e32 v36, v35, v32
	v_sub_f32_e32 v37, v35, v36
	;; [unrolled: 1-line block ×5, first 2 shown]
	v_add_f32_e32 v32, v34, v32
	v_add_f32_e32 v34, v33, v31
	v_sub_f32_e32 v36, v34, v33
	v_sub_f32_e32 v37, v34, v36
	;; [unrolled: 1-line block ×4, first 2 shown]
	v_add_f32_e32 v32, v34, v32
	v_add_f32_e32 v31, v31, v33
	;; [unrolled: 1-line block ×3, first 2 shown]
	v_sub_f32_e32 v34, v33, v35
	v_sub_f32_e32 v32, v32, v34
	v_add_f32_e32 v31, v31, v32
	v_add_f32_e32 v31, v33, v31
	v_cmp_neq_f32_e32 vcc, s40, v7
	v_cndmask_b32_e32 v31, v21, v31, vcc
	v_cmp_lt_f32_e64 vcc, |v7|, s41
	v_cndmask_b32_e32 v7, v31, v7, vcc
	v_max_f32_e64 v31, |v2|, |v2|
	v_max_f32_e64 v32, |v1|, |v1|
	v_min_f32_e32 v33, v32, v31
	v_max_f32_e32 v31, v32, v31
	v_frexp_mant_f32_e32 v32, v31
	v_rcp_f32_e32 v32, v32
	v_frexp_exp_i32_f32_e32 v31, v31
	v_frexp_exp_i32_f32_e32 v34, v33
	v_frexp_mant_f32_e32 v33, v33
	v_mul_f32_e32 v32, v33, v32
	v_sub_u32_e32 v31, v34, v31
	v_ldexp_f32 v31, v32, v31
	v_mul_f32_e32 v32, v31, v31
	v_mov_b32_e32 v33, 0xbc7a590c
	v_fmac_f32_e32 v33, 0x3b2d2a58, v32
	v_fma_f32 v33, v32, v33, v15
	v_fma_f32 v33, v32, v33, v16
	;; [unrolled: 1-line block ×6, first 2 shown]
	v_mul_f32_e32 v32, v32, v33
	v_fmac_f32_e32 v31, v31, v32
	v_sub_f32_e32 v32, 0x3fc90fdb, v31
	v_cndmask_b32_e64 v31, v31, v32, s[0:1]
	v_sub_f32_e32 v32, 0x40490fdb, v31
	v_cmp_gt_f32_e32 vcc, 0, v1
	v_cndmask_b32_e32 v31, v31, v32, vcc
	v_cndmask_b32_e64 v32, 0, v24, s[2:3]
	v_cmp_eq_f32_e64 s[2:3], 0, v2
	v_cndmask_b32_e64 v31, v31, v32, s[2:3]
	v_cmp_class_f32_e64 s[2:3], v1, s42
	v_cndmask_b32_e32 v32, v25, v26, vcc
	s_and_b64 vcc, s[2:3], s[22:23]
	v_mul_f32_e32 v7, 0.5, v7
	v_cndmask_b32_e32 v31, v31, v32, vcc
                                        ; implicit-def: $vgpr32
.LBB180_94:                             ;   in Loop: Header=BB180_5 Depth=1
	s_andn2_saveexec_b64 s[20:21], s[20:21]
	s_cbranch_execz .LBB180_96
; %bb.95:                               ;   in Loop: Header=BB180_5 Depth=1
	v_mul_f32_e32 v7, 0.5, v32
	v_mul_f32_e32 v7, v32, v7
	v_max_f32_e64 v31, |v2|, |v2|
	v_max_f32_e64 v32, |v1|, |v1|
	v_min_f32_e32 v33, v32, v31
	v_max_f32_e32 v31, v32, v31
	v_frexp_mant_f32_e32 v32, v31
	v_rcp_f32_e32 v32, v32
	v_frexp_exp_i32_f32_e32 v31, v31
	v_frexp_exp_i32_f32_e32 v34, v33
	v_frexp_mant_f32_e32 v33, v33
	v_mul_f32_e32 v32, v33, v32
	v_sub_u32_e32 v31, v34, v31
	v_ldexp_f32 v31, v32, v31
	v_mul_f32_e32 v32, v31, v31
	v_mov_b32_e32 v33, 0xbc7a590c
	v_fmac_f32_e32 v33, 0x3b2d2a58, v32
	v_fma_f32 v33, v32, v33, v15
	v_fma_f32 v33, v32, v33, v16
	v_fma_f32 v33, v32, v33, v17
	v_fma_f32 v33, v32, v33, v18
	v_fma_f32 v33, v32, v33, v19
	v_fma_f32 v33, v32, v33, v20
	v_mul_f32_e32 v32, v32, v33
	v_fmac_f32_e32 v31, v31, v32
	v_sub_f32_e32 v32, 0x3fc90fdb, v31
	v_cndmask_b32_e64 v31, v31, v32, s[0:1]
	v_sub_f32_e32 v32, 0x40490fdb, v31
	v_cmp_gt_f32_e32 vcc, 0, v1
	v_cmp_gt_i32_e64 s[2:3], 0, v1
	v_cndmask_b32_e32 v31, v31, v32, vcc
	v_cndmask_b32_e64 v32, 0, v24, s[2:3]
	v_cmp_eq_f32_e64 s[2:3], 0, v2
	v_cndmask_b32_e64 v31, v31, v32, s[2:3]
	v_cmp_class_f32_e64 s[2:3], v1, s42
	v_cmp_class_f32_e64 s[22:23], v2, s42
	v_cndmask_b32_e32 v32, v25, v26, vcc
	s_and_b64 vcc, s[2:3], s[22:23]
	v_cndmask_b32_e32 v31, v31, v32, vcc
.LBB180_96:                             ;   in Loop: Header=BB180_5 Depth=1
	s_or_b64 exec, exec, s[20:21]
.LBB180_97:                             ;   in Loop: Header=BB180_5 Depth=1
	s_or_b64 exec, exec, s[18:19]
.LBB180_98:                             ;   in Loop: Header=BB180_5 Depth=1
	s_andn2_saveexec_b64 s[16:17], s[16:17]
	s_cbranch_execz .LBB180_100
; %bb.99:                               ;   in Loop: Header=BB180_5 Depth=1
	v_div_scale_f32 v7, s[2:3], s47, s47, v1
	v_div_scale_f32 v31, s[2:3], s47, s47, v2
	v_div_scale_f32 v32, vcc, v1, s47, v1
	v_div_scale_f32 v33, s[2:3], v2, s47, v2
	v_rcp_f32_e32 v34, v7
	v_rcp_f32_e32 v35, v31
	v_fma_f32 v36, -v7, v34, 1.0
	v_fmac_f32_e32 v34, v36, v34
	v_fma_f32 v37, -v31, v35, 1.0
	v_fmac_f32_e32 v35, v37, v35
	v_mul_f32_e32 v36, v32, v34
	v_mul_f32_e32 v37, v33, v35
	v_fma_f32 v38, -v7, v36, v32
	v_fma_f32 v39, -v31, v37, v33
	v_fmac_f32_e32 v36, v38, v34
	v_fmac_f32_e32 v37, v39, v35
	v_fma_f32 v7, -v7, v36, v32
	v_fma_f32 v31, -v31, v37, v33
	v_div_fmas_f32 v7, v7, v34, v36
	s_mov_b64 vcc, s[2:3]
	v_div_fmas_f32 v31, v31, v35, v37
	v_max_f32_e64 v32, |v2|, |v2|
	v_max_f32_e64 v33, |v1|, |v1|
	v_min_f32_e32 v35, v33, v32
	v_max_f32_e32 v32, v33, v32
	v_frexp_exp_i32_f32_e32 v33, v32
	v_frexp_exp_i32_f32_e32 v36, v35
	v_sub_u32_e32 v33, v36, v33
	v_frexp_mant_f32_e32 v32, v32
	v_rcp_f32_e32 v37, v32
	v_frexp_mant_f32_e32 v35, v35
	v_mov_b32_e32 v34, 0xbc7a590c
	v_cmp_class_f32_e64 s[2:3], v2, s42
	v_mul_f32_e32 v35, v35, v37
	v_div_fixup_f32 v7, v7, s47, v1
	v_ldexp_f32 v33, v35, v33
	v_div_fixup_f32 v36, v31, s47, v2
	v_max_f32_e64 v38, |v7|, |v36|
	v_cvt_f64_f32_e32 v[31:32], v38
	v_mul_f32_e32 v35, v33, v33
	v_fmac_f32_e32 v34, 0x3b2d2a58, v35
	v_cmp_neq_f32_e32 vcc, s40, v38
	v_frexp_exp_i32_f64_e32 v31, v[31:32]
	v_fma_f32 v32, v35, v34, v15
	v_fma_f32 v32, v35, v32, v16
	;; [unrolled: 1-line block ×6, first 2 shown]
	v_mul_f32_e32 v32, v35, v32
	v_sub_u32_e32 v34, 0, v31
	v_ldexp_f32 v7, |v7|, v34
	v_ldexp_f32 v34, |v36|, v34
	v_mul_f32_e32 v34, v34, v34
	v_fmac_f32_e32 v34, v7, v7
	v_sqrt_f32_e32 v7, v34
	v_fmac_f32_e32 v33, v33, v32
	v_sub_f32_e32 v32, 0x3fc90fdb, v33
	v_ldexp_f32 v7, v7, v31
	v_cndmask_b32_e32 v7, v21, v7, vcc
	v_cmp_gt_f32_e32 vcc, s44, v7
	v_cndmask_b32_e64 v31, 0, 32, vcc
	v_ldexp_f32 v7, v7, v31
	v_log_f32_e32 v7, v7
	v_cndmask_b32_e64 v31, v33, v32, s[0:1]
	v_cndmask_b32_e32 v33, 0, v27, vcc
	v_sub_f32_e32 v32, 0x40490fdb, v31
	v_mul_f32_e32 v34, 0x3f317217, v7
	v_fma_f32 v34, v7, s45, -v34
	v_fmac_f32_e32 v34, 0x3377d1cf, v7
	v_fmac_f32_e32 v34, 0x3f317217, v7
	v_cmp_lt_f32_e64 vcc, |v7|, s40
	v_cndmask_b32_e32 v7, v7, v34, vcc
	v_cmp_gt_f32_e32 vcc, 0, v1
	v_cmp_gt_i32_e64 s[0:1], 0, v1
	v_cndmask_b32_e32 v31, v31, v32, vcc
	v_cndmask_b32_e64 v32, 0, v24, s[0:1]
	v_cmp_eq_f32_e64 s[0:1], 0, v2
	v_cndmask_b32_e64 v31, v31, v32, s[0:1]
	v_cmp_class_f32_e64 s[0:1], v1, s42
	v_sub_f32_e32 v7, v7, v33
	v_cndmask_b32_e32 v32, v25, v26, vcc
	s_and_b64 vcc, s[0:1], s[2:3]
	v_add_f32_e32 v7, 1.0, v7
	v_cndmask_b32_e32 v31, v31, v32, vcc
.LBB180_100:                            ;   in Loop: Header=BB180_5 Depth=1
	s_or_b64 exec, exec, s[16:17]
.LBB180_101:                            ;   in Loop: Header=BB180_5 Depth=1
	s_andn2_saveexec_b64 s[0:1], s[6:7]
	s_cbranch_execz .LBB180_107
; %bb.102:                              ;   in Loop: Header=BB180_5 Depth=1
	v_cmp_nlt_f32_e64 s[2:3], |v1|, s48
	v_cmp_nlt_f32_e64 s[6:7], |v2|, s48
	s_or_b64 s[2:3], s[2:3], s[6:7]
                                        ; implicit-def: $vgpr7
	s_and_saveexec_b64 s[6:7], s[2:3]
	s_xor_b64 s[2:3], exec, s[6:7]
; %bb.103:                              ;   in Loop: Header=BB180_5 Depth=1
	v_mul_f32_e32 v7, v2, v2
	v_fmac_f32_e32 v7, v1, v1
; %bb.104:                              ;   in Loop: Header=BB180_5 Depth=1
	s_andn2_saveexec_b64 s[2:3], s[2:3]
; %bb.105:                              ;   in Loop: Header=BB180_5 Depth=1
	v_mul_f32_e32 v7, 4.0, v2
	v_mul_f32_e32 v1, 4.0, v1
	v_mul_f32_e32 v7, v7, v7
	v_fmac_f32_e32 v7, v1, v1
	v_mul_f32_e32 v7, 0x3d800000, v7
; %bb.106:                              ;   in Loop: Header=BB180_5 Depth=1
	s_or_b64 exec, exec, s[2:3]
	v_cmp_gt_f32_e32 vcc, s44, v7
	v_cndmask_b32_e64 v1, 0, 32, vcc
	v_ldexp_f32 v1, v7, v1
	v_log_f32_e32 v1, v1
	v_cndmask_b32_e32 v7, 0, v27, vcc
	v_mul_f32_e32 v31, 0x3f317217, v1
	v_fma_f32 v31, v1, s45, -v31
	v_fmac_f32_e32 v31, 0x3377d1cf, v1
	v_fmac_f32_e32 v31, 0x3f317217, v1
	v_cmp_lt_f32_e64 vcc, |v1|, s40
	v_cndmask_b32_e32 v1, v1, v31, vcc
	v_sub_f32_e32 v7, v1, v7
	v_mov_b32_e32 v31, 0x7fc00000
.LBB180_107:                            ;   in Loop: Header=BB180_5 Depth=1
	s_or_b64 exec, exec, s[0:1]
	v_cmp_o_f32_e32 vcc, v4, v3
                                        ; implicit-def: $vgpr1
                                        ; implicit-def: $vgpr32
	s_and_saveexec_b64 s[0:1], vcc
	s_xor_b64 s[6:7], exec, s[0:1]
	s_cbranch_execz .LBB180_135
; %bb.108:                              ;   in Loop: Header=BB180_5 Depth=1
	v_cmp_lt_f32_e64 s[0:1], |v3|, |v4|
	v_cndmask_b32_e64 v33, |v4|, |v3|, s[0:1]
	v_cmp_nlt_f32_e32 vcc, s30, v33
                                        ; implicit-def: $vgpr1
                                        ; implicit-def: $vgpr32
	s_and_saveexec_b64 s[2:3], vcc
	s_xor_b64 s[16:17], exec, s[2:3]
	s_cbranch_execz .LBB180_132
; %bb.109:                              ;   in Loop: Header=BB180_5 Depth=1
	v_and_b32_e32 v1, 0x7fffffff, v4
	v_cndmask_b32_e64 v34, |v3|, v1, s[0:1]
	v_cmp_neq_f32_e32 vcc, 1.0, v34
                                        ; implicit-def: $vgpr1
                                        ; implicit-def: $vgpr32
	s_and_saveexec_b64 s[2:3], vcc
	s_xor_b64 s[18:19], exec, s[2:3]
	s_cbranch_execz .LBB180_125
; %bb.110:                              ;   in Loop: Header=BB180_5 Depth=1
	v_max_f32_e32 v1, v33, v33
	v_max_f32_e32 v32, v34, v34
	v_min_f32_e32 v35, v32, v1
	v_max_f32_e32 v1, v32, v1
	v_cmp_ngt_f32_e32 vcc, s31, v35
	v_cmp_nlt_f32_e64 s[2:3], s37, v1
	s_and_b64 s[2:3], s[2:3], vcc
                                        ; implicit-def: $vgpr1
                                        ; implicit-def: $vgpr32
	s_and_saveexec_b64 s[20:21], s[2:3]
	s_xor_b64 s[20:21], exec, s[20:21]
	s_cbranch_execz .LBB180_122
; %bb.111:                              ;   in Loop: Header=BB180_5 Depth=1
	v_cmp_le_f32_e32 vcc, 1.0, v34
                                        ; implicit-def: $vgpr1
                                        ; implicit-def: $vgpr32
	s_and_saveexec_b64 s[2:3], vcc
	s_xor_b64 s[22:23], exec, s[2:3]
	s_cbranch_execz .LBB180_113
; %bb.112:                              ;   in Loop: Header=BB180_5 Depth=1
	v_add_f32_e32 v1, -1.0, v34
	v_add_f32_e32 v32, 1.0, v34
	v_mul_f32_e32 v1, v1, v32
	v_fmac_f32_e32 v1, v33, v33
	v_add_f32_e32 v34, 1.0, v1
	v_cvt_f64_f32_e32 v[32:33], v34
	v_add_f32_e32 v35, -1.0, v34
	v_sub_f32_e32 v36, v35, v34
	v_sub_f32_e32 v35, v1, v35
	v_frexp_exp_i32_f64_e32 v32, v[32:33]
	v_frexp_mant_f32_e32 v33, v34
	v_cmp_gt_f32_e32 vcc, s38, v33
	v_add_f32_e32 v36, 1.0, v36
	v_add_f32_e32 v35, v35, v36
	v_cmp_gt_i32_e64 s[2:3], 0, v3
	v_cmp_class_f32_e64 s[24:25], v4, s42
	v_subbrev_co_u32_e32 v32, vcc, 0, v32, vcc
	v_sub_u32_e32 v33, 0, v32
	v_ldexp_f32 v34, v34, v33
	v_ldexp_f32 v33, v35, v33
	v_add_f32_e32 v35, -1.0, v34
	v_add_f32_e32 v38, 1.0, v34
	v_add_f32_e32 v36, 1.0, v35
	v_add_f32_e32 v39, -1.0, v38
	v_sub_f32_e32 v36, v34, v36
	v_sub_f32_e32 v34, v34, v39
	v_add_f32_e32 v36, v33, v36
	v_add_f32_e32 v33, v33, v34
	;; [unrolled: 1-line block ×3, first 2 shown]
	v_rcp_f32_e32 v39, v34
	v_add_f32_e32 v37, v35, v36
	v_sub_f32_e32 v35, v37, v35
	v_sub_f32_e32 v35, v36, v35
	;; [unrolled: 1-line block ×4, first 2 shown]
	v_mul_f32_e32 v36, v37, v39
	v_mul_f32_e32 v38, v34, v36
	v_fma_f32 v40, v36, v34, -v38
	v_fmac_f32_e32 v40, v36, v33
	v_add_f32_e32 v41, v38, v40
	v_sub_f32_e32 v42, v37, v41
	v_sub_f32_e32 v37, v37, v42
	;; [unrolled: 1-line block ×4, first 2 shown]
	v_add_f32_e32 v35, v35, v37
	v_sub_f32_e32 v37, v38, v40
	v_add_f32_e32 v35, v37, v35
	v_add_f32_e32 v37, v42, v35
	v_mul_f32_e32 v38, v39, v37
	v_mul_f32_e32 v40, v34, v38
	v_fma_f32 v34, v38, v34, -v40
	v_fmac_f32_e32 v34, v38, v33
	v_sub_f32_e32 v33, v42, v37
	v_add_f32_e32 v33, v35, v33
	v_add_f32_e32 v35, v40, v34
	v_sub_f32_e32 v41, v37, v35
	v_sub_f32_e32 v37, v37, v41
	;; [unrolled: 1-line block ×4, first 2 shown]
	v_add_f32_e32 v33, v33, v35
	v_sub_f32_e32 v34, v40, v34
	v_cvt_f32_i32_e32 v32, v32
	v_add_f32_e32 v33, v34, v33
	v_add_f32_e32 v34, v36, v38
	;; [unrolled: 1-line block ×3, first 2 shown]
	v_sub_f32_e32 v35, v34, v36
	v_mul_f32_e32 v33, v39, v33
	v_sub_f32_e32 v35, v38, v35
	v_add_f32_e32 v33, v35, v33
	v_mul_f32_e32 v38, 0x3f317218, v32
	v_add_f32_e32 v35, v34, v33
	v_fma_f32 v39, v32, s39, -v38
	v_mul_f32_e32 v36, v35, v35
	v_mov_b32_e32 v37, 0x3ecc95a3
	v_fmac_f32_e32 v39, 0xb102e308, v32
	v_sub_f32_e32 v32, v35, v34
	v_fmac_f32_e32 v37, 0x3e9b6dac, v36
	v_sub_f32_e32 v32, v33, v32
	v_add_f32_e32 v33, v38, v39
	v_fma_f32 v37, v36, v37, v14
	v_sub_f32_e32 v34, v33, v38
	v_ldexp_f32 v38, v35, 1
	v_mul_f32_e32 v35, v35, v36
	v_mul_f32_e32 v35, v35, v37
	v_add_f32_e32 v36, v38, v35
	v_sub_f32_e32 v37, v36, v38
	v_ldexp_f32 v32, v32, 1
	v_sub_f32_e32 v35, v35, v37
	v_add_f32_e32 v32, v32, v35
	v_add_f32_e32 v35, v36, v32
	v_sub_f32_e32 v36, v35, v36
	v_sub_f32_e32 v32, v32, v36
	v_add_f32_e32 v36, v33, v35
	v_sub_f32_e32 v37, v36, v33
	v_sub_f32_e32 v38, v36, v37
	v_sub_f32_e32 v34, v39, v34
	v_sub_f32_e32 v33, v33, v38
	v_sub_f32_e32 v35, v35, v37
	v_add_f32_e32 v33, v35, v33
	v_add_f32_e32 v35, v34, v32
	v_sub_f32_e32 v37, v35, v34
	v_sub_f32_e32 v38, v35, v37
	;; [unrolled: 1-line block ×4, first 2 shown]
	v_add_f32_e32 v33, v35, v33
	v_add_f32_e32 v32, v32, v34
	;; [unrolled: 1-line block ×3, first 2 shown]
	v_sub_f32_e32 v35, v34, v36
	v_sub_f32_e32 v33, v33, v35
	v_add_f32_e32 v32, v32, v33
	v_add_f32_e32 v32, v34, v32
	v_cmp_neq_f32_e32 vcc, s40, v1
	v_cndmask_b32_e32 v32, v21, v32, vcc
	v_cmp_ngt_f32_e32 vcc, -1.0, v1
	v_cndmask_b32_e32 v32, v22, v32, vcc
	v_cmp_neq_f32_e32 vcc, -1.0, v1
	v_cndmask_b32_e32 v32, v23, v32, vcc
	v_cmp_lt_f32_e64 vcc, |v1|, s41
	v_cndmask_b32_e32 v1, v32, v1, vcc
	v_max_f32_e64 v32, |v4|, |v4|
	v_max_f32_e64 v33, |v3|, |v3|
	v_min_f32_e32 v34, v33, v32
	v_max_f32_e32 v32, v33, v32
	v_frexp_mant_f32_e32 v33, v32
	v_rcp_f32_e32 v33, v33
	v_frexp_exp_i32_f32_e32 v32, v32
	v_frexp_exp_i32_f32_e32 v35, v34
	v_frexp_mant_f32_e32 v34, v34
	v_mul_f32_e32 v33, v34, v33
	v_sub_u32_e32 v32, v35, v32
	v_ldexp_f32 v32, v33, v32
	v_mul_f32_e32 v33, v32, v32
	v_mov_b32_e32 v34, 0xbc7a590c
	v_fmac_f32_e32 v34, 0x3b2d2a58, v33
	v_fma_f32 v34, v33, v34, v15
	v_fma_f32 v34, v33, v34, v16
	;; [unrolled: 1-line block ×6, first 2 shown]
	v_mul_f32_e32 v33, v33, v34
	v_fmac_f32_e32 v32, v32, v33
	v_sub_f32_e32 v33, 0x3fc90fdb, v32
	v_cndmask_b32_e64 v32, v32, v33, s[0:1]
	v_sub_f32_e32 v33, 0x40490fdb, v32
	v_cmp_gt_f32_e32 vcc, 0, v3
	v_cndmask_b32_e32 v32, v32, v33, vcc
	v_cndmask_b32_e64 v33, 0, v24, s[2:3]
	v_cmp_eq_f32_e64 s[2:3], 0, v4
	v_cndmask_b32_e64 v32, v32, v33, s[2:3]
	v_cmp_class_f32_e64 s[2:3], v3, s42
	v_cndmask_b32_e32 v33, v25, v26, vcc
	s_and_b64 vcc, s[2:3], s[24:25]
	v_mul_f32_e32 v1, 0.5, v1
	v_cndmask_b32_e32 v32, v32, v33, vcc
                                        ; implicit-def: $vgpr33
                                        ; implicit-def: $vgpr34
.LBB180_113:                            ;   in Loop: Header=BB180_5 Depth=1
	s_andn2_saveexec_b64 s[22:23], s[22:23]
	s_cbranch_execz .LBB180_121
; %bb.114:                              ;   in Loop: Header=BB180_5 Depth=1
	v_mul_f32_e32 v35, v33, v33
	v_fmac_f32_e32 v35, v34, v34
	v_cmp_ge_f32_e32 vcc, s43, v35
                                        ; implicit-def: $vgpr1
                                        ; implicit-def: $vgpr32
	s_and_saveexec_b64 s[2:3], vcc
	s_xor_b64 s[24:25], exec, s[2:3]
	s_cbranch_execz .LBB180_116
; %bb.115:                              ;   in Loop: Header=BB180_5 Depth=1
	v_cmp_gt_f32_e32 vcc, s44, v35
	v_cndmask_b32_e64 v1, 0, 32, vcc
	v_ldexp_f32 v1, v35, v1
	v_log_f32_e32 v1, v1
	v_cndmask_b32_e32 v32, 0, v27, vcc
	v_cmp_gt_i32_e64 s[2:3], 0, v3
	v_cmp_class_f32_e64 s[26:27], v4, s42
	v_mul_f32_e32 v33, 0x3f317217, v1
	v_fma_f32 v33, v1, s45, -v33
	v_fmac_f32_e32 v33, 0x3377d1cf, v1
	v_fmac_f32_e32 v33, 0x3f317217, v1
	v_cmp_lt_f32_e64 vcc, |v1|, s40
	v_cndmask_b32_e32 v1, v1, v33, vcc
	v_sub_f32_e32 v1, v1, v32
	v_max_f32_e64 v32, |v4|, |v4|
	v_max_f32_e64 v33, |v3|, |v3|
	v_min_f32_e32 v34, v33, v32
	v_max_f32_e32 v32, v33, v32
	v_frexp_mant_f32_e32 v33, v32
	v_rcp_f32_e32 v33, v33
	v_frexp_exp_i32_f32_e32 v32, v32
	v_frexp_exp_i32_f32_e32 v35, v34
	v_frexp_mant_f32_e32 v34, v34
	v_mul_f32_e32 v33, v34, v33
	v_sub_u32_e32 v32, v35, v32
	v_ldexp_f32 v32, v33, v32
	v_mul_f32_e32 v33, v32, v32
	v_mov_b32_e32 v34, 0xbc7a590c
	v_fmac_f32_e32 v34, 0x3b2d2a58, v33
	v_fma_f32 v34, v33, v34, v15
	v_fma_f32 v34, v33, v34, v16
	;; [unrolled: 1-line block ×6, first 2 shown]
	v_mul_f32_e32 v33, v33, v34
	v_fmac_f32_e32 v32, v32, v33
	v_sub_f32_e32 v33, 0x3fc90fdb, v32
	v_cndmask_b32_e64 v32, v32, v33, s[0:1]
	v_sub_f32_e32 v33, 0x40490fdb, v32
	v_cmp_gt_f32_e32 vcc, 0, v3
	v_cndmask_b32_e32 v32, v32, v33, vcc
	v_cndmask_b32_e64 v33, 0, v24, s[2:3]
	v_cmp_eq_f32_e64 s[2:3], 0, v4
	v_cndmask_b32_e64 v32, v32, v33, s[2:3]
	v_cmp_class_f32_e64 s[2:3], v3, s42
	v_cndmask_b32_e32 v33, v25, v26, vcc
	s_and_b64 vcc, s[2:3], s[26:27]
	v_mul_f32_e32 v1, 0.5, v1
	v_cndmask_b32_e32 v32, v32, v33, vcc
                                        ; implicit-def: $vgpr34
                                        ; implicit-def: $vgpr33
.LBB180_116:                            ;   in Loop: Header=BB180_5 Depth=1
	s_andn2_saveexec_b64 s[24:25], s[24:25]
	s_cbranch_execz .LBB180_120
; %bb.117:                              ;   in Loop: Header=BB180_5 Depth=1
	v_and_b32_e32 v35, 0x7fff0000, v34
	v_sub_f32_e32 v1, v34, v35
	v_and_b32_e32 v39, 0xffff0000, v1
	v_and_b32_e32 v34, 0x7fff0000, v33
	v_sub_f32_e32 v41, v1, v39
	v_sub_f32_e32 v1, v33, v34
	v_and_b32_e32 v40, 0xffff0000, v1
	v_add_f32_e32 v36, v35, v35
	v_add_f32_e32 v43, v34, v34
	v_sub_f32_e32 v42, v1, v40
	v_mul_f32_e32 v1, v35, v35
	v_mul_f32_e32 v32, v34, v34
	;; [unrolled: 1-line block ×6, first 2 shown]
	v_add_f32_e32 v39, v39, v39
	v_add_f32_e32 v40, v40, v40
	v_mul_f32_e32 v37, v36, v41
	v_mul_f32_e32 v36, v43, v42
	;; [unrolled: 1-line block ×6, first 2 shown]
	s_mov_b64 s[26:27], 0
.LBB180_118:                            ;   Parent Loop BB180_5 Depth=1
                                        ; =>  This Inner Loop Header: Depth=2
	v_cmp_nlt_f32_e32 vcc, v1, v32
	v_mov_b32_e32 v43, v42
	v_cndmask_b32_e32 v42, v1, v32, vcc
	v_cmp_nlt_f32_e64 s[2:3], v42, v35
	v_cndmask_b32_e64 v44, v42, v35, s[2:3]
	v_cndmask_b32_e32 v1, v32, v1, vcc
	s_and_b64 s[50:51], vcc, s[2:3]
	v_cmp_nlt_f32_e32 vcc, v44, v34
	v_cndmask_b32_e64 v32, v35, v42, s[2:3]
	v_cndmask_b32_e32 v42, v44, v34, vcc
	v_cmp_nlt_f32_e64 s[2:3], v42, v38
	v_cndmask_b32_e32 v35, v34, v44, vcc
	v_cndmask_b32_e64 v44, v42, v38, s[2:3]
	s_and_b64 s[52:53], vcc, s[2:3]
	v_cmp_nlt_f32_e32 vcc, v44, v33
	v_cndmask_b32_e64 v34, v38, v42, s[2:3]
	v_cndmask_b32_e32 v42, v44, v33, vcc
	v_cmp_nlt_f32_e64 s[2:3], v42, v37
	v_cndmask_b32_e32 v38, v33, v44, vcc
	v_cndmask_b32_e64 v44, v42, v37, s[2:3]
	v_cndmask_b32_e64 v33, v37, v42, s[2:3]
	s_and_b64 s[2:3], vcc, s[2:3]
	v_cmp_nlt_f32_e32 vcc, v44, v36
	v_cndmask_b32_e32 v42, v44, v36, vcc
	v_cndmask_b32_e32 v37, v36, v44, vcc
	s_and_b64 s[2:3], s[2:3], vcc
	v_cmp_nlt_f32_e32 vcc, v42, v39
	v_cndmask_b32_e32 v44, v42, v39, vcc
	v_cndmask_b32_e32 v36, v39, v42, vcc
	s_and_b64 s[2:3], s[2:3], vcc
	;; [unrolled: 4-line block ×4, first 2 shown]
	v_cmp_nlt_f32_e32 vcc, v44, v43
	s_and_b64 s[2:3], s[2:3], vcc
	s_and_b64 s[2:3], s[2:3], s[52:53]
	s_and_b64 s[2:3], s[2:3], s[50:51]
	s_and_b64 s[2:3], exec, s[2:3]
	v_cndmask_b32_e32 v42, v44, v43, vcc
	s_or_b64 s[26:27], s[2:3], s[26:27]
	v_cndmask_b32_e32 v41, v43, v44, vcc
	s_andn2_b64 exec, exec, s[26:27]
	s_cbranch_execnz .LBB180_118
; %bb.119:                              ;   in Loop: Header=BB180_5 Depth=1
	s_or_b64 exec, exec, s[26:27]
	v_add_f32_e32 v1, -1.0, v1
	v_add_f32_e32 v1, v1, v32
	v_add_f32_e32 v1, v1, v35
	;; [unrolled: 1-line block ×11, first 2 shown]
	v_add_f32_e32 v34, 1.0, v1
	v_cvt_f64_f32_e32 v[32:33], v34
	v_add_f32_e32 v35, -1.0, v34
	v_sub_f32_e32 v36, v35, v34
	v_sub_f32_e32 v35, v1, v35
	v_frexp_exp_i32_f64_e32 v32, v[32:33]
	v_frexp_mant_f32_e32 v33, v34
	v_cmp_gt_f32_e32 vcc, s38, v33
	v_add_f32_e32 v36, 1.0, v36
	v_add_f32_e32 v35, v35, v36
	v_cmp_gt_i32_e64 s[2:3], 0, v3
	v_cmp_class_f32_e64 s[26:27], v4, s42
	v_subbrev_co_u32_e32 v32, vcc, 0, v32, vcc
	v_sub_u32_e32 v33, 0, v32
	v_ldexp_f32 v34, v34, v33
	v_ldexp_f32 v33, v35, v33
	v_add_f32_e32 v35, -1.0, v34
	v_add_f32_e32 v36, 1.0, v34
	v_add_f32_e32 v37, 1.0, v35
	v_add_f32_e32 v39, -1.0, v36
	v_sub_f32_e32 v37, v34, v37
	v_sub_f32_e32 v34, v34, v39
	v_add_f32_e32 v37, v33, v37
	v_add_f32_e32 v33, v33, v34
	;; [unrolled: 1-line block ×3, first 2 shown]
	v_rcp_f32_e32 v39, v34
	v_add_f32_e32 v38, v35, v37
	v_sub_f32_e32 v36, v34, v36
	v_sub_f32_e32 v35, v38, v35
	;; [unrolled: 1-line block ×3, first 2 shown]
	v_mul_f32_e32 v36, v38, v39
	v_sub_f32_e32 v35, v37, v35
	v_mul_f32_e32 v37, v34, v36
	v_fma_f32 v40, v36, v34, -v37
	v_fmac_f32_e32 v40, v36, v33
	v_add_f32_e32 v41, v37, v40
	v_sub_f32_e32 v42, v38, v41
	v_sub_f32_e32 v38, v38, v42
	;; [unrolled: 1-line block ×4, first 2 shown]
	v_add_f32_e32 v35, v35, v38
	v_sub_f32_e32 v37, v37, v40
	v_add_f32_e32 v35, v37, v35
	v_add_f32_e32 v37, v42, v35
	v_mul_f32_e32 v38, v39, v37
	v_mul_f32_e32 v40, v34, v38
	v_fma_f32 v34, v38, v34, -v40
	v_fmac_f32_e32 v34, v38, v33
	v_sub_f32_e32 v33, v42, v37
	v_add_f32_e32 v33, v35, v33
	v_add_f32_e32 v35, v40, v34
	v_sub_f32_e32 v41, v37, v35
	v_sub_f32_e32 v37, v37, v41
	;; [unrolled: 1-line block ×4, first 2 shown]
	v_add_f32_e32 v33, v33, v35
	v_sub_f32_e32 v34, v40, v34
	v_cvt_f32_i32_e32 v32, v32
	v_add_f32_e32 v33, v34, v33
	v_add_f32_e32 v34, v36, v38
	;; [unrolled: 1-line block ×3, first 2 shown]
	v_sub_f32_e32 v35, v34, v36
	v_mul_f32_e32 v33, v39, v33
	v_sub_f32_e32 v35, v38, v35
	v_add_f32_e32 v33, v35, v33
	v_mul_f32_e32 v38, 0x3f317218, v32
	v_add_f32_e32 v35, v34, v33
	v_fma_f32 v39, v32, s39, -v38
	v_mul_f32_e32 v36, v35, v35
	v_mov_b32_e32 v37, 0x3ecc95a3
	v_fmac_f32_e32 v39, 0xb102e308, v32
	v_sub_f32_e32 v32, v35, v34
	v_fmac_f32_e32 v37, 0x3e9b6dac, v36
	v_sub_f32_e32 v32, v33, v32
	v_add_f32_e32 v33, v38, v39
	v_fma_f32 v37, v36, v37, v14
	v_sub_f32_e32 v34, v33, v38
	v_ldexp_f32 v38, v35, 1
	v_mul_f32_e32 v35, v35, v36
	v_mul_f32_e32 v35, v35, v37
	v_add_f32_e32 v36, v38, v35
	v_sub_f32_e32 v37, v36, v38
	v_ldexp_f32 v32, v32, 1
	v_sub_f32_e32 v35, v35, v37
	v_add_f32_e32 v32, v32, v35
	v_add_f32_e32 v35, v36, v32
	v_sub_f32_e32 v36, v35, v36
	v_sub_f32_e32 v32, v32, v36
	v_add_f32_e32 v36, v33, v35
	v_sub_f32_e32 v37, v36, v33
	v_sub_f32_e32 v38, v36, v37
	;; [unrolled: 1-line block ×5, first 2 shown]
	v_add_f32_e32 v33, v35, v33
	v_add_f32_e32 v35, v34, v32
	v_sub_f32_e32 v37, v35, v34
	v_sub_f32_e32 v38, v35, v37
	;; [unrolled: 1-line block ×4, first 2 shown]
	v_add_f32_e32 v33, v35, v33
	v_add_f32_e32 v32, v32, v34
	;; [unrolled: 1-line block ×3, first 2 shown]
	v_sub_f32_e32 v35, v34, v36
	v_sub_f32_e32 v33, v33, v35
	v_add_f32_e32 v32, v32, v33
	v_add_f32_e32 v32, v34, v32
	v_cmp_neq_f32_e32 vcc, s40, v1
	v_cndmask_b32_e32 v32, v21, v32, vcc
	v_cmp_ngt_f32_e32 vcc, -1.0, v1
	v_cndmask_b32_e32 v32, v22, v32, vcc
	v_cmp_neq_f32_e32 vcc, -1.0, v1
	v_cndmask_b32_e32 v32, v23, v32, vcc
	v_cmp_lt_f32_e64 vcc, |v1|, s41
	v_cndmask_b32_e32 v1, v32, v1, vcc
	v_max_f32_e64 v32, |v4|, |v4|
	v_max_f32_e64 v33, |v3|, |v3|
	v_min_f32_e32 v34, v33, v32
	v_max_f32_e32 v32, v33, v32
	v_frexp_mant_f32_e32 v33, v32
	v_rcp_f32_e32 v33, v33
	v_frexp_exp_i32_f32_e32 v32, v32
	v_frexp_exp_i32_f32_e32 v35, v34
	v_frexp_mant_f32_e32 v34, v34
	v_mul_f32_e32 v33, v34, v33
	v_sub_u32_e32 v32, v35, v32
	v_ldexp_f32 v32, v33, v32
	v_mul_f32_e32 v33, v32, v32
	v_mov_b32_e32 v34, 0xbc7a590c
	v_fmac_f32_e32 v34, 0x3b2d2a58, v33
	v_fma_f32 v34, v33, v34, v15
	v_fma_f32 v34, v33, v34, v16
	;; [unrolled: 1-line block ×6, first 2 shown]
	v_mul_f32_e32 v33, v33, v34
	v_fmac_f32_e32 v32, v32, v33
	v_sub_f32_e32 v33, 0x3fc90fdb, v32
	v_cndmask_b32_e64 v32, v32, v33, s[0:1]
	v_sub_f32_e32 v33, 0x40490fdb, v32
	v_cmp_gt_f32_e32 vcc, 0, v3
	v_cndmask_b32_e32 v32, v32, v33, vcc
	v_cndmask_b32_e64 v33, 0, v24, s[2:3]
	v_cmp_eq_f32_e64 s[2:3], 0, v4
	v_cndmask_b32_e64 v32, v32, v33, s[2:3]
	v_cmp_class_f32_e64 s[2:3], v3, s42
	v_cndmask_b32_e32 v33, v25, v26, vcc
	s_and_b64 vcc, s[2:3], s[26:27]
	v_mul_f32_e32 v1, 0.5, v1
	v_cndmask_b32_e32 v32, v32, v33, vcc
.LBB180_120:                            ;   in Loop: Header=BB180_5 Depth=1
	s_or_b64 exec, exec, s[24:25]
.LBB180_121:                            ;   in Loop: Header=BB180_5 Depth=1
	s_or_b64 exec, exec, s[22:23]
.LBB180_122:                            ;   in Loop: Header=BB180_5 Depth=1
	s_andn2_saveexec_b64 s[20:21], s[20:21]
	s_cbranch_execz .LBB180_124
; %bb.123:                              ;   in Loop: Header=BB180_5 Depth=1
	v_max_f32_e64 v1, |v4|, |v4|
	v_max_f32_e64 v34, |v3|, |v3|
	v_max_f32_e32 v35, v34, v1
	v_cvt_f64_f32_e32 v[32:33], v35
	v_min_f32_e32 v1, v34, v1
	v_frexp_mant_f32_e32 v34, v35
	v_rcp_f32_e32 v34, v34
	v_frexp_exp_i32_f64_e32 v32, v[32:33]
	v_cmp_neq_f32_e32 vcc, s40, v35
	v_frexp_exp_i32_f32_e32 v36, v1
	v_frexp_mant_f32_e32 v1, v1
	v_mul_f32_e32 v1, v1, v34
	v_frexp_exp_i32_f32_e32 v33, v35
	v_sub_u32_e32 v33, v36, v33
	v_ldexp_f32 v33, v1, v33
	v_sub_u32_e32 v37, 0, v32
	v_ldexp_f32 v38, |v3|, v37
	v_ldexp_f32 v37, |v4|, v37
	v_mul_f32_e32 v37, v37, v37
	v_fmac_f32_e32 v37, v38, v38
	v_sqrt_f32_e32 v37, v37
	v_cmp_gt_i32_e64 s[2:3], 0, v3
	v_cmp_class_f32_e64 s[22:23], v4, s42
	v_ldexp_f32 v32, v37, v32
	v_cndmask_b32_e32 v32, v21, v32, vcc
	v_cmp_gt_f32_e32 vcc, s44, v32
	v_cndmask_b32_e64 v34, 0, 32, vcc
	v_ldexp_f32 v32, v32, v34
	v_log_f32_e32 v32, v32
	v_cndmask_b32_e32 v1, 0, v27, vcc
	v_mul_f32_e32 v34, v33, v33
	v_mul_f32_e32 v35, 0x3f317217, v32
	v_fma_f32 v35, v32, s45, -v35
	v_fmac_f32_e32 v35, 0x3377d1cf, v32
	v_fmac_f32_e32 v35, 0x3f317217, v32
	v_cmp_lt_f32_e64 vcc, |v32|, s40
	v_cndmask_b32_e32 v32, v32, v35, vcc
	v_sub_f32_e32 v1, v32, v1
	v_mov_b32_e32 v32, 0xbc7a590c
	v_fmac_f32_e32 v32, 0x3b2d2a58, v34
	v_fma_f32 v32, v34, v32, v15
	v_fma_f32 v32, v34, v32, v16
	;; [unrolled: 1-line block ×6, first 2 shown]
	v_mul_f32_e32 v32, v34, v32
	v_fmac_f32_e32 v33, v33, v32
	v_sub_f32_e32 v32, 0x3fc90fdb, v33
	v_cndmask_b32_e64 v32, v33, v32, s[0:1]
	v_sub_f32_e32 v33, 0x40490fdb, v32
	v_cmp_gt_f32_e32 vcc, 0, v3
	v_cndmask_b32_e32 v32, v32, v33, vcc
	v_cndmask_b32_e64 v33, 0, v24, s[2:3]
	v_cmp_eq_f32_e64 s[2:3], 0, v4
	v_cndmask_b32_e64 v32, v32, v33, s[2:3]
	v_cmp_class_f32_e64 s[2:3], v3, s42
	v_cndmask_b32_e32 v33, v25, v26, vcc
	s_and_b64 vcc, s[2:3], s[22:23]
	v_cndmask_b32_e32 v32, v32, v33, vcc
.LBB180_124:                            ;   in Loop: Header=BB180_5 Depth=1
	s_or_b64 exec, exec, s[20:21]
                                        ; implicit-def: $vgpr33
.LBB180_125:                            ;   in Loop: Header=BB180_5 Depth=1
	s_andn2_saveexec_b64 s[18:19], s[18:19]
	s_cbranch_execz .LBB180_131
; %bb.126:                              ;   in Loop: Header=BB180_5 Depth=1
	v_cmp_ngt_f32_e32 vcc, s46, v33
                                        ; implicit-def: $vgpr1
                                        ; implicit-def: $vgpr32
	s_and_saveexec_b64 s[2:3], vcc
	s_xor_b64 s[20:21], exec, s[2:3]
	s_cbranch_execz .LBB180_128
; %bb.127:                              ;   in Loop: Header=BB180_5 Depth=1
	v_mul_f32_e32 v1, v33, v33
	v_add_f32_e32 v34, 1.0, v1
	v_cvt_f64_f32_e32 v[32:33], v34
	v_add_f32_e32 v35, -1.0, v34
	v_sub_f32_e32 v36, v35, v34
	v_sub_f32_e32 v35, v1, v35
	v_frexp_exp_i32_f64_e32 v32, v[32:33]
	v_frexp_mant_f32_e32 v33, v34
	v_cmp_gt_f32_e32 vcc, s38, v33
	v_add_f32_e32 v36, 1.0, v36
	v_add_f32_e32 v35, v35, v36
	v_cmp_gt_i32_e64 s[2:3], 0, v3
	v_cmp_class_f32_e64 s[22:23], v4, s42
	v_subbrev_co_u32_e32 v32, vcc, 0, v32, vcc
	v_sub_u32_e32 v33, 0, v32
	v_ldexp_f32 v34, v34, v33
	v_ldexp_f32 v33, v35, v33
	v_add_f32_e32 v35, -1.0, v34
	v_add_f32_e32 v36, 1.0, v34
	v_add_f32_e32 v37, 1.0, v35
	v_add_f32_e32 v39, -1.0, v36
	v_sub_f32_e32 v37, v34, v37
	v_sub_f32_e32 v34, v34, v39
	v_add_f32_e32 v37, v33, v37
	v_add_f32_e32 v33, v33, v34
	;; [unrolled: 1-line block ×3, first 2 shown]
	v_rcp_f32_e32 v39, v34
	v_add_f32_e32 v38, v35, v37
	v_sub_f32_e32 v36, v36, v34
	v_sub_f32_e32 v35, v35, v38
	v_add_f32_e32 v33, v33, v36
	v_mul_f32_e32 v36, v38, v39
	v_add_f32_e32 v35, v37, v35
	v_mul_f32_e32 v37, v34, v36
	v_fma_f32 v40, v36, v34, -v37
	v_fmac_f32_e32 v40, v36, v33
	v_add_f32_e32 v41, v37, v40
	v_sub_f32_e32 v42, v38, v41
	v_sub_f32_e32 v38, v38, v42
	;; [unrolled: 1-line block ×4, first 2 shown]
	v_add_f32_e32 v35, v35, v38
	v_sub_f32_e32 v37, v37, v40
	v_add_f32_e32 v35, v37, v35
	v_add_f32_e32 v37, v42, v35
	v_mul_f32_e32 v38, v39, v37
	v_mul_f32_e32 v40, v34, v38
	v_fma_f32 v34, v38, v34, -v40
	v_fmac_f32_e32 v34, v38, v33
	v_sub_f32_e32 v33, v42, v37
	v_add_f32_e32 v33, v35, v33
	v_add_f32_e32 v35, v40, v34
	v_sub_f32_e32 v41, v37, v35
	v_sub_f32_e32 v37, v37, v41
	;; [unrolled: 1-line block ×4, first 2 shown]
	v_add_f32_e32 v33, v33, v35
	v_sub_f32_e32 v34, v40, v34
	v_cvt_f32_i32_e32 v32, v32
	v_add_f32_e32 v33, v34, v33
	v_add_f32_e32 v34, v36, v38
	;; [unrolled: 1-line block ×3, first 2 shown]
	v_sub_f32_e32 v35, v34, v36
	v_mul_f32_e32 v33, v39, v33
	v_sub_f32_e32 v35, v38, v35
	v_add_f32_e32 v33, v35, v33
	v_mul_f32_e32 v38, 0x3f317218, v32
	v_add_f32_e32 v35, v34, v33
	v_fma_f32 v39, v32, s39, -v38
	v_mul_f32_e32 v36, v35, v35
	v_mov_b32_e32 v37, 0x3ecc95a3
	v_fmac_f32_e32 v39, 0xb102e308, v32
	v_sub_f32_e32 v32, v35, v34
	v_fmac_f32_e32 v37, 0x3e9b6dac, v36
	v_sub_f32_e32 v32, v33, v32
	v_add_f32_e32 v33, v38, v39
	v_fma_f32 v37, v36, v37, v14
	v_sub_f32_e32 v34, v33, v38
	v_ldexp_f32 v38, v35, 1
	v_mul_f32_e32 v35, v35, v36
	v_mul_f32_e32 v35, v35, v37
	v_add_f32_e32 v36, v38, v35
	v_sub_f32_e32 v37, v36, v38
	v_ldexp_f32 v32, v32, 1
	v_sub_f32_e32 v35, v35, v37
	v_add_f32_e32 v32, v32, v35
	v_add_f32_e32 v35, v36, v32
	v_sub_f32_e32 v36, v35, v36
	v_sub_f32_e32 v32, v32, v36
	v_add_f32_e32 v36, v33, v35
	v_sub_f32_e32 v37, v36, v33
	v_sub_f32_e32 v38, v36, v37
	;; [unrolled: 1-line block ×5, first 2 shown]
	v_add_f32_e32 v33, v35, v33
	v_add_f32_e32 v35, v34, v32
	v_sub_f32_e32 v37, v35, v34
	v_sub_f32_e32 v38, v35, v37
	;; [unrolled: 1-line block ×4, first 2 shown]
	v_add_f32_e32 v33, v35, v33
	v_add_f32_e32 v32, v32, v34
	;; [unrolled: 1-line block ×3, first 2 shown]
	v_sub_f32_e32 v35, v34, v36
	v_sub_f32_e32 v33, v33, v35
	v_add_f32_e32 v32, v32, v33
	v_add_f32_e32 v32, v34, v32
	v_cmp_neq_f32_e32 vcc, s40, v1
	v_cndmask_b32_e32 v32, v21, v32, vcc
	v_cmp_lt_f32_e64 vcc, |v1|, s41
	v_cndmask_b32_e32 v1, v32, v1, vcc
	v_max_f32_e64 v32, |v4|, |v4|
	v_max_f32_e64 v33, |v3|, |v3|
	v_min_f32_e32 v34, v33, v32
	v_max_f32_e32 v32, v33, v32
	v_frexp_mant_f32_e32 v33, v32
	v_rcp_f32_e32 v33, v33
	v_frexp_exp_i32_f32_e32 v32, v32
	v_frexp_exp_i32_f32_e32 v35, v34
	v_frexp_mant_f32_e32 v34, v34
	v_mul_f32_e32 v33, v34, v33
	v_sub_u32_e32 v32, v35, v32
	v_ldexp_f32 v32, v33, v32
	v_mul_f32_e32 v33, v32, v32
	v_mov_b32_e32 v34, 0xbc7a590c
	v_fmac_f32_e32 v34, 0x3b2d2a58, v33
	v_fma_f32 v34, v33, v34, v15
	v_fma_f32 v34, v33, v34, v16
	;; [unrolled: 1-line block ×6, first 2 shown]
	v_mul_f32_e32 v33, v33, v34
	v_fmac_f32_e32 v32, v32, v33
	v_sub_f32_e32 v33, 0x3fc90fdb, v32
	v_cndmask_b32_e64 v32, v32, v33, s[0:1]
	v_sub_f32_e32 v33, 0x40490fdb, v32
	v_cmp_gt_f32_e32 vcc, 0, v3
	v_cndmask_b32_e32 v32, v32, v33, vcc
	v_cndmask_b32_e64 v33, 0, v24, s[2:3]
	v_cmp_eq_f32_e64 s[2:3], 0, v4
	v_cndmask_b32_e64 v32, v32, v33, s[2:3]
	v_cmp_class_f32_e64 s[2:3], v3, s42
	v_cndmask_b32_e32 v33, v25, v26, vcc
	s_and_b64 vcc, s[2:3], s[22:23]
	v_mul_f32_e32 v1, 0.5, v1
	v_cndmask_b32_e32 v32, v32, v33, vcc
                                        ; implicit-def: $vgpr33
.LBB180_128:                            ;   in Loop: Header=BB180_5 Depth=1
	s_andn2_saveexec_b64 s[20:21], s[20:21]
	s_cbranch_execz .LBB180_130
; %bb.129:                              ;   in Loop: Header=BB180_5 Depth=1
	v_mul_f32_e32 v1, 0.5, v33
	v_mul_f32_e32 v1, v33, v1
	v_max_f32_e64 v32, |v4|, |v4|
	v_max_f32_e64 v33, |v3|, |v3|
	v_min_f32_e32 v34, v33, v32
	v_max_f32_e32 v32, v33, v32
	v_frexp_mant_f32_e32 v33, v32
	v_rcp_f32_e32 v33, v33
	v_frexp_exp_i32_f32_e32 v32, v32
	v_frexp_exp_i32_f32_e32 v35, v34
	v_frexp_mant_f32_e32 v34, v34
	v_mul_f32_e32 v33, v34, v33
	v_sub_u32_e32 v32, v35, v32
	v_ldexp_f32 v32, v33, v32
	v_mul_f32_e32 v33, v32, v32
	v_mov_b32_e32 v34, 0xbc7a590c
	v_fmac_f32_e32 v34, 0x3b2d2a58, v33
	v_fma_f32 v34, v33, v34, v15
	v_fma_f32 v34, v33, v34, v16
	;; [unrolled: 1-line block ×6, first 2 shown]
	v_mul_f32_e32 v33, v33, v34
	v_fmac_f32_e32 v32, v32, v33
	v_sub_f32_e32 v33, 0x3fc90fdb, v32
	v_cndmask_b32_e64 v32, v32, v33, s[0:1]
	v_sub_f32_e32 v33, 0x40490fdb, v32
	v_cmp_gt_f32_e32 vcc, 0, v3
	v_cmp_gt_i32_e64 s[2:3], 0, v3
	v_cndmask_b32_e32 v32, v32, v33, vcc
	v_cndmask_b32_e64 v33, 0, v24, s[2:3]
	v_cmp_eq_f32_e64 s[2:3], 0, v4
	v_cndmask_b32_e64 v32, v32, v33, s[2:3]
	v_cmp_class_f32_e64 s[2:3], v3, s42
	v_cmp_class_f32_e64 s[22:23], v4, s42
	v_cndmask_b32_e32 v33, v25, v26, vcc
	s_and_b64 vcc, s[2:3], s[22:23]
	v_cndmask_b32_e32 v32, v32, v33, vcc
.LBB180_130:                            ;   in Loop: Header=BB180_5 Depth=1
	s_or_b64 exec, exec, s[20:21]
.LBB180_131:                            ;   in Loop: Header=BB180_5 Depth=1
	s_or_b64 exec, exec, s[18:19]
.LBB180_132:                            ;   in Loop: Header=BB180_5 Depth=1
	s_andn2_saveexec_b64 s[16:17], s[16:17]
	s_cbranch_execz .LBB180_134
; %bb.133:                              ;   in Loop: Header=BB180_5 Depth=1
	v_div_scale_f32 v1, s[2:3], s47, s47, v3
	v_div_scale_f32 v32, s[2:3], s47, s47, v4
	v_div_scale_f32 v33, vcc, v3, s47, v3
	v_div_scale_f32 v34, s[2:3], v4, s47, v4
	v_rcp_f32_e32 v35, v1
	v_rcp_f32_e32 v36, v32
	v_fma_f32 v37, -v1, v35, 1.0
	v_fmac_f32_e32 v35, v37, v35
	v_fma_f32 v38, -v32, v36, 1.0
	v_fmac_f32_e32 v36, v38, v36
	v_mul_f32_e32 v37, v33, v35
	v_mul_f32_e32 v38, v34, v36
	v_fma_f32 v39, -v1, v37, v33
	v_fma_f32 v40, -v32, v38, v34
	v_fmac_f32_e32 v37, v39, v35
	v_fmac_f32_e32 v38, v40, v36
	v_fma_f32 v1, -v1, v37, v33
	v_fma_f32 v32, -v32, v38, v34
	v_div_fmas_f32 v1, v1, v35, v37
	s_mov_b64 vcc, s[2:3]
	v_div_fmas_f32 v32, v32, v36, v38
	v_max_f32_e64 v33, |v4|, |v4|
	v_max_f32_e64 v34, |v3|, |v3|
	v_min_f32_e32 v36, v34, v33
	v_max_f32_e32 v33, v34, v33
	v_frexp_exp_i32_f32_e32 v34, v33
	v_frexp_exp_i32_f32_e32 v37, v36
	v_sub_u32_e32 v34, v37, v34
	v_frexp_mant_f32_e32 v33, v33
	v_rcp_f32_e32 v38, v33
	v_frexp_mant_f32_e32 v36, v36
	v_mov_b32_e32 v35, 0xbc7a590c
	v_cmp_class_f32_e64 s[2:3], v4, s42
	v_mul_f32_e32 v36, v36, v38
	v_div_fixup_f32 v1, v1, s47, v3
	v_ldexp_f32 v34, v36, v34
	v_div_fixup_f32 v37, v32, s47, v4
	v_max_f32_e64 v39, |v1|, |v37|
	v_cvt_f64_f32_e32 v[32:33], v39
	v_mul_f32_e32 v36, v34, v34
	v_fmac_f32_e32 v35, 0x3b2d2a58, v36
	v_cmp_neq_f32_e32 vcc, s40, v39
	v_frexp_exp_i32_f64_e32 v32, v[32:33]
	v_fma_f32 v33, v36, v35, v15
	v_fma_f32 v33, v36, v33, v16
	;; [unrolled: 1-line block ×6, first 2 shown]
	v_mul_f32_e32 v33, v36, v33
	v_sub_u32_e32 v35, 0, v32
	v_ldexp_f32 v1, |v1|, v35
	v_ldexp_f32 v35, |v37|, v35
	v_mul_f32_e32 v35, v35, v35
	v_fmac_f32_e32 v35, v1, v1
	v_sqrt_f32_e32 v1, v35
	v_fmac_f32_e32 v34, v34, v33
	v_sub_f32_e32 v33, 0x3fc90fdb, v34
	v_ldexp_f32 v1, v1, v32
	v_cndmask_b32_e32 v1, v21, v1, vcc
	v_cmp_gt_f32_e32 vcc, s44, v1
	v_cndmask_b32_e64 v32, 0, 32, vcc
	v_ldexp_f32 v1, v1, v32
	v_log_f32_e32 v1, v1
	v_cndmask_b32_e64 v32, v34, v33, s[0:1]
	v_cndmask_b32_e32 v34, 0, v27, vcc
	v_sub_f32_e32 v33, 0x40490fdb, v32
	v_mul_f32_e32 v35, 0x3f317217, v1
	v_fma_f32 v35, v1, s45, -v35
	v_fmac_f32_e32 v35, 0x3377d1cf, v1
	v_fmac_f32_e32 v35, 0x3f317217, v1
	v_cmp_lt_f32_e64 vcc, |v1|, s40
	v_cndmask_b32_e32 v1, v1, v35, vcc
	v_cmp_gt_f32_e32 vcc, 0, v3
	v_cmp_gt_i32_e64 s[0:1], 0, v3
	v_cndmask_b32_e32 v32, v32, v33, vcc
	v_cndmask_b32_e64 v33, 0, v24, s[0:1]
	v_cmp_eq_f32_e64 s[0:1], 0, v4
	v_cndmask_b32_e64 v32, v32, v33, s[0:1]
	v_cmp_class_f32_e64 s[0:1], v3, s42
	v_sub_f32_e32 v1, v1, v34
	v_cndmask_b32_e32 v33, v25, v26, vcc
	s_and_b64 vcc, s[0:1], s[2:3]
	v_add_f32_e32 v1, 1.0, v1
	v_cndmask_b32_e32 v32, v32, v33, vcc
.LBB180_134:                            ;   in Loop: Header=BB180_5 Depth=1
	s_or_b64 exec, exec, s[16:17]
.LBB180_135:                            ;   in Loop: Header=BB180_5 Depth=1
	s_andn2_saveexec_b64 s[0:1], s[6:7]
	s_cbranch_execz .LBB180_4
; %bb.136:                              ;   in Loop: Header=BB180_5 Depth=1
	v_cmp_nlt_f32_e64 s[2:3], |v3|, s48
	v_cmp_nlt_f32_e64 s[6:7], |v4|, s48
	s_or_b64 s[2:3], s[2:3], s[6:7]
                                        ; implicit-def: $vgpr1
	s_and_saveexec_b64 s[6:7], s[2:3]
	s_xor_b64 s[2:3], exec, s[6:7]
; %bb.137:                              ;   in Loop: Header=BB180_5 Depth=1
	v_mul_f32_e32 v1, v4, v4
	v_fmac_f32_e32 v1, v3, v3
; %bb.138:                              ;   in Loop: Header=BB180_5 Depth=1
	s_andn2_saveexec_b64 s[2:3], s[2:3]
	s_cbranch_execz .LBB180_3
; %bb.139:                              ;   in Loop: Header=BB180_5 Depth=1
	v_mul_f32_e32 v1, 4.0, v3
	v_mul_f32_e32 v3, 4.0, v4
	v_mul_f32_e32 v3, v3, v3
	v_fmac_f32_e32 v3, v1, v1
	v_mul_f32_e32 v1, 0x3d800000, v3
	s_branch .LBB180_3
.LBB180_140:
	s_or_b64 exec, exec, s[12:13]
	s_mov_b64 s[0:1], 0
.LBB180_141:
	s_andn2_b64 vcc, exec, s[0:1]
	s_cbranch_vccnz .LBB180_297
; %bb.142:
	v_cmp_lt_i64_e64 s[0:1], s[8:9], 1
	s_and_b64 vcc, exec, s[0:1]
	s_cbranch_vccnz .LBB180_297
; %bb.143:
	v_mov_b32_e32 v1, 0x10000
	s_load_dword s2, s[4:5], 0xc5c
	v_mov_b32_e32 v2, 0
	v_cmp_lt_i64_e32 vcc, s[8:9], v[1:2]
	s_mov_b64 s[16:17], 0
	s_and_b64 s[0:1], vcc, exec
	v_cmp_lt_u64_e32 vcc, s[8:9], v[1:2]
	s_cselect_b32 s13, s9, 0
	s_cselect_b32 s12, s8, 0x10000
	s_waitcnt lgkmcnt(0)
	s_and_b32 s37, s2, 0xffff
	s_and_b64 s[0:1], vcc, exec
	s_cselect_b32 s15, s9, 0
	s_cselect_b32 s14, s8, 0x10000
	s_lshl_b32 s38, s37, 1
	s_mul_i32 s39, s37, 3
	s_lshl_b32 s40, s37, 2
	s_brev_b32 s41, -2
	s_mov_b32 s42, 0x77f684df
	s_mov_b32 s43, 0x358637bd
	;; [unrolled: 1-line block ×4, first 2 shown]
	v_mov_b32_e32 v17, 0x3f2aaada
	s_mov_b32 s46, 0x3f317218
	s_mov_b32 s47, 0x7f800000
	;; [unrolled: 1-line block ×3, first 2 shown]
	v_mov_b32_e32 v18, 0x3d29fb3f
	v_mov_b32_e32 v19, 0xbd97d4d7
	;; [unrolled: 1-line block ×6, first 2 shown]
	s_movk_i32 s49, 0x204
	s_mov_b32 s50, 0x3f333333
	s_mov_b32 s51, 0x800000
	;; [unrolled: 1-line block ×5, first 2 shown]
	s_brev_b32 s55, 4
	s_mov_b32 s56, 0x40135d8e
	v_mov_b32_e32 v24, 0x7f800000
	v_mov_b32_e32 v25, 0x7fc00000
	;; [unrolled: 1-line block ×7, first 2 shown]
	s_branch .LBB180_145
.LBB180_144:                            ;   in Loop: Header=BB180_145 Depth=1
	s_or_b64 exec, exec, s[2:3]
	s_add_u32 s16, s16, s40
	v_mov_b32_e32 v1, s12
	s_addc_u32 s17, s17, 0
	v_mov_b32_e32 v2, s13
	v_cmp_ge_i64_e32 vcc, s[16:17], v[1:2]
	s_cbranch_vccnz .LBB180_297
.LBB180_145:                            ; =>This Loop Header: Depth=1
                                        ;     Child Loop BB180_164 Depth 2
                                        ;     Child Loop BB180_198 Depth 2
	;; [unrolled: 1-line block ×4, first 2 shown]
	v_mov_b32_e32 v1, s17
	v_add_co_u32_e32 v11, vcc, s16, v0
	v_addc_co_u32_e32 v12, vcc, 0, v1, vcc
	v_cmp_gt_u64_e64 s[6:7], s[14:15], v[11:12]
	v_mov_b32_e32 v16, 0
	v_mov_b32_e32 v15, 0
	s_and_saveexec_b64 s[0:1], s[6:7]
	s_cbranch_execz .LBB180_147
; %bb.146:                              ;   in Loop: Header=BB180_145 Depth=1
	v_lshlrev_b64 v[1:2], 3, v[11:12]
	v_mov_b32_e32 v3, s34
	v_add_co_u32_e32 v1, vcc, s33, v1
	v_addc_co_u32_e32 v2, vcc, v3, v2, vcc
	global_load_dwordx2 v[15:16], v[1:2], off
.LBB180_147:                            ;   in Loop: Header=BB180_145 Depth=1
	s_or_b64 exec, exec, s[0:1]
	v_add_co_u32_e32 v9, vcc, s37, v11
	v_addc_co_u32_e32 v10, vcc, 0, v12, vcc
	v_cmp_gt_u64_e64 s[4:5], s[14:15], v[9:10]
	v_mov_b32_e32 v8, 0
	v_mov_b32_e32 v14, 0
	;; [unrolled: 1-line block ×3, first 2 shown]
	s_and_saveexec_b64 s[0:1], s[4:5]
	s_cbranch_execz .LBB180_149
; %bb.148:                              ;   in Loop: Header=BB180_145 Depth=1
	v_lshlrev_b64 v[1:2], 3, v[9:10]
	v_mov_b32_e32 v3, s34
	v_add_co_u32_e32 v1, vcc, s33, v1
	v_addc_co_u32_e32 v2, vcc, v3, v2, vcc
	global_load_dwordx2 v[13:14], v[1:2], off
.LBB180_149:                            ;   in Loop: Header=BB180_145 Depth=1
	s_or_b64 exec, exec, s[0:1]
	v_add_co_u32_e32 v3, vcc, s38, v11
	v_addc_co_u32_e32 v4, vcc, 0, v12, vcc
	v_cmp_gt_u64_e64 s[2:3], s[14:15], v[3:4]
	v_mov_b32_e32 v7, 0
	s_and_saveexec_b64 s[0:1], s[2:3]
	s_cbranch_execz .LBB180_151
; %bb.150:                              ;   in Loop: Header=BB180_145 Depth=1
	v_lshlrev_b64 v[1:2], 3, v[3:4]
	v_mov_b32_e32 v5, s34
	v_add_co_u32_e32 v1, vcc, s33, v1
	v_addc_co_u32_e32 v2, vcc, v5, v2, vcc
	global_load_dwordx2 v[7:8], v[1:2], off
.LBB180_151:                            ;   in Loop: Header=BB180_145 Depth=1
	s_or_b64 exec, exec, s[0:1]
	v_add_co_u32_e32 v1, vcc, s39, v11
	v_addc_co_u32_e32 v2, vcc, 0, v12, vcc
	v_cmp_gt_u64_e64 s[0:1], s[14:15], v[1:2]
	v_mov_b32_e32 v6, 0
	v_mov_b32_e32 v5, 0
	s_and_saveexec_b64 s[8:9], s[0:1]
	s_cbranch_execz .LBB180_153
; %bb.152:                              ;   in Loop: Header=BB180_145 Depth=1
	v_lshlrev_b64 v[5:6], 3, v[1:2]
	v_mov_b32_e32 v31, s34
	v_add_co_u32_e32 v5, vcc, s33, v5
	v_addc_co_u32_e32 v6, vcc, v31, v6, vcc
	global_load_dwordx2 v[5:6], v[5:6], off
.LBB180_153:                            ;   in Loop: Header=BB180_145 Depth=1
	s_or_b64 exec, exec, s[8:9]
	s_waitcnt vmcnt(0)
	v_cmp_o_f32_e32 vcc, v16, v15
                                        ; implicit-def: $vgpr31
                                        ; implicit-def: $vgpr32
	s_and_saveexec_b64 s[8:9], vcc
	s_xor_b64 s[18:19], exec, s[8:9]
	s_cbranch_execz .LBB180_181
; %bb.154:                              ;   in Loop: Header=BB180_145 Depth=1
	v_cmp_lt_f32_e64 s[8:9], |v15|, |v16|
	v_cndmask_b32_e64 v33, |v16|, |v15|, s[8:9]
	v_cmp_nlt_f32_e32 vcc, s42, v33
                                        ; implicit-def: $vgpr31
                                        ; implicit-def: $vgpr32
	s_and_saveexec_b64 s[10:11], vcc
	s_xor_b64 s[20:21], exec, s[10:11]
	s_cbranch_execz .LBB180_178
; %bb.155:                              ;   in Loop: Header=BB180_145 Depth=1
	v_and_b32_e32 v31, 0x7fffffff, v16
	v_cndmask_b32_e64 v34, |v15|, v31, s[8:9]
	v_cmp_neq_f32_e32 vcc, 1.0, v34
                                        ; implicit-def: $vgpr31
                                        ; implicit-def: $vgpr32
	s_and_saveexec_b64 s[10:11], vcc
	s_xor_b64 s[22:23], exec, s[10:11]
	s_cbranch_execz .LBB180_171
; %bb.156:                              ;   in Loop: Header=BB180_145 Depth=1
	v_max_f32_e32 v31, v33, v33
	v_max_f32_e32 v32, v34, v34
	v_min_f32_e32 v35, v32, v31
	v_max_f32_e32 v31, v32, v31
	v_cmp_ngt_f32_e32 vcc, s43, v35
	v_cmp_nlt_f32_e64 s[10:11], s44, v31
	s_and_b64 s[10:11], s[10:11], vcc
                                        ; implicit-def: $vgpr31
                                        ; implicit-def: $vgpr32
	s_and_saveexec_b64 s[24:25], s[10:11]
	s_xor_b64 s[24:25], exec, s[24:25]
	s_cbranch_execz .LBB180_168
; %bb.157:                              ;   in Loop: Header=BB180_145 Depth=1
	v_cmp_le_f32_e32 vcc, 1.0, v34
                                        ; implicit-def: $vgpr31
                                        ; implicit-def: $vgpr32
	s_and_saveexec_b64 s[10:11], vcc
	s_xor_b64 s[26:27], exec, s[10:11]
	s_cbranch_execz .LBB180_159
; %bb.158:                              ;   in Loop: Header=BB180_145 Depth=1
	v_add_f32_e32 v31, -1.0, v34
	v_add_f32_e32 v32, 1.0, v34
	v_mul_f32_e32 v34, v31, v32
	v_fmac_f32_e32 v34, v33, v33
	v_add_f32_e32 v33, 1.0, v34
	v_cvt_f64_f32_e32 v[31:32], v33
	v_add_f32_e32 v35, -1.0, v33
	v_sub_f32_e32 v36, v35, v33
	v_sub_f32_e32 v35, v34, v35
	v_frexp_exp_i32_f64_e32 v31, v[31:32]
	v_frexp_mant_f32_e32 v32, v33
	v_cmp_gt_f32_e32 vcc, s45, v32
	v_add_f32_e32 v36, 1.0, v36
	v_add_f32_e32 v35, v35, v36
	v_cmp_gt_i32_e64 s[10:11], 0, v15
	v_cmp_class_f32_e64 s[28:29], v16, s49
	v_subbrev_co_u32_e32 v31, vcc, 0, v31, vcc
	v_sub_u32_e32 v32, 0, v31
	v_ldexp_f32 v33, v33, v32
	v_ldexp_f32 v32, v35, v32
	v_add_f32_e32 v35, -1.0, v33
	v_add_f32_e32 v38, 1.0, v33
	v_add_f32_e32 v36, 1.0, v35
	v_add_f32_e32 v39, -1.0, v38
	v_sub_f32_e32 v36, v33, v36
	v_sub_f32_e32 v33, v33, v39
	v_add_f32_e32 v36, v32, v36
	v_add_f32_e32 v32, v32, v33
	v_add_f32_e32 v33, v38, v32
	v_rcp_f32_e32 v39, v33
	v_add_f32_e32 v37, v35, v36
	v_sub_f32_e32 v35, v37, v35
	v_sub_f32_e32 v35, v36, v35
	;; [unrolled: 1-line block ×4, first 2 shown]
	v_mul_f32_e32 v36, v37, v39
	v_mul_f32_e32 v38, v33, v36
	v_fma_f32 v40, v36, v33, -v38
	v_fmac_f32_e32 v40, v36, v32
	v_add_f32_e32 v41, v38, v40
	v_sub_f32_e32 v42, v37, v41
	v_sub_f32_e32 v37, v37, v42
	;; [unrolled: 1-line block ×4, first 2 shown]
	v_add_f32_e32 v35, v35, v37
	v_sub_f32_e32 v37, v38, v40
	v_add_f32_e32 v35, v37, v35
	v_add_f32_e32 v37, v42, v35
	v_mul_f32_e32 v38, v39, v37
	v_mul_f32_e32 v40, v33, v38
	v_fma_f32 v33, v38, v33, -v40
	v_fmac_f32_e32 v33, v38, v32
	v_sub_f32_e32 v32, v42, v37
	v_add_f32_e32 v32, v35, v32
	v_add_f32_e32 v35, v40, v33
	v_sub_f32_e32 v41, v37, v35
	v_sub_f32_e32 v37, v37, v41
	;; [unrolled: 1-line block ×4, first 2 shown]
	v_add_f32_e32 v32, v32, v35
	v_sub_f32_e32 v33, v40, v33
	v_cvt_f32_i32_e32 v31, v31
	v_add_f32_e32 v32, v33, v32
	v_add_f32_e32 v33, v36, v38
	v_add_f32_e32 v32, v41, v32
	v_sub_f32_e32 v35, v33, v36
	v_mul_f32_e32 v32, v39, v32
	v_sub_f32_e32 v35, v38, v35
	v_add_f32_e32 v32, v35, v32
	v_mul_f32_e32 v38, 0x3f317218, v31
	v_add_f32_e32 v35, v33, v32
	v_fma_f32 v39, v31, s46, -v38
	v_mul_f32_e32 v36, v35, v35
	v_mov_b32_e32 v37, 0x3ecc95a3
	v_fmac_f32_e32 v39, 0xb102e308, v31
	v_sub_f32_e32 v31, v35, v33
	v_fmac_f32_e32 v37, 0x3e9b6dac, v36
	v_sub_f32_e32 v31, v32, v31
	v_add_f32_e32 v32, v38, v39
	v_fma_f32 v37, v36, v37, v17
	v_sub_f32_e32 v33, v32, v38
	v_ldexp_f32 v38, v35, 1
	v_mul_f32_e32 v35, v35, v36
	v_mul_f32_e32 v35, v35, v37
	v_add_f32_e32 v36, v38, v35
	v_sub_f32_e32 v37, v36, v38
	v_ldexp_f32 v31, v31, 1
	v_sub_f32_e32 v35, v35, v37
	v_add_f32_e32 v31, v31, v35
	v_add_f32_e32 v35, v36, v31
	v_sub_f32_e32 v36, v35, v36
	v_sub_f32_e32 v31, v31, v36
	v_add_f32_e32 v36, v32, v35
	v_sub_f32_e32 v37, v36, v32
	v_sub_f32_e32 v38, v36, v37
	;; [unrolled: 1-line block ×5, first 2 shown]
	v_add_f32_e32 v32, v35, v32
	v_add_f32_e32 v35, v33, v31
	v_sub_f32_e32 v37, v35, v33
	v_sub_f32_e32 v38, v35, v37
	;; [unrolled: 1-line block ×4, first 2 shown]
	v_add_f32_e32 v32, v35, v32
	v_add_f32_e32 v31, v31, v33
	;; [unrolled: 1-line block ×3, first 2 shown]
	v_sub_f32_e32 v35, v33, v36
	v_sub_f32_e32 v32, v32, v35
	v_add_f32_e32 v31, v31, v32
	v_add_f32_e32 v31, v33, v31
	v_cmp_neq_f32_e32 vcc, s47, v34
	v_cndmask_b32_e32 v31, v24, v31, vcc
	v_cmp_ngt_f32_e32 vcc, -1.0, v34
	v_cndmask_b32_e32 v31, v25, v31, vcc
	v_cmp_neq_f32_e32 vcc, -1.0, v34
	v_cndmask_b32_e32 v31, v26, v31, vcc
	v_cmp_lt_f32_e64 vcc, |v34|, s48
	v_max_f32_e64 v32, |v16|, |v16|
	v_max_f32_e64 v33, |v15|, |v15|
	v_cndmask_b32_e32 v31, v31, v34, vcc
	v_min_f32_e32 v34, v33, v32
	v_max_f32_e32 v32, v33, v32
	v_frexp_mant_f32_e32 v33, v32
	v_rcp_f32_e32 v33, v33
	v_frexp_exp_i32_f32_e32 v32, v32
	v_frexp_exp_i32_f32_e32 v35, v34
	v_frexp_mant_f32_e32 v34, v34
	v_mul_f32_e32 v33, v34, v33
	v_sub_u32_e32 v32, v35, v32
	v_ldexp_f32 v32, v33, v32
	v_mul_f32_e32 v33, v32, v32
	v_mov_b32_e32 v34, 0xbc7a590c
	v_fmac_f32_e32 v34, 0x3b2d2a58, v33
	v_fma_f32 v34, v33, v34, v18
	v_fma_f32 v34, v33, v34, v19
	;; [unrolled: 1-line block ×6, first 2 shown]
	v_mul_f32_e32 v33, v33, v34
	v_fmac_f32_e32 v32, v32, v33
	v_sub_f32_e32 v33, 0x3fc90fdb, v32
	v_cndmask_b32_e64 v32, v32, v33, s[8:9]
	v_sub_f32_e32 v33, 0x40490fdb, v32
	v_cmp_gt_f32_e32 vcc, 0, v15
	v_cndmask_b32_e32 v32, v32, v33, vcc
	v_cndmask_b32_e64 v33, 0, v27, s[10:11]
	v_cmp_eq_f32_e64 s[10:11], 0, v16
	v_cndmask_b32_e64 v32, v32, v33, s[10:11]
	v_cmp_class_f32_e64 s[10:11], v15, s49
	v_cndmask_b32_e32 v33, v28, v29, vcc
	s_and_b64 vcc, s[28:29], s[10:11]
	v_mul_f32_e32 v31, 0.5, v31
	v_cndmask_b32_e32 v32, v32, v33, vcc
                                        ; implicit-def: $vgpr33
                                        ; implicit-def: $vgpr34
.LBB180_159:                            ;   in Loop: Header=BB180_145 Depth=1
	s_andn2_saveexec_b64 s[26:27], s[26:27]
	s_cbranch_execz .LBB180_167
; %bb.160:                              ;   in Loop: Header=BB180_145 Depth=1
	v_mul_f32_e32 v35, v33, v33
	v_fmac_f32_e32 v35, v34, v34
	v_cmp_ge_f32_e32 vcc, s50, v35
                                        ; implicit-def: $vgpr31
                                        ; implicit-def: $vgpr32
	s_and_saveexec_b64 s[10:11], vcc
	s_xor_b64 s[28:29], exec, s[10:11]
	s_cbranch_execz .LBB180_162
; %bb.161:                              ;   in Loop: Header=BB180_145 Depth=1
	v_cmp_gt_f32_e32 vcc, s51, v35
	v_cndmask_b32_e64 v31, 0, 32, vcc
	v_ldexp_f32 v31, v35, v31
	v_log_f32_e32 v31, v31
	v_cndmask_b32_e32 v32, 0, v30, vcc
	v_cmp_gt_i32_e64 s[10:11], 0, v15
	v_cmp_class_f32_e64 s[30:31], v16, s49
	v_mul_f32_e32 v33, 0x3f317217, v31
	v_fma_f32 v33, v31, s52, -v33
	v_fmac_f32_e32 v33, 0x3377d1cf, v31
	v_fmac_f32_e32 v33, 0x3f317217, v31
	v_cmp_lt_f32_e64 vcc, |v31|, s47
	v_cndmask_b32_e32 v31, v31, v33, vcc
	v_sub_f32_e32 v31, v31, v32
	v_max_f32_e64 v32, |v16|, |v16|
	v_max_f32_e64 v33, |v15|, |v15|
	v_min_f32_e32 v34, v33, v32
	v_max_f32_e32 v32, v33, v32
	v_frexp_mant_f32_e32 v33, v32
	v_rcp_f32_e32 v33, v33
	v_frexp_exp_i32_f32_e32 v32, v32
	v_frexp_exp_i32_f32_e32 v35, v34
	v_frexp_mant_f32_e32 v34, v34
	v_mul_f32_e32 v33, v34, v33
	v_sub_u32_e32 v32, v35, v32
	v_ldexp_f32 v32, v33, v32
	v_mul_f32_e32 v33, v32, v32
	v_mov_b32_e32 v34, 0xbc7a590c
	v_fmac_f32_e32 v34, 0x3b2d2a58, v33
	v_fma_f32 v34, v33, v34, v18
	v_fma_f32 v34, v33, v34, v19
	v_fma_f32 v34, v33, v34, v20
	v_fma_f32 v34, v33, v34, v21
	v_fma_f32 v34, v33, v34, v22
	v_fma_f32 v34, v33, v34, v23
	v_mul_f32_e32 v33, v33, v34
	v_fmac_f32_e32 v32, v32, v33
	v_sub_f32_e32 v33, 0x3fc90fdb, v32
	v_cndmask_b32_e64 v32, v32, v33, s[8:9]
	v_sub_f32_e32 v33, 0x40490fdb, v32
	v_cmp_gt_f32_e32 vcc, 0, v15
	v_cndmask_b32_e32 v32, v32, v33, vcc
	v_cndmask_b32_e64 v33, 0, v27, s[10:11]
	v_cmp_eq_f32_e64 s[10:11], 0, v16
	v_cndmask_b32_e64 v32, v32, v33, s[10:11]
	v_cmp_class_f32_e64 s[10:11], v15, s49
	v_cndmask_b32_e32 v33, v28, v29, vcc
	s_and_b64 vcc, s[30:31], s[10:11]
	v_mul_f32_e32 v31, 0.5, v31
	v_cndmask_b32_e32 v32, v32, v33, vcc
                                        ; implicit-def: $vgpr34
                                        ; implicit-def: $vgpr33
.LBB180_162:                            ;   in Loop: Header=BB180_145 Depth=1
	s_andn2_saveexec_b64 s[28:29], s[28:29]
	s_cbranch_execz .LBB180_166
; %bb.163:                              ;   in Loop: Header=BB180_145 Depth=1
	v_and_b32_e32 v35, 0x7fff0000, v34
	v_sub_f32_e32 v31, v34, v35
	v_and_b32_e32 v39, 0xffff0000, v31
	v_and_b32_e32 v34, 0x7fff0000, v33
	v_sub_f32_e32 v41, v31, v39
	v_sub_f32_e32 v31, v33, v34
	v_and_b32_e32 v40, 0xffff0000, v31
	v_add_f32_e32 v36, v35, v35
	v_add_f32_e32 v43, v34, v34
	v_sub_f32_e32 v42, v31, v40
	v_mul_f32_e32 v31, v35, v35
	v_mul_f32_e32 v32, v34, v34
	;; [unrolled: 1-line block ×6, first 2 shown]
	v_add_f32_e32 v39, v39, v39
	v_add_f32_e32 v40, v40, v40
	v_mul_f32_e32 v37, v36, v41
	v_mul_f32_e32 v36, v43, v42
	;; [unrolled: 1-line block ×6, first 2 shown]
	s_mov_b64 s[30:31], 0
.LBB180_164:                            ;   Parent Loop BB180_145 Depth=1
                                        ; =>  This Inner Loop Header: Depth=2
	v_cmp_nlt_f32_e32 vcc, v31, v32
	v_mov_b32_e32 v43, v42
	v_cndmask_b32_e32 v42, v31, v32, vcc
	v_cmp_nlt_f32_e64 s[10:11], v42, v35
	v_cndmask_b32_e64 v44, v42, v35, s[10:11]
	v_cndmask_b32_e32 v31, v32, v31, vcc
	s_and_b64 s[58:59], vcc, s[10:11]
	v_cmp_nlt_f32_e32 vcc, v44, v34
	v_cndmask_b32_e64 v32, v35, v42, s[10:11]
	v_cndmask_b32_e32 v42, v44, v34, vcc
	v_cmp_nlt_f32_e64 s[10:11], v42, v38
	v_cndmask_b32_e32 v35, v34, v44, vcc
	v_cndmask_b32_e64 v44, v42, v38, s[10:11]
	s_and_b64 s[60:61], vcc, s[10:11]
	v_cmp_nlt_f32_e32 vcc, v44, v33
	v_cndmask_b32_e64 v34, v38, v42, s[10:11]
	v_cndmask_b32_e32 v42, v44, v33, vcc
	v_cmp_nlt_f32_e64 s[10:11], v42, v37
	v_cndmask_b32_e32 v38, v33, v44, vcc
	v_cndmask_b32_e64 v44, v42, v37, s[10:11]
	v_cndmask_b32_e64 v33, v37, v42, s[10:11]
	s_and_b64 s[10:11], vcc, s[10:11]
	v_cmp_nlt_f32_e32 vcc, v44, v36
	v_cndmask_b32_e32 v42, v44, v36, vcc
	v_cndmask_b32_e32 v37, v36, v44, vcc
	s_and_b64 s[10:11], s[10:11], vcc
	v_cmp_nlt_f32_e32 vcc, v42, v39
	v_cndmask_b32_e32 v44, v42, v39, vcc
	v_cndmask_b32_e32 v36, v39, v42, vcc
	s_and_b64 s[10:11], s[10:11], vcc
	;; [unrolled: 4-line block ×4, first 2 shown]
	v_cmp_nlt_f32_e32 vcc, v44, v43
	s_and_b64 s[10:11], s[10:11], vcc
	s_and_b64 s[10:11], s[10:11], s[60:61]
	s_and_b64 s[10:11], s[10:11], s[58:59]
	s_and_b64 s[10:11], exec, s[10:11]
	v_cndmask_b32_e32 v42, v44, v43, vcc
	s_or_b64 s[30:31], s[10:11], s[30:31]
	v_cndmask_b32_e32 v41, v43, v44, vcc
	s_andn2_b64 exec, exec, s[30:31]
	s_cbranch_execnz .LBB180_164
; %bb.165:                              ;   in Loop: Header=BB180_145 Depth=1
	s_or_b64 exec, exec, s[30:31]
	v_add_f32_e32 v31, -1.0, v31
	v_add_f32_e32 v31, v31, v32
	v_add_f32_e32 v31, v31, v35
	;; [unrolled: 1-line block ×11, first 2 shown]
	v_add_f32_e32 v34, 1.0, v33
	v_cvt_f64_f32_e32 v[31:32], v34
	v_add_f32_e32 v35, -1.0, v34
	v_sub_f32_e32 v36, v35, v34
	v_sub_f32_e32 v35, v33, v35
	v_frexp_exp_i32_f64_e32 v31, v[31:32]
	v_frexp_mant_f32_e32 v32, v34
	v_cmp_gt_f32_e32 vcc, s45, v32
	v_add_f32_e32 v36, 1.0, v36
	v_add_f32_e32 v35, v35, v36
	v_cmp_gt_i32_e64 s[10:11], 0, v15
	v_cmp_class_f32_e64 s[30:31], v16, s49
	v_subbrev_co_u32_e32 v31, vcc, 0, v31, vcc
	v_sub_u32_e32 v32, 0, v31
	v_ldexp_f32 v34, v34, v32
	v_ldexp_f32 v32, v35, v32
	v_add_f32_e32 v35, -1.0, v34
	v_add_f32_e32 v36, 1.0, v34
	v_add_f32_e32 v37, 1.0, v35
	v_add_f32_e32 v39, -1.0, v36
	v_sub_f32_e32 v37, v34, v37
	v_sub_f32_e32 v34, v34, v39
	v_add_f32_e32 v37, v32, v37
	v_add_f32_e32 v32, v32, v34
	;; [unrolled: 1-line block ×3, first 2 shown]
	v_rcp_f32_e32 v39, v34
	v_add_f32_e32 v38, v35, v37
	v_sub_f32_e32 v36, v34, v36
	v_sub_f32_e32 v35, v38, v35
	;; [unrolled: 1-line block ×3, first 2 shown]
	v_mul_f32_e32 v36, v38, v39
	v_sub_f32_e32 v35, v37, v35
	v_mul_f32_e32 v37, v34, v36
	v_fma_f32 v40, v36, v34, -v37
	v_fmac_f32_e32 v40, v36, v32
	v_add_f32_e32 v41, v37, v40
	v_sub_f32_e32 v42, v38, v41
	v_sub_f32_e32 v38, v38, v42
	;; [unrolled: 1-line block ×4, first 2 shown]
	v_add_f32_e32 v35, v35, v38
	v_sub_f32_e32 v37, v37, v40
	v_add_f32_e32 v35, v37, v35
	v_add_f32_e32 v37, v42, v35
	v_mul_f32_e32 v38, v39, v37
	v_mul_f32_e32 v40, v34, v38
	v_fma_f32 v34, v38, v34, -v40
	v_fmac_f32_e32 v34, v38, v32
	v_sub_f32_e32 v32, v42, v37
	v_add_f32_e32 v32, v35, v32
	v_add_f32_e32 v35, v40, v34
	v_sub_f32_e32 v41, v37, v35
	v_sub_f32_e32 v37, v37, v41
	;; [unrolled: 1-line block ×4, first 2 shown]
	v_add_f32_e32 v32, v32, v35
	v_sub_f32_e32 v34, v40, v34
	v_cvt_f32_i32_e32 v31, v31
	v_add_f32_e32 v32, v34, v32
	v_add_f32_e32 v34, v36, v38
	;; [unrolled: 1-line block ×3, first 2 shown]
	v_sub_f32_e32 v35, v34, v36
	v_mul_f32_e32 v32, v39, v32
	v_sub_f32_e32 v35, v38, v35
	v_add_f32_e32 v32, v35, v32
	v_mul_f32_e32 v38, 0x3f317218, v31
	v_add_f32_e32 v35, v34, v32
	v_fma_f32 v39, v31, s46, -v38
	v_mul_f32_e32 v36, v35, v35
	v_mov_b32_e32 v37, 0x3ecc95a3
	v_fmac_f32_e32 v39, 0xb102e308, v31
	v_sub_f32_e32 v31, v35, v34
	v_fmac_f32_e32 v37, 0x3e9b6dac, v36
	v_sub_f32_e32 v31, v32, v31
	v_add_f32_e32 v32, v38, v39
	v_fma_f32 v37, v36, v37, v17
	v_sub_f32_e32 v34, v32, v38
	v_ldexp_f32 v38, v35, 1
	v_mul_f32_e32 v35, v35, v36
	v_mul_f32_e32 v35, v35, v37
	v_add_f32_e32 v36, v38, v35
	v_sub_f32_e32 v37, v36, v38
	v_ldexp_f32 v31, v31, 1
	v_sub_f32_e32 v35, v35, v37
	v_add_f32_e32 v31, v31, v35
	v_add_f32_e32 v35, v36, v31
	v_sub_f32_e32 v36, v35, v36
	v_sub_f32_e32 v31, v31, v36
	v_add_f32_e32 v36, v32, v35
	v_sub_f32_e32 v37, v36, v32
	v_sub_f32_e32 v38, v36, v37
	;; [unrolled: 1-line block ×5, first 2 shown]
	v_add_f32_e32 v32, v35, v32
	v_add_f32_e32 v35, v34, v31
	v_sub_f32_e32 v37, v35, v34
	v_sub_f32_e32 v38, v35, v37
	;; [unrolled: 1-line block ×4, first 2 shown]
	v_add_f32_e32 v32, v35, v32
	v_add_f32_e32 v31, v31, v34
	;; [unrolled: 1-line block ×3, first 2 shown]
	v_sub_f32_e32 v35, v34, v36
	v_sub_f32_e32 v32, v32, v35
	v_add_f32_e32 v31, v31, v32
	v_add_f32_e32 v31, v34, v31
	v_cmp_neq_f32_e32 vcc, s47, v33
	v_cndmask_b32_e32 v31, v24, v31, vcc
	v_cmp_ngt_f32_e32 vcc, -1.0, v33
	v_cndmask_b32_e32 v31, v25, v31, vcc
	v_cmp_neq_f32_e32 vcc, -1.0, v33
	v_cndmask_b32_e32 v31, v26, v31, vcc
	v_cmp_lt_f32_e64 vcc, |v33|, s48
	v_cndmask_b32_e32 v31, v31, v33, vcc
	v_max_f32_e64 v32, |v16|, |v16|
	v_max_f32_e64 v33, |v15|, |v15|
	v_min_f32_e32 v34, v33, v32
	v_max_f32_e32 v32, v33, v32
	v_frexp_mant_f32_e32 v33, v32
	v_rcp_f32_e32 v33, v33
	v_frexp_exp_i32_f32_e32 v32, v32
	v_frexp_exp_i32_f32_e32 v35, v34
	v_frexp_mant_f32_e32 v34, v34
	v_mul_f32_e32 v33, v34, v33
	v_sub_u32_e32 v32, v35, v32
	v_ldexp_f32 v32, v33, v32
	v_mul_f32_e32 v33, v32, v32
	v_mov_b32_e32 v34, 0xbc7a590c
	v_fmac_f32_e32 v34, 0x3b2d2a58, v33
	v_fma_f32 v34, v33, v34, v18
	v_fma_f32 v34, v33, v34, v19
	v_fma_f32 v34, v33, v34, v20
	v_fma_f32 v34, v33, v34, v21
	v_fma_f32 v34, v33, v34, v22
	v_fma_f32 v34, v33, v34, v23
	v_mul_f32_e32 v33, v33, v34
	v_fmac_f32_e32 v32, v32, v33
	v_sub_f32_e32 v33, 0x3fc90fdb, v32
	v_cndmask_b32_e64 v32, v32, v33, s[8:9]
	v_sub_f32_e32 v33, 0x40490fdb, v32
	v_cmp_gt_f32_e32 vcc, 0, v15
	v_cndmask_b32_e32 v32, v32, v33, vcc
	v_cndmask_b32_e64 v33, 0, v27, s[10:11]
	v_cmp_eq_f32_e64 s[10:11], 0, v16
	v_cndmask_b32_e64 v32, v32, v33, s[10:11]
	v_cmp_class_f32_e64 s[10:11], v15, s49
	v_cndmask_b32_e32 v33, v28, v29, vcc
	s_and_b64 vcc, s[30:31], s[10:11]
	v_mul_f32_e32 v31, 0.5, v31
	v_cndmask_b32_e32 v32, v32, v33, vcc
.LBB180_166:                            ;   in Loop: Header=BB180_145 Depth=1
	s_or_b64 exec, exec, s[28:29]
.LBB180_167:                            ;   in Loop: Header=BB180_145 Depth=1
	s_or_b64 exec, exec, s[26:27]
.LBB180_168:                            ;   in Loop: Header=BB180_145 Depth=1
	s_andn2_saveexec_b64 s[24:25], s[24:25]
	s_cbranch_execz .LBB180_170
; %bb.169:                              ;   in Loop: Header=BB180_145 Depth=1
	v_max_f32_e64 v33, |v16|, |v16|
	v_max_f32_e64 v34, |v15|, |v15|
	v_max_f32_e32 v35, v34, v33
	v_cvt_f64_f32_e32 v[31:32], v35
	v_cmp_neq_f32_e32 vcc, s47, v35
	v_cmp_gt_i32_e64 s[10:11], 0, v15
	v_cmp_class_f32_e64 s[26:27], v16, s49
	v_frexp_exp_i32_f64_e32 v31, v[31:32]
	v_min_f32_e32 v32, v34, v33
	v_frexp_mant_f32_e32 v34, v35
	v_rcp_f32_e32 v34, v34
	v_frexp_exp_i32_f32_e32 v36, v32
	v_frexp_mant_f32_e32 v32, v32
	v_frexp_exp_i32_f32_e32 v33, v35
	v_mul_f32_e32 v32, v32, v34
	v_sub_u32_e32 v37, 0, v31
	v_ldexp_f32 v38, |v15|, v37
	v_ldexp_f32 v37, |v16|, v37
	v_mul_f32_e32 v37, v37, v37
	v_fmac_f32_e32 v37, v38, v38
	v_sqrt_f32_e32 v37, v37
	v_sub_u32_e32 v33, v36, v33
	v_ldexp_f32 v32, v32, v33
	v_mul_f32_e32 v33, v32, v32
	v_ldexp_f32 v31, v37, v31
	v_cndmask_b32_e32 v31, v24, v31, vcc
	v_cmp_gt_f32_e32 vcc, s51, v31
	v_cndmask_b32_e64 v34, 0, 32, vcc
	v_ldexp_f32 v31, v31, v34
	v_log_f32_e32 v31, v31
	v_cndmask_b32_e32 v34, 0, v30, vcc
	v_mul_f32_e32 v35, 0x3f317217, v31
	v_fma_f32 v35, v31, s52, -v35
	v_fmac_f32_e32 v35, 0x3377d1cf, v31
	v_fmac_f32_e32 v35, 0x3f317217, v31
	v_cmp_lt_f32_e64 vcc, |v31|, s47
	v_cndmask_b32_e32 v31, v31, v35, vcc
	v_sub_f32_e32 v31, v31, v34
	v_mov_b32_e32 v34, 0xbc7a590c
	v_fmac_f32_e32 v34, 0x3b2d2a58, v33
	v_fma_f32 v34, v33, v34, v18
	v_fma_f32 v34, v33, v34, v19
	;; [unrolled: 1-line block ×6, first 2 shown]
	v_mul_f32_e32 v33, v33, v34
	v_fmac_f32_e32 v32, v32, v33
	v_sub_f32_e32 v33, 0x3fc90fdb, v32
	v_cndmask_b32_e64 v32, v32, v33, s[8:9]
	v_sub_f32_e32 v33, 0x40490fdb, v32
	v_cmp_gt_f32_e32 vcc, 0, v15
	v_cndmask_b32_e32 v32, v32, v33, vcc
	v_cndmask_b32_e64 v33, 0, v27, s[10:11]
	v_cmp_eq_f32_e64 s[10:11], 0, v16
	v_cndmask_b32_e64 v32, v32, v33, s[10:11]
	v_cmp_class_f32_e64 s[10:11], v15, s49
	v_cndmask_b32_e32 v33, v28, v29, vcc
	s_and_b64 vcc, s[26:27], s[10:11]
	v_cndmask_b32_e32 v32, v32, v33, vcc
.LBB180_170:                            ;   in Loop: Header=BB180_145 Depth=1
	s_or_b64 exec, exec, s[24:25]
                                        ; implicit-def: $vgpr33
.LBB180_171:                            ;   in Loop: Header=BB180_145 Depth=1
	s_andn2_saveexec_b64 s[22:23], s[22:23]
	s_cbranch_execz .LBB180_177
; %bb.172:                              ;   in Loop: Header=BB180_145 Depth=1
	v_cmp_ngt_f32_e32 vcc, s53, v33
                                        ; implicit-def: $vgpr31
                                        ; implicit-def: $vgpr32
	s_and_saveexec_b64 s[10:11], vcc
	s_xor_b64 s[24:25], exec, s[10:11]
	s_cbranch_execz .LBB180_174
; %bb.173:                              ;   in Loop: Header=BB180_145 Depth=1
	v_mul_f32_e32 v33, v33, v33
	v_add_f32_e32 v34, 1.0, v33
	v_cvt_f64_f32_e32 v[31:32], v34
	v_add_f32_e32 v35, -1.0, v34
	v_sub_f32_e32 v36, v35, v34
	v_sub_f32_e32 v35, v33, v35
	v_frexp_exp_i32_f64_e32 v31, v[31:32]
	v_frexp_mant_f32_e32 v32, v34
	v_cmp_gt_f32_e32 vcc, s45, v32
	v_add_f32_e32 v36, 1.0, v36
	v_add_f32_e32 v35, v35, v36
	v_cmp_gt_i32_e64 s[10:11], 0, v15
	v_cmp_class_f32_e64 s[26:27], v16, s49
	v_subbrev_co_u32_e32 v31, vcc, 0, v31, vcc
	v_sub_u32_e32 v32, 0, v31
	v_ldexp_f32 v34, v34, v32
	v_ldexp_f32 v32, v35, v32
	v_add_f32_e32 v35, -1.0, v34
	v_add_f32_e32 v36, 1.0, v34
	v_add_f32_e32 v37, 1.0, v35
	v_add_f32_e32 v39, -1.0, v36
	v_sub_f32_e32 v37, v34, v37
	v_sub_f32_e32 v34, v34, v39
	v_add_f32_e32 v37, v32, v37
	v_add_f32_e32 v32, v32, v34
	;; [unrolled: 1-line block ×3, first 2 shown]
	v_rcp_f32_e32 v39, v34
	v_add_f32_e32 v38, v35, v37
	v_sub_f32_e32 v36, v36, v34
	v_sub_f32_e32 v35, v35, v38
	v_add_f32_e32 v32, v32, v36
	v_mul_f32_e32 v36, v38, v39
	v_add_f32_e32 v35, v37, v35
	v_mul_f32_e32 v37, v34, v36
	v_fma_f32 v40, v36, v34, -v37
	v_fmac_f32_e32 v40, v36, v32
	v_add_f32_e32 v41, v37, v40
	v_sub_f32_e32 v42, v38, v41
	v_sub_f32_e32 v38, v38, v42
	;; [unrolled: 1-line block ×4, first 2 shown]
	v_add_f32_e32 v35, v35, v38
	v_sub_f32_e32 v37, v37, v40
	v_add_f32_e32 v35, v37, v35
	v_add_f32_e32 v37, v42, v35
	v_mul_f32_e32 v38, v39, v37
	v_mul_f32_e32 v40, v34, v38
	v_fma_f32 v34, v38, v34, -v40
	v_fmac_f32_e32 v34, v38, v32
	v_sub_f32_e32 v32, v42, v37
	v_add_f32_e32 v32, v35, v32
	v_add_f32_e32 v35, v40, v34
	v_sub_f32_e32 v41, v37, v35
	v_sub_f32_e32 v37, v37, v41
	;; [unrolled: 1-line block ×4, first 2 shown]
	v_add_f32_e32 v32, v32, v35
	v_sub_f32_e32 v34, v40, v34
	v_cvt_f32_i32_e32 v31, v31
	v_add_f32_e32 v32, v34, v32
	v_add_f32_e32 v34, v36, v38
	;; [unrolled: 1-line block ×3, first 2 shown]
	v_sub_f32_e32 v35, v34, v36
	v_mul_f32_e32 v32, v39, v32
	v_sub_f32_e32 v35, v38, v35
	v_add_f32_e32 v32, v35, v32
	v_mul_f32_e32 v38, 0x3f317218, v31
	v_add_f32_e32 v35, v34, v32
	v_fma_f32 v39, v31, s46, -v38
	v_mul_f32_e32 v36, v35, v35
	v_mov_b32_e32 v37, 0x3ecc95a3
	v_fmac_f32_e32 v39, 0xb102e308, v31
	v_sub_f32_e32 v31, v35, v34
	v_fmac_f32_e32 v37, 0x3e9b6dac, v36
	v_sub_f32_e32 v31, v32, v31
	v_add_f32_e32 v32, v38, v39
	v_fma_f32 v37, v36, v37, v17
	v_sub_f32_e32 v34, v32, v38
	v_ldexp_f32 v38, v35, 1
	v_mul_f32_e32 v35, v35, v36
	v_mul_f32_e32 v35, v35, v37
	v_add_f32_e32 v36, v38, v35
	v_sub_f32_e32 v37, v36, v38
	v_ldexp_f32 v31, v31, 1
	v_sub_f32_e32 v35, v35, v37
	v_add_f32_e32 v31, v31, v35
	v_add_f32_e32 v35, v36, v31
	v_sub_f32_e32 v36, v35, v36
	v_sub_f32_e32 v31, v31, v36
	v_add_f32_e32 v36, v32, v35
	v_sub_f32_e32 v37, v36, v32
	v_sub_f32_e32 v38, v36, v37
	;; [unrolled: 1-line block ×5, first 2 shown]
	v_add_f32_e32 v32, v35, v32
	v_add_f32_e32 v35, v34, v31
	v_sub_f32_e32 v37, v35, v34
	v_sub_f32_e32 v38, v35, v37
	;; [unrolled: 1-line block ×4, first 2 shown]
	v_add_f32_e32 v32, v35, v32
	v_add_f32_e32 v31, v31, v34
	;; [unrolled: 1-line block ×3, first 2 shown]
	v_sub_f32_e32 v35, v34, v36
	v_sub_f32_e32 v32, v32, v35
	v_add_f32_e32 v31, v31, v32
	v_add_f32_e32 v31, v34, v31
	v_cmp_neq_f32_e32 vcc, s47, v33
	v_cndmask_b32_e32 v31, v24, v31, vcc
	v_cmp_lt_f32_e64 vcc, |v33|, s48
	v_cndmask_b32_e32 v31, v31, v33, vcc
	v_max_f32_e64 v32, |v16|, |v16|
	v_max_f32_e64 v33, |v15|, |v15|
	v_min_f32_e32 v34, v33, v32
	v_max_f32_e32 v32, v33, v32
	v_frexp_mant_f32_e32 v33, v32
	v_rcp_f32_e32 v33, v33
	v_frexp_exp_i32_f32_e32 v32, v32
	v_frexp_exp_i32_f32_e32 v35, v34
	v_frexp_mant_f32_e32 v34, v34
	v_mul_f32_e32 v33, v34, v33
	v_sub_u32_e32 v32, v35, v32
	v_ldexp_f32 v32, v33, v32
	v_mul_f32_e32 v33, v32, v32
	v_mov_b32_e32 v34, 0xbc7a590c
	v_fmac_f32_e32 v34, 0x3b2d2a58, v33
	v_fma_f32 v34, v33, v34, v18
	v_fma_f32 v34, v33, v34, v19
	v_fma_f32 v34, v33, v34, v20
	v_fma_f32 v34, v33, v34, v21
	v_fma_f32 v34, v33, v34, v22
	v_fma_f32 v34, v33, v34, v23
	v_mul_f32_e32 v33, v33, v34
	v_fmac_f32_e32 v32, v32, v33
	v_sub_f32_e32 v33, 0x3fc90fdb, v32
	v_cndmask_b32_e64 v32, v32, v33, s[8:9]
	v_sub_f32_e32 v33, 0x40490fdb, v32
	v_cmp_gt_f32_e32 vcc, 0, v15
	v_cndmask_b32_e32 v32, v32, v33, vcc
	v_cndmask_b32_e64 v33, 0, v27, s[10:11]
	v_cmp_eq_f32_e64 s[10:11], 0, v16
	v_cndmask_b32_e64 v32, v32, v33, s[10:11]
	v_cmp_class_f32_e64 s[10:11], v15, s49
	v_cndmask_b32_e32 v33, v28, v29, vcc
	s_and_b64 vcc, s[26:27], s[10:11]
	v_mul_f32_e32 v31, 0.5, v31
	v_cndmask_b32_e32 v32, v32, v33, vcc
                                        ; implicit-def: $vgpr33
.LBB180_174:                            ;   in Loop: Header=BB180_145 Depth=1
	s_andn2_saveexec_b64 s[24:25], s[24:25]
	s_cbranch_execz .LBB180_176
; %bb.175:                              ;   in Loop: Header=BB180_145 Depth=1
	v_mul_f32_e32 v31, 0.5, v33
	v_mul_f32_e32 v31, v33, v31
	v_max_f32_e64 v32, |v16|, |v16|
	v_max_f32_e64 v33, |v15|, |v15|
	v_min_f32_e32 v34, v33, v32
	v_max_f32_e32 v32, v33, v32
	v_frexp_mant_f32_e32 v33, v32
	v_rcp_f32_e32 v33, v33
	v_frexp_exp_i32_f32_e32 v32, v32
	v_frexp_exp_i32_f32_e32 v35, v34
	v_frexp_mant_f32_e32 v34, v34
	v_mul_f32_e32 v33, v34, v33
	v_sub_u32_e32 v32, v35, v32
	v_ldexp_f32 v32, v33, v32
	v_mul_f32_e32 v33, v32, v32
	v_mov_b32_e32 v34, 0xbc7a590c
	v_fmac_f32_e32 v34, 0x3b2d2a58, v33
	v_fma_f32 v34, v33, v34, v18
	v_fma_f32 v34, v33, v34, v19
	;; [unrolled: 1-line block ×6, first 2 shown]
	v_mul_f32_e32 v33, v33, v34
	v_fmac_f32_e32 v32, v32, v33
	v_sub_f32_e32 v33, 0x3fc90fdb, v32
	v_cndmask_b32_e64 v32, v32, v33, s[8:9]
	v_sub_f32_e32 v33, 0x40490fdb, v32
	v_cmp_gt_f32_e32 vcc, 0, v15
	v_cmp_gt_i32_e64 s[10:11], 0, v15
	v_cndmask_b32_e32 v32, v32, v33, vcc
	v_cndmask_b32_e64 v33, 0, v27, s[10:11]
	v_cmp_eq_f32_e64 s[10:11], 0, v16
	v_cndmask_b32_e64 v32, v32, v33, s[10:11]
	v_cmp_class_f32_e64 s[10:11], v15, s49
	v_cmp_class_f32_e64 s[26:27], v16, s49
	v_cndmask_b32_e32 v33, v28, v29, vcc
	s_and_b64 vcc, s[26:27], s[10:11]
	v_cndmask_b32_e32 v32, v32, v33, vcc
.LBB180_176:                            ;   in Loop: Header=BB180_145 Depth=1
	s_or_b64 exec, exec, s[24:25]
.LBB180_177:                            ;   in Loop: Header=BB180_145 Depth=1
	s_or_b64 exec, exec, s[22:23]
.LBB180_178:                            ;   in Loop: Header=BB180_145 Depth=1
	s_andn2_saveexec_b64 s[20:21], s[20:21]
	s_cbranch_execz .LBB180_180
; %bb.179:                              ;   in Loop: Header=BB180_145 Depth=1
	v_div_scale_f32 v31, s[10:11], s54, s54, v15
	v_div_scale_f32 v32, s[10:11], s54, s54, v16
	v_div_scale_f32 v33, vcc, v15, s54, v15
	v_div_scale_f32 v34, s[10:11], v16, s54, v16
	v_rcp_f32_e32 v35, v31
	v_rcp_f32_e32 v36, v32
	v_fma_f32 v37, -v31, v35, 1.0
	v_fmac_f32_e32 v35, v37, v35
	v_fma_f32 v38, -v32, v36, 1.0
	v_fmac_f32_e32 v36, v38, v36
	v_mul_f32_e32 v37, v33, v35
	v_mul_f32_e32 v38, v34, v36
	v_fma_f32 v39, -v31, v37, v33
	v_fma_f32 v40, -v32, v38, v34
	v_fmac_f32_e32 v37, v39, v35
	v_fmac_f32_e32 v38, v40, v36
	v_fma_f32 v31, -v31, v37, v33
	v_fma_f32 v32, -v32, v38, v34
	v_div_fmas_f32 v31, v31, v35, v37
	s_mov_b64 vcc, s[10:11]
	v_div_fmas_f32 v32, v32, v36, v38
	v_max_f32_e64 v33, |v16|, |v16|
	v_max_f32_e64 v34, |v15|, |v15|
	v_min_f32_e32 v36, v34, v33
	v_max_f32_e32 v33, v34, v33
	v_frexp_exp_i32_f32_e32 v34, v33
	v_frexp_exp_i32_f32_e32 v37, v36
	v_sub_u32_e32 v34, v37, v34
	v_frexp_mant_f32_e32 v33, v33
	v_rcp_f32_e32 v33, v33
	v_frexp_mant_f32_e32 v36, v36
	v_mov_b32_e32 v35, 0xbc7a590c
	v_cmp_class_f32_e64 s[10:11], v16, s49
	v_mul_f32_e32 v33, v36, v33
	v_div_fixup_f32 v37, v31, s54, v15
	v_ldexp_f32 v33, v33, v34
	v_div_fixup_f32 v38, v32, s54, v16
	v_max_f32_e64 v39, |v37|, |v38|
	v_cvt_f64_f32_e32 v[31:32], v39
	v_mul_f32_e32 v34, v33, v33
	v_fmac_f32_e32 v35, 0x3b2d2a58, v34
	v_cmp_neq_f32_e32 vcc, s47, v39
	v_frexp_exp_i32_f64_e32 v31, v[31:32]
	v_fma_f32 v32, v34, v35, v18
	v_fma_f32 v32, v34, v32, v19
	;; [unrolled: 1-line block ×6, first 2 shown]
	v_mul_f32_e32 v32, v34, v32
	v_sub_u32_e32 v35, 0, v31
	v_ldexp_f32 v36, |v37|, v35
	v_ldexp_f32 v35, |v38|, v35
	v_mul_f32_e32 v35, v35, v35
	v_fmac_f32_e32 v35, v36, v36
	v_sqrt_f32_e32 v35, v35
	v_fmac_f32_e32 v33, v33, v32
	v_sub_f32_e32 v32, 0x3fc90fdb, v33
	v_cndmask_b32_e64 v32, v33, v32, s[8:9]
	v_ldexp_f32 v31, v35, v31
	v_cndmask_b32_e32 v31, v24, v31, vcc
	v_cmp_gt_f32_e32 vcc, s51, v31
	v_cndmask_b32_e64 v34, 0, 32, vcc
	v_ldexp_f32 v31, v31, v34
	v_log_f32_e32 v31, v31
	v_cndmask_b32_e32 v34, 0, v30, vcc
	v_sub_f32_e32 v33, 0x40490fdb, v32
	v_cmp_gt_i32_e64 s[8:9], 0, v15
	v_mul_f32_e32 v35, 0x3f317217, v31
	v_fma_f32 v35, v31, s52, -v35
	v_fmac_f32_e32 v35, 0x3377d1cf, v31
	v_fmac_f32_e32 v35, 0x3f317217, v31
	v_cmp_lt_f32_e64 vcc, |v31|, s47
	v_cndmask_b32_e32 v31, v31, v35, vcc
	v_cmp_gt_f32_e32 vcc, 0, v15
	v_cndmask_b32_e32 v32, v32, v33, vcc
	v_cndmask_b32_e64 v33, 0, v27, s[8:9]
	v_cmp_eq_f32_e64 s[8:9], 0, v16
	v_cndmask_b32_e64 v32, v32, v33, s[8:9]
	v_cmp_class_f32_e64 s[8:9], v15, s49
	v_sub_f32_e32 v31, v31, v34
	v_cndmask_b32_e32 v33, v28, v29, vcc
	s_and_b64 vcc, s[10:11], s[8:9]
	v_add_f32_e32 v31, 1.0, v31
	v_cndmask_b32_e32 v32, v32, v33, vcc
.LBB180_180:                            ;   in Loop: Header=BB180_145 Depth=1
	s_or_b64 exec, exec, s[20:21]
.LBB180_181:                            ;   in Loop: Header=BB180_145 Depth=1
	s_andn2_saveexec_b64 s[8:9], s[18:19]
	s_cbranch_execz .LBB180_187
; %bb.182:                              ;   in Loop: Header=BB180_145 Depth=1
	v_cmp_nlt_f32_e64 s[10:11], |v15|, s55
	v_cmp_nlt_f32_e64 s[18:19], |v16|, s55
	s_or_b64 s[10:11], s[18:19], s[10:11]
                                        ; implicit-def: $vgpr31
	s_and_saveexec_b64 s[18:19], s[10:11]
	s_xor_b64 s[10:11], exec, s[18:19]
; %bb.183:                              ;   in Loop: Header=BB180_145 Depth=1
	v_mul_f32_e32 v31, v15, v15
	v_fmac_f32_e32 v31, v16, v16
; %bb.184:                              ;   in Loop: Header=BB180_145 Depth=1
	s_andn2_saveexec_b64 s[10:11], s[10:11]
; %bb.185:                              ;   in Loop: Header=BB180_145 Depth=1
	v_mul_f32_e32 v15, 4.0, v15
	v_mul_f32_e32 v31, 4.0, v16
	v_mul_f32_e32 v15, v15, v15
	v_fmac_f32_e32 v15, v31, v31
	v_mul_f32_e32 v31, 0x3d800000, v15
; %bb.186:                              ;   in Loop: Header=BB180_145 Depth=1
	s_or_b64 exec, exec, s[10:11]
	v_cmp_gt_f32_e32 vcc, s51, v31
	v_cndmask_b32_e64 v15, 0, 32, vcc
	v_ldexp_f32 v15, v31, v15
	v_log_f32_e32 v15, v15
	v_cndmask_b32_e32 v31, 0, v30, vcc
	v_mul_f32_e32 v32, 0x3f317217, v15
	v_fma_f32 v32, v15, s52, -v32
	v_fmac_f32_e32 v32, 0x3377d1cf, v15
	v_fmac_f32_e32 v32, 0x3f317217, v15
	v_cmp_lt_f32_e64 vcc, |v15|, s47
	v_cndmask_b32_e32 v15, v15, v32, vcc
	v_sub_f32_e32 v31, v15, v31
	v_mov_b32_e32 v32, 0x7fc00000
.LBB180_187:                            ;   in Loop: Header=BB180_145 Depth=1
	s_or_b64 exec, exec, s[8:9]
	v_cmp_o_f32_e32 vcc, v14, v13
                                        ; implicit-def: $vgpr15
                                        ; implicit-def: $vgpr33
	s_and_saveexec_b64 s[8:9], vcc
	s_xor_b64 s[18:19], exec, s[8:9]
	s_cbranch_execz .LBB180_215
; %bb.188:                              ;   in Loop: Header=BB180_145 Depth=1
	v_cmp_lt_f32_e64 s[8:9], |v13|, |v14|
	v_cndmask_b32_e64 v34, |v14|, |v13|, s[8:9]
	v_cmp_nlt_f32_e32 vcc, s42, v34
                                        ; implicit-def: $vgpr15
                                        ; implicit-def: $vgpr33
	s_and_saveexec_b64 s[10:11], vcc
	s_xor_b64 s[20:21], exec, s[10:11]
	s_cbranch_execz .LBB180_212
; %bb.189:                              ;   in Loop: Header=BB180_145 Depth=1
	v_and_b32_e32 v15, 0x7fffffff, v14
	v_cndmask_b32_e64 v35, |v13|, v15, s[8:9]
	v_cmp_neq_f32_e32 vcc, 1.0, v35
                                        ; implicit-def: $vgpr15
                                        ; implicit-def: $vgpr33
	s_and_saveexec_b64 s[10:11], vcc
	s_xor_b64 s[22:23], exec, s[10:11]
	s_cbranch_execz .LBB180_205
; %bb.190:                              ;   in Loop: Header=BB180_145 Depth=1
	v_max_f32_e32 v15, v34, v34
	v_max_f32_e32 v33, v35, v35
	v_min_f32_e32 v36, v33, v15
	v_max_f32_e32 v15, v33, v15
	v_cmp_ngt_f32_e32 vcc, s43, v36
	v_cmp_nlt_f32_e64 s[10:11], s44, v15
	s_and_b64 s[10:11], s[10:11], vcc
                                        ; implicit-def: $vgpr15
                                        ; implicit-def: $vgpr33
	s_and_saveexec_b64 s[24:25], s[10:11]
	s_xor_b64 s[24:25], exec, s[24:25]
	s_cbranch_execz .LBB180_202
; %bb.191:                              ;   in Loop: Header=BB180_145 Depth=1
	v_cmp_le_f32_e32 vcc, 1.0, v35
                                        ; implicit-def: $vgpr15
                                        ; implicit-def: $vgpr33
	s_and_saveexec_b64 s[10:11], vcc
	s_xor_b64 s[26:27], exec, s[10:11]
	s_cbranch_execz .LBB180_193
; %bb.192:                              ;   in Loop: Header=BB180_145 Depth=1
	v_add_f32_e32 v15, -1.0, v35
	v_add_f32_e32 v33, 1.0, v35
	v_mul_f32_e32 v15, v15, v33
	v_fmac_f32_e32 v15, v34, v34
	v_add_f32_e32 v35, 1.0, v15
	v_cvt_f64_f32_e32 v[33:34], v35
	v_add_f32_e32 v36, -1.0, v35
	v_sub_f32_e32 v37, v36, v35
	v_sub_f32_e32 v36, v15, v36
	v_frexp_exp_i32_f64_e32 v33, v[33:34]
	v_frexp_mant_f32_e32 v34, v35
	v_cmp_gt_f32_e32 vcc, s45, v34
	v_add_f32_e32 v37, 1.0, v37
	v_add_f32_e32 v36, v36, v37
	v_cmp_gt_i32_e64 s[10:11], 0, v13
	v_cmp_class_f32_e64 s[28:29], v14, s49
	v_subbrev_co_u32_e32 v33, vcc, 0, v33, vcc
	v_sub_u32_e32 v34, 0, v33
	v_ldexp_f32 v35, v35, v34
	v_ldexp_f32 v34, v36, v34
	v_add_f32_e32 v36, -1.0, v35
	v_add_f32_e32 v39, 1.0, v35
	v_add_f32_e32 v37, 1.0, v36
	v_add_f32_e32 v40, -1.0, v39
	v_sub_f32_e32 v37, v35, v37
	v_sub_f32_e32 v35, v35, v40
	v_add_f32_e32 v37, v34, v37
	v_add_f32_e32 v34, v34, v35
	;; [unrolled: 1-line block ×3, first 2 shown]
	v_rcp_f32_e32 v40, v35
	v_add_f32_e32 v38, v36, v37
	v_sub_f32_e32 v36, v38, v36
	v_sub_f32_e32 v36, v37, v36
	;; [unrolled: 1-line block ×4, first 2 shown]
	v_mul_f32_e32 v37, v38, v40
	v_mul_f32_e32 v39, v35, v37
	v_fma_f32 v41, v37, v35, -v39
	v_fmac_f32_e32 v41, v37, v34
	v_add_f32_e32 v42, v39, v41
	v_sub_f32_e32 v43, v38, v42
	v_sub_f32_e32 v38, v38, v43
	;; [unrolled: 1-line block ×4, first 2 shown]
	v_add_f32_e32 v36, v36, v38
	v_sub_f32_e32 v38, v39, v41
	v_add_f32_e32 v36, v38, v36
	v_add_f32_e32 v38, v43, v36
	v_mul_f32_e32 v39, v40, v38
	v_mul_f32_e32 v41, v35, v39
	v_fma_f32 v35, v39, v35, -v41
	v_fmac_f32_e32 v35, v39, v34
	v_sub_f32_e32 v34, v43, v38
	v_add_f32_e32 v34, v36, v34
	v_add_f32_e32 v36, v41, v35
	v_sub_f32_e32 v42, v38, v36
	v_sub_f32_e32 v38, v38, v42
	v_sub_f32_e32 v41, v36, v41
	v_sub_f32_e32 v36, v38, v36
	v_add_f32_e32 v34, v34, v36
	v_sub_f32_e32 v35, v41, v35
	v_cvt_f32_i32_e32 v33, v33
	v_add_f32_e32 v34, v35, v34
	v_add_f32_e32 v35, v37, v39
	;; [unrolled: 1-line block ×3, first 2 shown]
	v_sub_f32_e32 v36, v35, v37
	v_mul_f32_e32 v34, v40, v34
	v_sub_f32_e32 v36, v39, v36
	v_add_f32_e32 v34, v36, v34
	v_mul_f32_e32 v39, 0x3f317218, v33
	v_add_f32_e32 v36, v35, v34
	v_fma_f32 v40, v33, s46, -v39
	v_mul_f32_e32 v37, v36, v36
	v_mov_b32_e32 v38, 0x3ecc95a3
	v_fmac_f32_e32 v40, 0xb102e308, v33
	v_sub_f32_e32 v33, v36, v35
	v_fmac_f32_e32 v38, 0x3e9b6dac, v37
	v_sub_f32_e32 v33, v34, v33
	v_add_f32_e32 v34, v39, v40
	v_fma_f32 v38, v37, v38, v17
	v_sub_f32_e32 v35, v34, v39
	v_ldexp_f32 v39, v36, 1
	v_mul_f32_e32 v36, v36, v37
	v_mul_f32_e32 v36, v36, v38
	v_add_f32_e32 v37, v39, v36
	v_sub_f32_e32 v38, v37, v39
	v_ldexp_f32 v33, v33, 1
	v_sub_f32_e32 v36, v36, v38
	v_add_f32_e32 v33, v33, v36
	v_add_f32_e32 v36, v37, v33
	v_sub_f32_e32 v37, v36, v37
	v_sub_f32_e32 v33, v33, v37
	v_add_f32_e32 v37, v34, v36
	v_sub_f32_e32 v38, v37, v34
	v_sub_f32_e32 v39, v37, v38
	;; [unrolled: 1-line block ×5, first 2 shown]
	v_add_f32_e32 v34, v36, v34
	v_add_f32_e32 v36, v35, v33
	v_sub_f32_e32 v38, v36, v35
	v_sub_f32_e32 v39, v36, v38
	;; [unrolled: 1-line block ×4, first 2 shown]
	v_add_f32_e32 v34, v36, v34
	v_add_f32_e32 v33, v33, v35
	;; [unrolled: 1-line block ×3, first 2 shown]
	v_sub_f32_e32 v36, v35, v37
	v_sub_f32_e32 v34, v34, v36
	v_add_f32_e32 v33, v33, v34
	v_add_f32_e32 v33, v35, v33
	v_cmp_neq_f32_e32 vcc, s47, v15
	v_cndmask_b32_e32 v33, v24, v33, vcc
	v_cmp_ngt_f32_e32 vcc, -1.0, v15
	v_cndmask_b32_e32 v33, v25, v33, vcc
	v_cmp_neq_f32_e32 vcc, -1.0, v15
	v_cndmask_b32_e32 v33, v26, v33, vcc
	v_cmp_lt_f32_e64 vcc, |v15|, s48
	v_cndmask_b32_e32 v15, v33, v15, vcc
	v_max_f32_e64 v33, |v14|, |v14|
	v_max_f32_e64 v34, |v13|, |v13|
	v_min_f32_e32 v35, v34, v33
	v_max_f32_e32 v33, v34, v33
	v_frexp_mant_f32_e32 v34, v33
	v_rcp_f32_e32 v34, v34
	v_frexp_exp_i32_f32_e32 v33, v33
	v_frexp_exp_i32_f32_e32 v36, v35
	v_frexp_mant_f32_e32 v35, v35
	v_mul_f32_e32 v34, v35, v34
	v_sub_u32_e32 v33, v36, v33
	v_ldexp_f32 v33, v34, v33
	v_mul_f32_e32 v34, v33, v33
	v_mov_b32_e32 v35, 0xbc7a590c
	v_fmac_f32_e32 v35, 0x3b2d2a58, v34
	v_fma_f32 v35, v34, v35, v18
	v_fma_f32 v35, v34, v35, v19
	;; [unrolled: 1-line block ×6, first 2 shown]
	v_mul_f32_e32 v34, v34, v35
	v_fmac_f32_e32 v33, v33, v34
	v_sub_f32_e32 v34, 0x3fc90fdb, v33
	v_cndmask_b32_e64 v33, v33, v34, s[8:9]
	v_sub_f32_e32 v34, 0x40490fdb, v33
	v_cmp_gt_f32_e32 vcc, 0, v13
	v_cndmask_b32_e32 v33, v33, v34, vcc
	v_cndmask_b32_e64 v34, 0, v27, s[10:11]
	v_cmp_eq_f32_e64 s[10:11], 0, v14
	v_cndmask_b32_e64 v33, v33, v34, s[10:11]
	v_cmp_class_f32_e64 s[10:11], v13, s49
	v_cndmask_b32_e32 v34, v28, v29, vcc
	s_and_b64 vcc, s[28:29], s[10:11]
	v_mul_f32_e32 v15, 0.5, v15
	v_cndmask_b32_e32 v33, v33, v34, vcc
                                        ; implicit-def: $vgpr34
                                        ; implicit-def: $vgpr35
.LBB180_193:                            ;   in Loop: Header=BB180_145 Depth=1
	s_andn2_saveexec_b64 s[26:27], s[26:27]
	s_cbranch_execz .LBB180_201
; %bb.194:                              ;   in Loop: Header=BB180_145 Depth=1
	v_mul_f32_e32 v36, v34, v34
	v_fmac_f32_e32 v36, v35, v35
	v_cmp_ge_f32_e32 vcc, s50, v36
                                        ; implicit-def: $vgpr15
                                        ; implicit-def: $vgpr33
	s_and_saveexec_b64 s[10:11], vcc
	s_xor_b64 s[28:29], exec, s[10:11]
	s_cbranch_execz .LBB180_196
; %bb.195:                              ;   in Loop: Header=BB180_145 Depth=1
	v_cmp_gt_f32_e32 vcc, s51, v36
	v_cndmask_b32_e64 v15, 0, 32, vcc
	v_ldexp_f32 v15, v36, v15
	v_log_f32_e32 v15, v15
	v_cndmask_b32_e32 v33, 0, v30, vcc
	v_cmp_gt_i32_e64 s[10:11], 0, v13
	v_cmp_class_f32_e64 s[30:31], v14, s49
	v_mul_f32_e32 v34, 0x3f317217, v15
	v_fma_f32 v34, v15, s52, -v34
	v_fmac_f32_e32 v34, 0x3377d1cf, v15
	v_fmac_f32_e32 v34, 0x3f317217, v15
	v_cmp_lt_f32_e64 vcc, |v15|, s47
	v_cndmask_b32_e32 v15, v15, v34, vcc
	v_sub_f32_e32 v15, v15, v33
	v_max_f32_e64 v33, |v14|, |v14|
	v_max_f32_e64 v34, |v13|, |v13|
	v_min_f32_e32 v35, v34, v33
	v_max_f32_e32 v33, v34, v33
	v_frexp_mant_f32_e32 v34, v33
	v_rcp_f32_e32 v34, v34
	v_frexp_exp_i32_f32_e32 v33, v33
	v_frexp_exp_i32_f32_e32 v36, v35
	v_frexp_mant_f32_e32 v35, v35
	v_mul_f32_e32 v34, v35, v34
	v_sub_u32_e32 v33, v36, v33
	v_ldexp_f32 v33, v34, v33
	v_mul_f32_e32 v34, v33, v33
	v_mov_b32_e32 v35, 0xbc7a590c
	v_fmac_f32_e32 v35, 0x3b2d2a58, v34
	v_fma_f32 v35, v34, v35, v18
	v_fma_f32 v35, v34, v35, v19
	;; [unrolled: 1-line block ×6, first 2 shown]
	v_mul_f32_e32 v34, v34, v35
	v_fmac_f32_e32 v33, v33, v34
	v_sub_f32_e32 v34, 0x3fc90fdb, v33
	v_cndmask_b32_e64 v33, v33, v34, s[8:9]
	v_sub_f32_e32 v34, 0x40490fdb, v33
	v_cmp_gt_f32_e32 vcc, 0, v13
	v_cndmask_b32_e32 v33, v33, v34, vcc
	v_cndmask_b32_e64 v34, 0, v27, s[10:11]
	v_cmp_eq_f32_e64 s[10:11], 0, v14
	v_cndmask_b32_e64 v33, v33, v34, s[10:11]
	v_cmp_class_f32_e64 s[10:11], v13, s49
	v_cndmask_b32_e32 v34, v28, v29, vcc
	s_and_b64 vcc, s[30:31], s[10:11]
	v_mul_f32_e32 v15, 0.5, v15
	v_cndmask_b32_e32 v33, v33, v34, vcc
                                        ; implicit-def: $vgpr35
                                        ; implicit-def: $vgpr34
.LBB180_196:                            ;   in Loop: Header=BB180_145 Depth=1
	s_andn2_saveexec_b64 s[28:29], s[28:29]
	s_cbranch_execz .LBB180_200
; %bb.197:                              ;   in Loop: Header=BB180_145 Depth=1
	v_and_b32_e32 v36, 0x7fff0000, v35
	v_sub_f32_e32 v15, v35, v36
	v_and_b32_e32 v40, 0xffff0000, v15
	v_and_b32_e32 v35, 0x7fff0000, v34
	v_sub_f32_e32 v42, v15, v40
	v_sub_f32_e32 v15, v34, v35
	v_and_b32_e32 v41, 0xffff0000, v15
	v_add_f32_e32 v37, v36, v36
	v_add_f32_e32 v44, v35, v35
	v_sub_f32_e32 v43, v15, v41
	v_mul_f32_e32 v15, v36, v36
	v_mul_f32_e32 v33, v35, v35
	;; [unrolled: 1-line block ×6, first 2 shown]
	v_add_f32_e32 v40, v40, v40
	v_add_f32_e32 v41, v41, v41
	v_mul_f32_e32 v38, v37, v42
	v_mul_f32_e32 v37, v44, v43
	;; [unrolled: 1-line block ×6, first 2 shown]
	s_mov_b64 s[30:31], 0
.LBB180_198:                            ;   Parent Loop BB180_145 Depth=1
                                        ; =>  This Inner Loop Header: Depth=2
	v_cmp_nlt_f32_e32 vcc, v15, v33
	v_mov_b32_e32 v44, v43
	v_cndmask_b32_e32 v43, v15, v33, vcc
	v_cmp_nlt_f32_e64 s[10:11], v43, v36
	v_cndmask_b32_e64 v45, v43, v36, s[10:11]
	v_cndmask_b32_e32 v15, v33, v15, vcc
	s_and_b64 s[58:59], vcc, s[10:11]
	v_cmp_nlt_f32_e32 vcc, v45, v35
	v_cndmask_b32_e64 v33, v36, v43, s[10:11]
	v_cndmask_b32_e32 v43, v45, v35, vcc
	v_cmp_nlt_f32_e64 s[10:11], v43, v39
	v_cndmask_b32_e32 v36, v35, v45, vcc
	v_cndmask_b32_e64 v45, v43, v39, s[10:11]
	s_and_b64 s[60:61], vcc, s[10:11]
	v_cmp_nlt_f32_e32 vcc, v45, v34
	v_cndmask_b32_e64 v35, v39, v43, s[10:11]
	v_cndmask_b32_e32 v43, v45, v34, vcc
	v_cmp_nlt_f32_e64 s[10:11], v43, v38
	v_cndmask_b32_e32 v39, v34, v45, vcc
	v_cndmask_b32_e64 v45, v43, v38, s[10:11]
	v_cndmask_b32_e64 v34, v38, v43, s[10:11]
	s_and_b64 s[10:11], vcc, s[10:11]
	v_cmp_nlt_f32_e32 vcc, v45, v37
	v_cndmask_b32_e32 v43, v45, v37, vcc
	v_cndmask_b32_e32 v38, v37, v45, vcc
	s_and_b64 s[10:11], s[10:11], vcc
	v_cmp_nlt_f32_e32 vcc, v43, v40
	v_cndmask_b32_e32 v45, v43, v40, vcc
	v_cndmask_b32_e32 v37, v40, v43, vcc
	s_and_b64 s[10:11], s[10:11], vcc
	;; [unrolled: 4-line block ×4, first 2 shown]
	v_cmp_nlt_f32_e32 vcc, v45, v44
	s_and_b64 s[10:11], s[10:11], vcc
	s_and_b64 s[10:11], s[10:11], s[60:61]
	s_and_b64 s[10:11], s[10:11], s[58:59]
	s_and_b64 s[10:11], exec, s[10:11]
	v_cndmask_b32_e32 v43, v45, v44, vcc
	s_or_b64 s[30:31], s[10:11], s[30:31]
	v_cndmask_b32_e32 v42, v44, v45, vcc
	s_andn2_b64 exec, exec, s[30:31]
	s_cbranch_execnz .LBB180_198
; %bb.199:                              ;   in Loop: Header=BB180_145 Depth=1
	s_or_b64 exec, exec, s[30:31]
	v_add_f32_e32 v15, -1.0, v15
	v_add_f32_e32 v15, v15, v33
	v_add_f32_e32 v15, v15, v36
	;; [unrolled: 1-line block ×11, first 2 shown]
	v_add_f32_e32 v35, 1.0, v15
	v_cvt_f64_f32_e32 v[33:34], v35
	v_add_f32_e32 v36, -1.0, v35
	v_sub_f32_e32 v37, v36, v35
	v_sub_f32_e32 v36, v15, v36
	v_frexp_exp_i32_f64_e32 v33, v[33:34]
	v_frexp_mant_f32_e32 v34, v35
	v_cmp_gt_f32_e32 vcc, s45, v34
	v_add_f32_e32 v37, 1.0, v37
	v_add_f32_e32 v36, v36, v37
	v_cmp_gt_i32_e64 s[10:11], 0, v13
	v_cmp_class_f32_e64 s[30:31], v14, s49
	v_subbrev_co_u32_e32 v33, vcc, 0, v33, vcc
	v_sub_u32_e32 v34, 0, v33
	v_ldexp_f32 v35, v35, v34
	v_ldexp_f32 v34, v36, v34
	v_add_f32_e32 v36, -1.0, v35
	v_add_f32_e32 v37, 1.0, v35
	v_add_f32_e32 v38, 1.0, v36
	v_add_f32_e32 v40, -1.0, v37
	v_sub_f32_e32 v38, v35, v38
	v_sub_f32_e32 v35, v35, v40
	v_add_f32_e32 v38, v34, v38
	v_add_f32_e32 v34, v34, v35
	;; [unrolled: 1-line block ×3, first 2 shown]
	v_rcp_f32_e32 v40, v35
	v_add_f32_e32 v39, v36, v38
	v_sub_f32_e32 v37, v35, v37
	v_sub_f32_e32 v36, v39, v36
	;; [unrolled: 1-line block ×3, first 2 shown]
	v_mul_f32_e32 v37, v39, v40
	v_sub_f32_e32 v36, v38, v36
	v_mul_f32_e32 v38, v35, v37
	v_fma_f32 v41, v37, v35, -v38
	v_fmac_f32_e32 v41, v37, v34
	v_add_f32_e32 v42, v38, v41
	v_sub_f32_e32 v43, v39, v42
	v_sub_f32_e32 v39, v39, v43
	;; [unrolled: 1-line block ×4, first 2 shown]
	v_add_f32_e32 v36, v36, v39
	v_sub_f32_e32 v38, v38, v41
	v_add_f32_e32 v36, v38, v36
	v_add_f32_e32 v38, v43, v36
	v_mul_f32_e32 v39, v40, v38
	v_mul_f32_e32 v41, v35, v39
	v_fma_f32 v35, v39, v35, -v41
	v_fmac_f32_e32 v35, v39, v34
	v_sub_f32_e32 v34, v43, v38
	v_add_f32_e32 v34, v36, v34
	v_add_f32_e32 v36, v41, v35
	v_sub_f32_e32 v42, v38, v36
	v_sub_f32_e32 v38, v38, v42
	v_sub_f32_e32 v41, v36, v41
	v_sub_f32_e32 v36, v38, v36
	v_add_f32_e32 v34, v34, v36
	v_sub_f32_e32 v35, v41, v35
	v_cvt_f32_i32_e32 v33, v33
	v_add_f32_e32 v34, v35, v34
	v_add_f32_e32 v35, v37, v39
	;; [unrolled: 1-line block ×3, first 2 shown]
	v_sub_f32_e32 v36, v35, v37
	v_mul_f32_e32 v34, v40, v34
	v_sub_f32_e32 v36, v39, v36
	v_add_f32_e32 v34, v36, v34
	v_mul_f32_e32 v39, 0x3f317218, v33
	v_add_f32_e32 v36, v35, v34
	v_fma_f32 v40, v33, s46, -v39
	v_mul_f32_e32 v37, v36, v36
	v_mov_b32_e32 v38, 0x3ecc95a3
	v_fmac_f32_e32 v40, 0xb102e308, v33
	v_sub_f32_e32 v33, v36, v35
	v_fmac_f32_e32 v38, 0x3e9b6dac, v37
	v_sub_f32_e32 v33, v34, v33
	v_add_f32_e32 v34, v39, v40
	v_fma_f32 v38, v37, v38, v17
	v_sub_f32_e32 v35, v34, v39
	v_ldexp_f32 v39, v36, 1
	v_mul_f32_e32 v36, v36, v37
	v_mul_f32_e32 v36, v36, v38
	v_add_f32_e32 v37, v39, v36
	v_sub_f32_e32 v38, v37, v39
	v_ldexp_f32 v33, v33, 1
	v_sub_f32_e32 v36, v36, v38
	v_add_f32_e32 v33, v33, v36
	v_add_f32_e32 v36, v37, v33
	v_sub_f32_e32 v37, v36, v37
	v_sub_f32_e32 v33, v33, v37
	v_add_f32_e32 v37, v34, v36
	v_sub_f32_e32 v38, v37, v34
	v_sub_f32_e32 v39, v37, v38
	v_sub_f32_e32 v35, v40, v35
	v_sub_f32_e32 v34, v34, v39
	v_sub_f32_e32 v36, v36, v38
	v_add_f32_e32 v34, v36, v34
	v_add_f32_e32 v36, v35, v33
	v_sub_f32_e32 v38, v36, v35
	v_sub_f32_e32 v39, v36, v38
	;; [unrolled: 1-line block ×4, first 2 shown]
	v_add_f32_e32 v34, v36, v34
	v_add_f32_e32 v33, v33, v35
	;; [unrolled: 1-line block ×3, first 2 shown]
	v_sub_f32_e32 v36, v35, v37
	v_sub_f32_e32 v34, v34, v36
	v_add_f32_e32 v33, v33, v34
	v_add_f32_e32 v33, v35, v33
	v_cmp_neq_f32_e32 vcc, s47, v15
	v_cndmask_b32_e32 v33, v24, v33, vcc
	v_cmp_ngt_f32_e32 vcc, -1.0, v15
	v_cndmask_b32_e32 v33, v25, v33, vcc
	v_cmp_neq_f32_e32 vcc, -1.0, v15
	v_cndmask_b32_e32 v33, v26, v33, vcc
	v_cmp_lt_f32_e64 vcc, |v15|, s48
	v_cndmask_b32_e32 v15, v33, v15, vcc
	v_max_f32_e64 v33, |v14|, |v14|
	v_max_f32_e64 v34, |v13|, |v13|
	v_min_f32_e32 v35, v34, v33
	v_max_f32_e32 v33, v34, v33
	v_frexp_mant_f32_e32 v34, v33
	v_rcp_f32_e32 v34, v34
	v_frexp_exp_i32_f32_e32 v33, v33
	v_frexp_exp_i32_f32_e32 v36, v35
	v_frexp_mant_f32_e32 v35, v35
	v_mul_f32_e32 v34, v35, v34
	v_sub_u32_e32 v33, v36, v33
	v_ldexp_f32 v33, v34, v33
	v_mul_f32_e32 v34, v33, v33
	v_mov_b32_e32 v35, 0xbc7a590c
	v_fmac_f32_e32 v35, 0x3b2d2a58, v34
	v_fma_f32 v35, v34, v35, v18
	v_fma_f32 v35, v34, v35, v19
	;; [unrolled: 1-line block ×6, first 2 shown]
	v_mul_f32_e32 v34, v34, v35
	v_fmac_f32_e32 v33, v33, v34
	v_sub_f32_e32 v34, 0x3fc90fdb, v33
	v_cndmask_b32_e64 v33, v33, v34, s[8:9]
	v_sub_f32_e32 v34, 0x40490fdb, v33
	v_cmp_gt_f32_e32 vcc, 0, v13
	v_cndmask_b32_e32 v33, v33, v34, vcc
	v_cndmask_b32_e64 v34, 0, v27, s[10:11]
	v_cmp_eq_f32_e64 s[10:11], 0, v14
	v_cndmask_b32_e64 v33, v33, v34, s[10:11]
	v_cmp_class_f32_e64 s[10:11], v13, s49
	v_cndmask_b32_e32 v34, v28, v29, vcc
	s_and_b64 vcc, s[30:31], s[10:11]
	v_mul_f32_e32 v15, 0.5, v15
	v_cndmask_b32_e32 v33, v33, v34, vcc
.LBB180_200:                            ;   in Loop: Header=BB180_145 Depth=1
	s_or_b64 exec, exec, s[28:29]
.LBB180_201:                            ;   in Loop: Header=BB180_145 Depth=1
	s_or_b64 exec, exec, s[26:27]
.LBB180_202:                            ;   in Loop: Header=BB180_145 Depth=1
	s_andn2_saveexec_b64 s[24:25], s[24:25]
	s_cbranch_execz .LBB180_204
; %bb.203:                              ;   in Loop: Header=BB180_145 Depth=1
	v_max_f32_e64 v15, |v14|, |v14|
	v_max_f32_e64 v35, |v13|, |v13|
	v_max_f32_e32 v36, v35, v15
	v_cvt_f64_f32_e32 v[33:34], v36
	v_min_f32_e32 v15, v35, v15
	v_frexp_mant_f32_e32 v35, v36
	v_rcp_f32_e32 v35, v35
	v_frexp_exp_i32_f64_e32 v33, v[33:34]
	v_cmp_neq_f32_e32 vcc, s47, v36
	v_frexp_exp_i32_f32_e32 v37, v15
	v_frexp_mant_f32_e32 v15, v15
	v_mul_f32_e32 v15, v15, v35
	v_frexp_exp_i32_f32_e32 v34, v36
	v_sub_u32_e32 v34, v37, v34
	v_ldexp_f32 v34, v15, v34
	v_sub_u32_e32 v38, 0, v33
	v_ldexp_f32 v39, |v13|, v38
	v_ldexp_f32 v38, |v14|, v38
	v_mul_f32_e32 v38, v38, v38
	v_fmac_f32_e32 v38, v39, v39
	v_sqrt_f32_e32 v38, v38
	v_cmp_gt_i32_e64 s[10:11], 0, v13
	v_cmp_class_f32_e64 s[26:27], v14, s49
	v_ldexp_f32 v33, v38, v33
	v_cndmask_b32_e32 v33, v24, v33, vcc
	v_cmp_gt_f32_e32 vcc, s51, v33
	v_cndmask_b32_e64 v35, 0, 32, vcc
	v_ldexp_f32 v33, v33, v35
	v_log_f32_e32 v33, v33
	v_cndmask_b32_e32 v15, 0, v30, vcc
	v_mul_f32_e32 v35, v34, v34
	v_mul_f32_e32 v36, 0x3f317217, v33
	v_fma_f32 v36, v33, s52, -v36
	v_fmac_f32_e32 v36, 0x3377d1cf, v33
	v_fmac_f32_e32 v36, 0x3f317217, v33
	v_cmp_lt_f32_e64 vcc, |v33|, s47
	v_cndmask_b32_e32 v33, v33, v36, vcc
	v_sub_f32_e32 v15, v33, v15
	v_mov_b32_e32 v33, 0xbc7a590c
	v_fmac_f32_e32 v33, 0x3b2d2a58, v35
	v_fma_f32 v33, v35, v33, v18
	v_fma_f32 v33, v35, v33, v19
	;; [unrolled: 1-line block ×6, first 2 shown]
	v_mul_f32_e32 v33, v35, v33
	v_fmac_f32_e32 v34, v34, v33
	v_sub_f32_e32 v33, 0x3fc90fdb, v34
	v_cndmask_b32_e64 v33, v34, v33, s[8:9]
	v_sub_f32_e32 v34, 0x40490fdb, v33
	v_cmp_gt_f32_e32 vcc, 0, v13
	v_cndmask_b32_e32 v33, v33, v34, vcc
	v_cndmask_b32_e64 v34, 0, v27, s[10:11]
	v_cmp_eq_f32_e64 s[10:11], 0, v14
	v_cndmask_b32_e64 v33, v33, v34, s[10:11]
	v_cmp_class_f32_e64 s[10:11], v13, s49
	v_cndmask_b32_e32 v34, v28, v29, vcc
	s_and_b64 vcc, s[26:27], s[10:11]
	v_cndmask_b32_e32 v33, v33, v34, vcc
.LBB180_204:                            ;   in Loop: Header=BB180_145 Depth=1
	s_or_b64 exec, exec, s[24:25]
                                        ; implicit-def: $vgpr34
.LBB180_205:                            ;   in Loop: Header=BB180_145 Depth=1
	s_andn2_saveexec_b64 s[22:23], s[22:23]
	s_cbranch_execz .LBB180_211
; %bb.206:                              ;   in Loop: Header=BB180_145 Depth=1
	v_cmp_ngt_f32_e32 vcc, s53, v34
                                        ; implicit-def: $vgpr15
                                        ; implicit-def: $vgpr33
	s_and_saveexec_b64 s[10:11], vcc
	s_xor_b64 s[24:25], exec, s[10:11]
	s_cbranch_execz .LBB180_208
; %bb.207:                              ;   in Loop: Header=BB180_145 Depth=1
	v_mul_f32_e32 v15, v34, v34
	v_add_f32_e32 v35, 1.0, v15
	v_cvt_f64_f32_e32 v[33:34], v35
	v_add_f32_e32 v36, -1.0, v35
	v_sub_f32_e32 v37, v36, v35
	v_sub_f32_e32 v36, v15, v36
	v_frexp_exp_i32_f64_e32 v33, v[33:34]
	v_frexp_mant_f32_e32 v34, v35
	v_cmp_gt_f32_e32 vcc, s45, v34
	v_add_f32_e32 v37, 1.0, v37
	v_add_f32_e32 v36, v36, v37
	v_cmp_gt_i32_e64 s[10:11], 0, v13
	v_cmp_class_f32_e64 s[26:27], v14, s49
	v_subbrev_co_u32_e32 v33, vcc, 0, v33, vcc
	v_sub_u32_e32 v34, 0, v33
	v_ldexp_f32 v35, v35, v34
	v_ldexp_f32 v34, v36, v34
	v_add_f32_e32 v36, -1.0, v35
	v_add_f32_e32 v37, 1.0, v35
	v_add_f32_e32 v38, 1.0, v36
	v_add_f32_e32 v40, -1.0, v37
	v_sub_f32_e32 v38, v35, v38
	v_sub_f32_e32 v35, v35, v40
	v_add_f32_e32 v38, v34, v38
	v_add_f32_e32 v34, v34, v35
	v_add_f32_e32 v35, v37, v34
	v_rcp_f32_e32 v40, v35
	v_add_f32_e32 v39, v36, v38
	v_sub_f32_e32 v37, v37, v35
	v_sub_f32_e32 v36, v36, v39
	v_add_f32_e32 v34, v34, v37
	v_mul_f32_e32 v37, v39, v40
	v_add_f32_e32 v36, v38, v36
	v_mul_f32_e32 v38, v35, v37
	v_fma_f32 v41, v37, v35, -v38
	v_fmac_f32_e32 v41, v37, v34
	v_add_f32_e32 v42, v38, v41
	v_sub_f32_e32 v43, v39, v42
	v_sub_f32_e32 v39, v39, v43
	;; [unrolled: 1-line block ×4, first 2 shown]
	v_add_f32_e32 v36, v36, v39
	v_sub_f32_e32 v38, v38, v41
	v_add_f32_e32 v36, v38, v36
	v_add_f32_e32 v38, v43, v36
	v_mul_f32_e32 v39, v40, v38
	v_mul_f32_e32 v41, v35, v39
	v_fma_f32 v35, v39, v35, -v41
	v_fmac_f32_e32 v35, v39, v34
	v_sub_f32_e32 v34, v43, v38
	v_add_f32_e32 v34, v36, v34
	v_add_f32_e32 v36, v41, v35
	v_sub_f32_e32 v42, v38, v36
	v_sub_f32_e32 v38, v38, v42
	;; [unrolled: 1-line block ×4, first 2 shown]
	v_add_f32_e32 v34, v34, v36
	v_sub_f32_e32 v35, v41, v35
	v_cvt_f32_i32_e32 v33, v33
	v_add_f32_e32 v34, v35, v34
	v_add_f32_e32 v35, v37, v39
	v_add_f32_e32 v34, v42, v34
	v_sub_f32_e32 v36, v35, v37
	v_mul_f32_e32 v34, v40, v34
	v_sub_f32_e32 v36, v39, v36
	v_add_f32_e32 v34, v36, v34
	v_mul_f32_e32 v39, 0x3f317218, v33
	v_add_f32_e32 v36, v35, v34
	v_fma_f32 v40, v33, s46, -v39
	v_mul_f32_e32 v37, v36, v36
	v_mov_b32_e32 v38, 0x3ecc95a3
	v_fmac_f32_e32 v40, 0xb102e308, v33
	v_sub_f32_e32 v33, v36, v35
	v_fmac_f32_e32 v38, 0x3e9b6dac, v37
	v_sub_f32_e32 v33, v34, v33
	v_add_f32_e32 v34, v39, v40
	v_fma_f32 v38, v37, v38, v17
	v_sub_f32_e32 v35, v34, v39
	v_ldexp_f32 v39, v36, 1
	v_mul_f32_e32 v36, v36, v37
	v_mul_f32_e32 v36, v36, v38
	v_add_f32_e32 v37, v39, v36
	v_sub_f32_e32 v38, v37, v39
	v_ldexp_f32 v33, v33, 1
	v_sub_f32_e32 v36, v36, v38
	v_add_f32_e32 v33, v33, v36
	v_add_f32_e32 v36, v37, v33
	v_sub_f32_e32 v37, v36, v37
	v_sub_f32_e32 v33, v33, v37
	v_add_f32_e32 v37, v34, v36
	v_sub_f32_e32 v38, v37, v34
	v_sub_f32_e32 v39, v37, v38
	v_sub_f32_e32 v35, v40, v35
	v_sub_f32_e32 v34, v34, v39
	v_sub_f32_e32 v36, v36, v38
	v_add_f32_e32 v34, v36, v34
	v_add_f32_e32 v36, v35, v33
	v_sub_f32_e32 v38, v36, v35
	v_sub_f32_e32 v39, v36, v38
	;; [unrolled: 1-line block ×4, first 2 shown]
	v_add_f32_e32 v34, v36, v34
	v_add_f32_e32 v33, v33, v35
	;; [unrolled: 1-line block ×3, first 2 shown]
	v_sub_f32_e32 v36, v35, v37
	v_sub_f32_e32 v34, v34, v36
	v_add_f32_e32 v33, v33, v34
	v_add_f32_e32 v33, v35, v33
	v_cmp_neq_f32_e32 vcc, s47, v15
	v_cndmask_b32_e32 v33, v24, v33, vcc
	v_cmp_lt_f32_e64 vcc, |v15|, s48
	v_cndmask_b32_e32 v15, v33, v15, vcc
	v_max_f32_e64 v33, |v14|, |v14|
	v_max_f32_e64 v34, |v13|, |v13|
	v_min_f32_e32 v35, v34, v33
	v_max_f32_e32 v33, v34, v33
	v_frexp_mant_f32_e32 v34, v33
	v_rcp_f32_e32 v34, v34
	v_frexp_exp_i32_f32_e32 v33, v33
	v_frexp_exp_i32_f32_e32 v36, v35
	v_frexp_mant_f32_e32 v35, v35
	v_mul_f32_e32 v34, v35, v34
	v_sub_u32_e32 v33, v36, v33
	v_ldexp_f32 v33, v34, v33
	v_mul_f32_e32 v34, v33, v33
	v_mov_b32_e32 v35, 0xbc7a590c
	v_fmac_f32_e32 v35, 0x3b2d2a58, v34
	v_fma_f32 v35, v34, v35, v18
	v_fma_f32 v35, v34, v35, v19
	v_fma_f32 v35, v34, v35, v20
	v_fma_f32 v35, v34, v35, v21
	v_fma_f32 v35, v34, v35, v22
	v_fma_f32 v35, v34, v35, v23
	v_mul_f32_e32 v34, v34, v35
	v_fmac_f32_e32 v33, v33, v34
	v_sub_f32_e32 v34, 0x3fc90fdb, v33
	v_cndmask_b32_e64 v33, v33, v34, s[8:9]
	v_sub_f32_e32 v34, 0x40490fdb, v33
	v_cmp_gt_f32_e32 vcc, 0, v13
	v_cndmask_b32_e32 v33, v33, v34, vcc
	v_cndmask_b32_e64 v34, 0, v27, s[10:11]
	v_cmp_eq_f32_e64 s[10:11], 0, v14
	v_cndmask_b32_e64 v33, v33, v34, s[10:11]
	v_cmp_class_f32_e64 s[10:11], v13, s49
	v_cndmask_b32_e32 v34, v28, v29, vcc
	s_and_b64 vcc, s[26:27], s[10:11]
	v_mul_f32_e32 v15, 0.5, v15
	v_cndmask_b32_e32 v33, v33, v34, vcc
                                        ; implicit-def: $vgpr34
.LBB180_208:                            ;   in Loop: Header=BB180_145 Depth=1
	s_andn2_saveexec_b64 s[24:25], s[24:25]
	s_cbranch_execz .LBB180_210
; %bb.209:                              ;   in Loop: Header=BB180_145 Depth=1
	v_mul_f32_e32 v15, 0.5, v34
	v_mul_f32_e32 v15, v34, v15
	v_max_f32_e64 v33, |v14|, |v14|
	v_max_f32_e64 v34, |v13|, |v13|
	v_min_f32_e32 v35, v34, v33
	v_max_f32_e32 v33, v34, v33
	v_frexp_mant_f32_e32 v34, v33
	v_rcp_f32_e32 v34, v34
	v_frexp_exp_i32_f32_e32 v33, v33
	v_frexp_exp_i32_f32_e32 v36, v35
	v_frexp_mant_f32_e32 v35, v35
	v_mul_f32_e32 v34, v35, v34
	v_sub_u32_e32 v33, v36, v33
	v_ldexp_f32 v33, v34, v33
	v_mul_f32_e32 v34, v33, v33
	v_mov_b32_e32 v35, 0xbc7a590c
	v_fmac_f32_e32 v35, 0x3b2d2a58, v34
	v_fma_f32 v35, v34, v35, v18
	v_fma_f32 v35, v34, v35, v19
	;; [unrolled: 1-line block ×6, first 2 shown]
	v_mul_f32_e32 v34, v34, v35
	v_fmac_f32_e32 v33, v33, v34
	v_sub_f32_e32 v34, 0x3fc90fdb, v33
	v_cndmask_b32_e64 v33, v33, v34, s[8:9]
	v_sub_f32_e32 v34, 0x40490fdb, v33
	v_cmp_gt_f32_e32 vcc, 0, v13
	v_cmp_gt_i32_e64 s[10:11], 0, v13
	v_cndmask_b32_e32 v33, v33, v34, vcc
	v_cndmask_b32_e64 v34, 0, v27, s[10:11]
	v_cmp_eq_f32_e64 s[10:11], 0, v14
	v_cndmask_b32_e64 v33, v33, v34, s[10:11]
	v_cmp_class_f32_e64 s[10:11], v13, s49
	v_cmp_class_f32_e64 s[26:27], v14, s49
	v_cndmask_b32_e32 v34, v28, v29, vcc
	s_and_b64 vcc, s[26:27], s[10:11]
	v_cndmask_b32_e32 v33, v33, v34, vcc
.LBB180_210:                            ;   in Loop: Header=BB180_145 Depth=1
	s_or_b64 exec, exec, s[24:25]
.LBB180_211:                            ;   in Loop: Header=BB180_145 Depth=1
	s_or_b64 exec, exec, s[22:23]
.LBB180_212:                            ;   in Loop: Header=BB180_145 Depth=1
	s_andn2_saveexec_b64 s[20:21], s[20:21]
	s_cbranch_execz .LBB180_214
; %bb.213:                              ;   in Loop: Header=BB180_145 Depth=1
	v_div_scale_f32 v15, s[10:11], s54, s54, v13
	v_div_scale_f32 v33, s[10:11], s54, s54, v14
	v_div_scale_f32 v34, vcc, v13, s54, v13
	v_div_scale_f32 v35, s[10:11], v14, s54, v14
	v_rcp_f32_e32 v36, v15
	v_rcp_f32_e32 v37, v33
	v_fma_f32 v38, -v15, v36, 1.0
	v_fmac_f32_e32 v36, v38, v36
	v_fma_f32 v39, -v33, v37, 1.0
	v_fmac_f32_e32 v37, v39, v37
	v_mul_f32_e32 v38, v34, v36
	v_mul_f32_e32 v39, v35, v37
	v_fma_f32 v40, -v15, v38, v34
	v_fma_f32 v41, -v33, v39, v35
	v_fmac_f32_e32 v38, v40, v36
	v_fmac_f32_e32 v39, v41, v37
	v_fma_f32 v15, -v15, v38, v34
	v_fma_f32 v33, -v33, v39, v35
	v_div_fmas_f32 v15, v15, v36, v38
	s_mov_b64 vcc, s[10:11]
	v_div_fmas_f32 v33, v33, v37, v39
	v_max_f32_e64 v34, |v14|, |v14|
	v_max_f32_e64 v35, |v13|, |v13|
	v_min_f32_e32 v37, v35, v34
	v_max_f32_e32 v34, v35, v34
	v_frexp_exp_i32_f32_e32 v35, v34
	v_frexp_exp_i32_f32_e32 v38, v37
	v_sub_u32_e32 v35, v38, v35
	v_frexp_mant_f32_e32 v34, v34
	v_rcp_f32_e32 v39, v34
	v_frexp_mant_f32_e32 v37, v37
	v_mov_b32_e32 v36, 0xbc7a590c
	v_cmp_class_f32_e64 s[10:11], v14, s49
	v_mul_f32_e32 v37, v37, v39
	v_div_fixup_f32 v15, v15, s54, v13
	v_ldexp_f32 v35, v37, v35
	v_div_fixup_f32 v38, v33, s54, v14
	v_max_f32_e64 v40, |v15|, |v38|
	v_cvt_f64_f32_e32 v[33:34], v40
	v_mul_f32_e32 v37, v35, v35
	v_fmac_f32_e32 v36, 0x3b2d2a58, v37
	v_cmp_neq_f32_e32 vcc, s47, v40
	v_frexp_exp_i32_f64_e32 v33, v[33:34]
	v_fma_f32 v34, v37, v36, v18
	v_fma_f32 v34, v37, v34, v19
	;; [unrolled: 1-line block ×6, first 2 shown]
	v_mul_f32_e32 v34, v37, v34
	v_sub_u32_e32 v36, 0, v33
	v_ldexp_f32 v15, |v15|, v36
	v_ldexp_f32 v36, |v38|, v36
	v_mul_f32_e32 v36, v36, v36
	v_fmac_f32_e32 v36, v15, v15
	v_sqrt_f32_e32 v15, v36
	v_fmac_f32_e32 v35, v35, v34
	v_sub_f32_e32 v34, 0x3fc90fdb, v35
	v_ldexp_f32 v15, v15, v33
	v_cndmask_b32_e32 v15, v24, v15, vcc
	v_cmp_gt_f32_e32 vcc, s51, v15
	v_cndmask_b32_e64 v33, 0, 32, vcc
	v_ldexp_f32 v15, v15, v33
	v_log_f32_e32 v15, v15
	v_cndmask_b32_e64 v33, v35, v34, s[8:9]
	v_cndmask_b32_e32 v35, 0, v30, vcc
	v_sub_f32_e32 v34, 0x40490fdb, v33
	v_mul_f32_e32 v36, 0x3f317217, v15
	v_fma_f32 v36, v15, s52, -v36
	v_fmac_f32_e32 v36, 0x3377d1cf, v15
	v_fmac_f32_e32 v36, 0x3f317217, v15
	v_cmp_lt_f32_e64 vcc, |v15|, s47
	v_cndmask_b32_e32 v15, v15, v36, vcc
	v_cmp_gt_f32_e32 vcc, 0, v13
	v_cmp_gt_i32_e64 s[8:9], 0, v13
	v_cndmask_b32_e32 v33, v33, v34, vcc
	v_cndmask_b32_e64 v34, 0, v27, s[8:9]
	v_cmp_eq_f32_e64 s[8:9], 0, v14
	v_cndmask_b32_e64 v33, v33, v34, s[8:9]
	v_cmp_class_f32_e64 s[8:9], v13, s49
	v_sub_f32_e32 v15, v15, v35
	v_cndmask_b32_e32 v34, v28, v29, vcc
	s_and_b64 vcc, s[10:11], s[8:9]
	v_add_f32_e32 v15, 1.0, v15
	v_cndmask_b32_e32 v33, v33, v34, vcc
.LBB180_214:                            ;   in Loop: Header=BB180_145 Depth=1
	s_or_b64 exec, exec, s[20:21]
.LBB180_215:                            ;   in Loop: Header=BB180_145 Depth=1
	s_andn2_saveexec_b64 s[8:9], s[18:19]
	s_cbranch_execz .LBB180_221
; %bb.216:                              ;   in Loop: Header=BB180_145 Depth=1
	v_cmp_nlt_f32_e64 s[10:11], |v13|, s55
	v_cmp_nlt_f32_e64 s[18:19], |v14|, s55
	s_or_b64 s[10:11], s[18:19], s[10:11]
                                        ; implicit-def: $vgpr15
	s_and_saveexec_b64 s[18:19], s[10:11]
	s_xor_b64 s[10:11], exec, s[18:19]
; %bb.217:                              ;   in Loop: Header=BB180_145 Depth=1
	v_mul_f32_e32 v15, v13, v13
	v_fmac_f32_e32 v15, v14, v14
; %bb.218:                              ;   in Loop: Header=BB180_145 Depth=1
	s_andn2_saveexec_b64 s[10:11], s[10:11]
; %bb.219:                              ;   in Loop: Header=BB180_145 Depth=1
	v_mul_f32_e32 v13, 4.0, v13
	v_mul_f32_e32 v15, 4.0, v14
	v_mul_f32_e32 v13, v13, v13
	v_fmac_f32_e32 v13, v15, v15
	v_mul_f32_e32 v15, 0x3d800000, v13
; %bb.220:                              ;   in Loop: Header=BB180_145 Depth=1
	s_or_b64 exec, exec, s[10:11]
	v_cmp_gt_f32_e32 vcc, s51, v15
	v_cndmask_b32_e64 v13, 0, 32, vcc
	v_ldexp_f32 v13, v15, v13
	v_log_f32_e32 v13, v13
	v_cndmask_b32_e32 v15, 0, v30, vcc
	v_mul_f32_e32 v33, 0x3f317217, v13
	v_fma_f32 v33, v13, s52, -v33
	v_fmac_f32_e32 v33, 0x3377d1cf, v13
	v_fmac_f32_e32 v33, 0x3f317217, v13
	v_cmp_lt_f32_e64 vcc, |v13|, s47
	v_cndmask_b32_e32 v13, v13, v33, vcc
	v_sub_f32_e32 v15, v13, v15
	v_mov_b32_e32 v33, 0x7fc00000
.LBB180_221:                            ;   in Loop: Header=BB180_145 Depth=1
	s_or_b64 exec, exec, s[8:9]
	v_cmp_o_f32_e32 vcc, v8, v7
                                        ; implicit-def: $vgpr13
                                        ; implicit-def: $vgpr34
	s_and_saveexec_b64 s[8:9], vcc
	s_xor_b64 s[18:19], exec, s[8:9]
	s_cbranch_execz .LBB180_249
; %bb.222:                              ;   in Loop: Header=BB180_145 Depth=1
	v_cmp_lt_f32_e64 s[8:9], |v7|, |v8|
	v_cndmask_b32_e64 v35, |v8|, |v7|, s[8:9]
	v_cmp_nlt_f32_e32 vcc, s42, v35
                                        ; implicit-def: $vgpr13
                                        ; implicit-def: $vgpr34
	s_and_saveexec_b64 s[10:11], vcc
	s_xor_b64 s[20:21], exec, s[10:11]
	s_cbranch_execz .LBB180_246
; %bb.223:                              ;   in Loop: Header=BB180_145 Depth=1
	v_and_b32_e32 v13, 0x7fffffff, v8
	v_cndmask_b32_e64 v36, |v7|, v13, s[8:9]
	v_cmp_neq_f32_e32 vcc, 1.0, v36
                                        ; implicit-def: $vgpr13
                                        ; implicit-def: $vgpr34
	s_and_saveexec_b64 s[10:11], vcc
	s_xor_b64 s[22:23], exec, s[10:11]
	s_cbranch_execz .LBB180_239
; %bb.224:                              ;   in Loop: Header=BB180_145 Depth=1
	v_max_f32_e32 v13, v35, v35
	v_max_f32_e32 v34, v36, v36
	v_min_f32_e32 v37, v34, v13
	v_max_f32_e32 v13, v34, v13
	v_cmp_ngt_f32_e32 vcc, s43, v37
	v_cmp_nlt_f32_e64 s[10:11], s44, v13
	s_and_b64 s[10:11], s[10:11], vcc
                                        ; implicit-def: $vgpr13
                                        ; implicit-def: $vgpr34
	s_and_saveexec_b64 s[24:25], s[10:11]
	s_xor_b64 s[24:25], exec, s[24:25]
	s_cbranch_execz .LBB180_236
; %bb.225:                              ;   in Loop: Header=BB180_145 Depth=1
	v_cmp_le_f32_e32 vcc, 1.0, v36
                                        ; implicit-def: $vgpr13
                                        ; implicit-def: $vgpr34
	s_and_saveexec_b64 s[10:11], vcc
	s_xor_b64 s[26:27], exec, s[10:11]
	s_cbranch_execz .LBB180_227
; %bb.226:                              ;   in Loop: Header=BB180_145 Depth=1
	v_add_f32_e32 v13, -1.0, v36
	v_add_f32_e32 v34, 1.0, v36
	v_mul_f32_e32 v13, v13, v34
	v_fmac_f32_e32 v13, v35, v35
	v_add_f32_e32 v36, 1.0, v13
	v_cvt_f64_f32_e32 v[34:35], v36
	v_add_f32_e32 v37, -1.0, v36
	v_sub_f32_e32 v38, v37, v36
	v_sub_f32_e32 v37, v13, v37
	v_frexp_exp_i32_f64_e32 v34, v[34:35]
	v_frexp_mant_f32_e32 v35, v36
	v_cmp_gt_f32_e32 vcc, s45, v35
	v_add_f32_e32 v38, 1.0, v38
	v_add_f32_e32 v37, v37, v38
	v_cmp_gt_i32_e64 s[10:11], 0, v7
	v_cmp_class_f32_e64 s[28:29], v8, s49
	v_subbrev_co_u32_e32 v34, vcc, 0, v34, vcc
	v_sub_u32_e32 v35, 0, v34
	v_ldexp_f32 v36, v36, v35
	v_ldexp_f32 v35, v37, v35
	v_add_f32_e32 v37, -1.0, v36
	v_add_f32_e32 v40, 1.0, v36
	v_add_f32_e32 v38, 1.0, v37
	v_add_f32_e32 v41, -1.0, v40
	v_sub_f32_e32 v38, v36, v38
	v_sub_f32_e32 v36, v36, v41
	v_add_f32_e32 v38, v35, v38
	v_add_f32_e32 v35, v35, v36
	;; [unrolled: 1-line block ×3, first 2 shown]
	v_rcp_f32_e32 v41, v36
	v_add_f32_e32 v39, v37, v38
	v_sub_f32_e32 v37, v39, v37
	v_sub_f32_e32 v37, v38, v37
	;; [unrolled: 1-line block ×4, first 2 shown]
	v_mul_f32_e32 v38, v39, v41
	v_mul_f32_e32 v40, v36, v38
	v_fma_f32 v42, v38, v36, -v40
	v_fmac_f32_e32 v42, v38, v35
	v_add_f32_e32 v43, v40, v42
	v_sub_f32_e32 v44, v39, v43
	v_sub_f32_e32 v39, v39, v44
	;; [unrolled: 1-line block ×4, first 2 shown]
	v_add_f32_e32 v37, v37, v39
	v_sub_f32_e32 v39, v40, v42
	v_add_f32_e32 v37, v39, v37
	v_add_f32_e32 v39, v44, v37
	v_mul_f32_e32 v40, v41, v39
	v_mul_f32_e32 v42, v36, v40
	v_fma_f32 v36, v40, v36, -v42
	v_fmac_f32_e32 v36, v40, v35
	v_sub_f32_e32 v35, v44, v39
	v_add_f32_e32 v35, v37, v35
	v_add_f32_e32 v37, v42, v36
	v_sub_f32_e32 v43, v39, v37
	v_sub_f32_e32 v39, v39, v43
	;; [unrolled: 1-line block ×4, first 2 shown]
	v_add_f32_e32 v35, v35, v37
	v_sub_f32_e32 v36, v42, v36
	v_cvt_f32_i32_e32 v34, v34
	v_add_f32_e32 v35, v36, v35
	v_add_f32_e32 v36, v38, v40
	;; [unrolled: 1-line block ×3, first 2 shown]
	v_sub_f32_e32 v37, v36, v38
	v_mul_f32_e32 v35, v41, v35
	v_sub_f32_e32 v37, v40, v37
	v_add_f32_e32 v35, v37, v35
	v_mul_f32_e32 v40, 0x3f317218, v34
	v_add_f32_e32 v37, v36, v35
	v_fma_f32 v41, v34, s46, -v40
	v_mul_f32_e32 v38, v37, v37
	v_mov_b32_e32 v39, 0x3ecc95a3
	v_fmac_f32_e32 v41, 0xb102e308, v34
	v_sub_f32_e32 v34, v37, v36
	v_fmac_f32_e32 v39, 0x3e9b6dac, v38
	v_sub_f32_e32 v34, v35, v34
	v_add_f32_e32 v35, v40, v41
	v_fma_f32 v39, v38, v39, v17
	v_sub_f32_e32 v36, v35, v40
	v_ldexp_f32 v40, v37, 1
	v_mul_f32_e32 v37, v37, v38
	v_mul_f32_e32 v37, v37, v39
	v_add_f32_e32 v38, v40, v37
	v_sub_f32_e32 v39, v38, v40
	v_ldexp_f32 v34, v34, 1
	v_sub_f32_e32 v37, v37, v39
	v_add_f32_e32 v34, v34, v37
	v_add_f32_e32 v37, v38, v34
	v_sub_f32_e32 v38, v37, v38
	v_sub_f32_e32 v34, v34, v38
	v_add_f32_e32 v38, v35, v37
	v_sub_f32_e32 v39, v38, v35
	v_sub_f32_e32 v40, v38, v39
	;; [unrolled: 1-line block ×5, first 2 shown]
	v_add_f32_e32 v35, v37, v35
	v_add_f32_e32 v37, v36, v34
	v_sub_f32_e32 v39, v37, v36
	v_sub_f32_e32 v40, v37, v39
	;; [unrolled: 1-line block ×4, first 2 shown]
	v_add_f32_e32 v35, v37, v35
	v_add_f32_e32 v34, v34, v36
	;; [unrolled: 1-line block ×3, first 2 shown]
	v_sub_f32_e32 v37, v36, v38
	v_sub_f32_e32 v35, v35, v37
	v_add_f32_e32 v34, v34, v35
	v_add_f32_e32 v34, v36, v34
	v_cmp_neq_f32_e32 vcc, s47, v13
	v_cndmask_b32_e32 v34, v24, v34, vcc
	v_cmp_ngt_f32_e32 vcc, -1.0, v13
	v_cndmask_b32_e32 v34, v25, v34, vcc
	v_cmp_neq_f32_e32 vcc, -1.0, v13
	v_cndmask_b32_e32 v34, v26, v34, vcc
	v_cmp_lt_f32_e64 vcc, |v13|, s48
	v_cndmask_b32_e32 v13, v34, v13, vcc
	v_max_f32_e64 v34, |v8|, |v8|
	v_max_f32_e64 v35, |v7|, |v7|
	v_min_f32_e32 v36, v35, v34
	v_max_f32_e32 v34, v35, v34
	v_frexp_mant_f32_e32 v35, v34
	v_rcp_f32_e32 v35, v35
	v_frexp_exp_i32_f32_e32 v34, v34
	v_frexp_exp_i32_f32_e32 v37, v36
	v_frexp_mant_f32_e32 v36, v36
	v_mul_f32_e32 v35, v36, v35
	v_sub_u32_e32 v34, v37, v34
	v_ldexp_f32 v34, v35, v34
	v_mul_f32_e32 v35, v34, v34
	v_mov_b32_e32 v36, 0xbc7a590c
	v_fmac_f32_e32 v36, 0x3b2d2a58, v35
	v_fma_f32 v36, v35, v36, v18
	v_fma_f32 v36, v35, v36, v19
	;; [unrolled: 1-line block ×6, first 2 shown]
	v_mul_f32_e32 v35, v35, v36
	v_fmac_f32_e32 v34, v34, v35
	v_sub_f32_e32 v35, 0x3fc90fdb, v34
	v_cndmask_b32_e64 v34, v34, v35, s[8:9]
	v_sub_f32_e32 v35, 0x40490fdb, v34
	v_cmp_gt_f32_e32 vcc, 0, v7
	v_cndmask_b32_e32 v34, v34, v35, vcc
	v_cndmask_b32_e64 v35, 0, v27, s[10:11]
	v_cmp_eq_f32_e64 s[10:11], 0, v8
	v_cndmask_b32_e64 v34, v34, v35, s[10:11]
	v_cmp_class_f32_e64 s[10:11], v7, s49
	v_cndmask_b32_e32 v35, v28, v29, vcc
	s_and_b64 vcc, s[28:29], s[10:11]
	v_mul_f32_e32 v13, 0.5, v13
	v_cndmask_b32_e32 v34, v34, v35, vcc
                                        ; implicit-def: $vgpr35
                                        ; implicit-def: $vgpr36
.LBB180_227:                            ;   in Loop: Header=BB180_145 Depth=1
	s_andn2_saveexec_b64 s[26:27], s[26:27]
	s_cbranch_execz .LBB180_235
; %bb.228:                              ;   in Loop: Header=BB180_145 Depth=1
	v_mul_f32_e32 v37, v35, v35
	v_fmac_f32_e32 v37, v36, v36
	v_cmp_ge_f32_e32 vcc, s50, v37
                                        ; implicit-def: $vgpr13
                                        ; implicit-def: $vgpr34
	s_and_saveexec_b64 s[10:11], vcc
	s_xor_b64 s[28:29], exec, s[10:11]
	s_cbranch_execz .LBB180_230
; %bb.229:                              ;   in Loop: Header=BB180_145 Depth=1
	v_cmp_gt_f32_e32 vcc, s51, v37
	v_cndmask_b32_e64 v13, 0, 32, vcc
	v_ldexp_f32 v13, v37, v13
	v_log_f32_e32 v13, v13
	v_cndmask_b32_e32 v34, 0, v30, vcc
	v_cmp_gt_i32_e64 s[10:11], 0, v7
	v_cmp_class_f32_e64 s[30:31], v8, s49
	v_mul_f32_e32 v35, 0x3f317217, v13
	v_fma_f32 v35, v13, s52, -v35
	v_fmac_f32_e32 v35, 0x3377d1cf, v13
	v_fmac_f32_e32 v35, 0x3f317217, v13
	v_cmp_lt_f32_e64 vcc, |v13|, s47
	v_cndmask_b32_e32 v13, v13, v35, vcc
	v_sub_f32_e32 v13, v13, v34
	v_max_f32_e64 v34, |v8|, |v8|
	v_max_f32_e64 v35, |v7|, |v7|
	v_min_f32_e32 v36, v35, v34
	v_max_f32_e32 v34, v35, v34
	v_frexp_mant_f32_e32 v35, v34
	v_rcp_f32_e32 v35, v35
	v_frexp_exp_i32_f32_e32 v34, v34
	v_frexp_exp_i32_f32_e32 v37, v36
	v_frexp_mant_f32_e32 v36, v36
	v_mul_f32_e32 v35, v36, v35
	v_sub_u32_e32 v34, v37, v34
	v_ldexp_f32 v34, v35, v34
	v_mul_f32_e32 v35, v34, v34
	v_mov_b32_e32 v36, 0xbc7a590c
	v_fmac_f32_e32 v36, 0x3b2d2a58, v35
	v_fma_f32 v36, v35, v36, v18
	v_fma_f32 v36, v35, v36, v19
	;; [unrolled: 1-line block ×6, first 2 shown]
	v_mul_f32_e32 v35, v35, v36
	v_fmac_f32_e32 v34, v34, v35
	v_sub_f32_e32 v35, 0x3fc90fdb, v34
	v_cndmask_b32_e64 v34, v34, v35, s[8:9]
	v_sub_f32_e32 v35, 0x40490fdb, v34
	v_cmp_gt_f32_e32 vcc, 0, v7
	v_cndmask_b32_e32 v34, v34, v35, vcc
	v_cndmask_b32_e64 v35, 0, v27, s[10:11]
	v_cmp_eq_f32_e64 s[10:11], 0, v8
	v_cndmask_b32_e64 v34, v34, v35, s[10:11]
	v_cmp_class_f32_e64 s[10:11], v7, s49
	v_cndmask_b32_e32 v35, v28, v29, vcc
	s_and_b64 vcc, s[30:31], s[10:11]
	v_mul_f32_e32 v13, 0.5, v13
	v_cndmask_b32_e32 v34, v34, v35, vcc
                                        ; implicit-def: $vgpr36
                                        ; implicit-def: $vgpr35
.LBB180_230:                            ;   in Loop: Header=BB180_145 Depth=1
	s_andn2_saveexec_b64 s[28:29], s[28:29]
	s_cbranch_execz .LBB180_234
; %bb.231:                              ;   in Loop: Header=BB180_145 Depth=1
	v_and_b32_e32 v37, 0x7fff0000, v36
	v_sub_f32_e32 v13, v36, v37
	v_and_b32_e32 v41, 0xffff0000, v13
	v_and_b32_e32 v36, 0x7fff0000, v35
	v_sub_f32_e32 v43, v13, v41
	v_sub_f32_e32 v13, v35, v36
	v_and_b32_e32 v42, 0xffff0000, v13
	v_add_f32_e32 v38, v37, v37
	v_add_f32_e32 v45, v36, v36
	v_sub_f32_e32 v44, v13, v42
	v_mul_f32_e32 v13, v37, v37
	v_mul_f32_e32 v34, v36, v36
	;; [unrolled: 1-line block ×6, first 2 shown]
	v_add_f32_e32 v41, v41, v41
	v_add_f32_e32 v42, v42, v42
	v_mul_f32_e32 v39, v38, v43
	v_mul_f32_e32 v38, v45, v44
	;; [unrolled: 1-line block ×6, first 2 shown]
	s_mov_b64 s[30:31], 0
.LBB180_232:                            ;   Parent Loop BB180_145 Depth=1
                                        ; =>  This Inner Loop Header: Depth=2
	v_cmp_nlt_f32_e32 vcc, v13, v34
	v_mov_b32_e32 v45, v44
	v_cndmask_b32_e32 v44, v13, v34, vcc
	v_cmp_nlt_f32_e64 s[10:11], v44, v37
	v_cndmask_b32_e64 v46, v44, v37, s[10:11]
	v_cndmask_b32_e32 v13, v34, v13, vcc
	s_and_b64 s[58:59], vcc, s[10:11]
	v_cmp_nlt_f32_e32 vcc, v46, v36
	v_cndmask_b32_e64 v34, v37, v44, s[10:11]
	v_cndmask_b32_e32 v44, v46, v36, vcc
	v_cmp_nlt_f32_e64 s[10:11], v44, v40
	v_cndmask_b32_e32 v37, v36, v46, vcc
	v_cndmask_b32_e64 v46, v44, v40, s[10:11]
	s_and_b64 s[60:61], vcc, s[10:11]
	v_cmp_nlt_f32_e32 vcc, v46, v35
	v_cndmask_b32_e64 v36, v40, v44, s[10:11]
	v_cndmask_b32_e32 v44, v46, v35, vcc
	v_cmp_nlt_f32_e64 s[10:11], v44, v39
	v_cndmask_b32_e32 v40, v35, v46, vcc
	v_cndmask_b32_e64 v46, v44, v39, s[10:11]
	v_cndmask_b32_e64 v35, v39, v44, s[10:11]
	s_and_b64 s[10:11], vcc, s[10:11]
	v_cmp_nlt_f32_e32 vcc, v46, v38
	v_cndmask_b32_e32 v44, v46, v38, vcc
	v_cndmask_b32_e32 v39, v38, v46, vcc
	s_and_b64 s[10:11], s[10:11], vcc
	v_cmp_nlt_f32_e32 vcc, v44, v41
	v_cndmask_b32_e32 v46, v44, v41, vcc
	v_cndmask_b32_e32 v38, v41, v44, vcc
	s_and_b64 s[10:11], s[10:11], vcc
	;; [unrolled: 4-line block ×4, first 2 shown]
	v_cmp_nlt_f32_e32 vcc, v46, v45
	s_and_b64 s[10:11], s[10:11], vcc
	s_and_b64 s[10:11], s[10:11], s[60:61]
	s_and_b64 s[10:11], s[10:11], s[58:59]
	s_and_b64 s[10:11], exec, s[10:11]
	v_cndmask_b32_e32 v44, v46, v45, vcc
	s_or_b64 s[30:31], s[10:11], s[30:31]
	v_cndmask_b32_e32 v43, v45, v46, vcc
	s_andn2_b64 exec, exec, s[30:31]
	s_cbranch_execnz .LBB180_232
; %bb.233:                              ;   in Loop: Header=BB180_145 Depth=1
	s_or_b64 exec, exec, s[30:31]
	v_add_f32_e32 v13, -1.0, v13
	v_add_f32_e32 v13, v13, v34
	v_add_f32_e32 v13, v13, v37
	;; [unrolled: 1-line block ×11, first 2 shown]
	v_add_f32_e32 v36, 1.0, v13
	v_cvt_f64_f32_e32 v[34:35], v36
	v_add_f32_e32 v37, -1.0, v36
	v_sub_f32_e32 v38, v37, v36
	v_sub_f32_e32 v37, v13, v37
	v_frexp_exp_i32_f64_e32 v34, v[34:35]
	v_frexp_mant_f32_e32 v35, v36
	v_cmp_gt_f32_e32 vcc, s45, v35
	v_add_f32_e32 v38, 1.0, v38
	v_add_f32_e32 v37, v37, v38
	v_cmp_gt_i32_e64 s[10:11], 0, v7
	v_cmp_class_f32_e64 s[30:31], v8, s49
	v_subbrev_co_u32_e32 v34, vcc, 0, v34, vcc
	v_sub_u32_e32 v35, 0, v34
	v_ldexp_f32 v36, v36, v35
	v_ldexp_f32 v35, v37, v35
	v_add_f32_e32 v37, -1.0, v36
	v_add_f32_e32 v38, 1.0, v36
	v_add_f32_e32 v39, 1.0, v37
	v_add_f32_e32 v41, -1.0, v38
	v_sub_f32_e32 v39, v36, v39
	v_sub_f32_e32 v36, v36, v41
	v_add_f32_e32 v39, v35, v39
	v_add_f32_e32 v35, v35, v36
	;; [unrolled: 1-line block ×3, first 2 shown]
	v_rcp_f32_e32 v41, v36
	v_add_f32_e32 v40, v37, v39
	v_sub_f32_e32 v38, v36, v38
	v_sub_f32_e32 v37, v40, v37
	;; [unrolled: 1-line block ×3, first 2 shown]
	v_mul_f32_e32 v38, v40, v41
	v_sub_f32_e32 v37, v39, v37
	v_mul_f32_e32 v39, v36, v38
	v_fma_f32 v42, v38, v36, -v39
	v_fmac_f32_e32 v42, v38, v35
	v_add_f32_e32 v43, v39, v42
	v_sub_f32_e32 v44, v40, v43
	v_sub_f32_e32 v40, v40, v44
	v_sub_f32_e32 v39, v43, v39
	v_sub_f32_e32 v40, v40, v43
	v_add_f32_e32 v37, v37, v40
	v_sub_f32_e32 v39, v39, v42
	v_add_f32_e32 v37, v39, v37
	v_add_f32_e32 v39, v44, v37
	v_mul_f32_e32 v40, v41, v39
	v_mul_f32_e32 v42, v36, v40
	v_fma_f32 v36, v40, v36, -v42
	v_fmac_f32_e32 v36, v40, v35
	v_sub_f32_e32 v35, v44, v39
	v_add_f32_e32 v35, v37, v35
	v_add_f32_e32 v37, v42, v36
	v_sub_f32_e32 v43, v39, v37
	v_sub_f32_e32 v39, v39, v43
	;; [unrolled: 1-line block ×4, first 2 shown]
	v_add_f32_e32 v35, v35, v37
	v_sub_f32_e32 v36, v42, v36
	v_cvt_f32_i32_e32 v34, v34
	v_add_f32_e32 v35, v36, v35
	v_add_f32_e32 v36, v38, v40
	;; [unrolled: 1-line block ×3, first 2 shown]
	v_sub_f32_e32 v37, v36, v38
	v_mul_f32_e32 v35, v41, v35
	v_sub_f32_e32 v37, v40, v37
	v_add_f32_e32 v35, v37, v35
	v_mul_f32_e32 v40, 0x3f317218, v34
	v_add_f32_e32 v37, v36, v35
	v_fma_f32 v41, v34, s46, -v40
	v_mul_f32_e32 v38, v37, v37
	v_mov_b32_e32 v39, 0x3ecc95a3
	v_fmac_f32_e32 v41, 0xb102e308, v34
	v_sub_f32_e32 v34, v37, v36
	v_fmac_f32_e32 v39, 0x3e9b6dac, v38
	v_sub_f32_e32 v34, v35, v34
	v_add_f32_e32 v35, v40, v41
	v_fma_f32 v39, v38, v39, v17
	v_sub_f32_e32 v36, v35, v40
	v_ldexp_f32 v40, v37, 1
	v_mul_f32_e32 v37, v37, v38
	v_mul_f32_e32 v37, v37, v39
	v_add_f32_e32 v38, v40, v37
	v_sub_f32_e32 v39, v38, v40
	v_ldexp_f32 v34, v34, 1
	v_sub_f32_e32 v37, v37, v39
	v_add_f32_e32 v34, v34, v37
	v_add_f32_e32 v37, v38, v34
	v_sub_f32_e32 v38, v37, v38
	v_sub_f32_e32 v34, v34, v38
	v_add_f32_e32 v38, v35, v37
	v_sub_f32_e32 v39, v38, v35
	v_sub_f32_e32 v40, v38, v39
	;; [unrolled: 1-line block ×5, first 2 shown]
	v_add_f32_e32 v35, v37, v35
	v_add_f32_e32 v37, v36, v34
	v_sub_f32_e32 v39, v37, v36
	v_sub_f32_e32 v40, v37, v39
	;; [unrolled: 1-line block ×4, first 2 shown]
	v_add_f32_e32 v35, v37, v35
	v_add_f32_e32 v34, v34, v36
	;; [unrolled: 1-line block ×3, first 2 shown]
	v_sub_f32_e32 v37, v36, v38
	v_sub_f32_e32 v35, v35, v37
	v_add_f32_e32 v34, v34, v35
	v_add_f32_e32 v34, v36, v34
	v_cmp_neq_f32_e32 vcc, s47, v13
	v_cndmask_b32_e32 v34, v24, v34, vcc
	v_cmp_ngt_f32_e32 vcc, -1.0, v13
	v_cndmask_b32_e32 v34, v25, v34, vcc
	v_cmp_neq_f32_e32 vcc, -1.0, v13
	v_cndmask_b32_e32 v34, v26, v34, vcc
	v_cmp_lt_f32_e64 vcc, |v13|, s48
	v_cndmask_b32_e32 v13, v34, v13, vcc
	v_max_f32_e64 v34, |v8|, |v8|
	v_max_f32_e64 v35, |v7|, |v7|
	v_min_f32_e32 v36, v35, v34
	v_max_f32_e32 v34, v35, v34
	v_frexp_mant_f32_e32 v35, v34
	v_rcp_f32_e32 v35, v35
	v_frexp_exp_i32_f32_e32 v34, v34
	v_frexp_exp_i32_f32_e32 v37, v36
	v_frexp_mant_f32_e32 v36, v36
	v_mul_f32_e32 v35, v36, v35
	v_sub_u32_e32 v34, v37, v34
	v_ldexp_f32 v34, v35, v34
	v_mul_f32_e32 v35, v34, v34
	v_mov_b32_e32 v36, 0xbc7a590c
	v_fmac_f32_e32 v36, 0x3b2d2a58, v35
	v_fma_f32 v36, v35, v36, v18
	v_fma_f32 v36, v35, v36, v19
	;; [unrolled: 1-line block ×6, first 2 shown]
	v_mul_f32_e32 v35, v35, v36
	v_fmac_f32_e32 v34, v34, v35
	v_sub_f32_e32 v35, 0x3fc90fdb, v34
	v_cndmask_b32_e64 v34, v34, v35, s[8:9]
	v_sub_f32_e32 v35, 0x40490fdb, v34
	v_cmp_gt_f32_e32 vcc, 0, v7
	v_cndmask_b32_e32 v34, v34, v35, vcc
	v_cndmask_b32_e64 v35, 0, v27, s[10:11]
	v_cmp_eq_f32_e64 s[10:11], 0, v8
	v_cndmask_b32_e64 v34, v34, v35, s[10:11]
	v_cmp_class_f32_e64 s[10:11], v7, s49
	v_cndmask_b32_e32 v35, v28, v29, vcc
	s_and_b64 vcc, s[30:31], s[10:11]
	v_mul_f32_e32 v13, 0.5, v13
	v_cndmask_b32_e32 v34, v34, v35, vcc
.LBB180_234:                            ;   in Loop: Header=BB180_145 Depth=1
	s_or_b64 exec, exec, s[28:29]
.LBB180_235:                            ;   in Loop: Header=BB180_145 Depth=1
	s_or_b64 exec, exec, s[26:27]
.LBB180_236:                            ;   in Loop: Header=BB180_145 Depth=1
	s_andn2_saveexec_b64 s[24:25], s[24:25]
	s_cbranch_execz .LBB180_238
; %bb.237:                              ;   in Loop: Header=BB180_145 Depth=1
	v_max_f32_e64 v13, |v8|, |v8|
	v_max_f32_e64 v36, |v7|, |v7|
	v_max_f32_e32 v37, v36, v13
	v_cvt_f64_f32_e32 v[34:35], v37
	v_min_f32_e32 v13, v36, v13
	v_frexp_mant_f32_e32 v36, v37
	v_rcp_f32_e32 v36, v36
	v_frexp_exp_i32_f64_e32 v34, v[34:35]
	v_cmp_neq_f32_e32 vcc, s47, v37
	v_frexp_exp_i32_f32_e32 v38, v13
	v_frexp_mant_f32_e32 v13, v13
	v_mul_f32_e32 v13, v13, v36
	v_frexp_exp_i32_f32_e32 v35, v37
	v_sub_u32_e32 v35, v38, v35
	v_ldexp_f32 v35, v13, v35
	v_sub_u32_e32 v39, 0, v34
	v_ldexp_f32 v40, |v7|, v39
	v_ldexp_f32 v39, |v8|, v39
	v_mul_f32_e32 v39, v39, v39
	v_fmac_f32_e32 v39, v40, v40
	v_sqrt_f32_e32 v39, v39
	v_cmp_gt_i32_e64 s[10:11], 0, v7
	v_cmp_class_f32_e64 s[26:27], v8, s49
	v_ldexp_f32 v34, v39, v34
	v_cndmask_b32_e32 v34, v24, v34, vcc
	v_cmp_gt_f32_e32 vcc, s51, v34
	v_cndmask_b32_e64 v36, 0, 32, vcc
	v_ldexp_f32 v34, v34, v36
	v_log_f32_e32 v34, v34
	v_cndmask_b32_e32 v13, 0, v30, vcc
	v_mul_f32_e32 v36, v35, v35
	v_mul_f32_e32 v37, 0x3f317217, v34
	v_fma_f32 v37, v34, s52, -v37
	v_fmac_f32_e32 v37, 0x3377d1cf, v34
	v_fmac_f32_e32 v37, 0x3f317217, v34
	v_cmp_lt_f32_e64 vcc, |v34|, s47
	v_cndmask_b32_e32 v34, v34, v37, vcc
	v_sub_f32_e32 v13, v34, v13
	v_mov_b32_e32 v34, 0xbc7a590c
	v_fmac_f32_e32 v34, 0x3b2d2a58, v36
	v_fma_f32 v34, v36, v34, v18
	v_fma_f32 v34, v36, v34, v19
	;; [unrolled: 1-line block ×6, first 2 shown]
	v_mul_f32_e32 v34, v36, v34
	v_fmac_f32_e32 v35, v35, v34
	v_sub_f32_e32 v34, 0x3fc90fdb, v35
	v_cndmask_b32_e64 v34, v35, v34, s[8:9]
	v_sub_f32_e32 v35, 0x40490fdb, v34
	v_cmp_gt_f32_e32 vcc, 0, v7
	v_cndmask_b32_e32 v34, v34, v35, vcc
	v_cndmask_b32_e64 v35, 0, v27, s[10:11]
	v_cmp_eq_f32_e64 s[10:11], 0, v8
	v_cndmask_b32_e64 v34, v34, v35, s[10:11]
	v_cmp_class_f32_e64 s[10:11], v7, s49
	v_cndmask_b32_e32 v35, v28, v29, vcc
	s_and_b64 vcc, s[26:27], s[10:11]
	v_cndmask_b32_e32 v34, v34, v35, vcc
.LBB180_238:                            ;   in Loop: Header=BB180_145 Depth=1
	s_or_b64 exec, exec, s[24:25]
                                        ; implicit-def: $vgpr35
.LBB180_239:                            ;   in Loop: Header=BB180_145 Depth=1
	s_andn2_saveexec_b64 s[22:23], s[22:23]
	s_cbranch_execz .LBB180_245
; %bb.240:                              ;   in Loop: Header=BB180_145 Depth=1
	v_cmp_ngt_f32_e32 vcc, s53, v35
                                        ; implicit-def: $vgpr13
                                        ; implicit-def: $vgpr34
	s_and_saveexec_b64 s[10:11], vcc
	s_xor_b64 s[24:25], exec, s[10:11]
	s_cbranch_execz .LBB180_242
; %bb.241:                              ;   in Loop: Header=BB180_145 Depth=1
	v_mul_f32_e32 v13, v35, v35
	v_add_f32_e32 v36, 1.0, v13
	v_cvt_f64_f32_e32 v[34:35], v36
	v_add_f32_e32 v37, -1.0, v36
	v_sub_f32_e32 v38, v37, v36
	v_sub_f32_e32 v37, v13, v37
	v_frexp_exp_i32_f64_e32 v34, v[34:35]
	v_frexp_mant_f32_e32 v35, v36
	v_cmp_gt_f32_e32 vcc, s45, v35
	v_add_f32_e32 v38, 1.0, v38
	v_add_f32_e32 v37, v37, v38
	v_cmp_gt_i32_e64 s[10:11], 0, v7
	v_cmp_class_f32_e64 s[26:27], v8, s49
	v_subbrev_co_u32_e32 v34, vcc, 0, v34, vcc
	v_sub_u32_e32 v35, 0, v34
	v_ldexp_f32 v36, v36, v35
	v_ldexp_f32 v35, v37, v35
	v_add_f32_e32 v37, -1.0, v36
	v_add_f32_e32 v38, 1.0, v36
	v_add_f32_e32 v39, 1.0, v37
	v_add_f32_e32 v41, -1.0, v38
	v_sub_f32_e32 v39, v36, v39
	v_sub_f32_e32 v36, v36, v41
	v_add_f32_e32 v39, v35, v39
	v_add_f32_e32 v35, v35, v36
	;; [unrolled: 1-line block ×3, first 2 shown]
	v_rcp_f32_e32 v41, v36
	v_add_f32_e32 v40, v37, v39
	v_sub_f32_e32 v38, v38, v36
	v_sub_f32_e32 v37, v37, v40
	v_add_f32_e32 v35, v35, v38
	v_mul_f32_e32 v38, v40, v41
	v_add_f32_e32 v37, v39, v37
	v_mul_f32_e32 v39, v36, v38
	v_fma_f32 v42, v38, v36, -v39
	v_fmac_f32_e32 v42, v38, v35
	v_add_f32_e32 v43, v39, v42
	v_sub_f32_e32 v44, v40, v43
	v_sub_f32_e32 v40, v40, v44
	;; [unrolled: 1-line block ×4, first 2 shown]
	v_add_f32_e32 v37, v37, v40
	v_sub_f32_e32 v39, v39, v42
	v_add_f32_e32 v37, v39, v37
	v_add_f32_e32 v39, v44, v37
	v_mul_f32_e32 v40, v41, v39
	v_mul_f32_e32 v42, v36, v40
	v_fma_f32 v36, v40, v36, -v42
	v_fmac_f32_e32 v36, v40, v35
	v_sub_f32_e32 v35, v44, v39
	v_add_f32_e32 v35, v37, v35
	v_add_f32_e32 v37, v42, v36
	v_sub_f32_e32 v43, v39, v37
	v_sub_f32_e32 v39, v39, v43
	;; [unrolled: 1-line block ×4, first 2 shown]
	v_add_f32_e32 v35, v35, v37
	v_sub_f32_e32 v36, v42, v36
	v_cvt_f32_i32_e32 v34, v34
	v_add_f32_e32 v35, v36, v35
	v_add_f32_e32 v36, v38, v40
	;; [unrolled: 1-line block ×3, first 2 shown]
	v_sub_f32_e32 v37, v36, v38
	v_mul_f32_e32 v35, v41, v35
	v_sub_f32_e32 v37, v40, v37
	v_add_f32_e32 v35, v37, v35
	v_mul_f32_e32 v40, 0x3f317218, v34
	v_add_f32_e32 v37, v36, v35
	v_fma_f32 v41, v34, s46, -v40
	v_mul_f32_e32 v38, v37, v37
	v_mov_b32_e32 v39, 0x3ecc95a3
	v_fmac_f32_e32 v41, 0xb102e308, v34
	v_sub_f32_e32 v34, v37, v36
	v_fmac_f32_e32 v39, 0x3e9b6dac, v38
	v_sub_f32_e32 v34, v35, v34
	v_add_f32_e32 v35, v40, v41
	v_fma_f32 v39, v38, v39, v17
	v_sub_f32_e32 v36, v35, v40
	v_ldexp_f32 v40, v37, 1
	v_mul_f32_e32 v37, v37, v38
	v_mul_f32_e32 v37, v37, v39
	v_add_f32_e32 v38, v40, v37
	v_sub_f32_e32 v39, v38, v40
	v_ldexp_f32 v34, v34, 1
	v_sub_f32_e32 v37, v37, v39
	v_add_f32_e32 v34, v34, v37
	v_add_f32_e32 v37, v38, v34
	v_sub_f32_e32 v38, v37, v38
	v_sub_f32_e32 v34, v34, v38
	v_add_f32_e32 v38, v35, v37
	v_sub_f32_e32 v39, v38, v35
	v_sub_f32_e32 v40, v38, v39
	;; [unrolled: 1-line block ×5, first 2 shown]
	v_add_f32_e32 v35, v37, v35
	v_add_f32_e32 v37, v36, v34
	v_sub_f32_e32 v39, v37, v36
	v_sub_f32_e32 v40, v37, v39
	;; [unrolled: 1-line block ×4, first 2 shown]
	v_add_f32_e32 v35, v37, v35
	v_add_f32_e32 v34, v34, v36
	;; [unrolled: 1-line block ×3, first 2 shown]
	v_sub_f32_e32 v37, v36, v38
	v_sub_f32_e32 v35, v35, v37
	v_add_f32_e32 v34, v34, v35
	v_add_f32_e32 v34, v36, v34
	v_cmp_neq_f32_e32 vcc, s47, v13
	v_cndmask_b32_e32 v34, v24, v34, vcc
	v_cmp_lt_f32_e64 vcc, |v13|, s48
	v_cndmask_b32_e32 v13, v34, v13, vcc
	v_max_f32_e64 v34, |v8|, |v8|
	v_max_f32_e64 v35, |v7|, |v7|
	v_min_f32_e32 v36, v35, v34
	v_max_f32_e32 v34, v35, v34
	v_frexp_mant_f32_e32 v35, v34
	v_rcp_f32_e32 v35, v35
	v_frexp_exp_i32_f32_e32 v34, v34
	v_frexp_exp_i32_f32_e32 v37, v36
	v_frexp_mant_f32_e32 v36, v36
	v_mul_f32_e32 v35, v36, v35
	v_sub_u32_e32 v34, v37, v34
	v_ldexp_f32 v34, v35, v34
	v_mul_f32_e32 v35, v34, v34
	v_mov_b32_e32 v36, 0xbc7a590c
	v_fmac_f32_e32 v36, 0x3b2d2a58, v35
	v_fma_f32 v36, v35, v36, v18
	v_fma_f32 v36, v35, v36, v19
	;; [unrolled: 1-line block ×6, first 2 shown]
	v_mul_f32_e32 v35, v35, v36
	v_fmac_f32_e32 v34, v34, v35
	v_sub_f32_e32 v35, 0x3fc90fdb, v34
	v_cndmask_b32_e64 v34, v34, v35, s[8:9]
	v_sub_f32_e32 v35, 0x40490fdb, v34
	v_cmp_gt_f32_e32 vcc, 0, v7
	v_cndmask_b32_e32 v34, v34, v35, vcc
	v_cndmask_b32_e64 v35, 0, v27, s[10:11]
	v_cmp_eq_f32_e64 s[10:11], 0, v8
	v_cndmask_b32_e64 v34, v34, v35, s[10:11]
	v_cmp_class_f32_e64 s[10:11], v7, s49
	v_cndmask_b32_e32 v35, v28, v29, vcc
	s_and_b64 vcc, s[26:27], s[10:11]
	v_mul_f32_e32 v13, 0.5, v13
	v_cndmask_b32_e32 v34, v34, v35, vcc
                                        ; implicit-def: $vgpr35
.LBB180_242:                            ;   in Loop: Header=BB180_145 Depth=1
	s_andn2_saveexec_b64 s[24:25], s[24:25]
	s_cbranch_execz .LBB180_244
; %bb.243:                              ;   in Loop: Header=BB180_145 Depth=1
	v_mul_f32_e32 v13, 0.5, v35
	v_mul_f32_e32 v13, v35, v13
	v_max_f32_e64 v34, |v8|, |v8|
	v_max_f32_e64 v35, |v7|, |v7|
	v_min_f32_e32 v36, v35, v34
	v_max_f32_e32 v34, v35, v34
	v_frexp_mant_f32_e32 v35, v34
	v_rcp_f32_e32 v35, v35
	v_frexp_exp_i32_f32_e32 v34, v34
	v_frexp_exp_i32_f32_e32 v37, v36
	v_frexp_mant_f32_e32 v36, v36
	v_mul_f32_e32 v35, v36, v35
	v_sub_u32_e32 v34, v37, v34
	v_ldexp_f32 v34, v35, v34
	v_mul_f32_e32 v35, v34, v34
	v_mov_b32_e32 v36, 0xbc7a590c
	v_fmac_f32_e32 v36, 0x3b2d2a58, v35
	v_fma_f32 v36, v35, v36, v18
	v_fma_f32 v36, v35, v36, v19
	;; [unrolled: 1-line block ×6, first 2 shown]
	v_mul_f32_e32 v35, v35, v36
	v_fmac_f32_e32 v34, v34, v35
	v_sub_f32_e32 v35, 0x3fc90fdb, v34
	v_cndmask_b32_e64 v34, v34, v35, s[8:9]
	v_sub_f32_e32 v35, 0x40490fdb, v34
	v_cmp_gt_f32_e32 vcc, 0, v7
	v_cmp_gt_i32_e64 s[10:11], 0, v7
	v_cndmask_b32_e32 v34, v34, v35, vcc
	v_cndmask_b32_e64 v35, 0, v27, s[10:11]
	v_cmp_eq_f32_e64 s[10:11], 0, v8
	v_cndmask_b32_e64 v34, v34, v35, s[10:11]
	v_cmp_class_f32_e64 s[10:11], v7, s49
	v_cmp_class_f32_e64 s[26:27], v8, s49
	v_cndmask_b32_e32 v35, v28, v29, vcc
	s_and_b64 vcc, s[26:27], s[10:11]
	v_cndmask_b32_e32 v34, v34, v35, vcc
.LBB180_244:                            ;   in Loop: Header=BB180_145 Depth=1
	s_or_b64 exec, exec, s[24:25]
.LBB180_245:                            ;   in Loop: Header=BB180_145 Depth=1
	s_or_b64 exec, exec, s[22:23]
.LBB180_246:                            ;   in Loop: Header=BB180_145 Depth=1
	s_andn2_saveexec_b64 s[20:21], s[20:21]
	s_cbranch_execz .LBB180_248
; %bb.247:                              ;   in Loop: Header=BB180_145 Depth=1
	v_div_scale_f32 v13, s[10:11], s54, s54, v7
	v_div_scale_f32 v34, s[10:11], s54, s54, v8
	v_div_scale_f32 v35, vcc, v7, s54, v7
	v_div_scale_f32 v36, s[10:11], v8, s54, v8
	v_rcp_f32_e32 v37, v13
	v_rcp_f32_e32 v38, v34
	v_fma_f32 v39, -v13, v37, 1.0
	v_fmac_f32_e32 v37, v39, v37
	v_fma_f32 v40, -v34, v38, 1.0
	v_fmac_f32_e32 v38, v40, v38
	v_mul_f32_e32 v39, v35, v37
	v_mul_f32_e32 v40, v36, v38
	v_fma_f32 v41, -v13, v39, v35
	v_fma_f32 v42, -v34, v40, v36
	v_fmac_f32_e32 v39, v41, v37
	v_fmac_f32_e32 v40, v42, v38
	v_fma_f32 v13, -v13, v39, v35
	v_fma_f32 v34, -v34, v40, v36
	v_div_fmas_f32 v13, v13, v37, v39
	s_mov_b64 vcc, s[10:11]
	v_div_fmas_f32 v34, v34, v38, v40
	v_max_f32_e64 v35, |v8|, |v8|
	v_max_f32_e64 v36, |v7|, |v7|
	v_min_f32_e32 v38, v36, v35
	v_max_f32_e32 v35, v36, v35
	v_frexp_exp_i32_f32_e32 v36, v35
	v_frexp_exp_i32_f32_e32 v39, v38
	v_sub_u32_e32 v36, v39, v36
	v_frexp_mant_f32_e32 v35, v35
	v_rcp_f32_e32 v40, v35
	v_frexp_mant_f32_e32 v38, v38
	v_mov_b32_e32 v37, 0xbc7a590c
	v_cmp_class_f32_e64 s[10:11], v8, s49
	v_mul_f32_e32 v38, v38, v40
	v_div_fixup_f32 v13, v13, s54, v7
	v_ldexp_f32 v36, v38, v36
	v_div_fixup_f32 v39, v34, s54, v8
	v_max_f32_e64 v41, |v13|, |v39|
	v_cvt_f64_f32_e32 v[34:35], v41
	v_mul_f32_e32 v38, v36, v36
	v_fmac_f32_e32 v37, 0x3b2d2a58, v38
	v_cmp_neq_f32_e32 vcc, s47, v41
	v_frexp_exp_i32_f64_e32 v34, v[34:35]
	v_fma_f32 v35, v38, v37, v18
	v_fma_f32 v35, v38, v35, v19
	;; [unrolled: 1-line block ×6, first 2 shown]
	v_mul_f32_e32 v35, v38, v35
	v_sub_u32_e32 v37, 0, v34
	v_ldexp_f32 v13, |v13|, v37
	v_ldexp_f32 v37, |v39|, v37
	v_mul_f32_e32 v37, v37, v37
	v_fmac_f32_e32 v37, v13, v13
	v_sqrt_f32_e32 v13, v37
	v_fmac_f32_e32 v36, v36, v35
	v_sub_f32_e32 v35, 0x3fc90fdb, v36
	v_ldexp_f32 v13, v13, v34
	v_cndmask_b32_e32 v13, v24, v13, vcc
	v_cmp_gt_f32_e32 vcc, s51, v13
	v_cndmask_b32_e64 v34, 0, 32, vcc
	v_ldexp_f32 v13, v13, v34
	v_log_f32_e32 v13, v13
	v_cndmask_b32_e64 v34, v36, v35, s[8:9]
	v_cndmask_b32_e32 v36, 0, v30, vcc
	v_sub_f32_e32 v35, 0x40490fdb, v34
	v_mul_f32_e32 v37, 0x3f317217, v13
	v_fma_f32 v37, v13, s52, -v37
	v_fmac_f32_e32 v37, 0x3377d1cf, v13
	v_fmac_f32_e32 v37, 0x3f317217, v13
	v_cmp_lt_f32_e64 vcc, |v13|, s47
	v_cndmask_b32_e32 v13, v13, v37, vcc
	v_cmp_gt_f32_e32 vcc, 0, v7
	v_cmp_gt_i32_e64 s[8:9], 0, v7
	v_cndmask_b32_e32 v34, v34, v35, vcc
	v_cndmask_b32_e64 v35, 0, v27, s[8:9]
	v_cmp_eq_f32_e64 s[8:9], 0, v8
	v_cndmask_b32_e64 v34, v34, v35, s[8:9]
	v_cmp_class_f32_e64 s[8:9], v7, s49
	v_sub_f32_e32 v13, v13, v36
	v_cndmask_b32_e32 v35, v28, v29, vcc
	s_and_b64 vcc, s[10:11], s[8:9]
	v_add_f32_e32 v13, 1.0, v13
	v_cndmask_b32_e32 v34, v34, v35, vcc
.LBB180_248:                            ;   in Loop: Header=BB180_145 Depth=1
	s_or_b64 exec, exec, s[20:21]
.LBB180_249:                            ;   in Loop: Header=BB180_145 Depth=1
	s_andn2_saveexec_b64 s[8:9], s[18:19]
	s_cbranch_execz .LBB180_255
; %bb.250:                              ;   in Loop: Header=BB180_145 Depth=1
	v_cmp_nlt_f32_e64 s[10:11], |v7|, s55
	v_cmp_nlt_f32_e64 s[18:19], |v8|, s55
	s_or_b64 s[10:11], s[18:19], s[10:11]
                                        ; implicit-def: $vgpr13
	s_and_saveexec_b64 s[18:19], s[10:11]
	s_xor_b64 s[10:11], exec, s[18:19]
; %bb.251:                              ;   in Loop: Header=BB180_145 Depth=1
	v_mul_f32_e32 v13, v7, v7
	v_fmac_f32_e32 v13, v8, v8
; %bb.252:                              ;   in Loop: Header=BB180_145 Depth=1
	s_andn2_saveexec_b64 s[10:11], s[10:11]
; %bb.253:                              ;   in Loop: Header=BB180_145 Depth=1
	v_mul_f32_e32 v7, 4.0, v7
	v_mul_f32_e32 v13, 4.0, v8
	v_mul_f32_e32 v7, v7, v7
	v_fmac_f32_e32 v7, v13, v13
	v_mul_f32_e32 v13, 0x3d800000, v7
; %bb.254:                              ;   in Loop: Header=BB180_145 Depth=1
	s_or_b64 exec, exec, s[10:11]
	v_cmp_gt_f32_e32 vcc, s51, v13
	v_cndmask_b32_e64 v7, 0, 32, vcc
	v_ldexp_f32 v7, v13, v7
	v_log_f32_e32 v7, v7
	v_cndmask_b32_e32 v13, 0, v30, vcc
	v_mul_f32_e32 v34, 0x3f317217, v7
	v_fma_f32 v34, v7, s52, -v34
	v_fmac_f32_e32 v34, 0x3377d1cf, v7
	v_fmac_f32_e32 v34, 0x3f317217, v7
	v_cmp_lt_f32_e64 vcc, |v7|, s47
	v_cndmask_b32_e32 v7, v7, v34, vcc
	v_sub_f32_e32 v13, v7, v13
	v_mov_b32_e32 v34, 0x7fc00000
.LBB180_255:                            ;   in Loop: Header=BB180_145 Depth=1
	s_or_b64 exec, exec, s[8:9]
	v_cmp_o_f32_e32 vcc, v6, v5
                                        ; implicit-def: $vgpr7
                                        ; implicit-def: $vgpr35
	s_and_saveexec_b64 s[8:9], vcc
	s_xor_b64 s[18:19], exec, s[8:9]
	s_cbranch_execnz .LBB180_261
; %bb.256:                              ;   in Loop: Header=BB180_145 Depth=1
	s_andn2_saveexec_b64 s[8:9], s[18:19]
	s_cbranch_execnz .LBB180_288
.LBB180_257:                            ;   in Loop: Header=BB180_145 Depth=1
	s_or_b64 exec, exec, s[8:9]
	s_and_saveexec_b64 s[8:9], s[6:7]
	s_xor_b64 s[8:9], exec, s[8:9]
	s_cbranch_execnz .LBB180_293
.LBB180_258:                            ;   in Loop: Header=BB180_145 Depth=1
	s_or_b64 exec, exec, s[8:9]
	s_and_saveexec_b64 s[6:7], s[4:5]
	s_cbranch_execnz .LBB180_294
.LBB180_259:                            ;   in Loop: Header=BB180_145 Depth=1
	s_or_b64 exec, exec, s[6:7]
	s_and_saveexec_b64 s[4:5], s[2:3]
	s_cbranch_execnz .LBB180_295
.LBB180_260:                            ;   in Loop: Header=BB180_145 Depth=1
	s_or_b64 exec, exec, s[4:5]
	s_and_saveexec_b64 s[2:3], s[0:1]
	s_cbranch_execz .LBB180_144
	s_branch .LBB180_296
.LBB180_261:                            ;   in Loop: Header=BB180_145 Depth=1
	v_cmp_lt_f32_e64 s[8:9], |v5|, |v6|
	v_cndmask_b32_e64 v36, |v6|, |v5|, s[8:9]
	v_cmp_nlt_f32_e32 vcc, s42, v36
                                        ; implicit-def: $vgpr7
                                        ; implicit-def: $vgpr35
	s_and_saveexec_b64 s[10:11], vcc
	s_xor_b64 s[20:21], exec, s[10:11]
	s_cbranch_execz .LBB180_285
; %bb.262:                              ;   in Loop: Header=BB180_145 Depth=1
	v_and_b32_e32 v7, 0x7fffffff, v6
	v_cndmask_b32_e64 v37, |v5|, v7, s[8:9]
	v_cmp_neq_f32_e32 vcc, 1.0, v37
                                        ; implicit-def: $vgpr7
                                        ; implicit-def: $vgpr35
	s_and_saveexec_b64 s[10:11], vcc
	s_xor_b64 s[22:23], exec, s[10:11]
	s_cbranch_execz .LBB180_278
; %bb.263:                              ;   in Loop: Header=BB180_145 Depth=1
	v_max_f32_e32 v7, v36, v36
	v_max_f32_e32 v35, v37, v37
	v_min_f32_e32 v38, v35, v7
	v_max_f32_e32 v7, v35, v7
	v_cmp_ngt_f32_e32 vcc, s43, v38
	v_cmp_nlt_f32_e64 s[10:11], s44, v7
	s_and_b64 s[10:11], s[10:11], vcc
                                        ; implicit-def: $vgpr7
                                        ; implicit-def: $vgpr35
	s_and_saveexec_b64 s[24:25], s[10:11]
	s_xor_b64 s[24:25], exec, s[24:25]
	s_cbranch_execz .LBB180_275
; %bb.264:                              ;   in Loop: Header=BB180_145 Depth=1
	v_cmp_le_f32_e32 vcc, 1.0, v37
                                        ; implicit-def: $vgpr7
                                        ; implicit-def: $vgpr35
	s_and_saveexec_b64 s[10:11], vcc
	s_xor_b64 s[26:27], exec, s[10:11]
	s_cbranch_execz .LBB180_266
; %bb.265:                              ;   in Loop: Header=BB180_145 Depth=1
	v_add_f32_e32 v7, -1.0, v37
	v_add_f32_e32 v35, 1.0, v37
	v_mul_f32_e32 v7, v7, v35
	v_fmac_f32_e32 v7, v36, v36
	v_add_f32_e32 v37, 1.0, v7
	v_cvt_f64_f32_e32 v[35:36], v37
	v_add_f32_e32 v38, -1.0, v37
	v_sub_f32_e32 v39, v38, v37
	v_sub_f32_e32 v38, v7, v38
	v_frexp_exp_i32_f64_e32 v35, v[35:36]
	v_frexp_mant_f32_e32 v36, v37
	v_cmp_gt_f32_e32 vcc, s45, v36
	v_add_f32_e32 v39, 1.0, v39
	v_add_f32_e32 v38, v38, v39
	v_cmp_gt_i32_e64 s[10:11], 0, v5
	v_cmp_class_f32_e64 s[28:29], v6, s49
	v_subbrev_co_u32_e32 v35, vcc, 0, v35, vcc
	v_sub_u32_e32 v36, 0, v35
	v_ldexp_f32 v37, v37, v36
	v_ldexp_f32 v36, v38, v36
	v_add_f32_e32 v38, -1.0, v37
	v_add_f32_e32 v41, 1.0, v37
	v_add_f32_e32 v39, 1.0, v38
	v_add_f32_e32 v42, -1.0, v41
	v_sub_f32_e32 v39, v37, v39
	v_sub_f32_e32 v37, v37, v42
	v_add_f32_e32 v39, v36, v39
	v_add_f32_e32 v36, v36, v37
	v_add_f32_e32 v37, v41, v36
	v_rcp_f32_e32 v42, v37
	v_add_f32_e32 v40, v38, v39
	v_sub_f32_e32 v38, v40, v38
	v_sub_f32_e32 v38, v39, v38
	;; [unrolled: 1-line block ×4, first 2 shown]
	v_mul_f32_e32 v39, v40, v42
	v_mul_f32_e32 v41, v37, v39
	v_fma_f32 v43, v39, v37, -v41
	v_fmac_f32_e32 v43, v39, v36
	v_add_f32_e32 v44, v41, v43
	v_sub_f32_e32 v45, v40, v44
	v_sub_f32_e32 v40, v40, v45
	;; [unrolled: 1-line block ×4, first 2 shown]
	v_add_f32_e32 v38, v38, v40
	v_sub_f32_e32 v40, v41, v43
	v_add_f32_e32 v38, v40, v38
	v_add_f32_e32 v40, v45, v38
	v_mul_f32_e32 v41, v42, v40
	v_mul_f32_e32 v43, v37, v41
	v_fma_f32 v37, v41, v37, -v43
	v_fmac_f32_e32 v37, v41, v36
	v_sub_f32_e32 v36, v45, v40
	v_add_f32_e32 v36, v38, v36
	v_add_f32_e32 v38, v43, v37
	v_sub_f32_e32 v44, v40, v38
	v_sub_f32_e32 v40, v40, v44
	;; [unrolled: 1-line block ×4, first 2 shown]
	v_add_f32_e32 v36, v36, v38
	v_sub_f32_e32 v37, v43, v37
	v_cvt_f32_i32_e32 v35, v35
	v_add_f32_e32 v36, v37, v36
	v_add_f32_e32 v37, v39, v41
	;; [unrolled: 1-line block ×3, first 2 shown]
	v_sub_f32_e32 v38, v37, v39
	v_mul_f32_e32 v36, v42, v36
	v_sub_f32_e32 v38, v41, v38
	v_add_f32_e32 v36, v38, v36
	v_mul_f32_e32 v41, 0x3f317218, v35
	v_add_f32_e32 v38, v37, v36
	v_fma_f32 v42, v35, s46, -v41
	v_mul_f32_e32 v39, v38, v38
	v_mov_b32_e32 v40, 0x3ecc95a3
	v_fmac_f32_e32 v42, 0xb102e308, v35
	v_sub_f32_e32 v35, v38, v37
	v_fmac_f32_e32 v40, 0x3e9b6dac, v39
	v_sub_f32_e32 v35, v36, v35
	v_add_f32_e32 v36, v41, v42
	v_fma_f32 v40, v39, v40, v17
	v_sub_f32_e32 v37, v36, v41
	v_ldexp_f32 v41, v38, 1
	v_mul_f32_e32 v38, v38, v39
	v_mul_f32_e32 v38, v38, v40
	v_add_f32_e32 v39, v41, v38
	v_sub_f32_e32 v40, v39, v41
	v_ldexp_f32 v35, v35, 1
	v_sub_f32_e32 v38, v38, v40
	v_add_f32_e32 v35, v35, v38
	v_add_f32_e32 v38, v39, v35
	v_sub_f32_e32 v39, v38, v39
	v_sub_f32_e32 v35, v35, v39
	v_add_f32_e32 v39, v36, v38
	v_sub_f32_e32 v40, v39, v36
	v_sub_f32_e32 v41, v39, v40
	;; [unrolled: 1-line block ×5, first 2 shown]
	v_add_f32_e32 v36, v38, v36
	v_add_f32_e32 v38, v37, v35
	v_sub_f32_e32 v40, v38, v37
	v_sub_f32_e32 v41, v38, v40
	;; [unrolled: 1-line block ×4, first 2 shown]
	v_add_f32_e32 v36, v38, v36
	v_add_f32_e32 v35, v35, v37
	;; [unrolled: 1-line block ×3, first 2 shown]
	v_sub_f32_e32 v38, v37, v39
	v_sub_f32_e32 v36, v36, v38
	v_add_f32_e32 v35, v35, v36
	v_add_f32_e32 v35, v37, v35
	v_cmp_neq_f32_e32 vcc, s47, v7
	v_cndmask_b32_e32 v35, v24, v35, vcc
	v_cmp_ngt_f32_e32 vcc, -1.0, v7
	v_cndmask_b32_e32 v35, v25, v35, vcc
	v_cmp_neq_f32_e32 vcc, -1.0, v7
	v_cndmask_b32_e32 v35, v26, v35, vcc
	v_cmp_lt_f32_e64 vcc, |v7|, s48
	v_cndmask_b32_e32 v7, v35, v7, vcc
	v_max_f32_e64 v35, |v6|, |v6|
	v_max_f32_e64 v36, |v5|, |v5|
	v_min_f32_e32 v37, v36, v35
	v_max_f32_e32 v35, v36, v35
	v_frexp_mant_f32_e32 v36, v35
	v_rcp_f32_e32 v36, v36
	v_frexp_exp_i32_f32_e32 v35, v35
	v_frexp_exp_i32_f32_e32 v38, v37
	v_frexp_mant_f32_e32 v37, v37
	v_mul_f32_e32 v36, v37, v36
	v_sub_u32_e32 v35, v38, v35
	v_ldexp_f32 v35, v36, v35
	v_mul_f32_e32 v36, v35, v35
	v_mov_b32_e32 v37, 0xbc7a590c
	v_fmac_f32_e32 v37, 0x3b2d2a58, v36
	v_fma_f32 v37, v36, v37, v18
	v_fma_f32 v37, v36, v37, v19
	;; [unrolled: 1-line block ×6, first 2 shown]
	v_mul_f32_e32 v36, v36, v37
	v_fmac_f32_e32 v35, v35, v36
	v_sub_f32_e32 v36, 0x3fc90fdb, v35
	v_cndmask_b32_e64 v35, v35, v36, s[8:9]
	v_sub_f32_e32 v36, 0x40490fdb, v35
	v_cmp_gt_f32_e32 vcc, 0, v5
	v_cndmask_b32_e32 v35, v35, v36, vcc
	v_cndmask_b32_e64 v36, 0, v27, s[10:11]
	v_cmp_eq_f32_e64 s[10:11], 0, v6
	v_cndmask_b32_e64 v35, v35, v36, s[10:11]
	v_cmp_class_f32_e64 s[10:11], v5, s49
	v_cndmask_b32_e32 v36, v28, v29, vcc
	s_and_b64 vcc, s[28:29], s[10:11]
	v_mul_f32_e32 v7, 0.5, v7
	v_cndmask_b32_e32 v35, v35, v36, vcc
                                        ; implicit-def: $vgpr36
                                        ; implicit-def: $vgpr37
.LBB180_266:                            ;   in Loop: Header=BB180_145 Depth=1
	s_andn2_saveexec_b64 s[26:27], s[26:27]
	s_cbranch_execz .LBB180_274
; %bb.267:                              ;   in Loop: Header=BB180_145 Depth=1
	v_mul_f32_e32 v38, v36, v36
	v_fmac_f32_e32 v38, v37, v37
	v_cmp_ge_f32_e32 vcc, s50, v38
                                        ; implicit-def: $vgpr7
                                        ; implicit-def: $vgpr35
	s_and_saveexec_b64 s[10:11], vcc
	s_xor_b64 s[28:29], exec, s[10:11]
	s_cbranch_execz .LBB180_269
; %bb.268:                              ;   in Loop: Header=BB180_145 Depth=1
	v_cmp_gt_f32_e32 vcc, s51, v38
	v_cndmask_b32_e64 v7, 0, 32, vcc
	v_ldexp_f32 v7, v38, v7
	v_log_f32_e32 v7, v7
	v_cndmask_b32_e32 v35, 0, v30, vcc
	v_cmp_gt_i32_e64 s[10:11], 0, v5
	v_cmp_class_f32_e64 s[30:31], v6, s49
	v_mul_f32_e32 v36, 0x3f317217, v7
	v_fma_f32 v36, v7, s52, -v36
	v_fmac_f32_e32 v36, 0x3377d1cf, v7
	v_fmac_f32_e32 v36, 0x3f317217, v7
	v_cmp_lt_f32_e64 vcc, |v7|, s47
	v_cndmask_b32_e32 v7, v7, v36, vcc
	v_sub_f32_e32 v7, v7, v35
	v_max_f32_e64 v35, |v6|, |v6|
	v_max_f32_e64 v36, |v5|, |v5|
	v_min_f32_e32 v37, v36, v35
	v_max_f32_e32 v35, v36, v35
	v_frexp_mant_f32_e32 v36, v35
	v_rcp_f32_e32 v36, v36
	v_frexp_exp_i32_f32_e32 v35, v35
	v_frexp_exp_i32_f32_e32 v38, v37
	v_frexp_mant_f32_e32 v37, v37
	v_mul_f32_e32 v36, v37, v36
	v_sub_u32_e32 v35, v38, v35
	v_ldexp_f32 v35, v36, v35
	v_mul_f32_e32 v36, v35, v35
	v_mov_b32_e32 v37, 0xbc7a590c
	v_fmac_f32_e32 v37, 0x3b2d2a58, v36
	v_fma_f32 v37, v36, v37, v18
	v_fma_f32 v37, v36, v37, v19
	;; [unrolled: 1-line block ×6, first 2 shown]
	v_mul_f32_e32 v36, v36, v37
	v_fmac_f32_e32 v35, v35, v36
	v_sub_f32_e32 v36, 0x3fc90fdb, v35
	v_cndmask_b32_e64 v35, v35, v36, s[8:9]
	v_sub_f32_e32 v36, 0x40490fdb, v35
	v_cmp_gt_f32_e32 vcc, 0, v5
	v_cndmask_b32_e32 v35, v35, v36, vcc
	v_cndmask_b32_e64 v36, 0, v27, s[10:11]
	v_cmp_eq_f32_e64 s[10:11], 0, v6
	v_cndmask_b32_e64 v35, v35, v36, s[10:11]
	v_cmp_class_f32_e64 s[10:11], v5, s49
	v_cndmask_b32_e32 v36, v28, v29, vcc
	s_and_b64 vcc, s[30:31], s[10:11]
	v_mul_f32_e32 v7, 0.5, v7
	v_cndmask_b32_e32 v35, v35, v36, vcc
                                        ; implicit-def: $vgpr37
                                        ; implicit-def: $vgpr36
.LBB180_269:                            ;   in Loop: Header=BB180_145 Depth=1
	s_andn2_saveexec_b64 s[28:29], s[28:29]
	s_cbranch_execz .LBB180_273
; %bb.270:                              ;   in Loop: Header=BB180_145 Depth=1
	v_and_b32_e32 v38, 0x7fff0000, v37
	v_sub_f32_e32 v7, v37, v38
	v_and_b32_e32 v42, 0xffff0000, v7
	v_and_b32_e32 v37, 0x7fff0000, v36
	v_sub_f32_e32 v44, v7, v42
	v_sub_f32_e32 v7, v36, v37
	v_and_b32_e32 v43, 0xffff0000, v7
	v_add_f32_e32 v39, v38, v38
	v_add_f32_e32 v46, v37, v37
	v_sub_f32_e32 v45, v7, v43
	v_mul_f32_e32 v7, v38, v38
	v_mul_f32_e32 v35, v37, v37
	;; [unrolled: 1-line block ×6, first 2 shown]
	v_add_f32_e32 v42, v42, v42
	v_add_f32_e32 v43, v43, v43
	v_mul_f32_e32 v40, v39, v44
	v_mul_f32_e32 v39, v46, v45
	;; [unrolled: 1-line block ×6, first 2 shown]
	s_mov_b64 s[30:31], 0
.LBB180_271:                            ;   Parent Loop BB180_145 Depth=1
                                        ; =>  This Inner Loop Header: Depth=2
	v_cmp_nlt_f32_e32 vcc, v7, v35
	v_mov_b32_e32 v46, v45
	v_cndmask_b32_e32 v45, v7, v35, vcc
	v_cmp_nlt_f32_e64 s[10:11], v45, v38
	v_cndmask_b32_e64 v47, v45, v38, s[10:11]
	v_cndmask_b32_e32 v7, v35, v7, vcc
	s_and_b64 s[58:59], vcc, s[10:11]
	v_cmp_nlt_f32_e32 vcc, v47, v37
	v_cndmask_b32_e64 v35, v38, v45, s[10:11]
	v_cndmask_b32_e32 v45, v47, v37, vcc
	v_cmp_nlt_f32_e64 s[10:11], v45, v41
	v_cndmask_b32_e32 v38, v37, v47, vcc
	v_cndmask_b32_e64 v47, v45, v41, s[10:11]
	s_and_b64 s[60:61], vcc, s[10:11]
	v_cmp_nlt_f32_e32 vcc, v47, v36
	v_cndmask_b32_e64 v37, v41, v45, s[10:11]
	v_cndmask_b32_e32 v45, v47, v36, vcc
	v_cmp_nlt_f32_e64 s[10:11], v45, v40
	v_cndmask_b32_e32 v41, v36, v47, vcc
	v_cndmask_b32_e64 v47, v45, v40, s[10:11]
	v_cndmask_b32_e64 v36, v40, v45, s[10:11]
	s_and_b64 s[10:11], vcc, s[10:11]
	v_cmp_nlt_f32_e32 vcc, v47, v39
	v_cndmask_b32_e32 v45, v47, v39, vcc
	v_cndmask_b32_e32 v40, v39, v47, vcc
	s_and_b64 s[10:11], s[10:11], vcc
	v_cmp_nlt_f32_e32 vcc, v45, v42
	v_cndmask_b32_e32 v47, v45, v42, vcc
	v_cndmask_b32_e32 v39, v42, v45, vcc
	s_and_b64 s[10:11], s[10:11], vcc
	;; [unrolled: 4-line block ×4, first 2 shown]
	v_cmp_nlt_f32_e32 vcc, v47, v46
	s_and_b64 s[10:11], s[10:11], vcc
	s_and_b64 s[10:11], s[10:11], s[60:61]
	s_and_b64 s[10:11], s[10:11], s[58:59]
	s_and_b64 s[10:11], exec, s[10:11]
	v_cndmask_b32_e32 v45, v47, v46, vcc
	s_or_b64 s[30:31], s[10:11], s[30:31]
	v_cndmask_b32_e32 v44, v46, v47, vcc
	s_andn2_b64 exec, exec, s[30:31]
	s_cbranch_execnz .LBB180_271
; %bb.272:                              ;   in Loop: Header=BB180_145 Depth=1
	s_or_b64 exec, exec, s[30:31]
	v_add_f32_e32 v7, -1.0, v7
	v_add_f32_e32 v7, v7, v35
	v_add_f32_e32 v7, v7, v38
	;; [unrolled: 1-line block ×11, first 2 shown]
	v_add_f32_e32 v37, 1.0, v7
	v_cvt_f64_f32_e32 v[35:36], v37
	v_add_f32_e32 v38, -1.0, v37
	v_sub_f32_e32 v39, v38, v37
	v_sub_f32_e32 v38, v7, v38
	v_frexp_exp_i32_f64_e32 v35, v[35:36]
	v_frexp_mant_f32_e32 v36, v37
	v_cmp_gt_f32_e32 vcc, s45, v36
	v_add_f32_e32 v39, 1.0, v39
	v_add_f32_e32 v38, v38, v39
	v_cmp_gt_i32_e64 s[10:11], 0, v5
	v_cmp_class_f32_e64 s[30:31], v6, s49
	v_subbrev_co_u32_e32 v35, vcc, 0, v35, vcc
	v_sub_u32_e32 v36, 0, v35
	v_ldexp_f32 v37, v37, v36
	v_ldexp_f32 v36, v38, v36
	v_add_f32_e32 v38, -1.0, v37
	v_add_f32_e32 v39, 1.0, v37
	v_add_f32_e32 v40, 1.0, v38
	v_add_f32_e32 v42, -1.0, v39
	v_sub_f32_e32 v40, v37, v40
	v_sub_f32_e32 v37, v37, v42
	v_add_f32_e32 v40, v36, v40
	v_add_f32_e32 v36, v36, v37
	;; [unrolled: 1-line block ×3, first 2 shown]
	v_rcp_f32_e32 v42, v37
	v_add_f32_e32 v41, v38, v40
	v_sub_f32_e32 v39, v37, v39
	v_sub_f32_e32 v38, v41, v38
	;; [unrolled: 1-line block ×3, first 2 shown]
	v_mul_f32_e32 v39, v41, v42
	v_sub_f32_e32 v38, v40, v38
	v_mul_f32_e32 v40, v37, v39
	v_fma_f32 v43, v39, v37, -v40
	v_fmac_f32_e32 v43, v39, v36
	v_add_f32_e32 v44, v40, v43
	v_sub_f32_e32 v45, v41, v44
	v_sub_f32_e32 v41, v41, v45
	;; [unrolled: 1-line block ×4, first 2 shown]
	v_add_f32_e32 v38, v38, v41
	v_sub_f32_e32 v40, v40, v43
	v_add_f32_e32 v38, v40, v38
	v_add_f32_e32 v40, v45, v38
	v_mul_f32_e32 v41, v42, v40
	v_mul_f32_e32 v43, v37, v41
	v_fma_f32 v37, v41, v37, -v43
	v_fmac_f32_e32 v37, v41, v36
	v_sub_f32_e32 v36, v45, v40
	v_add_f32_e32 v36, v38, v36
	v_add_f32_e32 v38, v43, v37
	v_sub_f32_e32 v44, v40, v38
	v_sub_f32_e32 v40, v40, v44
	v_sub_f32_e32 v43, v38, v43
	v_sub_f32_e32 v38, v40, v38
	v_add_f32_e32 v36, v36, v38
	v_sub_f32_e32 v37, v43, v37
	v_cvt_f32_i32_e32 v35, v35
	v_add_f32_e32 v36, v37, v36
	v_add_f32_e32 v37, v39, v41
	;; [unrolled: 1-line block ×3, first 2 shown]
	v_sub_f32_e32 v38, v37, v39
	v_mul_f32_e32 v36, v42, v36
	v_sub_f32_e32 v38, v41, v38
	v_add_f32_e32 v36, v38, v36
	v_mul_f32_e32 v41, 0x3f317218, v35
	v_add_f32_e32 v38, v37, v36
	v_fma_f32 v42, v35, s46, -v41
	v_mul_f32_e32 v39, v38, v38
	v_mov_b32_e32 v40, 0x3ecc95a3
	v_fmac_f32_e32 v42, 0xb102e308, v35
	v_sub_f32_e32 v35, v38, v37
	v_fmac_f32_e32 v40, 0x3e9b6dac, v39
	v_sub_f32_e32 v35, v36, v35
	v_add_f32_e32 v36, v41, v42
	v_fma_f32 v40, v39, v40, v17
	v_sub_f32_e32 v37, v36, v41
	v_ldexp_f32 v41, v38, 1
	v_mul_f32_e32 v38, v38, v39
	v_mul_f32_e32 v38, v38, v40
	v_add_f32_e32 v39, v41, v38
	v_sub_f32_e32 v40, v39, v41
	v_ldexp_f32 v35, v35, 1
	v_sub_f32_e32 v38, v38, v40
	v_add_f32_e32 v35, v35, v38
	v_add_f32_e32 v38, v39, v35
	v_sub_f32_e32 v39, v38, v39
	v_sub_f32_e32 v35, v35, v39
	v_add_f32_e32 v39, v36, v38
	v_sub_f32_e32 v40, v39, v36
	v_sub_f32_e32 v41, v39, v40
	;; [unrolled: 1-line block ×5, first 2 shown]
	v_add_f32_e32 v36, v38, v36
	v_add_f32_e32 v38, v37, v35
	v_sub_f32_e32 v40, v38, v37
	v_sub_f32_e32 v41, v38, v40
	;; [unrolled: 1-line block ×4, first 2 shown]
	v_add_f32_e32 v36, v38, v36
	v_add_f32_e32 v35, v35, v37
	;; [unrolled: 1-line block ×3, first 2 shown]
	v_sub_f32_e32 v38, v37, v39
	v_sub_f32_e32 v36, v36, v38
	v_add_f32_e32 v35, v35, v36
	v_add_f32_e32 v35, v37, v35
	v_cmp_neq_f32_e32 vcc, s47, v7
	v_cndmask_b32_e32 v35, v24, v35, vcc
	v_cmp_ngt_f32_e32 vcc, -1.0, v7
	v_cndmask_b32_e32 v35, v25, v35, vcc
	v_cmp_neq_f32_e32 vcc, -1.0, v7
	v_cndmask_b32_e32 v35, v26, v35, vcc
	v_cmp_lt_f32_e64 vcc, |v7|, s48
	v_cndmask_b32_e32 v7, v35, v7, vcc
	v_max_f32_e64 v35, |v6|, |v6|
	v_max_f32_e64 v36, |v5|, |v5|
	v_min_f32_e32 v37, v36, v35
	v_max_f32_e32 v35, v36, v35
	v_frexp_mant_f32_e32 v36, v35
	v_rcp_f32_e32 v36, v36
	v_frexp_exp_i32_f32_e32 v35, v35
	v_frexp_exp_i32_f32_e32 v38, v37
	v_frexp_mant_f32_e32 v37, v37
	v_mul_f32_e32 v36, v37, v36
	v_sub_u32_e32 v35, v38, v35
	v_ldexp_f32 v35, v36, v35
	v_mul_f32_e32 v36, v35, v35
	v_mov_b32_e32 v37, 0xbc7a590c
	v_fmac_f32_e32 v37, 0x3b2d2a58, v36
	v_fma_f32 v37, v36, v37, v18
	v_fma_f32 v37, v36, v37, v19
	;; [unrolled: 1-line block ×6, first 2 shown]
	v_mul_f32_e32 v36, v36, v37
	v_fmac_f32_e32 v35, v35, v36
	v_sub_f32_e32 v36, 0x3fc90fdb, v35
	v_cndmask_b32_e64 v35, v35, v36, s[8:9]
	v_sub_f32_e32 v36, 0x40490fdb, v35
	v_cmp_gt_f32_e32 vcc, 0, v5
	v_cndmask_b32_e32 v35, v35, v36, vcc
	v_cndmask_b32_e64 v36, 0, v27, s[10:11]
	v_cmp_eq_f32_e64 s[10:11], 0, v6
	v_cndmask_b32_e64 v35, v35, v36, s[10:11]
	v_cmp_class_f32_e64 s[10:11], v5, s49
	v_cndmask_b32_e32 v36, v28, v29, vcc
	s_and_b64 vcc, s[30:31], s[10:11]
	v_mul_f32_e32 v7, 0.5, v7
	v_cndmask_b32_e32 v35, v35, v36, vcc
.LBB180_273:                            ;   in Loop: Header=BB180_145 Depth=1
	s_or_b64 exec, exec, s[28:29]
.LBB180_274:                            ;   in Loop: Header=BB180_145 Depth=1
	s_or_b64 exec, exec, s[26:27]
.LBB180_275:                            ;   in Loop: Header=BB180_145 Depth=1
	s_andn2_saveexec_b64 s[24:25], s[24:25]
	s_cbranch_execz .LBB180_277
; %bb.276:                              ;   in Loop: Header=BB180_145 Depth=1
	v_max_f32_e64 v7, |v6|, |v6|
	v_max_f32_e64 v37, |v5|, |v5|
	v_max_f32_e32 v38, v37, v7
	v_cvt_f64_f32_e32 v[35:36], v38
	v_min_f32_e32 v7, v37, v7
	v_frexp_mant_f32_e32 v37, v38
	v_rcp_f32_e32 v37, v37
	v_frexp_exp_i32_f64_e32 v35, v[35:36]
	v_cmp_neq_f32_e32 vcc, s47, v38
	v_frexp_exp_i32_f32_e32 v39, v7
	v_frexp_mant_f32_e32 v7, v7
	v_mul_f32_e32 v7, v7, v37
	v_frexp_exp_i32_f32_e32 v36, v38
	v_sub_u32_e32 v36, v39, v36
	v_ldexp_f32 v36, v7, v36
	v_sub_u32_e32 v40, 0, v35
	v_ldexp_f32 v41, |v5|, v40
	v_ldexp_f32 v40, |v6|, v40
	v_mul_f32_e32 v40, v40, v40
	v_fmac_f32_e32 v40, v41, v41
	v_sqrt_f32_e32 v40, v40
	v_cmp_gt_i32_e64 s[10:11], 0, v5
	v_cmp_class_f32_e64 s[26:27], v6, s49
	v_ldexp_f32 v35, v40, v35
	v_cndmask_b32_e32 v35, v24, v35, vcc
	v_cmp_gt_f32_e32 vcc, s51, v35
	v_cndmask_b32_e64 v37, 0, 32, vcc
	v_ldexp_f32 v35, v35, v37
	v_log_f32_e32 v35, v35
	v_cndmask_b32_e32 v7, 0, v30, vcc
	v_mul_f32_e32 v37, v36, v36
	v_mul_f32_e32 v38, 0x3f317217, v35
	v_fma_f32 v38, v35, s52, -v38
	v_fmac_f32_e32 v38, 0x3377d1cf, v35
	v_fmac_f32_e32 v38, 0x3f317217, v35
	v_cmp_lt_f32_e64 vcc, |v35|, s47
	v_cndmask_b32_e32 v35, v35, v38, vcc
	v_sub_f32_e32 v7, v35, v7
	v_mov_b32_e32 v35, 0xbc7a590c
	v_fmac_f32_e32 v35, 0x3b2d2a58, v37
	v_fma_f32 v35, v37, v35, v18
	v_fma_f32 v35, v37, v35, v19
	;; [unrolled: 1-line block ×6, first 2 shown]
	v_mul_f32_e32 v35, v37, v35
	v_fmac_f32_e32 v36, v36, v35
	v_sub_f32_e32 v35, 0x3fc90fdb, v36
	v_cndmask_b32_e64 v35, v36, v35, s[8:9]
	v_sub_f32_e32 v36, 0x40490fdb, v35
	v_cmp_gt_f32_e32 vcc, 0, v5
	v_cndmask_b32_e32 v35, v35, v36, vcc
	v_cndmask_b32_e64 v36, 0, v27, s[10:11]
	v_cmp_eq_f32_e64 s[10:11], 0, v6
	v_cndmask_b32_e64 v35, v35, v36, s[10:11]
	v_cmp_class_f32_e64 s[10:11], v5, s49
	v_cndmask_b32_e32 v36, v28, v29, vcc
	s_and_b64 vcc, s[26:27], s[10:11]
	v_cndmask_b32_e32 v35, v35, v36, vcc
.LBB180_277:                            ;   in Loop: Header=BB180_145 Depth=1
	s_or_b64 exec, exec, s[24:25]
                                        ; implicit-def: $vgpr36
.LBB180_278:                            ;   in Loop: Header=BB180_145 Depth=1
	s_andn2_saveexec_b64 s[22:23], s[22:23]
	s_cbranch_execz .LBB180_284
; %bb.279:                              ;   in Loop: Header=BB180_145 Depth=1
	v_cmp_ngt_f32_e32 vcc, s53, v36
                                        ; implicit-def: $vgpr7
                                        ; implicit-def: $vgpr35
	s_and_saveexec_b64 s[10:11], vcc
	s_xor_b64 s[24:25], exec, s[10:11]
	s_cbranch_execz .LBB180_281
; %bb.280:                              ;   in Loop: Header=BB180_145 Depth=1
	v_mul_f32_e32 v7, v36, v36
	v_add_f32_e32 v37, 1.0, v7
	v_cvt_f64_f32_e32 v[35:36], v37
	v_add_f32_e32 v38, -1.0, v37
	v_sub_f32_e32 v39, v38, v37
	v_sub_f32_e32 v38, v7, v38
	v_frexp_exp_i32_f64_e32 v35, v[35:36]
	v_frexp_mant_f32_e32 v36, v37
	v_cmp_gt_f32_e32 vcc, s45, v36
	v_add_f32_e32 v39, 1.0, v39
	v_add_f32_e32 v38, v38, v39
	v_cmp_gt_i32_e64 s[10:11], 0, v5
	v_cmp_class_f32_e64 s[26:27], v6, s49
	v_subbrev_co_u32_e32 v35, vcc, 0, v35, vcc
	v_sub_u32_e32 v36, 0, v35
	v_ldexp_f32 v37, v37, v36
	v_ldexp_f32 v36, v38, v36
	v_add_f32_e32 v38, -1.0, v37
	v_add_f32_e32 v39, 1.0, v37
	v_add_f32_e32 v40, 1.0, v38
	v_add_f32_e32 v42, -1.0, v39
	v_sub_f32_e32 v40, v37, v40
	v_sub_f32_e32 v37, v37, v42
	v_add_f32_e32 v40, v36, v40
	v_add_f32_e32 v36, v36, v37
	;; [unrolled: 1-line block ×3, first 2 shown]
	v_rcp_f32_e32 v42, v37
	v_add_f32_e32 v41, v38, v40
	v_sub_f32_e32 v39, v39, v37
	v_sub_f32_e32 v38, v38, v41
	v_add_f32_e32 v36, v36, v39
	v_mul_f32_e32 v39, v41, v42
	v_add_f32_e32 v38, v40, v38
	v_mul_f32_e32 v40, v37, v39
	v_fma_f32 v43, v39, v37, -v40
	v_fmac_f32_e32 v43, v39, v36
	v_add_f32_e32 v44, v40, v43
	v_sub_f32_e32 v45, v41, v44
	v_sub_f32_e32 v41, v41, v45
	;; [unrolled: 1-line block ×4, first 2 shown]
	v_add_f32_e32 v38, v38, v41
	v_sub_f32_e32 v40, v40, v43
	v_add_f32_e32 v38, v40, v38
	v_add_f32_e32 v40, v45, v38
	v_mul_f32_e32 v41, v42, v40
	v_mul_f32_e32 v43, v37, v41
	v_fma_f32 v37, v41, v37, -v43
	v_fmac_f32_e32 v37, v41, v36
	v_sub_f32_e32 v36, v45, v40
	v_add_f32_e32 v36, v38, v36
	v_add_f32_e32 v38, v43, v37
	v_sub_f32_e32 v44, v40, v38
	v_sub_f32_e32 v40, v40, v44
	;; [unrolled: 1-line block ×4, first 2 shown]
	v_add_f32_e32 v36, v36, v38
	v_sub_f32_e32 v37, v43, v37
	v_cvt_f32_i32_e32 v35, v35
	v_add_f32_e32 v36, v37, v36
	v_add_f32_e32 v37, v39, v41
	;; [unrolled: 1-line block ×3, first 2 shown]
	v_sub_f32_e32 v38, v37, v39
	v_mul_f32_e32 v36, v42, v36
	v_sub_f32_e32 v38, v41, v38
	v_add_f32_e32 v36, v38, v36
	v_mul_f32_e32 v41, 0x3f317218, v35
	v_add_f32_e32 v38, v37, v36
	v_fma_f32 v42, v35, s46, -v41
	v_mul_f32_e32 v39, v38, v38
	v_mov_b32_e32 v40, 0x3ecc95a3
	v_fmac_f32_e32 v42, 0xb102e308, v35
	v_sub_f32_e32 v35, v38, v37
	v_fmac_f32_e32 v40, 0x3e9b6dac, v39
	v_sub_f32_e32 v35, v36, v35
	v_add_f32_e32 v36, v41, v42
	v_fma_f32 v40, v39, v40, v17
	v_sub_f32_e32 v37, v36, v41
	v_ldexp_f32 v41, v38, 1
	v_mul_f32_e32 v38, v38, v39
	v_mul_f32_e32 v38, v38, v40
	v_add_f32_e32 v39, v41, v38
	v_sub_f32_e32 v40, v39, v41
	v_ldexp_f32 v35, v35, 1
	v_sub_f32_e32 v38, v38, v40
	v_add_f32_e32 v35, v35, v38
	v_add_f32_e32 v38, v39, v35
	v_sub_f32_e32 v39, v38, v39
	v_sub_f32_e32 v35, v35, v39
	v_add_f32_e32 v39, v36, v38
	v_sub_f32_e32 v40, v39, v36
	v_sub_f32_e32 v41, v39, v40
	;; [unrolled: 1-line block ×5, first 2 shown]
	v_add_f32_e32 v36, v38, v36
	v_add_f32_e32 v38, v37, v35
	v_sub_f32_e32 v40, v38, v37
	v_sub_f32_e32 v41, v38, v40
	;; [unrolled: 1-line block ×4, first 2 shown]
	v_add_f32_e32 v36, v38, v36
	v_add_f32_e32 v35, v35, v37
	v_add_f32_e32 v37, v39, v36
	v_sub_f32_e32 v38, v37, v39
	v_sub_f32_e32 v36, v36, v38
	v_add_f32_e32 v35, v35, v36
	v_add_f32_e32 v35, v37, v35
	v_cmp_neq_f32_e32 vcc, s47, v7
	v_cndmask_b32_e32 v35, v24, v35, vcc
	v_cmp_lt_f32_e64 vcc, |v7|, s48
	v_cndmask_b32_e32 v7, v35, v7, vcc
	v_max_f32_e64 v35, |v6|, |v6|
	v_max_f32_e64 v36, |v5|, |v5|
	v_min_f32_e32 v37, v36, v35
	v_max_f32_e32 v35, v36, v35
	v_frexp_mant_f32_e32 v36, v35
	v_rcp_f32_e32 v36, v36
	v_frexp_exp_i32_f32_e32 v35, v35
	v_frexp_exp_i32_f32_e32 v38, v37
	v_frexp_mant_f32_e32 v37, v37
	v_mul_f32_e32 v36, v37, v36
	v_sub_u32_e32 v35, v38, v35
	v_ldexp_f32 v35, v36, v35
	v_mul_f32_e32 v36, v35, v35
	v_mov_b32_e32 v37, 0xbc7a590c
	v_fmac_f32_e32 v37, 0x3b2d2a58, v36
	v_fma_f32 v37, v36, v37, v18
	v_fma_f32 v37, v36, v37, v19
	;; [unrolled: 1-line block ×6, first 2 shown]
	v_mul_f32_e32 v36, v36, v37
	v_fmac_f32_e32 v35, v35, v36
	v_sub_f32_e32 v36, 0x3fc90fdb, v35
	v_cndmask_b32_e64 v35, v35, v36, s[8:9]
	v_sub_f32_e32 v36, 0x40490fdb, v35
	v_cmp_gt_f32_e32 vcc, 0, v5
	v_cndmask_b32_e32 v35, v35, v36, vcc
	v_cndmask_b32_e64 v36, 0, v27, s[10:11]
	v_cmp_eq_f32_e64 s[10:11], 0, v6
	v_cndmask_b32_e64 v35, v35, v36, s[10:11]
	v_cmp_class_f32_e64 s[10:11], v5, s49
	v_cndmask_b32_e32 v36, v28, v29, vcc
	s_and_b64 vcc, s[26:27], s[10:11]
	v_mul_f32_e32 v7, 0.5, v7
	v_cndmask_b32_e32 v35, v35, v36, vcc
                                        ; implicit-def: $vgpr36
.LBB180_281:                            ;   in Loop: Header=BB180_145 Depth=1
	s_andn2_saveexec_b64 s[24:25], s[24:25]
	s_cbranch_execz .LBB180_283
; %bb.282:                              ;   in Loop: Header=BB180_145 Depth=1
	v_mul_f32_e32 v7, 0.5, v36
	v_mul_f32_e32 v7, v36, v7
	v_max_f32_e64 v35, |v6|, |v6|
	v_max_f32_e64 v36, |v5|, |v5|
	v_min_f32_e32 v37, v36, v35
	v_max_f32_e32 v35, v36, v35
	v_frexp_mant_f32_e32 v36, v35
	v_rcp_f32_e32 v36, v36
	v_frexp_exp_i32_f32_e32 v35, v35
	v_frexp_exp_i32_f32_e32 v38, v37
	v_frexp_mant_f32_e32 v37, v37
	v_mul_f32_e32 v36, v37, v36
	v_sub_u32_e32 v35, v38, v35
	v_ldexp_f32 v35, v36, v35
	v_mul_f32_e32 v36, v35, v35
	v_mov_b32_e32 v37, 0xbc7a590c
	v_fmac_f32_e32 v37, 0x3b2d2a58, v36
	v_fma_f32 v37, v36, v37, v18
	v_fma_f32 v37, v36, v37, v19
	v_fma_f32 v37, v36, v37, v20
	v_fma_f32 v37, v36, v37, v21
	v_fma_f32 v37, v36, v37, v22
	v_fma_f32 v37, v36, v37, v23
	v_mul_f32_e32 v36, v36, v37
	v_fmac_f32_e32 v35, v35, v36
	v_sub_f32_e32 v36, 0x3fc90fdb, v35
	v_cndmask_b32_e64 v35, v35, v36, s[8:9]
	v_sub_f32_e32 v36, 0x40490fdb, v35
	v_cmp_gt_f32_e32 vcc, 0, v5
	v_cmp_gt_i32_e64 s[10:11], 0, v5
	v_cndmask_b32_e32 v35, v35, v36, vcc
	v_cndmask_b32_e64 v36, 0, v27, s[10:11]
	v_cmp_eq_f32_e64 s[10:11], 0, v6
	v_cndmask_b32_e64 v35, v35, v36, s[10:11]
	v_cmp_class_f32_e64 s[10:11], v5, s49
	v_cmp_class_f32_e64 s[26:27], v6, s49
	v_cndmask_b32_e32 v36, v28, v29, vcc
	s_and_b64 vcc, s[26:27], s[10:11]
	v_cndmask_b32_e32 v35, v35, v36, vcc
.LBB180_283:                            ;   in Loop: Header=BB180_145 Depth=1
	s_or_b64 exec, exec, s[24:25]
.LBB180_284:                            ;   in Loop: Header=BB180_145 Depth=1
	s_or_b64 exec, exec, s[22:23]
.LBB180_285:                            ;   in Loop: Header=BB180_145 Depth=1
	s_andn2_saveexec_b64 s[20:21], s[20:21]
	s_cbranch_execz .LBB180_287
; %bb.286:                              ;   in Loop: Header=BB180_145 Depth=1
	v_div_scale_f32 v7, s[10:11], s54, s54, v5
	v_div_scale_f32 v35, s[10:11], s54, s54, v6
	v_div_scale_f32 v36, vcc, v5, s54, v5
	v_div_scale_f32 v37, s[10:11], v6, s54, v6
	v_rcp_f32_e32 v38, v7
	v_rcp_f32_e32 v39, v35
	v_fma_f32 v40, -v7, v38, 1.0
	v_fmac_f32_e32 v38, v40, v38
	v_fma_f32 v41, -v35, v39, 1.0
	v_fmac_f32_e32 v39, v41, v39
	v_mul_f32_e32 v40, v36, v38
	v_mul_f32_e32 v41, v37, v39
	v_fma_f32 v42, -v7, v40, v36
	v_fma_f32 v43, -v35, v41, v37
	v_fmac_f32_e32 v40, v42, v38
	v_fmac_f32_e32 v41, v43, v39
	v_fma_f32 v7, -v7, v40, v36
	v_fma_f32 v35, -v35, v41, v37
	v_div_fmas_f32 v7, v7, v38, v40
	s_mov_b64 vcc, s[10:11]
	v_div_fmas_f32 v35, v35, v39, v41
	v_max_f32_e64 v36, |v6|, |v6|
	v_max_f32_e64 v37, |v5|, |v5|
	v_min_f32_e32 v39, v37, v36
	v_max_f32_e32 v36, v37, v36
	v_frexp_exp_i32_f32_e32 v37, v36
	v_frexp_exp_i32_f32_e32 v40, v39
	v_sub_u32_e32 v37, v40, v37
	v_frexp_mant_f32_e32 v36, v36
	v_rcp_f32_e32 v41, v36
	v_frexp_mant_f32_e32 v39, v39
	v_mov_b32_e32 v38, 0xbc7a590c
	v_cmp_class_f32_e64 s[10:11], v6, s49
	v_mul_f32_e32 v39, v39, v41
	v_div_fixup_f32 v7, v7, s54, v5
	v_ldexp_f32 v37, v39, v37
	v_div_fixup_f32 v40, v35, s54, v6
	v_max_f32_e64 v42, |v7|, |v40|
	v_cvt_f64_f32_e32 v[35:36], v42
	v_mul_f32_e32 v39, v37, v37
	v_fmac_f32_e32 v38, 0x3b2d2a58, v39
	v_cmp_neq_f32_e32 vcc, s47, v42
	v_frexp_exp_i32_f64_e32 v35, v[35:36]
	v_fma_f32 v36, v39, v38, v18
	v_fma_f32 v36, v39, v36, v19
	;; [unrolled: 1-line block ×6, first 2 shown]
	v_mul_f32_e32 v36, v39, v36
	v_sub_u32_e32 v38, 0, v35
	v_ldexp_f32 v7, |v7|, v38
	v_ldexp_f32 v38, |v40|, v38
	v_mul_f32_e32 v38, v38, v38
	v_fmac_f32_e32 v38, v7, v7
	v_sqrt_f32_e32 v7, v38
	v_fmac_f32_e32 v37, v37, v36
	v_sub_f32_e32 v36, 0x3fc90fdb, v37
	v_ldexp_f32 v7, v7, v35
	v_cndmask_b32_e32 v7, v24, v7, vcc
	v_cmp_gt_f32_e32 vcc, s51, v7
	v_cndmask_b32_e64 v35, 0, 32, vcc
	v_ldexp_f32 v7, v7, v35
	v_log_f32_e32 v7, v7
	v_cndmask_b32_e64 v35, v37, v36, s[8:9]
	v_cndmask_b32_e32 v37, 0, v30, vcc
	v_sub_f32_e32 v36, 0x40490fdb, v35
	v_mul_f32_e32 v38, 0x3f317217, v7
	v_fma_f32 v38, v7, s52, -v38
	v_fmac_f32_e32 v38, 0x3377d1cf, v7
	v_fmac_f32_e32 v38, 0x3f317217, v7
	v_cmp_lt_f32_e64 vcc, |v7|, s47
	v_cndmask_b32_e32 v7, v7, v38, vcc
	v_cmp_gt_f32_e32 vcc, 0, v5
	v_cmp_gt_i32_e64 s[8:9], 0, v5
	v_cndmask_b32_e32 v35, v35, v36, vcc
	v_cndmask_b32_e64 v36, 0, v27, s[8:9]
	v_cmp_eq_f32_e64 s[8:9], 0, v6
	v_cndmask_b32_e64 v35, v35, v36, s[8:9]
	v_cmp_class_f32_e64 s[8:9], v5, s49
	v_sub_f32_e32 v7, v7, v37
	v_cndmask_b32_e32 v36, v28, v29, vcc
	s_and_b64 vcc, s[10:11], s[8:9]
	v_add_f32_e32 v7, 1.0, v7
	v_cndmask_b32_e32 v35, v35, v36, vcc
.LBB180_287:                            ;   in Loop: Header=BB180_145 Depth=1
	s_or_b64 exec, exec, s[20:21]
	s_andn2_saveexec_b64 s[8:9], s[18:19]
	s_cbranch_execz .LBB180_257
.LBB180_288:                            ;   in Loop: Header=BB180_145 Depth=1
	v_cmp_nlt_f32_e64 s[10:11], |v5|, s55
	v_cmp_nlt_f32_e64 s[18:19], |v6|, s55
	s_or_b64 s[10:11], s[18:19], s[10:11]
                                        ; implicit-def: $vgpr7
	s_and_saveexec_b64 s[18:19], s[10:11]
	s_xor_b64 s[10:11], exec, s[18:19]
; %bb.289:                              ;   in Loop: Header=BB180_145 Depth=1
	v_mul_f32_e32 v7, v5, v5
	v_fmac_f32_e32 v7, v6, v6
; %bb.290:                              ;   in Loop: Header=BB180_145 Depth=1
	s_andn2_saveexec_b64 s[10:11], s[10:11]
; %bb.291:                              ;   in Loop: Header=BB180_145 Depth=1
	v_mul_f32_e32 v5, 4.0, v5
	v_mul_f32_e32 v7, 4.0, v6
	v_mul_f32_e32 v5, v5, v5
	v_fmac_f32_e32 v5, v7, v7
	v_mul_f32_e32 v7, 0x3d800000, v5
; %bb.292:                              ;   in Loop: Header=BB180_145 Depth=1
	s_or_b64 exec, exec, s[10:11]
	v_cmp_gt_f32_e32 vcc, s51, v7
	v_cndmask_b32_e64 v5, 0, 32, vcc
	v_ldexp_f32 v5, v7, v5
	v_log_f32_e32 v5, v5
	v_cndmask_b32_e32 v7, 0, v30, vcc
	v_mul_f32_e32 v35, 0x3f317217, v5
	v_fma_f32 v35, v5, s52, -v35
	v_fmac_f32_e32 v35, 0x3377d1cf, v5
	v_fmac_f32_e32 v35, 0x3f317217, v5
	v_cmp_lt_f32_e64 vcc, |v5|, s47
	v_cndmask_b32_e32 v5, v5, v35, vcc
	v_sub_f32_e32 v7, v5, v7
	v_mov_b32_e32 v35, 0x7fc00000
	s_or_b64 exec, exec, s[8:9]
	s_and_saveexec_b64 s[8:9], s[6:7]
	s_xor_b64 s[8:9], exec, s[8:9]
	s_cbranch_execz .LBB180_258
.LBB180_293:                            ;   in Loop: Header=BB180_145 Depth=1
	v_bfi_b32 v5, s41, v32, v16
	v_div_scale_f32 v16, s[6:7], s56, s56, v31
	v_div_scale_f32 v32, s[6:7], s56, s56, v5
	v_div_scale_f32 v36, vcc, v31, s56, v31
	v_div_scale_f32 v37, s[6:7], v5, s56, v5
	v_lshlrev_b64 v[11:12], 3, v[11:12]
	v_rcp_f32_e32 v38, v16
	v_rcp_f32_e32 v39, v32
	v_fma_f32 v40, -v16, v38, 1.0
	v_fmac_f32_e32 v38, v40, v38
	v_fma_f32 v40, -v32, v39, 1.0
	v_mul_f32_e32 v41, v36, v38
	v_fmac_f32_e32 v39, v40, v39
	v_fma_f32 v40, -v16, v41, v36
	v_mul_f32_e32 v42, v37, v39
	v_fmac_f32_e32 v41, v40, v38
	v_fma_f32 v40, -v32, v42, v37
	v_fma_f32 v16, -v16, v41, v36
	v_fmac_f32_e32 v42, v40, v39
	v_div_fmas_f32 v16, v16, v38, v41
	v_fma_f32 v32, -v32, v42, v37
	s_mov_b64 vcc, s[6:7]
	v_div_fmas_f32 v32, v32, v39, v42
	v_mov_b32_e32 v36, s36
	v_add_co_u32_e32 v11, vcc, s35, v11
	v_addc_co_u32_e32 v12, vcc, v36, v12, vcc
	v_div_fixup_f32 v31, v16, s56, v31
	v_div_fixup_f32 v32, v32, s56, v5
	global_store_dwordx2 v[11:12], v[31:32], off
	s_or_b64 exec, exec, s[8:9]
	s_and_saveexec_b64 s[6:7], s[4:5]
	s_cbranch_execz .LBB180_259
.LBB180_294:                            ;   in Loop: Header=BB180_145 Depth=1
	v_bfi_b32 v5, s41, v33, v14
	v_div_scale_f32 v11, s[4:5], s56, s56, v15
	v_div_scale_f32 v12, s[4:5], s56, s56, v5
	v_div_scale_f32 v14, vcc, v15, s56, v15
	v_div_scale_f32 v16, s[4:5], v5, s56, v5
	v_lshlrev_b64 v[9:10], 3, v[9:10]
	v_rcp_f32_e32 v31, v11
	v_rcp_f32_e32 v32, v12
	v_fma_f32 v33, -v11, v31, 1.0
	v_fmac_f32_e32 v31, v33, v31
	v_fma_f32 v33, -v12, v32, 1.0
	v_mul_f32_e32 v36, v14, v31
	v_fmac_f32_e32 v32, v33, v32
	v_fma_f32 v33, -v11, v36, v14
	v_mul_f32_e32 v37, v16, v32
	v_fmac_f32_e32 v36, v33, v31
	v_fma_f32 v33, -v12, v37, v16
	v_fma_f32 v11, -v11, v36, v14
	v_fmac_f32_e32 v37, v33, v32
	v_div_fmas_f32 v11, v11, v31, v36
	v_fma_f32 v12, -v12, v37, v16
	s_mov_b64 vcc, s[4:5]
	v_div_fmas_f32 v12, v12, v32, v37
	v_mov_b32_e32 v14, s36
	v_add_co_u32_e32 v9, vcc, s35, v9
	v_addc_co_u32_e32 v10, vcc, v14, v10, vcc
	v_div_fixup_f32 v11, v11, s56, v15
	v_div_fixup_f32 v12, v12, s56, v5
	global_store_dwordx2 v[9:10], v[11:12], off
	s_or_b64 exec, exec, s[6:7]
	s_and_saveexec_b64 s[4:5], s[2:3]
	s_cbranch_execz .LBB180_260
.LBB180_295:                            ;   in Loop: Header=BB180_145 Depth=1
	v_bfi_b32 v5, s41, v34, v8
	v_div_scale_f32 v8, s[2:3], s56, s56, v13
	v_div_scale_f32 v9, s[2:3], s56, s56, v5
	v_div_scale_f32 v10, vcc, v13, s56, v13
	v_div_scale_f32 v11, s[2:3], v5, s56, v5
	v_lshlrev_b64 v[3:4], 3, v[3:4]
	v_rcp_f32_e32 v12, v8
	v_rcp_f32_e32 v14, v9
	v_fma_f32 v15, -v8, v12, 1.0
	v_fmac_f32_e32 v12, v15, v12
	v_fma_f32 v15, -v9, v14, 1.0
	v_mul_f32_e32 v16, v10, v12
	v_fmac_f32_e32 v14, v15, v14
	v_fma_f32 v15, -v8, v16, v10
	v_mul_f32_e32 v31, v11, v14
	v_fmac_f32_e32 v16, v15, v12
	v_fma_f32 v15, -v9, v31, v11
	v_fma_f32 v8, -v8, v16, v10
	v_fmac_f32_e32 v31, v15, v14
	v_div_fmas_f32 v8, v8, v12, v16
	v_fma_f32 v9, -v9, v31, v11
	s_mov_b64 vcc, s[2:3]
	v_div_fmas_f32 v9, v9, v14, v31
	v_mov_b32_e32 v10, s36
	v_add_co_u32_e32 v3, vcc, s35, v3
	v_addc_co_u32_e32 v4, vcc, v10, v4, vcc
	v_div_fixup_f32 v8, v8, s56, v13
	v_div_fixup_f32 v9, v9, s56, v5
	global_store_dwordx2 v[3:4], v[8:9], off
	s_or_b64 exec, exec, s[4:5]
	s_and_saveexec_b64 s[2:3], s[0:1]
	s_cbranch_execz .LBB180_144
.LBB180_296:                            ;   in Loop: Header=BB180_145 Depth=1
	v_bfi_b32 v4, s41, v35, v6
	v_div_scale_f32 v3, s[0:1], s56, s56, v7
	v_div_scale_f32 v5, s[0:1], s56, s56, v4
	v_div_scale_f32 v6, vcc, v7, s56, v7
	v_div_scale_f32 v8, s[0:1], v4, s56, v4
	v_lshlrev_b64 v[1:2], 3, v[1:2]
	v_rcp_f32_e32 v9, v3
	v_rcp_f32_e32 v10, v5
	v_fma_f32 v11, -v3, v9, 1.0
	v_fmac_f32_e32 v9, v11, v9
	v_fma_f32 v11, -v5, v10, 1.0
	v_mul_f32_e32 v12, v6, v9
	v_fmac_f32_e32 v10, v11, v10
	v_fma_f32 v11, -v3, v12, v6
	v_mul_f32_e32 v13, v8, v10
	v_fmac_f32_e32 v12, v11, v9
	v_fma_f32 v11, -v5, v13, v8
	v_fma_f32 v3, -v3, v12, v6
	v_fmac_f32_e32 v13, v11, v10
	v_div_fmas_f32 v3, v3, v9, v12
	v_fma_f32 v5, -v5, v13, v8
	s_mov_b64 vcc, s[0:1]
	v_div_fmas_f32 v5, v5, v10, v13
	v_mov_b32_e32 v6, s36
	v_add_co_u32_e32 v1, vcc, s35, v1
	v_addc_co_u32_e32 v2, vcc, v6, v2, vcc
	v_div_fixup_f32 v3, v3, s56, v7
	v_div_fixup_f32 v4, v5, s56, v4
	global_store_dwordx2 v[1:2], v[3:4], off
	s_branch .LBB180_144
.LBB180_297:
	s_endpgm
	.section	.rodata,"a",@progbits
	.p2align	6, 0x0
	.amdhsa_kernel _ZN2at6native12_GLOBAL__N_125multi_tensor_apply_kernelINS1_18TensorListMetadataILi2EEENS1_14UnaryOpFunctorIN3c107complexIfEELi2ELi1ELi1EEEJNS0_5Log10IS8_EEEEEvT_T0_DpT1_
		.amdhsa_group_segment_fixed_size 0
		.amdhsa_private_segment_fixed_size 0
		.amdhsa_kernarg_size 3408
		.amdhsa_user_sgpr_count 6
		.amdhsa_user_sgpr_private_segment_buffer 1
		.amdhsa_user_sgpr_dispatch_ptr 0
		.amdhsa_user_sgpr_queue_ptr 0
		.amdhsa_user_sgpr_kernarg_segment_ptr 1
		.amdhsa_user_sgpr_dispatch_id 0
		.amdhsa_user_sgpr_flat_scratch_init 0
		.amdhsa_user_sgpr_private_segment_size 0
		.amdhsa_uses_dynamic_stack 0
		.amdhsa_system_sgpr_private_segment_wavefront_offset 0
		.amdhsa_system_sgpr_workgroup_id_x 1
		.amdhsa_system_sgpr_workgroup_id_y 0
		.amdhsa_system_sgpr_workgroup_id_z 0
		.amdhsa_system_sgpr_workgroup_info 0
		.amdhsa_system_vgpr_workitem_id 0
		.amdhsa_next_free_vgpr 48
		.amdhsa_next_free_sgpr 62
		.amdhsa_reserve_vcc 1
		.amdhsa_reserve_flat_scratch 0
		.amdhsa_float_round_mode_32 0
		.amdhsa_float_round_mode_16_64 0
		.amdhsa_float_denorm_mode_32 3
		.amdhsa_float_denorm_mode_16_64 3
		.amdhsa_dx10_clamp 1
		.amdhsa_ieee_mode 1
		.amdhsa_fp16_overflow 0
		.amdhsa_exception_fp_ieee_invalid_op 0
		.amdhsa_exception_fp_denorm_src 0
		.amdhsa_exception_fp_ieee_div_zero 0
		.amdhsa_exception_fp_ieee_overflow 0
		.amdhsa_exception_fp_ieee_underflow 0
		.amdhsa_exception_fp_ieee_inexact 0
		.amdhsa_exception_int_div_zero 0
	.end_amdhsa_kernel
	.section	.text._ZN2at6native12_GLOBAL__N_125multi_tensor_apply_kernelINS1_18TensorListMetadataILi2EEENS1_14UnaryOpFunctorIN3c107complexIfEELi2ELi1ELi1EEEJNS0_5Log10IS8_EEEEEvT_T0_DpT1_,"axG",@progbits,_ZN2at6native12_GLOBAL__N_125multi_tensor_apply_kernelINS1_18TensorListMetadataILi2EEENS1_14UnaryOpFunctorIN3c107complexIfEELi2ELi1ELi1EEEJNS0_5Log10IS8_EEEEEvT_T0_DpT1_,comdat
.Lfunc_end180:
	.size	_ZN2at6native12_GLOBAL__N_125multi_tensor_apply_kernelINS1_18TensorListMetadataILi2EEENS1_14UnaryOpFunctorIN3c107complexIfEELi2ELi1ELi1EEEJNS0_5Log10IS8_EEEEEvT_T0_DpT1_, .Lfunc_end180-_ZN2at6native12_GLOBAL__N_125multi_tensor_apply_kernelINS1_18TensorListMetadataILi2EEENS1_14UnaryOpFunctorIN3c107complexIfEELi2ELi1ELi1EEEJNS0_5Log10IS8_EEEEEvT_T0_DpT1_
                                        ; -- End function
	.set _ZN2at6native12_GLOBAL__N_125multi_tensor_apply_kernelINS1_18TensorListMetadataILi2EEENS1_14UnaryOpFunctorIN3c107complexIfEELi2ELi1ELi1EEEJNS0_5Log10IS8_EEEEEvT_T0_DpT1_.num_vgpr, 48
	.set _ZN2at6native12_GLOBAL__N_125multi_tensor_apply_kernelINS1_18TensorListMetadataILi2EEENS1_14UnaryOpFunctorIN3c107complexIfEELi2ELi1ELi1EEEJNS0_5Log10IS8_EEEEEvT_T0_DpT1_.num_agpr, 0
	.set _ZN2at6native12_GLOBAL__N_125multi_tensor_apply_kernelINS1_18TensorListMetadataILi2EEENS1_14UnaryOpFunctorIN3c107complexIfEELi2ELi1ELi1EEEJNS0_5Log10IS8_EEEEEvT_T0_DpT1_.numbered_sgpr, 62
	.set _ZN2at6native12_GLOBAL__N_125multi_tensor_apply_kernelINS1_18TensorListMetadataILi2EEENS1_14UnaryOpFunctorIN3c107complexIfEELi2ELi1ELi1EEEJNS0_5Log10IS8_EEEEEvT_T0_DpT1_.num_named_barrier, 0
	.set _ZN2at6native12_GLOBAL__N_125multi_tensor_apply_kernelINS1_18TensorListMetadataILi2EEENS1_14UnaryOpFunctorIN3c107complexIfEELi2ELi1ELi1EEEJNS0_5Log10IS8_EEEEEvT_T0_DpT1_.private_seg_size, 0
	.set _ZN2at6native12_GLOBAL__N_125multi_tensor_apply_kernelINS1_18TensorListMetadataILi2EEENS1_14UnaryOpFunctorIN3c107complexIfEELi2ELi1ELi1EEEJNS0_5Log10IS8_EEEEEvT_T0_DpT1_.uses_vcc, 1
	.set _ZN2at6native12_GLOBAL__N_125multi_tensor_apply_kernelINS1_18TensorListMetadataILi2EEENS1_14UnaryOpFunctorIN3c107complexIfEELi2ELi1ELi1EEEJNS0_5Log10IS8_EEEEEvT_T0_DpT1_.uses_flat_scratch, 0
	.set _ZN2at6native12_GLOBAL__N_125multi_tensor_apply_kernelINS1_18TensorListMetadataILi2EEENS1_14UnaryOpFunctorIN3c107complexIfEELi2ELi1ELi1EEEJNS0_5Log10IS8_EEEEEvT_T0_DpT1_.has_dyn_sized_stack, 0
	.set _ZN2at6native12_GLOBAL__N_125multi_tensor_apply_kernelINS1_18TensorListMetadataILi2EEENS1_14UnaryOpFunctorIN3c107complexIfEELi2ELi1ELi1EEEJNS0_5Log10IS8_EEEEEvT_T0_DpT1_.has_recursion, 0
	.set _ZN2at6native12_GLOBAL__N_125multi_tensor_apply_kernelINS1_18TensorListMetadataILi2EEENS1_14UnaryOpFunctorIN3c107complexIfEELi2ELi1ELi1EEEJNS0_5Log10IS8_EEEEEvT_T0_DpT1_.has_indirect_call, 0
	.section	.AMDGPU.csdata,"",@progbits
; Kernel info:
; codeLenInByte = 38320
; TotalNumSgprs: 66
; NumVgprs: 48
; ScratchSize: 0
; MemoryBound: 1
; FloatMode: 240
; IeeeMode: 1
; LDSByteSize: 0 bytes/workgroup (compile time only)
; SGPRBlocks: 8
; VGPRBlocks: 11
; NumSGPRsForWavesPerEU: 66
; NumVGPRsForWavesPerEU: 48
; Occupancy: 5
; WaveLimiterHint : 0
; COMPUTE_PGM_RSRC2:SCRATCH_EN: 0
; COMPUTE_PGM_RSRC2:USER_SGPR: 6
; COMPUTE_PGM_RSRC2:TRAP_HANDLER: 0
; COMPUTE_PGM_RSRC2:TGID_X_EN: 1
; COMPUTE_PGM_RSRC2:TGID_Y_EN: 0
; COMPUTE_PGM_RSRC2:TGID_Z_EN: 0
; COMPUTE_PGM_RSRC2:TIDIG_COMP_CNT: 0
	.section	.text._ZN2at6native12_GLOBAL__N_125multi_tensor_apply_kernelINS1_18TensorListMetadataILi2EEENS1_14UnaryOpFunctorIN3c104HalfELi2ELi1ELi1EEEJNS0_5Log10IfEEEEEvT_T0_DpT1_,"axG",@progbits,_ZN2at6native12_GLOBAL__N_125multi_tensor_apply_kernelINS1_18TensorListMetadataILi2EEENS1_14UnaryOpFunctorIN3c104HalfELi2ELi1ELi1EEEJNS0_5Log10IfEEEEEvT_T0_DpT1_,comdat
	.globl	_ZN2at6native12_GLOBAL__N_125multi_tensor_apply_kernelINS1_18TensorListMetadataILi2EEENS1_14UnaryOpFunctorIN3c104HalfELi2ELi1ELi1EEEJNS0_5Log10IfEEEEEvT_T0_DpT1_ ; -- Begin function _ZN2at6native12_GLOBAL__N_125multi_tensor_apply_kernelINS1_18TensorListMetadataILi2EEENS1_14UnaryOpFunctorIN3c104HalfELi2ELi1ELi1EEEJNS0_5Log10IfEEEEEvT_T0_DpT1_
	.p2align	8
	.type	_ZN2at6native12_GLOBAL__N_125multi_tensor_apply_kernelINS1_18TensorListMetadataILi2EEENS1_14UnaryOpFunctorIN3c104HalfELi2ELi1ELi1EEEJNS0_5Log10IfEEEEEvT_T0_DpT1_,@function
_ZN2at6native12_GLOBAL__N_125multi_tensor_apply_kernelINS1_18TensorListMetadataILi2EEENS1_14UnaryOpFunctorIN3c104HalfELi2ELi1ELi1EEEJNS0_5Log10IfEEEEEvT_T0_DpT1_: ; @_ZN2at6native12_GLOBAL__N_125multi_tensor_apply_kernelINS1_18TensorListMetadataILi2EEENS1_14UnaryOpFunctorIN3c104HalfELi2ELi1ELi1EEEJNS0_5Log10IfEEEEEvT_T0_DpT1_
; %bb.0:
	v_mov_b32_e32 v1, s6
	global_load_ubyte v1, v1, s[4:5] offset:1536
	s_add_u32 s0, s4, s6
	s_mul_hi_u32 s2, s6, 3
	s_mul_i32 s6, s6, 3
	s_addc_u32 s7, s5, 0
	s_add_u32 s6, s0, s6
	s_addc_u32 s7, s7, s2
	s_load_dword s6, s[6:7], 0x740
	s_mov_b32 s1, 0
	s_mov_b32 s3, s1
	s_waitcnt lgkmcnt(0)
	s_ashr_i32 s7, s6, 31
	s_lshl_b64 s[8:9], s[6:7], 17
	s_lshl_b64 s[6:7], s[6:7], 16
	s_waitcnt vmcnt(0)
	v_readfirstlane_b32 s0, v1
	s_lshl_b32 s0, s0, 3
	s_load_dwordx2 s[10:11], s[4:5], s0 offset:0x400
	s_load_dwordx2 s[16:17], s[4:5], s0 offset:0x0
	;; [unrolled: 1-line block ×3, first 2 shown]
	s_waitcnt lgkmcnt(0)
	s_add_u32 s0, s16, s8
	s_and_b32 s2, s14, 7
	s_and_b32 s0, s0, 7
	s_sub_u32 s12, s10, s6
	s_subb_u32 s13, s11, s7
	s_and_b32 s6, s10, 3
	s_mov_b32 s7, s1
	s_or_b64 s[2:3], s[2:3], s[6:7]
	s_or_b64 s[0:1], s[2:3], s[0:1]
	s_cmp_eq_u64 s[0:1], 0
	s_mov_b64 s[0:1], -1
	s_cbranch_scc0 .LBB181_5
; %bb.1:
	v_mov_b32_e32 v1, 0x10000
	v_mov_b32_e32 v2, 0
	v_cmp_lt_i64_e32 vcc, s[12:13], v[1:2]
	v_mov_b32_e32 v2, 0
	s_and_b64 s[0:1], vcc, exec
	s_cselect_b32 s11, s13, 0
	s_cselect_b32 s10, s12, 0x10000
	v_lshlrev_b32_e32 v1, 2, v0
	v_cmp_gt_i64_e32 vcc, s[10:11], v[1:2]
	s_and_saveexec_b64 s[18:19], vcc
	s_cbranch_execz .LBB181_4
; %bb.2:
	s_load_dword s0, s[4:5], 0xc5c
	v_mov_b32_e32 v1, v2
	v_lshlrev_b32_e32 v2, 3, v0
	v_mov_b32_e32 v4, s9
	v_add_co_u32_e32 v3, vcc, s8, v2
	s_waitcnt lgkmcnt(0)
	s_and_b32 s22, s0, 0xffff
	v_mov_b32_e32 v2, v1
	v_addc_co_u32_e32 v4, vcc, 0, v4, vcc
	s_lshl_b32 s23, s22, 3
	s_mov_b64 s[20:21], 0
	v_mov_b32_e32 v5, s17
	s_mov_b32 s24, 0x3e9a209a
	s_mov_b32 s25, 0x7f800000
	v_mov_b32_e32 v6, s15
	v_mov_b32_e32 v1, v0
.LBB181_3:                              ; =>This Inner Loop Header: Depth=1
	v_add_co_u32_e32 v7, vcc, s16, v3
	v_addc_co_u32_e32 v8, vcc, v5, v4, vcc
	global_load_dwordx2 v[7:8], v[7:8], off
	v_add_co_u32_e32 v9, vcc, s14, v3
	v_addc_co_u32_e32 v10, vcc, v6, v4, vcc
	v_add_co_u32_e32 v1, vcc, s22, v1
	v_addc_co_u32_e32 v2, vcc, 0, v2, vcc
	;; [unrolled: 2-line block ×3, first 2 shown]
	v_lshlrev_b64 v[11:12], 2, v[1:2]
	s_waitcnt vmcnt(0)
	v_cvt_f32_f16_e32 v13, v7
	v_cvt_f32_f16_sdwa v7, v7 dst_sel:DWORD dst_unused:UNUSED_PAD src0_sel:WORD_1
	v_cvt_f32_f16_e32 v14, v8
	v_cvt_f32_f16_sdwa v8, v8 dst_sel:DWORD dst_unused:UNUSED_PAD src0_sel:WORD_1
	v_log_f32_e32 v13, v13
	v_log_f32_e32 v7, v7
	;; [unrolled: 1-line block ×4, first 2 shown]
	v_mul_f32_e32 v15, 0x3e9a209a, v13
	v_mul_f32_e32 v16, 0x3e9a209a, v7
	;; [unrolled: 1-line block ×4, first 2 shown]
	v_fma_f32 v15, v13, s24, -v15
	v_fma_f32 v16, v7, s24, -v16
	v_fma_f32 v17, v14, s24, -v17
	v_fma_f32 v18, v8, s24, -v18
	v_fmac_f32_e32 v15, 0x3284fbcf, v13
	v_fmac_f32_e32 v16, 0x3284fbcf, v7
	;; [unrolled: 1-line block ×6, first 2 shown]
	v_cmp_lt_f32_e64 vcc, |v7|, s25
	v_fmac_f32_e32 v17, 0x3e9a209a, v14
	v_cmp_lt_f32_e64 s[0:1], |v14|, s25
	v_fmac_f32_e32 v18, 0x3e9a209a, v8
	v_cmp_lt_f32_e64 s[2:3], |v8|, s25
	v_cmp_lt_f32_e64 s[6:7], |v13|, s25
	v_cndmask_b32_e64 v13, v13, v15, s[6:7]
	v_cndmask_b32_e32 v7, v7, v16, vcc
	v_cndmask_b32_e64 v14, v14, v17, s[0:1]
	v_cndmask_b32_e64 v8, v8, v18, s[2:3]
	v_cvt_f16_f32_e32 v13, v13
	v_cvt_f16_f32_e32 v7, v7
	;; [unrolled: 1-line block ×4, first 2 shown]
	v_cmp_le_i64_e32 vcc, s[10:11], v[11:12]
	v_pack_b32_f16 v7, v13, v7
	s_or_b64 s[20:21], vcc, s[20:21]
	v_pack_b32_f16 v8, v14, v8
	global_store_dwordx2 v[9:10], v[7:8], off
	s_andn2_b64 exec, exec, s[20:21]
	s_cbranch_execnz .LBB181_3
.LBB181_4:
	s_or_b64 exec, exec, s[18:19]
	s_mov_b64 s[0:1], 0
.LBB181_5:
	s_andn2_b64 vcc, exec, s[0:1]
	s_cbranch_vccnz .LBB181_25
; %bb.6:
	v_cmp_lt_i64_e64 s[0:1], s[12:13], 1
	s_and_b64 vcc, exec, s[0:1]
	s_cbranch_vccnz .LBB181_25
; %bb.7:
	v_mov_b32_e32 v1, 0x10000
	s_load_dword s2, s[4:5], 0xc5c
	v_mov_b32_e32 v2, 0
	v_cmp_lt_i64_e32 vcc, s[12:13], v[1:2]
	v_mov_b32_e32 v10, 0
	s_and_b64 s[0:1], vcc, exec
	v_cmp_lt_u64_e32 vcc, s[12:13], v[1:2]
	s_cselect_b32 s11, s13, 0
	s_cselect_b32 s10, s12, 0x10000
	s_waitcnt lgkmcnt(0)
	s_and_b32 s2, s2, 0xffff
	v_lshlrev_b32_e32 v9, 1, v0
	s_and_b64 s[0:1], vcc, exec
	v_mov_b32_e32 v2, s17
	v_add_co_u32_e32 v1, vcc, s16, v9
	v_mad_u64_u32 v[7:8], s[0:1], s2, 6, v[9:10]
	v_addc_co_u32_e32 v2, vcc, 0, v2, vcc
	v_mov_b32_e32 v4, s15
	v_add_co_u32_e32 v3, vcc, s14, v9
	v_addc_co_u32_e32 v4, vcc, 0, v4, vcc
	v_mov_b32_e32 v6, s17
	v_add_co_u32_e32 v5, vcc, s16, v7
	;; [unrolled: 3-line block ×3, first 2 shown]
	s_cselect_b32 s13, s13, 0
	s_cselect_b32 s12, s12, 0x10000
	s_lshl_b32 s18, s2, 2
	v_addc_co_u32_e32 v8, vcc, v10, v8, vcc
	v_add_co_u32_e32 v11, vcc, s18, v9
	v_addc_co_u32_e64 v12, s[0:1], 0, 0, vcc
	v_mov_b32_e32 v10, s17
	v_add_co_u32_e32 v9, vcc, s16, v11
	v_addc_co_u32_e32 v10, vcc, v10, v12, vcc
	v_mov_b32_e32 v13, s15
	v_add_co_u32_e32 v11, vcc, s14, v11
	v_addc_co_u32_e32 v12, vcc, v13, v12, vcc
	v_add_co_u32_e32 v13, vcc, s2, v0
	v_lshlrev_b32_e32 v17, 1, v13
	v_addc_co_u32_e64 v14, s[0:1], 0, 0, vcc
	v_mov_b32_e32 v16, s17
	v_add_co_u32_e32 v15, vcc, s16, v17
	v_addc_co_u32_e32 v16, vcc, 0, v16, vcc
	v_mov_b32_e32 v18, s15
	v_add_co_u32_e32 v17, vcc, s14, v17
	s_mul_i32 s4, s2, 3
	v_addc_co_u32_e32 v18, vcc, 0, v18, vcc
	s_lshl_b32 s3, s2, 1
	v_add_co_u32_e32 v19, vcc, s4, v0
	v_addc_co_u32_e64 v20, s[0:1], 0, 0, vcc
	v_add_co_u32_e32 v21, vcc, s3, v0
	s_lshl_b32 s19, s2, 3
	s_mov_b64 s[14:15], 0
	s_mov_b32 s20, 0x800000
	s_mov_b32 s21, 0x3e9a209a
	;; [unrolled: 1-line block ×3, first 2 shown]
	v_addc_co_u32_e64 v22, s[0:1], 0, 0, vcc
	v_mov_b32_e32 v23, 0x411a209b
	s_branch .LBB181_9
.LBB181_8:                              ;   in Loop: Header=BB181_9 Depth=1
	s_or_b64 exec, exec, s[0:1]
	v_add_co_u32_e32 v1, vcc, s19, v1
	v_addc_co_u32_e32 v2, vcc, 0, v2, vcc
	v_add_co_u32_e32 v3, vcc, s19, v3
	v_addc_co_u32_e32 v4, vcc, 0, v4, vcc
	;; [unrolled: 2-line block ×6, first 2 shown]
	s_add_u32 s14, s14, s18
	v_add_co_u32_e32 v15, vcc, s19, v15
	v_mov_b32_e32 v25, s11
	s_addc_u32 s15, s15, 0
	v_addc_co_u32_e32 v16, vcc, 0, v16, vcc
	v_mov_b32_e32 v24, s10
	v_cmp_ge_i64_e32 vcc, s[14:15], v[24:25]
	v_add_co_u32_e64 v17, s[0:1], s19, v17
	v_addc_co_u32_e64 v18, s[0:1], 0, v18, s[0:1]
	s_cbranch_vccnz .LBB181_25
.LBB181_9:                              ; =>This Inner Loop Header: Depth=1
	v_mov_b32_e32 v25, s15
	v_add_co_u32_e32 v24, vcc, s14, v0
	v_addc_co_u32_e32 v25, vcc, 0, v25, vcc
	v_cmp_gt_u64_e64 s[4:5], s[12:13], v[24:25]
	v_mov_b32_e32 v26, 0
	s_and_saveexec_b64 s[0:1], s[4:5]
	s_cbranch_execz .LBB181_11
; %bb.10:                               ;   in Loop: Header=BB181_9 Depth=1
	v_mov_b32_e32 v25, s9
	v_add_co_u32_e32 v24, vcc, s8, v1
	v_addc_co_u32_e32 v25, vcc, v2, v25, vcc
	global_load_ushort v24, v[24:25], off
	s_waitcnt vmcnt(0)
	v_cvt_f32_f16_e32 v26, v24
.LBB181_11:                             ;   in Loop: Header=BB181_9 Depth=1
	s_or_b64 exec, exec, s[0:1]
	v_mov_b32_e32 v25, s15
	v_add_co_u32_e32 v24, vcc, s14, v13
	v_addc_co_u32_e32 v25, vcc, v14, v25, vcc
	v_cmp_gt_u64_e64 s[2:3], s[12:13], v[24:25]
	v_mov_b32_e32 v24, 0
	v_mov_b32_e32 v27, 0
	s_and_saveexec_b64 s[0:1], s[2:3]
	s_cbranch_execz .LBB181_13
; %bb.12:                               ;   in Loop: Header=BB181_9 Depth=1
	v_mov_b32_e32 v25, s9
	v_add_co_u32_e32 v27, vcc, s8, v15
	v_addc_co_u32_e32 v28, vcc, v16, v25, vcc
	global_load_ushort v25, v[27:28], off
	s_waitcnt vmcnt(0)
	v_cvt_f32_f16_e32 v27, v25
.LBB181_13:                             ;   in Loop: Header=BB181_9 Depth=1
	s_or_b64 exec, exec, s[0:1]
	v_mov_b32_e32 v25, s15
	v_add_co_u32_e32 v28, vcc, s14, v21
	v_addc_co_u32_e32 v29, vcc, v22, v25, vcc
	v_cmp_gt_u64_e64 s[0:1], s[12:13], v[28:29]
	s_and_saveexec_b64 s[6:7], s[0:1]
	s_cbranch_execz .LBB181_15
; %bb.14:                               ;   in Loop: Header=BB181_9 Depth=1
	v_mov_b32_e32 v25, s9
	v_add_co_u32_e32 v24, vcc, s8, v9
	v_addc_co_u32_e32 v25, vcc, v10, v25, vcc
	global_load_ushort v24, v[24:25], off
	s_waitcnt vmcnt(0)
	v_cvt_f32_f16_e32 v24, v24
.LBB181_15:                             ;   in Loop: Header=BB181_9 Depth=1
	s_or_b64 exec, exec, s[6:7]
	v_mov_b32_e32 v25, s15
	v_add_co_u32_e32 v28, vcc, s14, v19
	v_addc_co_u32_e32 v29, vcc, v20, v25, vcc
	v_cmp_gt_u64_e32 vcc, s[12:13], v[28:29]
	v_mov_b32_e32 v25, 0
	s_and_saveexec_b64 s[16:17], vcc
	s_cbranch_execnz .LBB181_20
; %bb.16:                               ;   in Loop: Header=BB181_9 Depth=1
	s_or_b64 exec, exec, s[16:17]
	s_and_saveexec_b64 s[16:17], s[4:5]
	s_cbranch_execnz .LBB181_21
.LBB181_17:                             ;   in Loop: Header=BB181_9 Depth=1
	s_or_b64 exec, exec, s[16:17]
	s_and_saveexec_b64 s[4:5], s[2:3]
	s_cbranch_execnz .LBB181_22
.LBB181_18:                             ;   in Loop: Header=BB181_9 Depth=1
	s_or_b64 exec, exec, s[4:5]
	s_and_saveexec_b64 s[2:3], s[0:1]
	s_cbranch_execnz .LBB181_23
.LBB181_19:                             ;   in Loop: Header=BB181_9 Depth=1
	s_or_b64 exec, exec, s[2:3]
	s_and_saveexec_b64 s[0:1], vcc
	s_cbranch_execz .LBB181_8
	s_branch .LBB181_24
.LBB181_20:                             ;   in Loop: Header=BB181_9 Depth=1
	v_mov_b32_e32 v25, s9
	v_add_co_u32_e64 v28, s[6:7], s8, v5
	v_addc_co_u32_e64 v29, s[6:7], v6, v25, s[6:7]
	global_load_ushort v25, v[28:29], off
	s_waitcnt vmcnt(0)
	v_cvt_f32_f16_e32 v25, v25
	s_or_b64 exec, exec, s[16:17]
	s_and_saveexec_b64 s[16:17], s[4:5]
	s_cbranch_execz .LBB181_17
.LBB181_21:                             ;   in Loop: Header=BB181_9 Depth=1
	v_cmp_gt_f32_e64 s[4:5], s20, v26
	v_cndmask_b32_e64 v28, 0, 32, s[4:5]
	v_ldexp_f32 v26, v26, v28
	v_log_f32_e32 v26, v26
	v_mov_b32_e32 v29, s9
	v_mul_f32_e32 v28, 0x3e9a209a, v26
	v_fma_f32 v28, v26, s21, -v28
	v_fmac_f32_e32 v28, 0x3284fbcf, v26
	v_fmac_f32_e32 v28, 0x3e9a209a, v26
	v_cmp_lt_f32_e64 s[6:7], |v26|, s22
	v_cndmask_b32_e64 v26, v26, v28, s[6:7]
	v_cndmask_b32_e64 v28, 0, v23, s[4:5]
	v_sub_f32_e32 v26, v26, v28
	v_cvt_f16_f32_e32 v26, v26
	v_add_co_u32_e64 v28, s[4:5], s8, v3
	v_addc_co_u32_e64 v29, s[4:5], v4, v29, s[4:5]
	global_store_short v[28:29], v26, off
	s_or_b64 exec, exec, s[16:17]
	s_and_saveexec_b64 s[4:5], s[2:3]
	s_cbranch_execz .LBB181_18
.LBB181_22:                             ;   in Loop: Header=BB181_9 Depth=1
	v_cmp_gt_f32_e64 s[2:3], s20, v27
	v_cndmask_b32_e64 v26, 0, 32, s[2:3]
	v_ldexp_f32 v26, v27, v26
	v_log_f32_e32 v26, v26
	v_cndmask_b32_e64 v27, 0, v23, s[2:3]
	v_mul_f32_e32 v28, 0x3e9a209a, v26
	v_fma_f32 v28, v26, s21, -v28
	v_fmac_f32_e32 v28, 0x3284fbcf, v26
	v_fmac_f32_e32 v28, 0x3e9a209a, v26
	v_cmp_lt_f32_e64 s[2:3], |v26|, s22
	v_cndmask_b32_e64 v26, v26, v28, s[2:3]
	v_sub_f32_e32 v26, v26, v27
	v_cvt_f16_f32_e32 v28, v26
	v_mov_b32_e32 v27, s9
	v_add_co_u32_e64 v26, s[2:3], s8, v17
	v_addc_co_u32_e64 v27, s[2:3], v18, v27, s[2:3]
	global_store_short v[26:27], v28, off
	s_or_b64 exec, exec, s[4:5]
	s_and_saveexec_b64 s[2:3], s[0:1]
	s_cbranch_execz .LBB181_19
.LBB181_23:                             ;   in Loop: Header=BB181_9 Depth=1
	v_cmp_gt_f32_e64 s[0:1], s20, v24
	v_cndmask_b32_e64 v26, 0, 32, s[0:1]
	v_ldexp_f32 v24, v24, v26
	v_log_f32_e32 v24, v24
	v_cndmask_b32_e64 v26, 0, v23, s[0:1]
	v_mul_f32_e32 v27, 0x3e9a209a, v24
	v_fma_f32 v27, v24, s21, -v27
	v_fmac_f32_e32 v27, 0x3284fbcf, v24
	v_fmac_f32_e32 v27, 0x3e9a209a, v24
	v_cmp_lt_f32_e64 s[0:1], |v24|, s22
	v_cndmask_b32_e64 v24, v24, v27, s[0:1]
	v_sub_f32_e32 v24, v24, v26
	v_cvt_f16_f32_e32 v24, v24
	v_mov_b32_e32 v27, s9
	v_add_co_u32_e64 v26, s[0:1], s8, v11
	v_addc_co_u32_e64 v27, s[0:1], v12, v27, s[0:1]
	global_store_short v[26:27], v24, off
	s_or_b64 exec, exec, s[2:3]
	s_and_saveexec_b64 s[0:1], vcc
	s_cbranch_execz .LBB181_8
.LBB181_24:                             ;   in Loop: Header=BB181_9 Depth=1
	v_cmp_gt_f32_e32 vcc, s20, v25
	v_cndmask_b32_e64 v24, 0, 32, vcc
	v_ldexp_f32 v24, v25, v24
	v_log_f32_e32 v24, v24
	v_cndmask_b32_e32 v25, 0, v23, vcc
	v_mul_f32_e32 v26, 0x3e9a209a, v24
	v_fma_f32 v26, v24, s21, -v26
	v_fmac_f32_e32 v26, 0x3284fbcf, v24
	v_fmac_f32_e32 v26, 0x3e9a209a, v24
	v_cmp_lt_f32_e64 vcc, |v24|, s22
	v_cndmask_b32_e32 v24, v24, v26, vcc
	v_sub_f32_e32 v24, v24, v25
	v_cvt_f16_f32_e32 v26, v24
	v_mov_b32_e32 v25, s9
	v_add_co_u32_e32 v24, vcc, s8, v7
	v_addc_co_u32_e32 v25, vcc, v8, v25, vcc
	global_store_short v[24:25], v26, off
	s_branch .LBB181_8
.LBB181_25:
	s_endpgm
	.section	.rodata,"a",@progbits
	.p2align	6, 0x0
	.amdhsa_kernel _ZN2at6native12_GLOBAL__N_125multi_tensor_apply_kernelINS1_18TensorListMetadataILi2EEENS1_14UnaryOpFunctorIN3c104HalfELi2ELi1ELi1EEEJNS0_5Log10IfEEEEEvT_T0_DpT1_
		.amdhsa_group_segment_fixed_size 0
		.amdhsa_private_segment_fixed_size 0
		.amdhsa_kernarg_size 3408
		.amdhsa_user_sgpr_count 6
		.amdhsa_user_sgpr_private_segment_buffer 1
		.amdhsa_user_sgpr_dispatch_ptr 0
		.amdhsa_user_sgpr_queue_ptr 0
		.amdhsa_user_sgpr_kernarg_segment_ptr 1
		.amdhsa_user_sgpr_dispatch_id 0
		.amdhsa_user_sgpr_flat_scratch_init 0
		.amdhsa_user_sgpr_private_segment_size 0
		.amdhsa_uses_dynamic_stack 0
		.amdhsa_system_sgpr_private_segment_wavefront_offset 0
		.amdhsa_system_sgpr_workgroup_id_x 1
		.amdhsa_system_sgpr_workgroup_id_y 0
		.amdhsa_system_sgpr_workgroup_id_z 0
		.amdhsa_system_sgpr_workgroup_info 0
		.amdhsa_system_vgpr_workitem_id 0
		.amdhsa_next_free_vgpr 30
		.amdhsa_next_free_sgpr 26
		.amdhsa_reserve_vcc 1
		.amdhsa_reserve_flat_scratch 0
		.amdhsa_float_round_mode_32 0
		.amdhsa_float_round_mode_16_64 0
		.amdhsa_float_denorm_mode_32 3
		.amdhsa_float_denorm_mode_16_64 3
		.amdhsa_dx10_clamp 1
		.amdhsa_ieee_mode 1
		.amdhsa_fp16_overflow 0
		.amdhsa_exception_fp_ieee_invalid_op 0
		.amdhsa_exception_fp_denorm_src 0
		.amdhsa_exception_fp_ieee_div_zero 0
		.amdhsa_exception_fp_ieee_overflow 0
		.amdhsa_exception_fp_ieee_underflow 0
		.amdhsa_exception_fp_ieee_inexact 0
		.amdhsa_exception_int_div_zero 0
	.end_amdhsa_kernel
	.section	.text._ZN2at6native12_GLOBAL__N_125multi_tensor_apply_kernelINS1_18TensorListMetadataILi2EEENS1_14UnaryOpFunctorIN3c104HalfELi2ELi1ELi1EEEJNS0_5Log10IfEEEEEvT_T0_DpT1_,"axG",@progbits,_ZN2at6native12_GLOBAL__N_125multi_tensor_apply_kernelINS1_18TensorListMetadataILi2EEENS1_14UnaryOpFunctorIN3c104HalfELi2ELi1ELi1EEEJNS0_5Log10IfEEEEEvT_T0_DpT1_,comdat
.Lfunc_end181:
	.size	_ZN2at6native12_GLOBAL__N_125multi_tensor_apply_kernelINS1_18TensorListMetadataILi2EEENS1_14UnaryOpFunctorIN3c104HalfELi2ELi1ELi1EEEJNS0_5Log10IfEEEEEvT_T0_DpT1_, .Lfunc_end181-_ZN2at6native12_GLOBAL__N_125multi_tensor_apply_kernelINS1_18TensorListMetadataILi2EEENS1_14UnaryOpFunctorIN3c104HalfELi2ELi1ELi1EEEJNS0_5Log10IfEEEEEvT_T0_DpT1_
                                        ; -- End function
	.set _ZN2at6native12_GLOBAL__N_125multi_tensor_apply_kernelINS1_18TensorListMetadataILi2EEENS1_14UnaryOpFunctorIN3c104HalfELi2ELi1ELi1EEEJNS0_5Log10IfEEEEEvT_T0_DpT1_.num_vgpr, 30
	.set _ZN2at6native12_GLOBAL__N_125multi_tensor_apply_kernelINS1_18TensorListMetadataILi2EEENS1_14UnaryOpFunctorIN3c104HalfELi2ELi1ELi1EEEJNS0_5Log10IfEEEEEvT_T0_DpT1_.num_agpr, 0
	.set _ZN2at6native12_GLOBAL__N_125multi_tensor_apply_kernelINS1_18TensorListMetadataILi2EEENS1_14UnaryOpFunctorIN3c104HalfELi2ELi1ELi1EEEJNS0_5Log10IfEEEEEvT_T0_DpT1_.numbered_sgpr, 26
	.set _ZN2at6native12_GLOBAL__N_125multi_tensor_apply_kernelINS1_18TensorListMetadataILi2EEENS1_14UnaryOpFunctorIN3c104HalfELi2ELi1ELi1EEEJNS0_5Log10IfEEEEEvT_T0_DpT1_.num_named_barrier, 0
	.set _ZN2at6native12_GLOBAL__N_125multi_tensor_apply_kernelINS1_18TensorListMetadataILi2EEENS1_14UnaryOpFunctorIN3c104HalfELi2ELi1ELi1EEEJNS0_5Log10IfEEEEEvT_T0_DpT1_.private_seg_size, 0
	.set _ZN2at6native12_GLOBAL__N_125multi_tensor_apply_kernelINS1_18TensorListMetadataILi2EEENS1_14UnaryOpFunctorIN3c104HalfELi2ELi1ELi1EEEJNS0_5Log10IfEEEEEvT_T0_DpT1_.uses_vcc, 1
	.set _ZN2at6native12_GLOBAL__N_125multi_tensor_apply_kernelINS1_18TensorListMetadataILi2EEENS1_14UnaryOpFunctorIN3c104HalfELi2ELi1ELi1EEEJNS0_5Log10IfEEEEEvT_T0_DpT1_.uses_flat_scratch, 0
	.set _ZN2at6native12_GLOBAL__N_125multi_tensor_apply_kernelINS1_18TensorListMetadataILi2EEENS1_14UnaryOpFunctorIN3c104HalfELi2ELi1ELi1EEEJNS0_5Log10IfEEEEEvT_T0_DpT1_.has_dyn_sized_stack, 0
	.set _ZN2at6native12_GLOBAL__N_125multi_tensor_apply_kernelINS1_18TensorListMetadataILi2EEENS1_14UnaryOpFunctorIN3c104HalfELi2ELi1ELi1EEEJNS0_5Log10IfEEEEEvT_T0_DpT1_.has_recursion, 0
	.set _ZN2at6native12_GLOBAL__N_125multi_tensor_apply_kernelINS1_18TensorListMetadataILi2EEENS1_14UnaryOpFunctorIN3c104HalfELi2ELi1ELi1EEEJNS0_5Log10IfEEEEEvT_T0_DpT1_.has_indirect_call, 0
	.section	.AMDGPU.csdata,"",@progbits
; Kernel info:
; codeLenInByte = 1872
; TotalNumSgprs: 30
; NumVgprs: 30
; ScratchSize: 0
; MemoryBound: 0
; FloatMode: 240
; IeeeMode: 1
; LDSByteSize: 0 bytes/workgroup (compile time only)
; SGPRBlocks: 3
; VGPRBlocks: 7
; NumSGPRsForWavesPerEU: 30
; NumVGPRsForWavesPerEU: 30
; Occupancy: 8
; WaveLimiterHint : 0
; COMPUTE_PGM_RSRC2:SCRATCH_EN: 0
; COMPUTE_PGM_RSRC2:USER_SGPR: 6
; COMPUTE_PGM_RSRC2:TRAP_HANDLER: 0
; COMPUTE_PGM_RSRC2:TGID_X_EN: 1
; COMPUTE_PGM_RSRC2:TGID_Y_EN: 0
; COMPUTE_PGM_RSRC2:TGID_Z_EN: 0
; COMPUTE_PGM_RSRC2:TIDIG_COMP_CNT: 0
	.section	.text._ZN2at6native12_GLOBAL__N_125multi_tensor_apply_kernelINS1_18TensorListMetadataILi2EEENS1_14UnaryOpFunctorIN3c108BFloat16ELi2ELi1ELi1EEEJNS0_5Log10IfEEEEEvT_T0_DpT1_,"axG",@progbits,_ZN2at6native12_GLOBAL__N_125multi_tensor_apply_kernelINS1_18TensorListMetadataILi2EEENS1_14UnaryOpFunctorIN3c108BFloat16ELi2ELi1ELi1EEEJNS0_5Log10IfEEEEEvT_T0_DpT1_,comdat
	.globl	_ZN2at6native12_GLOBAL__N_125multi_tensor_apply_kernelINS1_18TensorListMetadataILi2EEENS1_14UnaryOpFunctorIN3c108BFloat16ELi2ELi1ELi1EEEJNS0_5Log10IfEEEEEvT_T0_DpT1_ ; -- Begin function _ZN2at6native12_GLOBAL__N_125multi_tensor_apply_kernelINS1_18TensorListMetadataILi2EEENS1_14UnaryOpFunctorIN3c108BFloat16ELi2ELi1ELi1EEEJNS0_5Log10IfEEEEEvT_T0_DpT1_
	.p2align	8
	.type	_ZN2at6native12_GLOBAL__N_125multi_tensor_apply_kernelINS1_18TensorListMetadataILi2EEENS1_14UnaryOpFunctorIN3c108BFloat16ELi2ELi1ELi1EEEJNS0_5Log10IfEEEEEvT_T0_DpT1_,@function
_ZN2at6native12_GLOBAL__N_125multi_tensor_apply_kernelINS1_18TensorListMetadataILi2EEENS1_14UnaryOpFunctorIN3c108BFloat16ELi2ELi1ELi1EEEJNS0_5Log10IfEEEEEvT_T0_DpT1_: ; @_ZN2at6native12_GLOBAL__N_125multi_tensor_apply_kernelINS1_18TensorListMetadataILi2EEENS1_14UnaryOpFunctorIN3c108BFloat16ELi2ELi1ELi1EEEJNS0_5Log10IfEEEEEvT_T0_DpT1_
; %bb.0:
	v_mov_b32_e32 v1, s6
	global_load_ubyte v1, v1, s[4:5] offset:1536
	s_add_u32 s0, s4, s6
	s_mul_hi_u32 s2, s6, 3
	s_mul_i32 s6, s6, 3
	s_addc_u32 s7, s5, 0
	s_add_u32 s6, s0, s6
	s_addc_u32 s7, s7, s2
	s_load_dword s10, s[6:7], 0x740
	s_mov_b32 s1, 0
	s_mov_b32 s3, s1
	s_waitcnt lgkmcnt(0)
	s_ashr_i32 s11, s10, 31
	s_lshl_b64 s[8:9], s[10:11], 17
	s_lshl_b64 s[10:11], s[10:11], 16
	s_waitcnt vmcnt(0)
	v_readfirstlane_b32 s0, v1
	s_lshl_b32 s0, s0, 3
	s_load_dwordx2 s[16:17], s[4:5], s0 offset:0x400
	s_load_dwordx2 s[14:15], s[4:5], s0 offset:0x0
	;; [unrolled: 1-line block ×3, first 2 shown]
	s_waitcnt lgkmcnt(0)
	s_add_u32 s0, s14, s8
	s_and_b32 s2, s6, 7
	s_and_b32 s0, s0, 7
	s_sub_u32 s12, s16, s10
	s_subb_u32 s13, s17, s11
	s_and_b32 s10, s16, 3
	s_mov_b32 s11, s1
	s_or_b64 s[2:3], s[2:3], s[10:11]
	s_or_b64 s[0:1], s[2:3], s[0:1]
	s_cmp_eq_u64 s[0:1], 0
	s_mov_b64 s[0:1], -1
	s_cbranch_scc0 .LBB182_5
; %bb.1:
	v_mov_b32_e32 v1, 0x10000
	v_mov_b32_e32 v2, 0
	v_cmp_lt_i64_e32 vcc, s[12:13], v[1:2]
	v_mov_b32_e32 v2, 0
	s_and_b64 s[0:1], vcc, exec
	s_cselect_b32 s11, s13, 0
	s_cselect_b32 s10, s12, 0x10000
	v_lshlrev_b32_e32 v1, 2, v0
	v_cmp_gt_i64_e32 vcc, s[10:11], v[1:2]
	s_and_saveexec_b64 s[16:17], vcc
	s_cbranch_execz .LBB182_4
; %bb.2:
	s_load_dword s0, s[4:5], 0xc5c
	v_mov_b32_e32 v1, v2
	v_lshlrev_b32_e32 v2, 3, v0
	v_mov_b32_e32 v4, s9
	v_add_co_u32_e32 v3, vcc, s8, v2
	s_waitcnt lgkmcnt(0)
	s_and_b32 s20, s0, 0xffff
	v_mov_b32_e32 v2, v1
	v_addc_co_u32_e32 v4, vcc, 0, v4, vcc
	s_lshl_b32 s21, s20, 3
	s_mov_b64 s[18:19], 0
	v_mov_b32_e32 v5, s15
	s_mov_b32 s22, 0x800000
	s_mov_b32 s23, 0x3e9a209a
	s_mov_b32 s24, 0x7f800000
	v_mov_b32_e32 v6, 0x411a209b
	s_movk_i32 s25, 0x7fff
	v_mov_b32_e32 v7, s7
	v_mov_b32_e32 v8, 0x7fc00000
	;; [unrolled: 1-line block ×4, first 2 shown]
.LBB182_3:                              ; =>This Inner Loop Header: Depth=1
	v_add_co_u32_e32 v10, vcc, s14, v3
	v_addc_co_u32_e32 v11, vcc, v5, v4, vcc
	global_load_dwordx2 v[10:11], v[10:11], off
	v_add_co_u32_e32 v12, vcc, s6, v3
	v_addc_co_u32_e32 v13, vcc, v7, v4, vcc
	v_add_co_u32_e32 v1, vcc, s20, v1
	v_addc_co_u32_e32 v2, vcc, 0, v2, vcc
	v_add_co_u32_e32 v3, vcc, s21, v3
	v_lshlrev_b64 v[14:15], 2, v[1:2]
	v_addc_co_u32_e32 v4, vcc, 0, v4, vcc
	v_cmp_le_i64_e32 vcc, s[10:11], v[14:15]
	s_or_b64 s[18:19], vcc, s[18:19]
	s_waitcnt vmcnt(0)
	v_lshlrev_b32_e32 v15, 16, v10
	v_and_b32_e32 v14, 0xffff0000, v10
	v_alignbit_b32 v10, v11, v10, 16
	v_and_b32_e32 v11, 0xffff0000, v11
	v_cmp_gt_f32_e32 vcc, s22, v15
	v_cndmask_b32_e64 v16, 0, 32, vcc
	v_cmp_gt_f32_e64 s[0:1], s22, v14
	v_and_b32_e32 v10, 0xffff0000, v10
	v_cmp_gt_f32_e64 s[2:3], s22, v11
	v_cndmask_b32_e64 v17, 0, 32, s[0:1]
	v_cndmask_b32_e64 v18, 0, 32, s[2:3]
	v_ldexp_f32 v15, v15, v16
	v_cndmask_b32_e32 v16, 0, v6, vcc
	v_cmp_gt_f32_e32 vcc, s22, v10
	v_ldexp_f32 v14, v14, v17
	v_cndmask_b32_e64 v19, 0, 32, vcc
	v_ldexp_f32 v11, v11, v18
	v_log_f32_e32 v15, v15
	v_log_f32_e32 v14, v14
	v_ldexp_f32 v10, v10, v19
	v_log_f32_e32 v11, v11
	v_log_f32_e32 v10, v10
	v_mul_f32_e32 v20, 0x3e9a209a, v15
	v_mul_f32_e32 v21, 0x3e9a209a, v14
	;; [unrolled: 1-line block ×3, first 2 shown]
	v_fma_f32 v20, v15, s23, -v20
	v_fma_f32 v21, v14, s23, -v21
	v_mul_f32_e32 v23, 0x3e9a209a, v10
	v_fma_f32 v22, v11, s23, -v22
	v_fmac_f32_e32 v20, 0x3284fbcf, v15
	v_fmac_f32_e32 v21, 0x3284fbcf, v14
	v_fma_f32 v23, v10, s23, -v23
	v_fmac_f32_e32 v22, 0x3284fbcf, v11
	v_cndmask_b32_e64 v17, 0, v6, s[0:1]
	v_cndmask_b32_e64 v18, 0, v6, s[2:3]
	v_cndmask_b32_e32 v19, 0, v6, vcc
	v_fmac_f32_e32 v20, 0x3e9a209a, v15
	v_fmac_f32_e32 v21, 0x3e9a209a, v14
	v_cmp_lt_f32_e64 vcc, |v14|, s24
	v_fmac_f32_e32 v23, 0x3284fbcf, v10
	v_fmac_f32_e32 v22, 0x3e9a209a, v11
	v_cmp_lt_f32_e64 s[0:1], |v11|, s24
	v_cmp_lt_f32_e64 s[2:3], |v15|, s24
	v_cndmask_b32_e64 v15, v15, v20, s[2:3]
	v_cndmask_b32_e32 v14, v14, v21, vcc
	v_fmac_f32_e32 v23, 0x3e9a209a, v10
	v_cmp_lt_f32_e64 vcc, |v10|, s24
	v_cndmask_b32_e64 v11, v11, v22, s[0:1]
	v_sub_f32_e32 v15, v15, v16
	v_sub_f32_e32 v14, v14, v17
	v_cndmask_b32_e32 v10, v10, v23, vcc
	v_sub_f32_e32 v11, v11, v18
	v_bfe_u32 v16, v15, 16, 1
	v_bfe_u32 v17, v14, 16, 1
	v_sub_f32_e32 v10, v10, v19
	v_bfe_u32 v18, v11, 16, 1
	v_add3_u32 v16, v15, v16, s25
	v_add3_u32 v17, v14, v17, s25
	v_bfe_u32 v19, v10, 16, 1
	v_add3_u32 v18, v11, v18, s25
	v_lshrrev_b32_e32 v16, 16, v16
	v_and_b32_e32 v17, 0xffff0000, v17
	v_add3_u32 v19, v10, v19, s25
	v_and_b32_e32 v18, 0xffff0000, v18
	v_cmp_o_f32_e32 vcc, v11, v11
	v_cmp_o_f32_e64 s[0:1], v14, v14
	v_cmp_o_f32_e64 s[2:3], v15, v15
	v_lshrrev_b32_e32 v11, 16, v19
	v_cndmask_b32_e32 v14, v8, v18, vcc
	v_cndmask_b32_e64 v15, v8, v17, s[0:1]
	v_cndmask_b32_e64 v16, v9, v16, s[2:3]
	v_cmp_o_f32_e32 vcc, v10, v10
	v_cndmask_b32_e32 v10, v9, v11, vcc
	v_or_b32_e32 v15, v16, v15
	v_or3_b32 v11, 0, v10, v14
	v_or3_b32 v10, v15, 0, 0
	global_store_dwordx2 v[12:13], v[10:11], off
	s_andn2_b64 exec, exec, s[18:19]
	s_cbranch_execnz .LBB182_3
.LBB182_4:
	s_or_b64 exec, exec, s[16:17]
	s_mov_b64 s[0:1], 0
.LBB182_5:
	s_andn2_b64 vcc, exec, s[0:1]
	s_cbranch_vccnz .LBB182_25
; %bb.6:
	v_cmp_lt_i64_e64 s[0:1], s[12:13], 1
	s_and_b64 vcc, exec, s[0:1]
	s_cbranch_vccnz .LBB182_25
; %bb.7:
	v_mov_b32_e32 v1, 0x10000
	s_load_dword s2, s[4:5], 0xc5c
	v_mov_b32_e32 v2, 0
	v_cmp_lt_i64_e32 vcc, s[12:13], v[1:2]
	v_mov_b32_e32 v10, 0
	s_and_b64 s[0:1], vcc, exec
	v_cmp_lt_u64_e32 vcc, s[12:13], v[1:2]
	s_cselect_b32 s11, s13, 0
	s_cselect_b32 s10, s12, 0x10000
	s_waitcnt lgkmcnt(0)
	s_and_b32 s2, s2, 0xffff
	v_lshlrev_b32_e32 v9, 1, v0
	s_and_b64 s[0:1], vcc, exec
	v_mov_b32_e32 v2, s15
	v_add_co_u32_e32 v1, vcc, s14, v9
	v_mad_u64_u32 v[7:8], s[0:1], s2, 6, v[9:10]
	v_addc_co_u32_e32 v2, vcc, 0, v2, vcc
	v_mov_b32_e32 v4, s7
	v_add_co_u32_e32 v3, vcc, s6, v9
	v_addc_co_u32_e32 v4, vcc, 0, v4, vcc
	v_mov_b32_e32 v6, s15
	v_add_co_u32_e32 v5, vcc, s14, v7
	;; [unrolled: 3-line block ×3, first 2 shown]
	s_cselect_b32 s13, s13, 0
	s_cselect_b32 s12, s12, 0x10000
	s_lshl_b32 s18, s2, 2
	v_addc_co_u32_e32 v8, vcc, v10, v8, vcc
	v_add_co_u32_e32 v11, vcc, s18, v9
	v_addc_co_u32_e64 v12, s[0:1], 0, 0, vcc
	v_mov_b32_e32 v10, s15
	v_add_co_u32_e32 v9, vcc, s14, v11
	v_addc_co_u32_e32 v10, vcc, v10, v12, vcc
	v_mov_b32_e32 v13, s7
	v_add_co_u32_e32 v11, vcc, s6, v11
	v_addc_co_u32_e32 v12, vcc, v13, v12, vcc
	v_add_co_u32_e32 v13, vcc, s2, v0
	v_lshlrev_b32_e32 v17, 1, v13
	v_addc_co_u32_e64 v14, s[0:1], 0, 0, vcc
	v_mov_b32_e32 v16, s15
	v_add_co_u32_e32 v15, vcc, s14, v17
	v_addc_co_u32_e32 v16, vcc, 0, v16, vcc
	v_mov_b32_e32 v18, s7
	v_add_co_u32_e32 v17, vcc, s6, v17
	s_mul_i32 s4, s2, 3
	v_addc_co_u32_e32 v18, vcc, 0, v18, vcc
	s_lshl_b32 s3, s2, 1
	v_add_co_u32_e32 v19, vcc, s4, v0
	v_addc_co_u32_e64 v20, s[0:1], 0, 0, vcc
	v_add_co_u32_e32 v21, vcc, s3, v0
	s_lshl_b32 s19, s2, 3
	s_mov_b64 s[14:15], 0
	s_mov_b32 s20, 0x800000
	s_mov_b32 s21, 0x3e9a209a
	;; [unrolled: 1-line block ×3, first 2 shown]
	s_movk_i32 s23, 0x7fff
	v_addc_co_u32_e64 v22, s[0:1], 0, 0, vcc
	v_mov_b32_e32 v23, 0x411a209b
	v_mov_b32_e32 v24, 0x7fc0
	s_branch .LBB182_9
.LBB182_8:                              ;   in Loop: Header=BB182_9 Depth=1
	s_or_b64 exec, exec, s[2:3]
	v_add_co_u32_e32 v1, vcc, s19, v1
	v_addc_co_u32_e32 v2, vcc, 0, v2, vcc
	v_add_co_u32_e32 v3, vcc, s19, v3
	v_addc_co_u32_e32 v4, vcc, 0, v4, vcc
	v_add_co_u32_e32 v5, vcc, s19, v5
	v_addc_co_u32_e32 v6, vcc, 0, v6, vcc
	v_add_co_u32_e32 v7, vcc, s19, v7
	v_addc_co_u32_e32 v8, vcc, 0, v8, vcc
	v_add_co_u32_e32 v9, vcc, s19, v9
	v_addc_co_u32_e32 v10, vcc, 0, v10, vcc
	v_add_co_u32_e32 v11, vcc, s19, v11
	v_addc_co_u32_e32 v12, vcc, 0, v12, vcc
	s_add_u32 s14, s14, s18
	v_add_co_u32_e32 v15, vcc, s19, v15
	v_mov_b32_e32 v26, s11
	s_addc_u32 s15, s15, 0
	v_addc_co_u32_e32 v16, vcc, 0, v16, vcc
	v_mov_b32_e32 v25, s10
	v_cmp_ge_i64_e32 vcc, s[14:15], v[25:26]
	v_add_co_u32_e64 v17, s[0:1], s19, v17
	v_addc_co_u32_e64 v18, s[0:1], 0, v18, s[0:1]
	s_cbranch_vccnz .LBB182_25
.LBB182_9:                              ; =>This Inner Loop Header: Depth=1
	v_mov_b32_e32 v26, s15
	v_add_co_u32_e32 v25, vcc, s14, v0
	v_addc_co_u32_e32 v26, vcc, 0, v26, vcc
	v_cmp_gt_u64_e32 vcc, s[12:13], v[25:26]
	v_mov_b32_e32 v28, 0
	s_and_saveexec_b64 s[2:3], vcc
	s_cbranch_execz .LBB182_11
; %bb.10:                               ;   in Loop: Header=BB182_9 Depth=1
	v_mov_b32_e32 v26, s9
	v_add_co_u32_e64 v25, s[0:1], s8, v1
	v_addc_co_u32_e64 v26, s[0:1], v2, v26, s[0:1]
	global_load_ushort v25, v[25:26], off
	s_waitcnt vmcnt(0)
	v_lshlrev_b32_e32 v28, 16, v25
.LBB182_11:                             ;   in Loop: Header=BB182_9 Depth=1
	s_or_b64 exec, exec, s[2:3]
	v_mov_b32_e32 v26, s15
	v_add_co_u32_e64 v25, s[0:1], s14, v13
	v_addc_co_u32_e64 v26, s[0:1], v14, v26, s[0:1]
	v_cmp_gt_u64_e64 s[4:5], s[12:13], v[25:26]
	v_mov_b32_e32 v25, 0
	v_mov_b32_e32 v27, 0
	s_and_saveexec_b64 s[2:3], s[4:5]
	s_cbranch_execz .LBB182_13
; %bb.12:                               ;   in Loop: Header=BB182_9 Depth=1
	v_mov_b32_e32 v27, s9
	v_add_co_u32_e64 v26, s[0:1], s8, v15
	v_addc_co_u32_e64 v27, s[0:1], v16, v27, s[0:1]
	global_load_ushort v26, v[26:27], off
	s_waitcnt vmcnt(0)
	v_lshlrev_b32_e32 v27, 16, v26
.LBB182_13:                             ;   in Loop: Header=BB182_9 Depth=1
	s_or_b64 exec, exec, s[2:3]
	v_mov_b32_e32 v26, s15
	v_add_co_u32_e64 v29, s[0:1], s14, v21
	v_addc_co_u32_e64 v30, s[0:1], v22, v26, s[0:1]
	v_cmp_gt_u64_e64 s[2:3], s[12:13], v[29:30]
	s_and_saveexec_b64 s[6:7], s[2:3]
	s_cbranch_execz .LBB182_15
; %bb.14:                               ;   in Loop: Header=BB182_9 Depth=1
	v_mov_b32_e32 v26, s9
	v_add_co_u32_e64 v25, s[0:1], s8, v9
	v_addc_co_u32_e64 v26, s[0:1], v10, v26, s[0:1]
	global_load_ushort v25, v[25:26], off
	s_waitcnt vmcnt(0)
	v_lshlrev_b32_e32 v25, 16, v25
.LBB182_15:                             ;   in Loop: Header=BB182_9 Depth=1
	s_or_b64 exec, exec, s[6:7]
	v_mov_b32_e32 v26, s15
	v_add_co_u32_e64 v29, s[0:1], s14, v19
	v_addc_co_u32_e64 v30, s[0:1], v20, v26, s[0:1]
	v_cmp_gt_u64_e64 s[0:1], s[12:13], v[29:30]
	v_mov_b32_e32 v26, 0
	s_and_saveexec_b64 s[16:17], s[0:1]
	s_cbranch_execnz .LBB182_20
; %bb.16:                               ;   in Loop: Header=BB182_9 Depth=1
	s_or_b64 exec, exec, s[16:17]
	s_and_saveexec_b64 s[6:7], vcc
	s_cbranch_execnz .LBB182_21
.LBB182_17:                             ;   in Loop: Header=BB182_9 Depth=1
	s_or_b64 exec, exec, s[6:7]
	s_and_saveexec_b64 s[6:7], s[4:5]
	s_cbranch_execnz .LBB182_22
.LBB182_18:                             ;   in Loop: Header=BB182_9 Depth=1
	s_or_b64 exec, exec, s[6:7]
	s_and_saveexec_b64 s[4:5], s[2:3]
	s_cbranch_execnz .LBB182_23
.LBB182_19:                             ;   in Loop: Header=BB182_9 Depth=1
	s_or_b64 exec, exec, s[4:5]
	s_and_saveexec_b64 s[2:3], s[0:1]
	s_cbranch_execz .LBB182_8
	s_branch .LBB182_24
.LBB182_20:                             ;   in Loop: Header=BB182_9 Depth=1
	v_mov_b32_e32 v26, s9
	v_add_co_u32_e64 v29, s[6:7], s8, v5
	v_addc_co_u32_e64 v30, s[6:7], v6, v26, s[6:7]
	global_load_ushort v26, v[29:30], off
	s_waitcnt vmcnt(0)
	v_lshlrev_b32_e32 v26, 16, v26
	s_or_b64 exec, exec, s[16:17]
	s_and_saveexec_b64 s[6:7], vcc
	s_cbranch_execz .LBB182_17
.LBB182_21:                             ;   in Loop: Header=BB182_9 Depth=1
	v_cmp_gt_f32_e32 vcc, s20, v28
	v_cndmask_b32_e64 v29, 0, 32, vcc
	v_ldexp_f32 v28, v28, v29
	v_log_f32_e32 v28, v28
	v_cndmask_b32_e32 v29, 0, v23, vcc
	v_mul_f32_e32 v30, 0x3e9a209a, v28
	v_fma_f32 v30, v28, s21, -v30
	v_fmac_f32_e32 v30, 0x3284fbcf, v28
	v_fmac_f32_e32 v30, 0x3e9a209a, v28
	v_cmp_lt_f32_e64 vcc, |v28|, s22
	v_cndmask_b32_e32 v28, v28, v30, vcc
	v_sub_f32_e32 v28, v28, v29
	v_bfe_u32 v29, v28, 16, 1
	v_add3_u32 v29, v28, v29, s23
	v_cmp_o_f32_e32 vcc, v28, v28
	v_cndmask_b32_sdwa v30, v24, v29, vcc dst_sel:DWORD dst_unused:UNUSED_PAD src0_sel:DWORD src1_sel:WORD_1
	v_mov_b32_e32 v29, s9
	v_add_co_u32_e32 v28, vcc, s8, v3
	v_addc_co_u32_e32 v29, vcc, v4, v29, vcc
	global_store_short v[28:29], v30, off
	s_or_b64 exec, exec, s[6:7]
	s_and_saveexec_b64 s[6:7], s[4:5]
	s_cbranch_execz .LBB182_18
.LBB182_22:                             ;   in Loop: Header=BB182_9 Depth=1
	v_cmp_gt_f32_e32 vcc, s20, v27
	v_cndmask_b32_e64 v28, 0, 32, vcc
	v_ldexp_f32 v27, v27, v28
	v_log_f32_e32 v27, v27
	v_cndmask_b32_e32 v28, 0, v23, vcc
	v_mul_f32_e32 v29, 0x3e9a209a, v27
	v_fma_f32 v29, v27, s21, -v29
	v_fmac_f32_e32 v29, 0x3284fbcf, v27
	v_fmac_f32_e32 v29, 0x3e9a209a, v27
	v_cmp_lt_f32_e64 vcc, |v27|, s22
	v_cndmask_b32_e32 v27, v27, v29, vcc
	v_sub_f32_e32 v27, v27, v28
	v_bfe_u32 v28, v27, 16, 1
	v_add3_u32 v28, v27, v28, s23
	v_cmp_o_f32_e32 vcc, v27, v27
	v_cndmask_b32_sdwa v29, v24, v28, vcc dst_sel:DWORD dst_unused:UNUSED_PAD src0_sel:DWORD src1_sel:WORD_1
	v_mov_b32_e32 v28, s9
	v_add_co_u32_e32 v27, vcc, s8, v17
	v_addc_co_u32_e32 v28, vcc, v18, v28, vcc
	global_store_short v[27:28], v29, off
	s_or_b64 exec, exec, s[6:7]
	s_and_saveexec_b64 s[4:5], s[2:3]
	s_cbranch_execz .LBB182_19
.LBB182_23:                             ;   in Loop: Header=BB182_9 Depth=1
	v_cmp_gt_f32_e32 vcc, s20, v25
	v_cndmask_b32_e64 v27, 0, 32, vcc
	v_ldexp_f32 v25, v25, v27
	v_log_f32_e32 v25, v25
	v_cndmask_b32_e32 v27, 0, v23, vcc
	v_mul_f32_e32 v28, 0x3e9a209a, v25
	v_fma_f32 v28, v25, s21, -v28
	v_fmac_f32_e32 v28, 0x3284fbcf, v25
	v_fmac_f32_e32 v28, 0x3e9a209a, v25
	v_cmp_lt_f32_e64 vcc, |v25|, s22
	v_cndmask_b32_e32 v25, v25, v28, vcc
	v_sub_f32_e32 v25, v25, v27
	v_bfe_u32 v27, v25, 16, 1
	v_add3_u32 v27, v25, v27, s23
	v_cmp_o_f32_e32 vcc, v25, v25
	v_cndmask_b32_sdwa v25, v24, v27, vcc dst_sel:DWORD dst_unused:UNUSED_PAD src0_sel:DWORD src1_sel:WORD_1
	v_mov_b32_e32 v28, s9
	v_add_co_u32_e32 v27, vcc, s8, v11
	v_addc_co_u32_e32 v28, vcc, v12, v28, vcc
	global_store_short v[27:28], v25, off
	s_or_b64 exec, exec, s[4:5]
	s_and_saveexec_b64 s[2:3], s[0:1]
	s_cbranch_execz .LBB182_8
.LBB182_24:                             ;   in Loop: Header=BB182_9 Depth=1
	v_cmp_gt_f32_e32 vcc, s20, v26
	v_cndmask_b32_e64 v25, 0, 32, vcc
	v_ldexp_f32 v25, v26, v25
	v_log_f32_e32 v25, v25
	v_cndmask_b32_e32 v26, 0, v23, vcc
	v_mul_f32_e32 v27, 0x3e9a209a, v25
	v_fma_f32 v27, v25, s21, -v27
	v_fmac_f32_e32 v27, 0x3284fbcf, v25
	v_fmac_f32_e32 v27, 0x3e9a209a, v25
	v_cmp_lt_f32_e64 vcc, |v25|, s22
	v_cndmask_b32_e32 v25, v25, v27, vcc
	v_sub_f32_e32 v25, v25, v26
	v_bfe_u32 v26, v25, 16, 1
	v_add3_u32 v26, v25, v26, s23
	v_cmp_o_f32_e32 vcc, v25, v25
	v_cndmask_b32_sdwa v27, v24, v26, vcc dst_sel:DWORD dst_unused:UNUSED_PAD src0_sel:DWORD src1_sel:WORD_1
	v_mov_b32_e32 v26, s9
	v_add_co_u32_e32 v25, vcc, s8, v7
	v_addc_co_u32_e32 v26, vcc, v8, v26, vcc
	global_store_short v[25:26], v27, off
	s_branch .LBB182_8
.LBB182_25:
	s_endpgm
	.section	.rodata,"a",@progbits
	.p2align	6, 0x0
	.amdhsa_kernel _ZN2at6native12_GLOBAL__N_125multi_tensor_apply_kernelINS1_18TensorListMetadataILi2EEENS1_14UnaryOpFunctorIN3c108BFloat16ELi2ELi1ELi1EEEJNS0_5Log10IfEEEEEvT_T0_DpT1_
		.amdhsa_group_segment_fixed_size 0
		.amdhsa_private_segment_fixed_size 0
		.amdhsa_kernarg_size 3408
		.amdhsa_user_sgpr_count 6
		.amdhsa_user_sgpr_private_segment_buffer 1
		.amdhsa_user_sgpr_dispatch_ptr 0
		.amdhsa_user_sgpr_queue_ptr 0
		.amdhsa_user_sgpr_kernarg_segment_ptr 1
		.amdhsa_user_sgpr_dispatch_id 0
		.amdhsa_user_sgpr_flat_scratch_init 0
		.amdhsa_user_sgpr_private_segment_size 0
		.amdhsa_uses_dynamic_stack 0
		.amdhsa_system_sgpr_private_segment_wavefront_offset 0
		.amdhsa_system_sgpr_workgroup_id_x 1
		.amdhsa_system_sgpr_workgroup_id_y 0
		.amdhsa_system_sgpr_workgroup_id_z 0
		.amdhsa_system_sgpr_workgroup_info 0
		.amdhsa_system_vgpr_workitem_id 0
		.amdhsa_next_free_vgpr 31
		.amdhsa_next_free_sgpr 26
		.amdhsa_reserve_vcc 1
		.amdhsa_reserve_flat_scratch 0
		.amdhsa_float_round_mode_32 0
		.amdhsa_float_round_mode_16_64 0
		.amdhsa_float_denorm_mode_32 3
		.amdhsa_float_denorm_mode_16_64 3
		.amdhsa_dx10_clamp 1
		.amdhsa_ieee_mode 1
		.amdhsa_fp16_overflow 0
		.amdhsa_exception_fp_ieee_invalid_op 0
		.amdhsa_exception_fp_denorm_src 0
		.amdhsa_exception_fp_ieee_div_zero 0
		.amdhsa_exception_fp_ieee_overflow 0
		.amdhsa_exception_fp_ieee_underflow 0
		.amdhsa_exception_fp_ieee_inexact 0
		.amdhsa_exception_int_div_zero 0
	.end_amdhsa_kernel
	.section	.text._ZN2at6native12_GLOBAL__N_125multi_tensor_apply_kernelINS1_18TensorListMetadataILi2EEENS1_14UnaryOpFunctorIN3c108BFloat16ELi2ELi1ELi1EEEJNS0_5Log10IfEEEEEvT_T0_DpT1_,"axG",@progbits,_ZN2at6native12_GLOBAL__N_125multi_tensor_apply_kernelINS1_18TensorListMetadataILi2EEENS1_14UnaryOpFunctorIN3c108BFloat16ELi2ELi1ELi1EEEJNS0_5Log10IfEEEEEvT_T0_DpT1_,comdat
.Lfunc_end182:
	.size	_ZN2at6native12_GLOBAL__N_125multi_tensor_apply_kernelINS1_18TensorListMetadataILi2EEENS1_14UnaryOpFunctorIN3c108BFloat16ELi2ELi1ELi1EEEJNS0_5Log10IfEEEEEvT_T0_DpT1_, .Lfunc_end182-_ZN2at6native12_GLOBAL__N_125multi_tensor_apply_kernelINS1_18TensorListMetadataILi2EEENS1_14UnaryOpFunctorIN3c108BFloat16ELi2ELi1ELi1EEEJNS0_5Log10IfEEEEEvT_T0_DpT1_
                                        ; -- End function
	.set _ZN2at6native12_GLOBAL__N_125multi_tensor_apply_kernelINS1_18TensorListMetadataILi2EEENS1_14UnaryOpFunctorIN3c108BFloat16ELi2ELi1ELi1EEEJNS0_5Log10IfEEEEEvT_T0_DpT1_.num_vgpr, 31
	.set _ZN2at6native12_GLOBAL__N_125multi_tensor_apply_kernelINS1_18TensorListMetadataILi2EEENS1_14UnaryOpFunctorIN3c108BFloat16ELi2ELi1ELi1EEEJNS0_5Log10IfEEEEEvT_T0_DpT1_.num_agpr, 0
	.set _ZN2at6native12_GLOBAL__N_125multi_tensor_apply_kernelINS1_18TensorListMetadataILi2EEENS1_14UnaryOpFunctorIN3c108BFloat16ELi2ELi1ELi1EEEJNS0_5Log10IfEEEEEvT_T0_DpT1_.numbered_sgpr, 26
	.set _ZN2at6native12_GLOBAL__N_125multi_tensor_apply_kernelINS1_18TensorListMetadataILi2EEENS1_14UnaryOpFunctorIN3c108BFloat16ELi2ELi1ELi1EEEJNS0_5Log10IfEEEEEvT_T0_DpT1_.num_named_barrier, 0
	.set _ZN2at6native12_GLOBAL__N_125multi_tensor_apply_kernelINS1_18TensorListMetadataILi2EEENS1_14UnaryOpFunctorIN3c108BFloat16ELi2ELi1ELi1EEEJNS0_5Log10IfEEEEEvT_T0_DpT1_.private_seg_size, 0
	.set _ZN2at6native12_GLOBAL__N_125multi_tensor_apply_kernelINS1_18TensorListMetadataILi2EEENS1_14UnaryOpFunctorIN3c108BFloat16ELi2ELi1ELi1EEEJNS0_5Log10IfEEEEEvT_T0_DpT1_.uses_vcc, 1
	.set _ZN2at6native12_GLOBAL__N_125multi_tensor_apply_kernelINS1_18TensorListMetadataILi2EEENS1_14UnaryOpFunctorIN3c108BFloat16ELi2ELi1ELi1EEEJNS0_5Log10IfEEEEEvT_T0_DpT1_.uses_flat_scratch, 0
	.set _ZN2at6native12_GLOBAL__N_125multi_tensor_apply_kernelINS1_18TensorListMetadataILi2EEENS1_14UnaryOpFunctorIN3c108BFloat16ELi2ELi1ELi1EEEJNS0_5Log10IfEEEEEvT_T0_DpT1_.has_dyn_sized_stack, 0
	.set _ZN2at6native12_GLOBAL__N_125multi_tensor_apply_kernelINS1_18TensorListMetadataILi2EEENS1_14UnaryOpFunctorIN3c108BFloat16ELi2ELi1ELi1EEEJNS0_5Log10IfEEEEEvT_T0_DpT1_.has_recursion, 0
	.set _ZN2at6native12_GLOBAL__N_125multi_tensor_apply_kernelINS1_18TensorListMetadataILi2EEENS1_14UnaryOpFunctorIN3c108BFloat16ELi2ELi1ELi1EEEJNS0_5Log10IfEEEEEvT_T0_DpT1_.has_indirect_call, 0
	.section	.AMDGPU.csdata,"",@progbits
; Kernel info:
; codeLenInByte = 2264
; TotalNumSgprs: 30
; NumVgprs: 31
; ScratchSize: 0
; MemoryBound: 0
; FloatMode: 240
; IeeeMode: 1
; LDSByteSize: 0 bytes/workgroup (compile time only)
; SGPRBlocks: 3
; VGPRBlocks: 7
; NumSGPRsForWavesPerEU: 30
; NumVGPRsForWavesPerEU: 31
; Occupancy: 8
; WaveLimiterHint : 0
; COMPUTE_PGM_RSRC2:SCRATCH_EN: 0
; COMPUTE_PGM_RSRC2:USER_SGPR: 6
; COMPUTE_PGM_RSRC2:TRAP_HANDLER: 0
; COMPUTE_PGM_RSRC2:TGID_X_EN: 1
; COMPUTE_PGM_RSRC2:TGID_Y_EN: 0
; COMPUTE_PGM_RSRC2:TGID_Z_EN: 0
; COMPUTE_PGM_RSRC2:TIDIG_COMP_CNT: 0
	.section	.text._ZN2at6native12_GLOBAL__N_125multi_tensor_apply_kernelINS1_18TensorListMetadataILi1EEENS1_14UnaryOpFunctorIdLi1ELi1ELi0EEEJNS0_5Log10IdEEEEEvT_T0_DpT1_,"axG",@progbits,_ZN2at6native12_GLOBAL__N_125multi_tensor_apply_kernelINS1_18TensorListMetadataILi1EEENS1_14UnaryOpFunctorIdLi1ELi1ELi0EEEJNS0_5Log10IdEEEEEvT_T0_DpT1_,comdat
	.globl	_ZN2at6native12_GLOBAL__N_125multi_tensor_apply_kernelINS1_18TensorListMetadataILi1EEENS1_14UnaryOpFunctorIdLi1ELi1ELi0EEEJNS0_5Log10IdEEEEEvT_T0_DpT1_ ; -- Begin function _ZN2at6native12_GLOBAL__N_125multi_tensor_apply_kernelINS1_18TensorListMetadataILi1EEENS1_14UnaryOpFunctorIdLi1ELi1ELi0EEEJNS0_5Log10IdEEEEEvT_T0_DpT1_
	.p2align	8
	.type	_ZN2at6native12_GLOBAL__N_125multi_tensor_apply_kernelINS1_18TensorListMetadataILi1EEENS1_14UnaryOpFunctorIdLi1ELi1ELi0EEEJNS0_5Log10IdEEEEEvT_T0_DpT1_,@function
_ZN2at6native12_GLOBAL__N_125multi_tensor_apply_kernelINS1_18TensorListMetadataILi1EEENS1_14UnaryOpFunctorIdLi1ELi1ELi0EEEJNS0_5Log10IdEEEEEvT_T0_DpT1_: ; @_ZN2at6native12_GLOBAL__N_125multi_tensor_apply_kernelINS1_18TensorListMetadataILi1EEENS1_14UnaryOpFunctorIdLi1ELi1ELi0EEEJNS0_5Log10IdEEEEEvT_T0_DpT1_
; %bb.0:
	v_mov_b32_e32 v1, s6
	global_load_ubyte v1, v1, s[4:5] offset:1760
	s_add_u32 s0, s4, s6
	s_mul_hi_u32 s1, s6, 3
	s_mul_i32 s6, s6, 3
	s_addc_u32 s2, s5, 0
	s_add_u32 s0, s0, s6
	s_addc_u32 s1, s2, s1
	s_load_dword s0, s[0:1], 0x820
	s_mov_b32 s7, 0
	s_waitcnt vmcnt(0)
	v_readfirstlane_b32 s1, v1
	s_lshl_b32 s1, s1, 3
	s_load_dwordx2 s[2:3], s[4:5], s1 offset:0x370
	s_load_dwordx2 s[14:15], s[4:5], s1 offset:0x0
	s_waitcnt lgkmcnt(0)
	s_ashr_i32 s1, s0, 31
	s_lshl_b64 s[16:17], s[0:1], 19
	s_lshl_b64 s[0:1], s[0:1], 16
	s_and_b32 s6, s14, 31
	s_sub_u32 s18, s2, s0
	s_subb_u32 s19, s3, s1
	s_and_b32 s0, s2, 3
	s_mov_b32 s1, s7
	s_or_b64 s[0:1], s[6:7], s[0:1]
	s_cmp_eq_u64 s[0:1], 0
	s_cbranch_scc1 .LBB183_21
; %bb.1:
	v_cmp_lt_i64_e64 s[0:1], s[18:19], 1
	s_and_b64 vcc, exec, s[0:1]
	s_cbranch_vccnz .LBB183_20
; %bb.2:
	v_mov_b32_e32 v1, 0x10000
	s_load_dword s2, s[4:5], 0xd3c
	v_mov_b32_e32 v2, 0
	v_cmp_lt_i64_e32 vcc, s[18:19], v[1:2]
	s_mov_b32 s26, 0x55555555
	s_and_b64 s[0:1], vcc, exec
	v_cmp_lt_u64_e32 vcc, s[18:19], v[1:2]
	s_cselect_b32 s21, s19, 0
	s_cselect_b32 s20, s18, 0x10000
	s_waitcnt lgkmcnt(0)
	s_and_b32 s2, s2, 0xffff
	s_and_b64 s[0:1], vcc, exec
	s_cselect_b32 s23, s19, 0
	s_cselect_b32 s22, s18, 0x10000
	s_lshl_b32 s3, s2, 1
	s_lshl_b32 s33, s2, 2
	s_add_u32 s6, s14, s16
	v_lshlrev_b32_e32 v1, 3, v0
	s_addc_u32 s7, s15, s17
	v_mov_b32_e32 v2, s7
	v_add_co_u32_e32 v1, vcc, s6, v1
	s_mul_i32 s0, s2, 3
	v_addc_co_u32_e32 v2, vcc, 0, v2, vcc
	v_add_co_u32_e32 v15, vcc, s0, v0
	v_addc_co_u32_e64 v16, s[0:1], 0, 0, vcc
	v_add_co_u32_e32 v17, vcc, s3, v0
	v_addc_co_u32_e64 v18, s[0:1], 0, 0, vcc
	v_add_co_u32_e32 v19, vcc, s2, v0
	v_lshlrev_b32_e32 v3, 3, v19
	v_addc_co_u32_e64 v20, s[0:1], 0, 0, vcc
	v_mov_b32_e32 v4, s7
	v_add_co_u32_e32 v3, vcc, s6, v3
	s_mov_b32 s28, 0x509f79ff
	s_mov_b32 s30, 0xa994fd21
	s_mov_b32 s34, 0xbf559e2b
	s_mov_b32 s36, 0xd7f4df2e
	s_mov_b32 s38, 0x16291751
	s_mov_b32 s40, 0x9b27acf1
	s_mov_b32 s42, 0x998ef7b6
	s_mov_b32 s46, 0x1526e50e
	s_mov_b32 s48, 0xbaaafad3
	s_lshl_b32 s52, s2, 5
	s_mul_i32 s53, s2, 24
	s_lshl_b32 s54, s2, 4
	v_addc_co_u32_e32 v4, vcc, 0, v4, vcc
	s_mov_b64 s[24:25], 0
	s_movk_i32 s55, 0x204
	s_mov_b32 s27, 0x3fe55555
	s_mov_b32 s29, 0x3fd34413
	;; [unrolled: 1-line block ×11, first 2 shown]
	v_mov_b32_e32 v5, 0x6b47b09a
	v_mov_b32_e32 v6, 0x3fc38538
	;; [unrolled: 1-line block ×4, first 2 shown]
	s_branch .LBB183_4
.LBB183_3:                              ;   in Loop: Header=BB183_4 Depth=1
	s_or_b64 exec, exec, s[0:1]
	s_add_u32 s24, s24, s33
	v_add_co_u32_e32 v1, vcc, s52, v1
	s_waitcnt vmcnt(0)
	v_mov_b32_e32 v7, s20
	s_addc_u32 s25, s25, 0
	v_addc_co_u32_e32 v2, vcc, 0, v2, vcc
	v_mov_b32_e32 v8, s21
	v_cmp_lt_i64_e32 vcc, s[24:25], v[7:8]
	v_add_co_u32_e64 v3, s[0:1], s52, v3
	v_addc_co_u32_e64 v4, s[0:1], 0, v4, s[0:1]
	s_cbranch_vccz .LBB183_20
.LBB183_4:                              ; =>This Inner Loop Header: Depth=1
	v_mov_b32_e32 v8, s25
	v_add_co_u32_e32 v7, vcc, s24, v0
	v_addc_co_u32_e32 v8, vcc, 0, v8, vcc
	v_cmp_gt_u64_e64 s[6:7], s[22:23], v[7:8]
	v_mov_b32_e32 v11, 0
	v_mov_b32_e32 v13, 0
	;; [unrolled: 1-line block ×4, first 2 shown]
	s_and_saveexec_b64 s[0:1], s[6:7]
	s_cbranch_execz .LBB183_6
; %bb.5:                                ;   in Loop: Header=BB183_4 Depth=1
	global_load_dwordx2 v[13:14], v[1:2], off
.LBB183_6:                              ;   in Loop: Header=BB183_4 Depth=1
	s_or_b64 exec, exec, s[0:1]
	v_mov_b32_e32 v8, s25
	v_add_co_u32_e32 v7, vcc, s24, v19
	v_addc_co_u32_e32 v8, vcc, v20, v8, vcc
	v_cmp_gt_u64_e64 s[2:3], s[22:23], v[7:8]
	s_and_saveexec_b64 s[0:1], s[2:3]
	s_cbranch_execz .LBB183_8
; %bb.7:                                ;   in Loop: Header=BB183_4 Depth=1
	global_load_dwordx2 v[11:12], v[3:4], off
.LBB183_8:                              ;   in Loop: Header=BB183_4 Depth=1
	s_or_b64 exec, exec, s[0:1]
	v_mov_b32_e32 v8, s25
	v_add_co_u32_e32 v7, vcc, s24, v17
	v_addc_co_u32_e32 v8, vcc, v18, v8, vcc
	v_cmp_gt_u64_e64 s[0:1], s[22:23], v[7:8]
	v_mov_b32_e32 v7, 0
	v_mov_b32_e32 v9, 0
	;; [unrolled: 1-line block ×4, first 2 shown]
	s_and_saveexec_b64 s[8:9], s[0:1]
	s_cbranch_execz .LBB183_10
; %bb.9:                                ;   in Loop: Header=BB183_4 Depth=1
	v_add_co_u32_e32 v9, vcc, s54, v1
	v_addc_co_u32_e32 v10, vcc, 0, v2, vcc
	global_load_dwordx2 v[9:10], v[9:10], off
.LBB183_10:                             ;   in Loop: Header=BB183_4 Depth=1
	s_or_b64 exec, exec, s[8:9]
	v_mov_b32_e32 v24, s25
	v_add_co_u32_e32 v23, vcc, s24, v15
	v_addc_co_u32_e32 v24, vcc, v16, v24, vcc
	v_cmp_gt_u64_e32 vcc, s[22:23], v[23:24]
	s_and_saveexec_b64 s[10:11], vcc
	s_cbranch_execnz .LBB183_15
; %bb.11:                               ;   in Loop: Header=BB183_4 Depth=1
	s_or_b64 exec, exec, s[10:11]
	s_and_saveexec_b64 s[50:51], s[6:7]
	s_cbranch_execnz .LBB183_16
.LBB183_12:                             ;   in Loop: Header=BB183_4 Depth=1
	s_or_b64 exec, exec, s[50:51]
	s_and_saveexec_b64 s[6:7], s[2:3]
	s_cbranch_execnz .LBB183_17
.LBB183_13:                             ;   in Loop: Header=BB183_4 Depth=1
	s_or_b64 exec, exec, s[6:7]
	s_and_saveexec_b64 s[2:3], s[0:1]
	s_cbranch_execnz .LBB183_18
.LBB183_14:                             ;   in Loop: Header=BB183_4 Depth=1
	s_or_b64 exec, exec, s[2:3]
	s_and_saveexec_b64 s[0:1], vcc
	s_cbranch_execz .LBB183_3
	s_branch .LBB183_19
.LBB183_15:                             ;   in Loop: Header=BB183_4 Depth=1
	v_add_co_u32_e64 v7, s[8:9], s53, v1
	v_addc_co_u32_e64 v8, s[8:9], 0, v2, s[8:9]
	global_load_dwordx2 v[7:8], v[7:8], off
	s_or_b64 exec, exec, s[10:11]
	s_and_saveexec_b64 s[50:51], s[6:7]
	s_cbranch_execz .LBB183_12
.LBB183_16:                             ;   in Loop: Header=BB183_4 Depth=1
	s_waitcnt vmcnt(0)
	v_frexp_mant_f64_e32 v[23:24], v[13:14]
	s_mov_b32 s45, s27
	v_cmp_ngt_f64_e64 s[8:9], 0, v[13:14]
	v_cmp_nge_f64_e64 s[10:11], 0, v[13:14]
	v_cmp_neq_f64_e64 s[12:13], 0, v[13:14]
	v_cmp_gt_f64_e64 s[6:7], s[26:27], v[23:24]
	v_cndmask_b32_e64 v25, 0, 1, s[6:7]
	v_ldexp_f64 v[23:24], v[23:24], v25
	v_add_f64 v[25:26], v[23:24], 1.0
	v_add_f64 v[31:32], v[23:24], -1.0
	v_rcp_f64_e32 v[27:28], v[25:26]
	v_add_f64 v[33:34], v[25:26], -1.0
	v_add_f64 v[23:24], v[23:24], -v[33:34]
	v_fma_f64 v[29:30], -v[25:26], v[27:28], 1.0
	v_fma_f64 v[27:28], v[29:30], v[27:28], v[27:28]
	v_fma_f64 v[29:30], -v[25:26], v[27:28], 1.0
	v_fma_f64 v[27:28], v[29:30], v[27:28], v[27:28]
	v_mul_f64 v[29:30], v[31:32], v[27:28]
	v_mul_f64 v[35:36], v[25:26], v[29:30]
	v_fma_f64 v[25:26], v[29:30], v[25:26], -v[35:36]
	v_fma_f64 v[23:24], v[29:30], v[23:24], v[25:26]
	v_add_f64 v[25:26], v[35:36], v[23:24]
	v_add_f64 v[33:34], v[31:32], -v[25:26]
	v_add_f64 v[35:36], v[25:26], -v[35:36]
	;; [unrolled: 1-line block ×5, first 2 shown]
	v_add_f64 v[23:24], v[23:24], v[25:26]
	v_add_f64 v[23:24], v[33:34], v[23:24]
	v_mul_f64 v[23:24], v[27:28], v[23:24]
	v_add_f64 v[25:26], v[29:30], v[23:24]
	v_mul_f64 v[27:28], v[25:26], v[25:26]
	v_fma_f64 v[31:32], v[27:28], s[34:35], v[5:6]
	v_mul_f64 v[33:34], v[25:26], v[27:28]
	v_fma_f64 v[31:32], v[27:28], v[31:32], s[36:37]
	v_fma_f64 v[31:32], v[27:28], v[31:32], s[38:39]
	;; [unrolled: 1-line block ×5, first 2 shown]
	v_ldexp_f64 v[31:32], v[25:26], 1
	v_add_f64 v[25:26], v[25:26], -v[29:30]
	v_mul_f64 v[27:28], v[33:34], v[27:28]
	v_add_f64 v[23:24], v[23:24], -v[25:26]
	v_add_f64 v[29:30], v[31:32], v[27:28]
	v_ldexp_f64 v[23:24], v[23:24], 1
	v_add_f64 v[25:26], v[29:30], -v[31:32]
	v_frexp_exp_i32_f64_e32 v31, v[13:14]
	v_add_f64 v[25:26], v[27:28], -v[25:26]
	v_subbrev_co_u32_e64 v31, s[6:7], 0, v31, s[6:7]
	v_cvt_f64_i32_e32 v[31:32], v31
	v_cmp_class_f64_e64 s[6:7], v[13:14], s55
	v_mul_f64 v[33:34], v[31:32], s[28:29]
	v_add_f64 v[23:24], v[23:24], v[25:26]
	v_fma_f64 v[35:36], v[31:32], s[28:29], -v[33:34]
	v_add_f64 v[25:26], v[29:30], v[23:24]
	v_add_f64 v[27:28], v[25:26], -v[29:30]
	v_mul_f64 v[29:30], v[25:26], s[46:47]
	v_add_f64 v[23:24], v[23:24], -v[27:28]
	v_fma_f64 v[27:28], v[25:26], s[46:47], -v[29:30]
	v_fma_f64 v[23:24], v[23:24], s[46:47], v[27:28]
	v_fma_f64 v[27:28], v[31:32], s[30:31], v[35:36]
	;; [unrolled: 1-line block ×3, first 2 shown]
	v_add_f64 v[25:26], v[33:34], v[27:28]
	v_add_f64 v[31:32], v[29:30], v[23:24]
	v_add_f64 v[33:34], v[25:26], -v[33:34]
	v_add_f64 v[35:36], v[25:26], v[31:32]
	v_add_f64 v[29:30], v[31:32], -v[29:30]
	v_add_f64 v[27:28], v[27:28], -v[33:34]
	v_add_f64 v[37:38], v[35:36], -v[25:26]
	v_add_f64 v[23:24], v[23:24], -v[29:30]
	v_add_f64 v[39:40], v[35:36], -v[37:38]
	v_add_f64 v[29:30], v[31:32], -v[37:38]
	v_add_f64 v[31:32], v[27:28], v[23:24]
	v_add_f64 v[25:26], v[25:26], -v[39:40]
	v_add_f64 v[25:26], v[29:30], v[25:26]
	v_add_f64 v[29:30], v[31:32], -v[27:28]
	;; [unrolled: 2-line block ×3, first 2 shown]
	v_add_f64 v[23:24], v[23:24], -v[29:30]
	v_add_f64 v[33:34], v[35:36], v[25:26]
	v_add_f64 v[27:28], v[27:28], -v[31:32]
	v_add_f64 v[29:30], v[33:34], -v[35:36]
	v_add_f64 v[23:24], v[23:24], v[27:28]
	v_add_f64 v[25:26], v[25:26], -v[29:30]
	v_add_f64 v[23:24], v[23:24], v[25:26]
	v_add_f64 v[23:24], v[33:34], v[23:24]
	v_cndmask_b32_e64 v14, v24, v14, s[6:7]
	v_cndmask_b32_e64 v13, v23, v13, s[6:7]
	;; [unrolled: 1-line block ×5, first 2 shown]
	global_store_dwordx2 v[1:2], v[13:14], off
	s_or_b64 exec, exec, s[50:51]
	s_and_saveexec_b64 s[6:7], s[2:3]
	s_cbranch_execz .LBB183_13
.LBB183_17:                             ;   in Loop: Header=BB183_4 Depth=1
	s_waitcnt vmcnt(0)
	v_frexp_mant_f64_e32 v[13:14], v[11:12]
	s_mov_b32 s45, s27
	v_cmp_gt_f64_e64 s[2:3], s[26:27], v[13:14]
	v_cndmask_b32_e64 v23, 0, 1, s[2:3]
	v_ldexp_f64 v[13:14], v[13:14], v23
	v_add_f64 v[23:24], v[13:14], 1.0
	v_add_f64 v[29:30], v[13:14], -1.0
	v_rcp_f64_e32 v[25:26], v[23:24]
	v_add_f64 v[31:32], v[23:24], -1.0
	v_add_f64 v[13:14], v[13:14], -v[31:32]
	v_fma_f64 v[27:28], -v[23:24], v[25:26], 1.0
	v_fma_f64 v[25:26], v[27:28], v[25:26], v[25:26]
	v_fma_f64 v[27:28], -v[23:24], v[25:26], 1.0
	v_fma_f64 v[25:26], v[27:28], v[25:26], v[25:26]
	v_mul_f64 v[27:28], v[29:30], v[25:26]
	v_mul_f64 v[33:34], v[23:24], v[27:28]
	v_fma_f64 v[23:24], v[27:28], v[23:24], -v[33:34]
	v_fma_f64 v[13:14], v[27:28], v[13:14], v[23:24]
	v_add_f64 v[23:24], v[33:34], v[13:14]
	v_add_f64 v[31:32], v[29:30], -v[23:24]
	v_add_f64 v[33:34], v[23:24], -v[33:34]
	v_add_f64 v[29:30], v[29:30], -v[31:32]
	v_add_f64 v[13:14], v[33:34], -v[13:14]
	v_add_f64 v[23:24], v[29:30], -v[23:24]
	v_add_f64 v[13:14], v[13:14], v[23:24]
	v_add_f64 v[13:14], v[31:32], v[13:14]
	v_mul_f64 v[13:14], v[25:26], v[13:14]
	v_add_f64 v[23:24], v[27:28], v[13:14]
	v_mul_f64 v[25:26], v[23:24], v[23:24]
	v_fma_f64 v[29:30], v[25:26], s[34:35], v[5:6]
	v_mul_f64 v[31:32], v[23:24], v[25:26]
	v_fma_f64 v[29:30], v[25:26], v[29:30], s[36:37]
	v_fma_f64 v[29:30], v[25:26], v[29:30], s[38:39]
	;; [unrolled: 1-line block ×5, first 2 shown]
	v_ldexp_f64 v[29:30], v[23:24], 1
	v_add_f64 v[23:24], v[23:24], -v[27:28]
	v_mul_f64 v[25:26], v[31:32], v[25:26]
	v_add_f64 v[13:14], v[13:14], -v[23:24]
	v_add_f64 v[27:28], v[29:30], v[25:26]
	v_ldexp_f64 v[13:14], v[13:14], 1
	v_add_f64 v[23:24], v[27:28], -v[29:30]
	v_frexp_exp_i32_f64_e32 v29, v[11:12]
	v_add_f64 v[23:24], v[25:26], -v[23:24]
	v_subbrev_co_u32_e64 v29, s[2:3], 0, v29, s[2:3]
	v_cvt_f64_i32_e32 v[29:30], v29
	v_cmp_class_f64_e64 s[2:3], v[11:12], s55
	v_mul_f64 v[31:32], v[29:30], s[28:29]
	v_add_f64 v[13:14], v[13:14], v[23:24]
	v_fma_f64 v[33:34], v[29:30], s[28:29], -v[31:32]
	v_add_f64 v[23:24], v[27:28], v[13:14]
	v_add_f64 v[25:26], v[23:24], -v[27:28]
	v_mul_f64 v[27:28], v[23:24], s[46:47]
	v_add_f64 v[13:14], v[13:14], -v[25:26]
	v_fma_f64 v[25:26], v[23:24], s[46:47], -v[27:28]
	v_fma_f64 v[13:14], v[13:14], s[46:47], v[25:26]
	v_fma_f64 v[25:26], v[29:30], s[30:31], v[33:34]
	;; [unrolled: 1-line block ×3, first 2 shown]
	v_add_f64 v[23:24], v[31:32], v[25:26]
	v_add_f64 v[29:30], v[27:28], v[13:14]
	v_add_f64 v[31:32], v[23:24], -v[31:32]
	v_add_f64 v[33:34], v[23:24], v[29:30]
	v_add_f64 v[27:28], v[29:30], -v[27:28]
	v_add_f64 v[25:26], v[25:26], -v[31:32]
	;; [unrolled: 1-line block ×6, first 2 shown]
	v_add_f64 v[29:30], v[25:26], v[13:14]
	v_add_f64 v[23:24], v[23:24], -v[37:38]
	v_add_f64 v[23:24], v[27:28], v[23:24]
	v_add_f64 v[27:28], v[29:30], -v[25:26]
	;; [unrolled: 2-line block ×3, first 2 shown]
	v_add_f64 v[13:14], v[13:14], -v[27:28]
	v_add_f64 v[31:32], v[33:34], v[23:24]
	v_add_f64 v[25:26], v[25:26], -v[29:30]
	v_add_f64 v[27:28], v[31:32], -v[33:34]
	v_add_f64 v[13:14], v[13:14], v[25:26]
	v_add_f64 v[23:24], v[23:24], -v[27:28]
	v_add_f64 v[13:14], v[13:14], v[23:24]
	v_add_f64 v[13:14], v[31:32], v[13:14]
	v_cndmask_b32_e64 v13, v13, v11, s[2:3]
	v_cndmask_b32_e64 v14, v14, v12, s[2:3]
	v_cmp_ngt_f64_e64 s[2:3], 0, v[11:12]
	v_cndmask_b32_e64 v14, v21, v14, s[2:3]
	v_cmp_nge_f64_e64 s[2:3], 0, v[11:12]
	v_cndmask_b32_e64 v13, 0, v13, s[2:3]
	v_cmp_neq_f64_e64 s[2:3], 0, v[11:12]
	v_cndmask_b32_e64 v14, v22, v14, s[2:3]
	global_store_dwordx2 v[3:4], v[13:14], off
	s_or_b64 exec, exec, s[6:7]
	s_and_saveexec_b64 s[2:3], s[0:1]
	s_cbranch_execz .LBB183_14
.LBB183_18:                             ;   in Loop: Header=BB183_4 Depth=1
	s_waitcnt vmcnt(0)
	v_frexp_mant_f64_e32 v[11:12], v[9:10]
	s_mov_b32 s45, s27
	v_cmp_gt_f64_e64 s[0:1], s[26:27], v[11:12]
	v_cndmask_b32_e64 v13, 0, 1, s[0:1]
	v_ldexp_f64 v[11:12], v[11:12], v13
	v_add_f64 v[13:14], v[11:12], 1.0
	v_add_f64 v[27:28], v[11:12], -1.0
	v_rcp_f64_e32 v[23:24], v[13:14]
	v_add_f64 v[29:30], v[13:14], -1.0
	v_add_f64 v[11:12], v[11:12], -v[29:30]
	v_fma_f64 v[25:26], -v[13:14], v[23:24], 1.0
	v_fma_f64 v[23:24], v[25:26], v[23:24], v[23:24]
	v_fma_f64 v[25:26], -v[13:14], v[23:24], 1.0
	v_fma_f64 v[23:24], v[25:26], v[23:24], v[23:24]
	v_mul_f64 v[25:26], v[27:28], v[23:24]
	v_mul_f64 v[31:32], v[13:14], v[25:26]
	v_fma_f64 v[13:14], v[25:26], v[13:14], -v[31:32]
	v_fma_f64 v[11:12], v[25:26], v[11:12], v[13:14]
	v_add_f64 v[13:14], v[31:32], v[11:12]
	v_add_f64 v[29:30], v[27:28], -v[13:14]
	v_add_f64 v[31:32], v[13:14], -v[31:32]
	;; [unrolled: 1-line block ×5, first 2 shown]
	v_add_f64 v[11:12], v[11:12], v[13:14]
	v_add_f64 v[11:12], v[29:30], v[11:12]
	v_mul_f64 v[11:12], v[23:24], v[11:12]
	v_add_f64 v[13:14], v[25:26], v[11:12]
	v_mul_f64 v[23:24], v[13:14], v[13:14]
	v_fma_f64 v[27:28], v[23:24], s[34:35], v[5:6]
	v_mul_f64 v[29:30], v[13:14], v[23:24]
	v_fma_f64 v[27:28], v[23:24], v[27:28], s[36:37]
	v_fma_f64 v[27:28], v[23:24], v[27:28], s[38:39]
	;; [unrolled: 1-line block ×5, first 2 shown]
	v_ldexp_f64 v[27:28], v[13:14], 1
	v_add_f64 v[13:14], v[13:14], -v[25:26]
	v_mul_f64 v[23:24], v[29:30], v[23:24]
	v_add_f64 v[11:12], v[11:12], -v[13:14]
	v_add_f64 v[25:26], v[27:28], v[23:24]
	v_ldexp_f64 v[11:12], v[11:12], 1
	v_add_f64 v[13:14], v[25:26], -v[27:28]
	v_frexp_exp_i32_f64_e32 v27, v[9:10]
	v_add_f64 v[13:14], v[23:24], -v[13:14]
	v_subbrev_co_u32_e64 v27, s[0:1], 0, v27, s[0:1]
	v_cvt_f64_i32_e32 v[27:28], v27
	v_cmp_class_f64_e64 s[0:1], v[9:10], s55
	v_mul_f64 v[29:30], v[27:28], s[28:29]
	v_add_f64 v[11:12], v[11:12], v[13:14]
	v_fma_f64 v[31:32], v[27:28], s[28:29], -v[29:30]
	v_add_f64 v[13:14], v[25:26], v[11:12]
	v_add_f64 v[23:24], v[13:14], -v[25:26]
	v_mul_f64 v[25:26], v[13:14], s[46:47]
	v_add_f64 v[11:12], v[11:12], -v[23:24]
	v_fma_f64 v[23:24], v[13:14], s[46:47], -v[25:26]
	v_fma_f64 v[11:12], v[11:12], s[46:47], v[23:24]
	v_fma_f64 v[23:24], v[27:28], s[30:31], v[31:32]
	;; [unrolled: 1-line block ×3, first 2 shown]
	v_add_f64 v[13:14], v[29:30], v[23:24]
	v_add_f64 v[27:28], v[25:26], v[11:12]
	v_add_f64 v[29:30], v[13:14], -v[29:30]
	v_add_f64 v[31:32], v[13:14], v[27:28]
	v_add_f64 v[25:26], v[27:28], -v[25:26]
	v_add_f64 v[23:24], v[23:24], -v[29:30]
	;; [unrolled: 1-line block ×6, first 2 shown]
	v_add_f64 v[27:28], v[23:24], v[11:12]
	v_add_f64 v[13:14], v[13:14], -v[35:36]
	v_add_f64 v[13:14], v[25:26], v[13:14]
	v_add_f64 v[25:26], v[27:28], -v[23:24]
	;; [unrolled: 2-line block ×3, first 2 shown]
	v_add_f64 v[11:12], v[11:12], -v[25:26]
	v_add_f64 v[29:30], v[31:32], v[13:14]
	v_add_f64 v[23:24], v[23:24], -v[27:28]
	v_add_f64 v[25:26], v[29:30], -v[31:32]
	v_add_f64 v[11:12], v[11:12], v[23:24]
	v_add_f64 v[13:14], v[13:14], -v[25:26]
	v_add_f64 v[11:12], v[11:12], v[13:14]
	v_add_f64 v[11:12], v[29:30], v[11:12]
	v_cndmask_b32_e64 v11, v11, v9, s[0:1]
	v_cndmask_b32_e64 v12, v12, v10, s[0:1]
	v_cmp_ngt_f64_e64 s[0:1], 0, v[9:10]
	v_cndmask_b32_e64 v12, v21, v12, s[0:1]
	v_cmp_nge_f64_e64 s[0:1], 0, v[9:10]
	v_cndmask_b32_e64 v11, 0, v11, s[0:1]
	v_cmp_neq_f64_e64 s[0:1], 0, v[9:10]
	v_cndmask_b32_e64 v12, v22, v12, s[0:1]
	v_add_co_u32_e64 v9, s[0:1], s54, v1
	v_addc_co_u32_e64 v10, s[0:1], 0, v2, s[0:1]
	global_store_dwordx2 v[9:10], v[11:12], off
	s_or_b64 exec, exec, s[2:3]
	s_and_saveexec_b64 s[0:1], vcc
	s_cbranch_execz .LBB183_3
.LBB183_19:                             ;   in Loop: Header=BB183_4 Depth=1
	s_waitcnt vmcnt(0)
	v_frexp_mant_f64_e32 v[9:10], v[7:8]
	s_mov_b32 s45, s27
	v_cmp_gt_f64_e32 vcc, s[26:27], v[9:10]
	v_cndmask_b32_e64 v11, 0, 1, vcc
	v_ldexp_f64 v[9:10], v[9:10], v11
	v_add_f64 v[11:12], v[9:10], 1.0
	v_add_f64 v[25:26], v[9:10], -1.0
	v_rcp_f64_e32 v[13:14], v[11:12]
	v_add_f64 v[27:28], v[11:12], -1.0
	v_add_f64 v[9:10], v[9:10], -v[27:28]
	v_fma_f64 v[23:24], -v[11:12], v[13:14], 1.0
	v_fma_f64 v[13:14], v[23:24], v[13:14], v[13:14]
	v_fma_f64 v[23:24], -v[11:12], v[13:14], 1.0
	v_fma_f64 v[13:14], v[23:24], v[13:14], v[13:14]
	v_mul_f64 v[23:24], v[25:26], v[13:14]
	v_mul_f64 v[29:30], v[11:12], v[23:24]
	v_fma_f64 v[11:12], v[23:24], v[11:12], -v[29:30]
	v_fma_f64 v[9:10], v[23:24], v[9:10], v[11:12]
	v_add_f64 v[11:12], v[29:30], v[9:10]
	v_add_f64 v[27:28], v[25:26], -v[11:12]
	v_add_f64 v[29:30], v[11:12], -v[29:30]
	;; [unrolled: 1-line block ×5, first 2 shown]
	v_add_f64 v[9:10], v[9:10], v[11:12]
	v_add_f64 v[9:10], v[27:28], v[9:10]
	v_mul_f64 v[9:10], v[13:14], v[9:10]
	v_add_f64 v[11:12], v[23:24], v[9:10]
	v_mul_f64 v[13:14], v[11:12], v[11:12]
	v_fma_f64 v[25:26], v[13:14], s[34:35], v[5:6]
	v_mul_f64 v[27:28], v[11:12], v[13:14]
	v_fma_f64 v[25:26], v[13:14], v[25:26], s[36:37]
	v_fma_f64 v[25:26], v[13:14], v[25:26], s[38:39]
	;; [unrolled: 1-line block ×5, first 2 shown]
	v_ldexp_f64 v[25:26], v[11:12], 1
	v_add_f64 v[11:12], v[11:12], -v[23:24]
	v_mul_f64 v[13:14], v[27:28], v[13:14]
	v_add_f64 v[9:10], v[9:10], -v[11:12]
	v_add_f64 v[23:24], v[25:26], v[13:14]
	v_ldexp_f64 v[9:10], v[9:10], 1
	v_add_f64 v[11:12], v[23:24], -v[25:26]
	v_frexp_exp_i32_f64_e32 v25, v[7:8]
	v_add_f64 v[11:12], v[13:14], -v[11:12]
	v_subbrev_co_u32_e32 v25, vcc, 0, v25, vcc
	v_cvt_f64_i32_e32 v[25:26], v25
	v_cmp_class_f64_e64 vcc, v[7:8], s55
	v_mul_f64 v[27:28], v[25:26], s[28:29]
	v_add_f64 v[9:10], v[9:10], v[11:12]
	v_fma_f64 v[29:30], v[25:26], s[28:29], -v[27:28]
	v_add_f64 v[11:12], v[23:24], v[9:10]
	v_add_f64 v[13:14], v[11:12], -v[23:24]
	v_mul_f64 v[23:24], v[11:12], s[46:47]
	v_add_f64 v[9:10], v[9:10], -v[13:14]
	v_fma_f64 v[13:14], v[11:12], s[46:47], -v[23:24]
	v_fma_f64 v[9:10], v[9:10], s[46:47], v[13:14]
	v_fma_f64 v[13:14], v[25:26], s[30:31], v[29:30]
	;; [unrolled: 1-line block ×3, first 2 shown]
	v_add_f64 v[11:12], v[27:28], v[13:14]
	v_add_f64 v[25:26], v[23:24], v[9:10]
	v_add_f64 v[27:28], v[11:12], -v[27:28]
	v_add_f64 v[29:30], v[11:12], v[25:26]
	v_add_f64 v[23:24], v[25:26], -v[23:24]
	v_add_f64 v[13:14], v[13:14], -v[27:28]
	v_add_f64 v[31:32], v[29:30], -v[11:12]
	v_add_f64 v[9:10], v[9:10], -v[23:24]
	v_add_f64 v[33:34], v[29:30], -v[31:32]
	v_add_f64 v[23:24], v[25:26], -v[31:32]
	v_add_f64 v[25:26], v[13:14], v[9:10]
	v_add_f64 v[11:12], v[11:12], -v[33:34]
	v_add_f64 v[11:12], v[23:24], v[11:12]
	v_add_f64 v[23:24], v[25:26], -v[13:14]
	v_add_f64 v[11:12], v[25:26], v[11:12]
	v_add_f64 v[25:26], v[25:26], -v[23:24]
	v_add_f64 v[9:10], v[9:10], -v[23:24]
	v_add_f64 v[27:28], v[29:30], v[11:12]
	v_add_f64 v[13:14], v[13:14], -v[25:26]
	v_add_f64 v[23:24], v[27:28], -v[29:30]
	v_add_f64 v[9:10], v[9:10], v[13:14]
	v_add_f64 v[11:12], v[11:12], -v[23:24]
	v_add_f64 v[9:10], v[9:10], v[11:12]
	v_add_f64 v[9:10], v[27:28], v[9:10]
	v_cndmask_b32_e32 v9, v9, v7, vcc
	v_cndmask_b32_e32 v10, v10, v8, vcc
	v_cmp_ngt_f64_e32 vcc, 0, v[7:8]
	v_cndmask_b32_e32 v10, v21, v10, vcc
	v_cmp_nge_f64_e32 vcc, 0, v[7:8]
	v_cndmask_b32_e32 v9, 0, v9, vcc
	v_cmp_neq_f64_e32 vcc, 0, v[7:8]
	v_cndmask_b32_e32 v10, v22, v10, vcc
	v_add_co_u32_e32 v7, vcc, s53, v1
	v_addc_co_u32_e32 v8, vcc, 0, v2, vcc
	global_store_dwordx2 v[7:8], v[9:10], off
	s_branch .LBB183_3
.LBB183_20:
	s_cbranch_execz .LBB183_22
	s_branch .LBB183_25
.LBB183_21:
.LBB183_22:
	v_mov_b32_e32 v1, 0x10000
	v_mov_b32_e32 v2, 0
	v_cmp_lt_i64_e32 vcc, s[18:19], v[1:2]
	v_mov_b32_e32 v2, 0
	s_and_b64 s[0:1], vcc, exec
	s_cselect_b32 s1, s19, 0
	s_cselect_b32 s0, s18, 0x10000
	v_lshlrev_b32_e32 v1, 2, v0
	v_cmp_gt_i64_e32 vcc, s[0:1], v[1:2]
	s_and_saveexec_b64 s[2:3], vcc
	s_cbranch_execz .LBB183_25
; %bb.23:
	s_load_dword s2, s[4:5], 0xd3c
	v_mov_b32_e32 v1, v2
	v_lshlrev_b32_e32 v2, 5, v0
	s_mov_b32 s8, 0x6b47b09a
	s_mov_b32 s9, 0x3fc38538
	s_waitcnt lgkmcnt(0)
	s_and_b32 s26, s2, 0xffff
	s_add_u32 s2, s14, s16
	s_addc_u32 s3, s15, s17
	v_mov_b32_e32 v3, s3
	v_add_co_u32_e32 v2, vcc, s2, v2
	v_addc_co_u32_e32 v3, vcc, 0, v3, vcc
	s_mov_b32 s4, 0x55555555
	v_mov_b32_e32 v17, s9
	v_add_co_u32_e32 v14, vcc, 16, v2
	s_mov_b32 s5, 0x3fe55555
	s_mov_b32 s6, 0xbf559e2b
	v_mov_b32_e32 v16, s8
	s_mov_b32 s8, 0xd7f4df2e
	s_mov_b32 s10, 0x16291751
	;; [unrolled: 1-line block ×8, first 2 shown]
	v_addc_co_u32_e32 v15, vcc, 0, v3, vcc
	s_lshl_b32 s27, s26, 5
	s_mov_b64 s[2:3], 0
	s_mov_b32 s7, 0x3fc3ab76
	s_mov_b32 s9, 0x3fc7474d
	;; [unrolled: 1-line block ×10, first 2 shown]
	s_movk_i32 s28, 0x204
	v_mov_b32_e32 v22, 0x7ff80000
	v_mov_b32_e32 v23, 0xfff00000
	s_mov_b32 s17, s5
.LBB183_24:                             ; =>This Inner Loop Header: Depth=1
	global_load_dwordx4 v[2:5], v[14:15], off
	global_load_dwordx4 v[7:10], v[14:15], off offset:-16
	s_waitcnt vmcnt(0)
	v_frexp_mant_f64_e32 v[11:12], v[7:8]
	v_frexp_exp_i32_f64_e32 v6, v[7:8]
	v_cmp_gt_f64_e32 vcc, s[4:5], v[11:12]
	v_cndmask_b32_e64 v13, 0, 1, vcc
	v_ldexp_f64 v[11:12], v[11:12], v13
	v_subbrev_co_u32_e32 v6, vcc, 0, v6, vcc
	v_cmp_class_f64_e64 vcc, v[7:8], s28
	v_add_f64 v[20:21], v[11:12], 1.0
	v_add_f64 v[18:19], v[11:12], -1.0
	v_add_f64 v[24:25], v[20:21], -1.0
	v_add_f64 v[11:12], v[11:12], -v[24:25]
	v_rcp_f64_e32 v[24:25], v[20:21]
	v_fma_f64 v[26:27], -v[20:21], v[24:25], 1.0
	v_fma_f64 v[24:25], v[26:27], v[24:25], v[24:25]
	v_fma_f64 v[26:27], -v[20:21], v[24:25], 1.0
	v_fma_f64 v[24:25], v[26:27], v[24:25], v[24:25]
	v_mul_f64 v[26:27], v[18:19], v[24:25]
	v_mul_f64 v[28:29], v[20:21], v[26:27]
	v_fma_f64 v[20:21], v[26:27], v[20:21], -v[28:29]
	v_fma_f64 v[11:12], v[26:27], v[11:12], v[20:21]
	v_add_f64 v[20:21], v[28:29], v[11:12]
	v_add_f64 v[30:31], v[18:19], -v[20:21]
	v_add_f64 v[28:29], v[20:21], -v[28:29]
	;; [unrolled: 1-line block ×5, first 2 shown]
	v_add_f64 v[11:12], v[11:12], v[18:19]
	v_add_f64 v[11:12], v[30:31], v[11:12]
	v_mul_f64 v[11:12], v[24:25], v[11:12]
	v_add_f64 v[18:19], v[26:27], v[11:12]
	v_add_f64 v[20:21], v[18:19], -v[26:27]
	v_ldexp_f64 v[26:27], v[18:19], 1
	v_add_f64 v[11:12], v[11:12], -v[20:21]
	v_mul_f64 v[20:21], v[18:19], v[18:19]
	v_ldexp_f64 v[11:12], v[11:12], 1
	v_fma_f64 v[24:25], v[20:21], s[6:7], v[16:17]
	v_mul_f64 v[18:19], v[18:19], v[20:21]
	v_fma_f64 v[24:25], v[20:21], v[24:25], s[8:9]
	v_fma_f64 v[24:25], v[20:21], v[24:25], s[10:11]
	;; [unrolled: 1-line block ×5, first 2 shown]
	v_mul_f64 v[18:19], v[18:19], v[24:25]
	v_add_f64 v[20:21], v[26:27], v[18:19]
	v_add_f64 v[24:25], v[20:21], -v[26:27]
	v_add_f64 v[18:19], v[18:19], -v[24:25]
	v_add_f64 v[11:12], v[11:12], v[18:19]
	v_add_f64 v[18:19], v[20:21], v[11:12]
	v_add_f64 v[20:21], v[18:19], -v[20:21]
	v_add_f64 v[11:12], v[11:12], -v[20:21]
	v_cvt_f64_i32_e32 v[20:21], v6
	v_mul_f64 v[24:25], v[20:21], s[18:19]
	v_fma_f64 v[26:27], v[20:21], s[18:19], -v[24:25]
	v_fma_f64 v[20:21], v[20:21], s[20:21], v[26:27]
	v_add_f64 v[26:27], v[24:25], v[20:21]
	v_add_f64 v[24:25], v[26:27], -v[24:25]
	v_add_f64 v[20:21], v[20:21], -v[24:25]
	v_mul_f64 v[24:25], v[18:19], s[22:23]
	v_fma_f64 v[28:29], v[18:19], s[22:23], -v[24:25]
	v_fma_f64 v[11:12], v[11:12], s[22:23], v[28:29]
	v_fma_f64 v[11:12], v[18:19], s[24:25], v[11:12]
	v_add_f64 v[18:19], v[24:25], v[11:12]
	v_add_f64 v[24:25], v[18:19], -v[24:25]
	v_add_f64 v[11:12], v[11:12], -v[24:25]
	v_add_f64 v[24:25], v[26:27], v[18:19]
	v_add_f64 v[28:29], v[24:25], -v[26:27]
	v_add_f64 v[30:31], v[24:25], -v[28:29]
	;; [unrolled: 1-line block ×4, first 2 shown]
	v_add_f64 v[18:19], v[18:19], v[26:27]
	v_add_f64 v[26:27], v[20:21], v[11:12]
	v_add_f64 v[28:29], v[26:27], -v[20:21]
	v_add_f64 v[18:19], v[26:27], v[18:19]
	v_add_f64 v[30:31], v[26:27], -v[28:29]
	v_add_f64 v[11:12], v[11:12], -v[28:29]
	;; [unrolled: 1-line block ×3, first 2 shown]
	v_add_f64 v[11:12], v[11:12], v[20:21]
	v_add_f64 v[20:21], v[24:25], v[18:19]
	v_add_f64 v[24:25], v[20:21], -v[24:25]
	v_add_f64 v[18:19], v[18:19], -v[24:25]
	v_add_f64 v[11:12], v[11:12], v[18:19]
	v_add_f64 v[11:12], v[20:21], v[11:12]
	v_cndmask_b32_e32 v6, v11, v7, vcc
	v_cndmask_b32_e32 v11, v12, v8, vcc
	v_cmp_ngt_f64_e32 vcc, 0, v[7:8]
	v_cndmask_b32_e32 v11, v22, v11, vcc
	v_cmp_nge_f64_e32 vcc, 0, v[7:8]
	v_cndmask_b32_e32 v6, 0, v6, vcc
	v_cmp_neq_f64_e32 vcc, 0, v[7:8]
	v_frexp_exp_i32_f64_e32 v8, v[9:10]
	v_cndmask_b32_e32 v7, v23, v11, vcc
	v_frexp_mant_f64_e32 v[11:12], v[9:10]
	v_cmp_gt_f64_e32 vcc, s[4:5], v[11:12]
	v_cndmask_b32_e64 v13, 0, 1, vcc
	v_ldexp_f64 v[11:12], v[11:12], v13
	v_subbrev_co_u32_e32 v8, vcc, 0, v8, vcc
	v_cmp_class_f64_e64 vcc, v[9:10], s28
	v_add_f64 v[20:21], v[11:12], 1.0
	v_add_f64 v[18:19], v[11:12], -1.0
	v_add_f64 v[24:25], v[20:21], -1.0
	v_add_f64 v[11:12], v[11:12], -v[24:25]
	v_rcp_f64_e32 v[24:25], v[20:21]
	v_fma_f64 v[26:27], -v[20:21], v[24:25], 1.0
	v_fma_f64 v[24:25], v[26:27], v[24:25], v[24:25]
	v_fma_f64 v[26:27], -v[20:21], v[24:25], 1.0
	v_fma_f64 v[24:25], v[26:27], v[24:25], v[24:25]
	v_mul_f64 v[26:27], v[18:19], v[24:25]
	v_mul_f64 v[28:29], v[20:21], v[26:27]
	v_fma_f64 v[20:21], v[26:27], v[20:21], -v[28:29]
	v_fma_f64 v[11:12], v[26:27], v[11:12], v[20:21]
	v_add_f64 v[20:21], v[28:29], v[11:12]
	v_add_f64 v[30:31], v[18:19], -v[20:21]
	v_add_f64 v[28:29], v[20:21], -v[28:29]
	;; [unrolled: 1-line block ×5, first 2 shown]
	v_add_f64 v[11:12], v[11:12], v[18:19]
	v_add_f64 v[11:12], v[30:31], v[11:12]
	v_mul_f64 v[11:12], v[24:25], v[11:12]
	v_add_f64 v[18:19], v[26:27], v[11:12]
	v_add_f64 v[20:21], v[18:19], -v[26:27]
	v_ldexp_f64 v[26:27], v[18:19], 1
	v_add_f64 v[11:12], v[11:12], -v[20:21]
	v_mul_f64 v[20:21], v[18:19], v[18:19]
	v_ldexp_f64 v[11:12], v[11:12], 1
	v_fma_f64 v[24:25], v[20:21], s[6:7], v[16:17]
	v_mul_f64 v[18:19], v[18:19], v[20:21]
	v_fma_f64 v[24:25], v[20:21], v[24:25], s[8:9]
	v_fma_f64 v[24:25], v[20:21], v[24:25], s[10:11]
	;; [unrolled: 1-line block ×5, first 2 shown]
	v_mul_f64 v[18:19], v[18:19], v[24:25]
	v_add_f64 v[20:21], v[26:27], v[18:19]
	v_add_f64 v[24:25], v[20:21], -v[26:27]
	v_add_f64 v[18:19], v[18:19], -v[24:25]
	v_add_f64 v[11:12], v[11:12], v[18:19]
	v_add_f64 v[18:19], v[20:21], v[11:12]
	v_add_f64 v[20:21], v[18:19], -v[20:21]
	v_add_f64 v[11:12], v[11:12], -v[20:21]
	v_cvt_f64_i32_e32 v[20:21], v8
	v_mul_f64 v[24:25], v[20:21], s[18:19]
	v_fma_f64 v[26:27], v[20:21], s[18:19], -v[24:25]
	v_fma_f64 v[20:21], v[20:21], s[20:21], v[26:27]
	v_add_f64 v[26:27], v[24:25], v[20:21]
	v_add_f64 v[24:25], v[26:27], -v[24:25]
	v_add_f64 v[20:21], v[20:21], -v[24:25]
	v_mul_f64 v[24:25], v[18:19], s[22:23]
	v_fma_f64 v[28:29], v[18:19], s[22:23], -v[24:25]
	v_fma_f64 v[11:12], v[11:12], s[22:23], v[28:29]
	v_fma_f64 v[11:12], v[18:19], s[24:25], v[11:12]
	v_add_f64 v[18:19], v[24:25], v[11:12]
	v_add_f64 v[24:25], v[18:19], -v[24:25]
	v_add_f64 v[11:12], v[11:12], -v[24:25]
	v_add_f64 v[24:25], v[26:27], v[18:19]
	v_add_f64 v[28:29], v[24:25], -v[26:27]
	v_add_f64 v[30:31], v[24:25], -v[28:29]
	;; [unrolled: 1-line block ×4, first 2 shown]
	v_add_f64 v[18:19], v[18:19], v[26:27]
	v_add_f64 v[26:27], v[20:21], v[11:12]
	v_add_f64 v[28:29], v[26:27], -v[20:21]
	v_add_f64 v[18:19], v[26:27], v[18:19]
	v_add_f64 v[30:31], v[26:27], -v[28:29]
	v_add_f64 v[11:12], v[11:12], -v[28:29]
	;; [unrolled: 1-line block ×3, first 2 shown]
	v_add_f64 v[11:12], v[11:12], v[20:21]
	v_add_f64 v[20:21], v[24:25], v[18:19]
	v_add_f64 v[24:25], v[20:21], -v[24:25]
	v_add_f64 v[18:19], v[18:19], -v[24:25]
	v_add_f64 v[11:12], v[11:12], v[18:19]
	v_add_f64 v[11:12], v[20:21], v[11:12]
	v_cndmask_b32_e32 v8, v11, v9, vcc
	v_cndmask_b32_e32 v11, v12, v10, vcc
	v_cmp_ngt_f64_e32 vcc, 0, v[9:10]
	v_cndmask_b32_e32 v11, v22, v11, vcc
	v_cmp_nge_f64_e32 vcc, 0, v[9:10]
	v_cndmask_b32_e32 v8, 0, v8, vcc
	v_cmp_neq_f64_e32 vcc, 0, v[9:10]
	v_frexp_exp_i32_f64_e32 v10, v[2:3]
	v_cndmask_b32_e32 v9, v23, v11, vcc
	v_frexp_mant_f64_e32 v[11:12], v[2:3]
	v_cmp_gt_f64_e32 vcc, s[4:5], v[11:12]
	v_cndmask_b32_e64 v13, 0, 1, vcc
	v_ldexp_f64 v[11:12], v[11:12], v13
	v_subbrev_co_u32_e32 v30, vcc, 0, v10, vcc
	v_cmp_class_f64_e64 vcc, v[2:3], s28
	v_add_f64 v[20:21], v[11:12], 1.0
	v_add_f64 v[18:19], v[11:12], -1.0
	v_add_f64 v[24:25], v[20:21], -1.0
	v_add_f64 v[10:11], v[11:12], -v[24:25]
	v_rcp_f64_e32 v[12:13], v[20:21]
	v_fma_f64 v[24:25], -v[20:21], v[12:13], 1.0
	v_fma_f64 v[12:13], v[24:25], v[12:13], v[12:13]
	v_fma_f64 v[24:25], -v[20:21], v[12:13], 1.0
	v_fma_f64 v[12:13], v[24:25], v[12:13], v[12:13]
	v_mul_f64 v[24:25], v[18:19], v[12:13]
	v_mul_f64 v[26:27], v[20:21], v[24:25]
	v_fma_f64 v[20:21], v[24:25], v[20:21], -v[26:27]
	v_fma_f64 v[10:11], v[24:25], v[10:11], v[20:21]
	v_add_f64 v[20:21], v[26:27], v[10:11]
	v_add_f64 v[28:29], v[18:19], -v[20:21]
	v_add_f64 v[26:27], v[20:21], -v[26:27]
	;; [unrolled: 1-line block ×5, first 2 shown]
	v_add_f64 v[10:11], v[10:11], v[18:19]
	v_add_f64 v[10:11], v[28:29], v[10:11]
	v_mul_f64 v[10:11], v[12:13], v[10:11]
	v_add_f64 v[12:13], v[24:25], v[10:11]
	v_add_f64 v[18:19], v[12:13], -v[24:25]
	v_ldexp_f64 v[24:25], v[12:13], 1
	v_add_f64 v[10:11], v[10:11], -v[18:19]
	v_mul_f64 v[18:19], v[12:13], v[12:13]
	v_ldexp_f64 v[10:11], v[10:11], 1
	v_fma_f64 v[20:21], v[18:19], s[6:7], v[16:17]
	v_mul_f64 v[12:13], v[12:13], v[18:19]
	v_fma_f64 v[20:21], v[18:19], v[20:21], s[8:9]
	v_fma_f64 v[20:21], v[18:19], v[20:21], s[10:11]
	v_fma_f64 v[20:21], v[18:19], v[20:21], s[12:13]
	v_fma_f64 v[20:21], v[18:19], v[20:21], s[14:15]
	v_fma_f64 v[20:21], v[18:19], v[20:21], s[16:17]
	v_mul_f64 v[12:13], v[12:13], v[20:21]
	v_add_f64 v[18:19], v[24:25], v[12:13]
	v_add_f64 v[20:21], v[18:19], -v[24:25]
	v_add_f64 v[12:13], v[12:13], -v[20:21]
	v_add_f64 v[10:11], v[10:11], v[12:13]
	v_add_f64 v[12:13], v[18:19], v[10:11]
	v_add_f64 v[18:19], v[12:13], -v[18:19]
	v_add_f64 v[10:11], v[10:11], -v[18:19]
	v_cvt_f64_i32_e32 v[18:19], v30
	v_mul_f64 v[20:21], v[18:19], s[18:19]
	v_fma_f64 v[24:25], v[18:19], s[18:19], -v[20:21]
	v_fma_f64 v[18:19], v[18:19], s[20:21], v[24:25]
	v_add_f64 v[24:25], v[20:21], v[18:19]
	v_add_f64 v[20:21], v[24:25], -v[20:21]
	v_add_f64 v[18:19], v[18:19], -v[20:21]
	v_mul_f64 v[20:21], v[12:13], s[22:23]
	v_fma_f64 v[26:27], v[12:13], s[22:23], -v[20:21]
	v_fma_f64 v[10:11], v[10:11], s[22:23], v[26:27]
	v_fma_f64 v[10:11], v[12:13], s[24:25], v[10:11]
	v_add_f64 v[12:13], v[20:21], v[10:11]
	v_add_f64 v[20:21], v[12:13], -v[20:21]
	v_add_f64 v[10:11], v[10:11], -v[20:21]
	v_add_f64 v[20:21], v[24:25], v[12:13]
	v_add_f64 v[26:27], v[20:21], -v[24:25]
	v_add_f64 v[28:29], v[20:21], -v[26:27]
	;; [unrolled: 1-line block ×4, first 2 shown]
	v_add_f64 v[12:13], v[12:13], v[24:25]
	v_add_f64 v[24:25], v[18:19], v[10:11]
	v_add_f64 v[26:27], v[24:25], -v[18:19]
	v_add_f64 v[12:13], v[24:25], v[12:13]
	v_add_f64 v[28:29], v[24:25], -v[26:27]
	v_add_f64 v[10:11], v[10:11], -v[26:27]
	;; [unrolled: 1-line block ×3, first 2 shown]
	v_add_f64 v[10:11], v[10:11], v[18:19]
	v_add_f64 v[18:19], v[20:21], v[12:13]
	v_add_f64 v[20:21], v[18:19], -v[20:21]
	v_add_f64 v[12:13], v[12:13], -v[20:21]
	v_add_f64 v[10:11], v[10:11], v[12:13]
	v_frexp_exp_i32_f64_e32 v12, v[4:5]
	v_add_f64 v[10:11], v[18:19], v[10:11]
	v_cndmask_b32_e32 v10, v10, v2, vcc
	v_cndmask_b32_e32 v11, v11, v3, vcc
	v_cmp_ngt_f64_e32 vcc, 0, v[2:3]
	v_cndmask_b32_e32 v11, v22, v11, vcc
	v_cmp_nge_f64_e32 vcc, 0, v[2:3]
	v_cndmask_b32_e32 v10, 0, v10, vcc
	v_cmp_neq_f64_e32 vcc, 0, v[2:3]
	v_frexp_mant_f64_e32 v[2:3], v[4:5]
	v_cndmask_b32_e32 v11, v23, v11, vcc
	v_cmp_gt_f64_e32 vcc, s[4:5], v[2:3]
	v_cndmask_b32_e64 v13, 0, 1, vcc
	v_ldexp_f64 v[2:3], v[2:3], v13
	v_subbrev_co_u32_e32 v30, vcc, 0, v12, vcc
	v_cmp_class_f64_e64 vcc, v[4:5], s28
	v_add_f64 v[18:19], v[2:3], 1.0
	v_add_f64 v[12:13], v[2:3], -1.0
	v_add_f64 v[20:21], v[18:19], -1.0
	v_add_f64 v[2:3], v[2:3], -v[20:21]
	v_rcp_f64_e32 v[20:21], v[18:19]
	v_fma_f64 v[24:25], -v[18:19], v[20:21], 1.0
	v_fma_f64 v[20:21], v[24:25], v[20:21], v[20:21]
	v_fma_f64 v[24:25], -v[18:19], v[20:21], 1.0
	v_fma_f64 v[20:21], v[24:25], v[20:21], v[20:21]
	v_mul_f64 v[24:25], v[12:13], v[20:21]
	v_mul_f64 v[26:27], v[18:19], v[24:25]
	v_fma_f64 v[18:19], v[24:25], v[18:19], -v[26:27]
	v_fma_f64 v[2:3], v[24:25], v[2:3], v[18:19]
	v_add_f64 v[18:19], v[26:27], v[2:3]
	v_add_f64 v[28:29], v[12:13], -v[18:19]
	v_add_f64 v[26:27], v[18:19], -v[26:27]
	;; [unrolled: 1-line block ×5, first 2 shown]
	v_add_f64 v[2:3], v[2:3], v[12:13]
	v_add_f64 v[2:3], v[28:29], v[2:3]
	v_mul_f64 v[2:3], v[20:21], v[2:3]
	v_add_f64 v[12:13], v[24:25], v[2:3]
	v_add_f64 v[18:19], v[12:13], -v[24:25]
	v_ldexp_f64 v[24:25], v[12:13], 1
	v_add_f64 v[2:3], v[2:3], -v[18:19]
	v_mul_f64 v[18:19], v[12:13], v[12:13]
	v_ldexp_f64 v[2:3], v[2:3], 1
	v_fma_f64 v[20:21], v[18:19], s[6:7], v[16:17]
	v_mul_f64 v[12:13], v[12:13], v[18:19]
	v_fma_f64 v[20:21], v[18:19], v[20:21], s[8:9]
	v_fma_f64 v[20:21], v[18:19], v[20:21], s[10:11]
	v_fma_f64 v[20:21], v[18:19], v[20:21], s[12:13]
	v_fma_f64 v[20:21], v[18:19], v[20:21], s[14:15]
	v_fma_f64 v[20:21], v[18:19], v[20:21], s[16:17]
	v_mul_f64 v[12:13], v[12:13], v[20:21]
	v_add_f64 v[18:19], v[24:25], v[12:13]
	v_add_f64 v[20:21], v[18:19], -v[24:25]
	v_add_f64 v[12:13], v[12:13], -v[20:21]
	v_add_f64 v[12:13], v[2:3], v[12:13]
	v_add_f64 v[2:3], v[18:19], v[12:13]
	v_add_f64 v[18:19], v[2:3], -v[18:19]
	v_add_f64 v[12:13], v[12:13], -v[18:19]
	v_cvt_f64_i32_e32 v[18:19], v30
	v_mul_f64 v[24:25], v[18:19], s[18:19]
	v_fma_f64 v[20:21], v[18:19], s[18:19], -v[24:25]
	v_fma_f64 v[18:19], v[18:19], s[20:21], v[20:21]
	v_add_f64 v[20:21], v[24:25], v[18:19]
	v_add_f64 v[24:25], v[20:21], -v[24:25]
	v_add_f64 v[18:19], v[18:19], -v[24:25]
	v_mul_f64 v[24:25], v[2:3], s[22:23]
	v_fma_f64 v[26:27], v[2:3], s[22:23], -v[24:25]
	v_fma_f64 v[12:13], v[12:13], s[22:23], v[26:27]
	v_fma_f64 v[2:3], v[2:3], s[24:25], v[12:13]
	v_add_f64 v[12:13], v[24:25], v[2:3]
	v_add_f64 v[24:25], v[12:13], -v[24:25]
	v_add_f64 v[2:3], v[2:3], -v[24:25]
	v_add_f64 v[24:25], v[20:21], v[12:13]
	v_add_f64 v[26:27], v[24:25], -v[20:21]
	v_add_f64 v[28:29], v[24:25], -v[26:27]
	;; [unrolled: 1-line block ×4, first 2 shown]
	v_add_f64 v[12:13], v[12:13], v[20:21]
	v_add_f64 v[20:21], v[18:19], v[2:3]
	v_add_f64 v[26:27], v[20:21], -v[18:19]
	v_add_f64 v[12:13], v[20:21], v[12:13]
	v_add_f64 v[28:29], v[20:21], -v[26:27]
	v_add_f64 v[2:3], v[2:3], -v[26:27]
	;; [unrolled: 1-line block ×3, first 2 shown]
	v_add_f64 v[2:3], v[2:3], v[18:19]
	v_add_f64 v[18:19], v[24:25], v[12:13]
	v_add_f64 v[20:21], v[18:19], -v[24:25]
	v_add_f64 v[12:13], v[12:13], -v[20:21]
	v_add_f64 v[2:3], v[2:3], v[12:13]
	v_add_f64 v[2:3], v[18:19], v[2:3]
	v_cndmask_b32_e32 v2, v2, v4, vcc
	v_cndmask_b32_e32 v3, v3, v5, vcc
	v_cmp_ngt_f64_e32 vcc, 0, v[4:5]
	v_cndmask_b32_e32 v3, v22, v3, vcc
	v_cmp_nge_f64_e32 vcc, 0, v[4:5]
	v_cndmask_b32_e32 v12, 0, v2, vcc
	v_cmp_neq_f64_e32 vcc, 0, v[4:5]
	v_cndmask_b32_e32 v13, v23, v3, vcc
	v_add_co_u32_e32 v0, vcc, s26, v0
	v_addc_co_u32_e32 v1, vcc, 0, v1, vcc
	global_store_dwordx4 v[14:15], v[6:9], off offset:-16
	global_store_dwordx4 v[14:15], v[10:13], off
	v_lshlrev_b64 v[2:3], 2, v[0:1]
	v_add_co_u32_e32 v14, vcc, s27, v14
	v_addc_co_u32_e32 v15, vcc, 0, v15, vcc
	v_cmp_le_i64_e32 vcc, s[0:1], v[2:3]
	s_or_b64 s[2:3], vcc, s[2:3]
	s_andn2_b64 exec, exec, s[2:3]
	s_cbranch_execnz .LBB183_24
.LBB183_25:
	s_endpgm
	.section	.rodata,"a",@progbits
	.p2align	6, 0x0
	.amdhsa_kernel _ZN2at6native12_GLOBAL__N_125multi_tensor_apply_kernelINS1_18TensorListMetadataILi1EEENS1_14UnaryOpFunctorIdLi1ELi1ELi0EEEJNS0_5Log10IdEEEEEvT_T0_DpT1_
		.amdhsa_group_segment_fixed_size 0
		.amdhsa_private_segment_fixed_size 0
		.amdhsa_kernarg_size 3632
		.amdhsa_user_sgpr_count 6
		.amdhsa_user_sgpr_private_segment_buffer 1
		.amdhsa_user_sgpr_dispatch_ptr 0
		.amdhsa_user_sgpr_queue_ptr 0
		.amdhsa_user_sgpr_kernarg_segment_ptr 1
		.amdhsa_user_sgpr_dispatch_id 0
		.amdhsa_user_sgpr_flat_scratch_init 0
		.amdhsa_user_sgpr_private_segment_size 0
		.amdhsa_uses_dynamic_stack 0
		.amdhsa_system_sgpr_private_segment_wavefront_offset 0
		.amdhsa_system_sgpr_workgroup_id_x 1
		.amdhsa_system_sgpr_workgroup_id_y 0
		.amdhsa_system_sgpr_workgroup_id_z 0
		.amdhsa_system_sgpr_workgroup_info 0
		.amdhsa_system_vgpr_workitem_id 0
		.amdhsa_next_free_vgpr 41
		.amdhsa_next_free_sgpr 56
		.amdhsa_reserve_vcc 1
		.amdhsa_reserve_flat_scratch 0
		.amdhsa_float_round_mode_32 0
		.amdhsa_float_round_mode_16_64 0
		.amdhsa_float_denorm_mode_32 3
		.amdhsa_float_denorm_mode_16_64 3
		.amdhsa_dx10_clamp 1
		.amdhsa_ieee_mode 1
		.amdhsa_fp16_overflow 0
		.amdhsa_exception_fp_ieee_invalid_op 0
		.amdhsa_exception_fp_denorm_src 0
		.amdhsa_exception_fp_ieee_div_zero 0
		.amdhsa_exception_fp_ieee_overflow 0
		.amdhsa_exception_fp_ieee_underflow 0
		.amdhsa_exception_fp_ieee_inexact 0
		.amdhsa_exception_int_div_zero 0
	.end_amdhsa_kernel
	.section	.text._ZN2at6native12_GLOBAL__N_125multi_tensor_apply_kernelINS1_18TensorListMetadataILi1EEENS1_14UnaryOpFunctorIdLi1ELi1ELi0EEEJNS0_5Log10IdEEEEEvT_T0_DpT1_,"axG",@progbits,_ZN2at6native12_GLOBAL__N_125multi_tensor_apply_kernelINS1_18TensorListMetadataILi1EEENS1_14UnaryOpFunctorIdLi1ELi1ELi0EEEJNS0_5Log10IdEEEEEvT_T0_DpT1_,comdat
.Lfunc_end183:
	.size	_ZN2at6native12_GLOBAL__N_125multi_tensor_apply_kernelINS1_18TensorListMetadataILi1EEENS1_14UnaryOpFunctorIdLi1ELi1ELi0EEEJNS0_5Log10IdEEEEEvT_T0_DpT1_, .Lfunc_end183-_ZN2at6native12_GLOBAL__N_125multi_tensor_apply_kernelINS1_18TensorListMetadataILi1EEENS1_14UnaryOpFunctorIdLi1ELi1ELi0EEEJNS0_5Log10IdEEEEEvT_T0_DpT1_
                                        ; -- End function
	.set _ZN2at6native12_GLOBAL__N_125multi_tensor_apply_kernelINS1_18TensorListMetadataILi1EEENS1_14UnaryOpFunctorIdLi1ELi1ELi0EEEJNS0_5Log10IdEEEEEvT_T0_DpT1_.num_vgpr, 41
	.set _ZN2at6native12_GLOBAL__N_125multi_tensor_apply_kernelINS1_18TensorListMetadataILi1EEENS1_14UnaryOpFunctorIdLi1ELi1ELi0EEEJNS0_5Log10IdEEEEEvT_T0_DpT1_.num_agpr, 0
	.set _ZN2at6native12_GLOBAL__N_125multi_tensor_apply_kernelINS1_18TensorListMetadataILi1EEENS1_14UnaryOpFunctorIdLi1ELi1ELi0EEEJNS0_5Log10IdEEEEEvT_T0_DpT1_.numbered_sgpr, 56
	.set _ZN2at6native12_GLOBAL__N_125multi_tensor_apply_kernelINS1_18TensorListMetadataILi1EEENS1_14UnaryOpFunctorIdLi1ELi1ELi0EEEJNS0_5Log10IdEEEEEvT_T0_DpT1_.num_named_barrier, 0
	.set _ZN2at6native12_GLOBAL__N_125multi_tensor_apply_kernelINS1_18TensorListMetadataILi1EEENS1_14UnaryOpFunctorIdLi1ELi1ELi0EEEJNS0_5Log10IdEEEEEvT_T0_DpT1_.private_seg_size, 0
	.set _ZN2at6native12_GLOBAL__N_125multi_tensor_apply_kernelINS1_18TensorListMetadataILi1EEENS1_14UnaryOpFunctorIdLi1ELi1ELi0EEEJNS0_5Log10IdEEEEEvT_T0_DpT1_.uses_vcc, 1
	.set _ZN2at6native12_GLOBAL__N_125multi_tensor_apply_kernelINS1_18TensorListMetadataILi1EEENS1_14UnaryOpFunctorIdLi1ELi1ELi0EEEJNS0_5Log10IdEEEEEvT_T0_DpT1_.uses_flat_scratch, 0
	.set _ZN2at6native12_GLOBAL__N_125multi_tensor_apply_kernelINS1_18TensorListMetadataILi1EEENS1_14UnaryOpFunctorIdLi1ELi1ELi0EEEJNS0_5Log10IdEEEEEvT_T0_DpT1_.has_dyn_sized_stack, 0
	.set _ZN2at6native12_GLOBAL__N_125multi_tensor_apply_kernelINS1_18TensorListMetadataILi1EEENS1_14UnaryOpFunctorIdLi1ELi1ELi0EEEJNS0_5Log10IdEEEEEvT_T0_DpT1_.has_recursion, 0
	.set _ZN2at6native12_GLOBAL__N_125multi_tensor_apply_kernelINS1_18TensorListMetadataILi1EEENS1_14UnaryOpFunctorIdLi1ELi1ELi0EEEJNS0_5Log10IdEEEEEvT_T0_DpT1_.has_indirect_call, 0
	.section	.AMDGPU.csdata,"",@progbits
; Kernel info:
; codeLenInByte = 6832
; TotalNumSgprs: 60
; NumVgprs: 41
; ScratchSize: 0
; MemoryBound: 0
; FloatMode: 240
; IeeeMode: 1
; LDSByteSize: 0 bytes/workgroup (compile time only)
; SGPRBlocks: 7
; VGPRBlocks: 10
; NumSGPRsForWavesPerEU: 60
; NumVGPRsForWavesPerEU: 41
; Occupancy: 5
; WaveLimiterHint : 0
; COMPUTE_PGM_RSRC2:SCRATCH_EN: 0
; COMPUTE_PGM_RSRC2:USER_SGPR: 6
; COMPUTE_PGM_RSRC2:TRAP_HANDLER: 0
; COMPUTE_PGM_RSRC2:TGID_X_EN: 1
; COMPUTE_PGM_RSRC2:TGID_Y_EN: 0
; COMPUTE_PGM_RSRC2:TGID_Z_EN: 0
; COMPUTE_PGM_RSRC2:TIDIG_COMP_CNT: 0
	.section	.text._ZN2at6native12_GLOBAL__N_125multi_tensor_apply_kernelINS1_18TensorListMetadataILi1EEENS1_14UnaryOpFunctorIfLi1ELi1ELi0EEEJNS0_5Log10IfEEEEEvT_T0_DpT1_,"axG",@progbits,_ZN2at6native12_GLOBAL__N_125multi_tensor_apply_kernelINS1_18TensorListMetadataILi1EEENS1_14UnaryOpFunctorIfLi1ELi1ELi0EEEJNS0_5Log10IfEEEEEvT_T0_DpT1_,comdat
	.globl	_ZN2at6native12_GLOBAL__N_125multi_tensor_apply_kernelINS1_18TensorListMetadataILi1EEENS1_14UnaryOpFunctorIfLi1ELi1ELi0EEEJNS0_5Log10IfEEEEEvT_T0_DpT1_ ; -- Begin function _ZN2at6native12_GLOBAL__N_125multi_tensor_apply_kernelINS1_18TensorListMetadataILi1EEENS1_14UnaryOpFunctorIfLi1ELi1ELi0EEEJNS0_5Log10IfEEEEEvT_T0_DpT1_
	.p2align	8
	.type	_ZN2at6native12_GLOBAL__N_125multi_tensor_apply_kernelINS1_18TensorListMetadataILi1EEENS1_14UnaryOpFunctorIfLi1ELi1ELi0EEEJNS0_5Log10IfEEEEEvT_T0_DpT1_,@function
_ZN2at6native12_GLOBAL__N_125multi_tensor_apply_kernelINS1_18TensorListMetadataILi1EEENS1_14UnaryOpFunctorIfLi1ELi1ELi0EEEJNS0_5Log10IfEEEEEvT_T0_DpT1_: ; @_ZN2at6native12_GLOBAL__N_125multi_tensor_apply_kernelINS1_18TensorListMetadataILi1EEENS1_14UnaryOpFunctorIfLi1ELi1ELi0EEEJNS0_5Log10IfEEEEEvT_T0_DpT1_
; %bb.0:
	v_mov_b32_e32 v1, s6
	global_load_ubyte v1, v1, s[4:5] offset:1760
	s_add_u32 s0, s4, s6
	s_mul_hi_u32 s1, s6, 3
	s_mul_i32 s6, s6, 3
	s_addc_u32 s2, s5, 0
	s_add_u32 s0, s0, s6
	s_addc_u32 s1, s2, s1
	s_load_dword s0, s[0:1], 0x820
	s_mov_b32 s7, 0
	s_waitcnt vmcnt(0)
	v_readfirstlane_b32 s1, v1
	s_lshl_b32 s1, s1, 3
	s_load_dwordx2 s[2:3], s[4:5], s1 offset:0x370
	s_load_dwordx2 s[10:11], s[4:5], s1 offset:0x0
	s_waitcnt lgkmcnt(0)
	s_ashr_i32 s1, s0, 31
	s_lshl_b64 s[12:13], s[0:1], 18
	s_lshl_b64 s[0:1], s[0:1], 16
	s_and_b32 s6, s10, 15
	s_sub_u32 s14, s2, s0
	s_subb_u32 s15, s3, s1
	s_and_b32 s0, s2, 3
	s_mov_b32 s1, s7
	s_or_b64 s[0:1], s[6:7], s[0:1]
	s_cmp_eq_u64 s[0:1], 0
	s_cbranch_scc1 .LBB184_21
; %bb.1:
	v_cmp_lt_i64_e64 s[0:1], s[14:15], 1
	s_and_b64 vcc, exec, s[0:1]
	s_cbranch_vccnz .LBB184_20
; %bb.2:
	v_mov_b32_e32 v1, 0x10000
	s_load_dword s2, s[4:5], 0xd3c
	v_mov_b32_e32 v2, 0
	v_cmp_lt_i64_e32 vcc, s[14:15], v[1:2]
	s_mov_b64 s[20:21], 0
	s_and_b64 s[0:1], vcc, exec
	v_cmp_lt_u64_e32 vcc, s[14:15], v[1:2]
	s_cselect_b32 s17, s15, 0
	s_cselect_b32 s16, s14, 0x10000
	s_waitcnt lgkmcnt(0)
	s_and_b32 s2, s2, 0xffff
	s_and_b64 s[0:1], vcc, exec
	s_cselect_b32 s19, s15, 0
	s_cselect_b32 s18, s14, 0x10000
	s_lshl_b32 s3, s2, 1
	s_lshl_b32 s24, s2, 2
	s_add_u32 s6, s10, s12
	v_lshlrev_b32_e32 v1, 2, v0
	s_addc_u32 s7, s11, s13
	v_mov_b32_e32 v2, s7
	v_add_co_u32_e32 v1, vcc, s6, v1
	s_mul_i32 s0, s2, 3
	v_addc_co_u32_e32 v2, vcc, 0, v2, vcc
	v_add_co_u32_e32 v5, vcc, s0, v0
	v_addc_co_u32_e64 v6, s[0:1], 0, 0, vcc
	v_add_co_u32_e32 v7, vcc, s3, v0
	v_addc_co_u32_e64 v8, s[0:1], 0, 0, vcc
	v_add_co_u32_e32 v9, vcc, s2, v0
	v_lshlrev_b32_e32 v3, 2, v9
	v_addc_co_u32_e64 v10, s[0:1], 0, 0, vcc
	v_mov_b32_e32 v4, s7
	v_add_co_u32_e32 v3, vcc, s6, v3
	s_lshl_b32 s25, s2, 4
	s_mul_i32 s26, s2, 12
	s_lshl_b32 s27, s2, 3
	v_addc_co_u32_e32 v4, vcc, 0, v4, vcc
	s_mov_b32 s28, 0x800000
	s_mov_b32 s29, 0x3e9a209a
	;; [unrolled: 1-line block ×3, first 2 shown]
	v_mov_b32_e32 v11, 0x411a209b
	s_branch .LBB184_4
.LBB184_3:                              ;   in Loop: Header=BB184_4 Depth=1
	s_or_b64 exec, exec, s[0:1]
	s_add_u32 s20, s20, s24
	v_add_co_u32_e32 v1, vcc, s25, v1
	s_waitcnt vmcnt(0)
	v_mov_b32_e32 v12, s16
	s_addc_u32 s21, s21, 0
	v_addc_co_u32_e32 v2, vcc, 0, v2, vcc
	v_mov_b32_e32 v13, s17
	v_cmp_lt_i64_e32 vcc, s[20:21], v[12:13]
	v_add_co_u32_e64 v3, s[0:1], s25, v3
	v_addc_co_u32_e64 v4, s[0:1], 0, v4, s[0:1]
	s_cbranch_vccz .LBB184_20
.LBB184_4:                              ; =>This Inner Loop Header: Depth=1
	v_mov_b32_e32 v13, s21
	v_add_co_u32_e32 v12, vcc, s20, v0
	v_addc_co_u32_e32 v13, vcc, 0, v13, vcc
	v_cmp_gt_u64_e64 s[6:7], s[18:19], v[12:13]
	v_mov_b32_e32 v15, 0
	s_and_saveexec_b64 s[0:1], s[6:7]
	s_cbranch_execz .LBB184_6
; %bb.5:                                ;   in Loop: Header=BB184_4 Depth=1
	global_load_dword v15, v[1:2], off
.LBB184_6:                              ;   in Loop: Header=BB184_4 Depth=1
	s_or_b64 exec, exec, s[0:1]
	v_mov_b32_e32 v13, s21
	v_add_co_u32_e32 v12, vcc, s20, v9
	v_addc_co_u32_e32 v13, vcc, v10, v13, vcc
	v_cmp_gt_u64_e64 s[2:3], s[18:19], v[12:13]
	v_mov_b32_e32 v12, 0
	v_mov_b32_e32 v14, 0
	s_and_saveexec_b64 s[0:1], s[2:3]
	s_cbranch_execz .LBB184_8
; %bb.7:                                ;   in Loop: Header=BB184_4 Depth=1
	global_load_dword v14, v[3:4], off
.LBB184_8:                              ;   in Loop: Header=BB184_4 Depth=1
	s_or_b64 exec, exec, s[0:1]
	v_mov_b32_e32 v13, s21
	v_add_co_u32_e32 v16, vcc, s20, v7
	v_addc_co_u32_e32 v17, vcc, v8, v13, vcc
	v_cmp_gt_u64_e64 s[0:1], s[18:19], v[16:17]
	s_and_saveexec_b64 s[8:9], s[0:1]
	s_cbranch_execz .LBB184_10
; %bb.9:                                ;   in Loop: Header=BB184_4 Depth=1
	v_add_co_u32_e32 v12, vcc, s27, v1
	v_addc_co_u32_e32 v13, vcc, 0, v2, vcc
	global_load_dword v12, v[12:13], off
.LBB184_10:                             ;   in Loop: Header=BB184_4 Depth=1
	s_or_b64 exec, exec, s[8:9]
	v_mov_b32_e32 v13, s21
	v_add_co_u32_e32 v16, vcc, s20, v5
	v_addc_co_u32_e32 v17, vcc, v6, v13, vcc
	v_cmp_gt_u64_e32 vcc, s[18:19], v[16:17]
	v_mov_b32_e32 v13, 0
	s_and_saveexec_b64 s[22:23], vcc
	s_cbranch_execnz .LBB184_15
; %bb.11:                               ;   in Loop: Header=BB184_4 Depth=1
	s_or_b64 exec, exec, s[22:23]
	s_and_saveexec_b64 s[22:23], s[6:7]
	s_cbranch_execnz .LBB184_16
.LBB184_12:                             ;   in Loop: Header=BB184_4 Depth=1
	s_or_b64 exec, exec, s[22:23]
	s_and_saveexec_b64 s[8:9], s[2:3]
	s_cbranch_execnz .LBB184_17
.LBB184_13:                             ;   in Loop: Header=BB184_4 Depth=1
	s_or_b64 exec, exec, s[8:9]
	s_and_saveexec_b64 s[2:3], s[0:1]
	s_cbranch_execnz .LBB184_18
.LBB184_14:                             ;   in Loop: Header=BB184_4 Depth=1
	s_or_b64 exec, exec, s[2:3]
	s_and_saveexec_b64 s[0:1], vcc
	s_cbranch_execz .LBB184_3
	s_branch .LBB184_19
.LBB184_15:                             ;   in Loop: Header=BB184_4 Depth=1
	v_add_co_u32_e64 v16, s[8:9], s26, v1
	v_addc_co_u32_e64 v17, s[8:9], 0, v2, s[8:9]
	global_load_dword v13, v[16:17], off
	s_or_b64 exec, exec, s[22:23]
	s_and_saveexec_b64 s[22:23], s[6:7]
	s_cbranch_execz .LBB184_12
.LBB184_16:                             ;   in Loop: Header=BB184_4 Depth=1
	s_waitcnt vmcnt(0)
	v_cmp_gt_f32_e64 s[6:7], s28, v15
	v_cndmask_b32_e64 v16, 0, 32, s[6:7]
	v_ldexp_f32 v15, v15, v16
	v_log_f32_e32 v15, v15
	v_mul_f32_e32 v16, 0x3e9a209a, v15
	v_fma_f32 v16, v15, s29, -v16
	v_fmac_f32_e32 v16, 0x3284fbcf, v15
	v_fmac_f32_e32 v16, 0x3e9a209a, v15
	v_cmp_lt_f32_e64 s[8:9], |v15|, s30
	v_cndmask_b32_e64 v15, v15, v16, s[8:9]
	v_cndmask_b32_e64 v16, 0, v11, s[6:7]
	v_sub_f32_e32 v15, v15, v16
	global_store_dword v[1:2], v15, off
	s_or_b64 exec, exec, s[22:23]
	s_and_saveexec_b64 s[8:9], s[2:3]
	s_cbranch_execz .LBB184_13
.LBB184_17:                             ;   in Loop: Header=BB184_4 Depth=1
	s_waitcnt vmcnt(0)
	v_cmp_gt_f32_e64 s[2:3], s28, v14
	v_cndmask_b32_e64 v15, 0, 32, s[2:3]
	v_ldexp_f32 v14, v14, v15
	v_log_f32_e32 v14, v14
	v_mul_f32_e32 v15, 0x3e9a209a, v14
	v_fma_f32 v15, v14, s29, -v15
	v_fmac_f32_e32 v15, 0x3284fbcf, v14
	v_fmac_f32_e32 v15, 0x3e9a209a, v14
	v_cmp_lt_f32_e64 s[6:7], |v14|, s30
	v_cndmask_b32_e64 v14, v14, v15, s[6:7]
	v_cndmask_b32_e64 v15, 0, v11, s[2:3]
	v_sub_f32_e32 v14, v14, v15
	global_store_dword v[3:4], v14, off
	s_or_b64 exec, exec, s[8:9]
	s_and_saveexec_b64 s[2:3], s[0:1]
	s_cbranch_execz .LBB184_14
.LBB184_18:                             ;   in Loop: Header=BB184_4 Depth=1
	s_waitcnt vmcnt(0)
	v_cmp_gt_f32_e64 s[0:1], s28, v12
	v_cndmask_b32_e64 v14, 0, 32, s[0:1]
	v_ldexp_f32 v12, v12, v14
	v_log_f32_e32 v12, v12
	v_cndmask_b32_e64 v14, 0, v11, s[0:1]
	v_mul_f32_e32 v15, 0x3e9a209a, v12
	v_fma_f32 v15, v12, s29, -v15
	v_fmac_f32_e32 v15, 0x3284fbcf, v12
	v_fmac_f32_e32 v15, 0x3e9a209a, v12
	v_cmp_lt_f32_e64 s[0:1], |v12|, s30
	v_cndmask_b32_e64 v12, v12, v15, s[0:1]
	v_sub_f32_e32 v12, v12, v14
	v_add_co_u32_e64 v14, s[0:1], s27, v1
	v_addc_co_u32_e64 v15, s[0:1], 0, v2, s[0:1]
	global_store_dword v[14:15], v12, off
	s_or_b64 exec, exec, s[2:3]
	s_and_saveexec_b64 s[0:1], vcc
	s_cbranch_execz .LBB184_3
.LBB184_19:                             ;   in Loop: Header=BB184_4 Depth=1
	s_waitcnt vmcnt(0)
	v_cmp_gt_f32_e32 vcc, s28, v13
	v_cndmask_b32_e64 v12, 0, 32, vcc
	v_ldexp_f32 v12, v13, v12
	v_log_f32_e32 v12, v12
	v_cndmask_b32_e32 v13, 0, v11, vcc
	v_mul_f32_e32 v14, 0x3e9a209a, v12
	v_fma_f32 v14, v12, s29, -v14
	v_fmac_f32_e32 v14, 0x3284fbcf, v12
	v_fmac_f32_e32 v14, 0x3e9a209a, v12
	v_cmp_lt_f32_e64 vcc, |v12|, s30
	v_cndmask_b32_e32 v12, v12, v14, vcc
	v_sub_f32_e32 v14, v12, v13
	v_add_co_u32_e32 v12, vcc, s26, v1
	v_addc_co_u32_e32 v13, vcc, 0, v2, vcc
	global_store_dword v[12:13], v14, off
	s_branch .LBB184_3
.LBB184_20:
	s_cbranch_execz .LBB184_22
	s_branch .LBB184_25
.LBB184_21:
.LBB184_22:
	v_mov_b32_e32 v1, 0x10000
	v_mov_b32_e32 v2, 0
	v_cmp_lt_i64_e32 vcc, s[14:15], v[1:2]
	v_mov_b32_e32 v2, 0
	s_and_b64 s[0:1], vcc, exec
	s_cselect_b32 s7, s15, 0
	s_cselect_b32 s6, s14, 0x10000
	v_lshlrev_b32_e32 v1, 2, v0
	v_cmp_gt_i64_e32 vcc, s[6:7], v[1:2]
	s_and_saveexec_b64 s[0:1], vcc
	s_cbranch_execz .LBB184_25
; %bb.23:
	s_load_dword s0, s[4:5], 0xd3c
	v_mov_b32_e32 v1, v2
	v_lshlrev_b32_e32 v2, 4, v0
	s_mov_b64 s[8:9], 0
	v_mov_b32_e32 v4, 0x411a209b
	s_waitcnt lgkmcnt(0)
	s_and_b32 s14, s0, 0xffff
	s_add_u32 s0, s10, s12
	s_addc_u32 s1, s11, s13
	v_mov_b32_e32 v3, s1
	v_add_co_u32_e32 v2, vcc, s0, v2
	v_addc_co_u32_e32 v3, vcc, 0, v3, vcc
	v_add_co_u32_e32 v2, vcc, 8, v2
	v_addc_co_u32_e32 v3, vcc, 0, v3, vcc
	s_lshl_b32 s10, s14, 4
	s_mov_b32 s11, 0x800000
	s_mov_b32 s12, 0x3e9a209a
	;; [unrolled: 1-line block ×3, first 2 shown]
.LBB184_24:                             ; =>This Inner Loop Header: Depth=1
	global_load_dwordx4 v[5:8], v[2:3], off offset:-8
	v_add_co_u32_e32 v0, vcc, s14, v0
	v_addc_co_u32_e32 v1, vcc, 0, v1, vcc
	v_lshlrev_b64 v[9:10], 2, v[0:1]
	v_cmp_le_i64_e32 vcc, s[6:7], v[9:10]
	s_or_b64 s[8:9], vcc, s[8:9]
	s_waitcnt vmcnt(0)
	v_cmp_gt_f32_e32 vcc, s11, v5
	v_cndmask_b32_e64 v9, 0, 32, vcc
	v_cmp_gt_f32_e64 s[0:1], s11, v6
	v_cndmask_b32_e64 v10, 0, 32, s[0:1]
	v_cmp_gt_f32_e64 s[2:3], s11, v7
	v_ldexp_f32 v5, v5, v9
	v_cndmask_b32_e64 v11, 0, 32, s[2:3]
	v_cmp_gt_f32_e64 s[4:5], s11, v8
	v_ldexp_f32 v6, v6, v10
	v_log_f32_e32 v5, v5
	v_cndmask_b32_e64 v12, 0, 32, s[4:5]
	v_ldexp_f32 v7, v7, v11
	v_log_f32_e32 v6, v6
	v_ldexp_f32 v8, v8, v12
	v_log_f32_e32 v7, v7
	v_log_f32_e32 v8, v8
	v_mul_f32_e32 v13, 0x3e9a209a, v5
	v_mul_f32_e32 v14, 0x3e9a209a, v6
	v_fma_f32 v13, v5, s12, -v13
	v_mul_f32_e32 v15, 0x3e9a209a, v7
	v_fma_f32 v14, v6, s12, -v14
	v_fmac_f32_e32 v13, 0x3284fbcf, v5
	v_cndmask_b32_e32 v9, 0, v4, vcc
	v_mul_f32_e32 v16, 0x3e9a209a, v8
	v_fma_f32 v15, v7, s12, -v15
	v_fmac_f32_e32 v14, 0x3284fbcf, v6
	v_fmac_f32_e32 v13, 0x3e9a209a, v5
	v_cmp_lt_f32_e64 vcc, |v5|, s13
	v_fma_f32 v16, v8, s12, -v16
	v_fmac_f32_e32 v15, 0x3284fbcf, v7
	v_fmac_f32_e32 v14, 0x3e9a209a, v6
	v_cndmask_b32_e32 v5, v5, v13, vcc
	v_cmp_lt_f32_e64 vcc, |v6|, s13
	v_fmac_f32_e32 v16, 0x3284fbcf, v8
	v_fmac_f32_e32 v15, 0x3e9a209a, v7
	v_cndmask_b32_e32 v6, v6, v14, vcc
	v_cmp_lt_f32_e64 vcc, |v7|, s13
	v_fmac_f32_e32 v16, 0x3e9a209a, v8
	v_cndmask_b32_e32 v7, v7, v15, vcc
	v_cmp_lt_f32_e64 vcc, |v8|, s13
	v_cndmask_b32_e64 v10, 0, v4, s[0:1]
	v_cndmask_b32_e64 v11, 0, v4, s[2:3]
	;; [unrolled: 1-line block ×3, first 2 shown]
	v_cndmask_b32_e32 v8, v8, v16, vcc
	v_sub_f32_e32 v5, v5, v9
	v_sub_f32_e32 v6, v6, v10
	;; [unrolled: 1-line block ×4, first 2 shown]
	global_store_dwordx4 v[2:3], v[5:8], off offset:-8
	v_add_co_u32_e32 v2, vcc, s10, v2
	v_addc_co_u32_e32 v3, vcc, 0, v3, vcc
	s_andn2_b64 exec, exec, s[8:9]
	s_cbranch_execnz .LBB184_24
.LBB184_25:
	s_endpgm
	.section	.rodata,"a",@progbits
	.p2align	6, 0x0
	.amdhsa_kernel _ZN2at6native12_GLOBAL__N_125multi_tensor_apply_kernelINS1_18TensorListMetadataILi1EEENS1_14UnaryOpFunctorIfLi1ELi1ELi0EEEJNS0_5Log10IfEEEEEvT_T0_DpT1_
		.amdhsa_group_segment_fixed_size 0
		.amdhsa_private_segment_fixed_size 0
		.amdhsa_kernarg_size 3632
		.amdhsa_user_sgpr_count 6
		.amdhsa_user_sgpr_private_segment_buffer 1
		.amdhsa_user_sgpr_dispatch_ptr 0
		.amdhsa_user_sgpr_queue_ptr 0
		.amdhsa_user_sgpr_kernarg_segment_ptr 1
		.amdhsa_user_sgpr_dispatch_id 0
		.amdhsa_user_sgpr_flat_scratch_init 0
		.amdhsa_user_sgpr_private_segment_size 0
		.amdhsa_uses_dynamic_stack 0
		.amdhsa_system_sgpr_private_segment_wavefront_offset 0
		.amdhsa_system_sgpr_workgroup_id_x 1
		.amdhsa_system_sgpr_workgroup_id_y 0
		.amdhsa_system_sgpr_workgroup_id_z 0
		.amdhsa_system_sgpr_workgroup_info 0
		.amdhsa_system_vgpr_workitem_id 0
		.amdhsa_next_free_vgpr 18
		.amdhsa_next_free_sgpr 31
		.amdhsa_reserve_vcc 1
		.amdhsa_reserve_flat_scratch 0
		.amdhsa_float_round_mode_32 0
		.amdhsa_float_round_mode_16_64 0
		.amdhsa_float_denorm_mode_32 3
		.amdhsa_float_denorm_mode_16_64 3
		.amdhsa_dx10_clamp 1
		.amdhsa_ieee_mode 1
		.amdhsa_fp16_overflow 0
		.amdhsa_exception_fp_ieee_invalid_op 0
		.amdhsa_exception_fp_denorm_src 0
		.amdhsa_exception_fp_ieee_div_zero 0
		.amdhsa_exception_fp_ieee_overflow 0
		.amdhsa_exception_fp_ieee_underflow 0
		.amdhsa_exception_fp_ieee_inexact 0
		.amdhsa_exception_int_div_zero 0
	.end_amdhsa_kernel
	.section	.text._ZN2at6native12_GLOBAL__N_125multi_tensor_apply_kernelINS1_18TensorListMetadataILi1EEENS1_14UnaryOpFunctorIfLi1ELi1ELi0EEEJNS0_5Log10IfEEEEEvT_T0_DpT1_,"axG",@progbits,_ZN2at6native12_GLOBAL__N_125multi_tensor_apply_kernelINS1_18TensorListMetadataILi1EEENS1_14UnaryOpFunctorIfLi1ELi1ELi0EEEJNS0_5Log10IfEEEEEvT_T0_DpT1_,comdat
.Lfunc_end184:
	.size	_ZN2at6native12_GLOBAL__N_125multi_tensor_apply_kernelINS1_18TensorListMetadataILi1EEENS1_14UnaryOpFunctorIfLi1ELi1ELi0EEEJNS0_5Log10IfEEEEEvT_T0_DpT1_, .Lfunc_end184-_ZN2at6native12_GLOBAL__N_125multi_tensor_apply_kernelINS1_18TensorListMetadataILi1EEENS1_14UnaryOpFunctorIfLi1ELi1ELi0EEEJNS0_5Log10IfEEEEEvT_T0_DpT1_
                                        ; -- End function
	.set _ZN2at6native12_GLOBAL__N_125multi_tensor_apply_kernelINS1_18TensorListMetadataILi1EEENS1_14UnaryOpFunctorIfLi1ELi1ELi0EEEJNS0_5Log10IfEEEEEvT_T0_DpT1_.num_vgpr, 18
	.set _ZN2at6native12_GLOBAL__N_125multi_tensor_apply_kernelINS1_18TensorListMetadataILi1EEENS1_14UnaryOpFunctorIfLi1ELi1ELi0EEEJNS0_5Log10IfEEEEEvT_T0_DpT1_.num_agpr, 0
	.set _ZN2at6native12_GLOBAL__N_125multi_tensor_apply_kernelINS1_18TensorListMetadataILi1EEENS1_14UnaryOpFunctorIfLi1ELi1ELi0EEEJNS0_5Log10IfEEEEEvT_T0_DpT1_.numbered_sgpr, 31
	.set _ZN2at6native12_GLOBAL__N_125multi_tensor_apply_kernelINS1_18TensorListMetadataILi1EEENS1_14UnaryOpFunctorIfLi1ELi1ELi0EEEJNS0_5Log10IfEEEEEvT_T0_DpT1_.num_named_barrier, 0
	.set _ZN2at6native12_GLOBAL__N_125multi_tensor_apply_kernelINS1_18TensorListMetadataILi1EEENS1_14UnaryOpFunctorIfLi1ELi1ELi0EEEJNS0_5Log10IfEEEEEvT_T0_DpT1_.private_seg_size, 0
	.set _ZN2at6native12_GLOBAL__N_125multi_tensor_apply_kernelINS1_18TensorListMetadataILi1EEENS1_14UnaryOpFunctorIfLi1ELi1ELi0EEEJNS0_5Log10IfEEEEEvT_T0_DpT1_.uses_vcc, 1
	.set _ZN2at6native12_GLOBAL__N_125multi_tensor_apply_kernelINS1_18TensorListMetadataILi1EEENS1_14UnaryOpFunctorIfLi1ELi1ELi0EEEJNS0_5Log10IfEEEEEvT_T0_DpT1_.uses_flat_scratch, 0
	.set _ZN2at6native12_GLOBAL__N_125multi_tensor_apply_kernelINS1_18TensorListMetadataILi1EEENS1_14UnaryOpFunctorIfLi1ELi1ELi0EEEJNS0_5Log10IfEEEEEvT_T0_DpT1_.has_dyn_sized_stack, 0
	.set _ZN2at6native12_GLOBAL__N_125multi_tensor_apply_kernelINS1_18TensorListMetadataILi1EEENS1_14UnaryOpFunctorIfLi1ELi1ELi0EEEJNS0_5Log10IfEEEEEvT_T0_DpT1_.has_recursion, 0
	.set _ZN2at6native12_GLOBAL__N_125multi_tensor_apply_kernelINS1_18TensorListMetadataILi1EEENS1_14UnaryOpFunctorIfLi1ELi1ELi0EEEJNS0_5Log10IfEEEEEvT_T0_DpT1_.has_indirect_call, 0
	.section	.AMDGPU.csdata,"",@progbits
; Kernel info:
; codeLenInByte = 1664
; TotalNumSgprs: 35
; NumVgprs: 18
; ScratchSize: 0
; MemoryBound: 0
; FloatMode: 240
; IeeeMode: 1
; LDSByteSize: 0 bytes/workgroup (compile time only)
; SGPRBlocks: 4
; VGPRBlocks: 4
; NumSGPRsForWavesPerEU: 35
; NumVGPRsForWavesPerEU: 18
; Occupancy: 10
; WaveLimiterHint : 0
; COMPUTE_PGM_RSRC2:SCRATCH_EN: 0
; COMPUTE_PGM_RSRC2:USER_SGPR: 6
; COMPUTE_PGM_RSRC2:TRAP_HANDLER: 0
; COMPUTE_PGM_RSRC2:TGID_X_EN: 1
; COMPUTE_PGM_RSRC2:TGID_Y_EN: 0
; COMPUTE_PGM_RSRC2:TGID_Z_EN: 0
; COMPUTE_PGM_RSRC2:TIDIG_COMP_CNT: 0
	.section	.text._ZN2at6native12_GLOBAL__N_125multi_tensor_apply_kernelINS1_18TensorListMetadataILi1EEENS1_14UnaryOpFunctorIN3c107complexIdEELi1ELi1ELi0EEEJNS0_5Log10IS8_EEEEEvT_T0_DpT1_,"axG",@progbits,_ZN2at6native12_GLOBAL__N_125multi_tensor_apply_kernelINS1_18TensorListMetadataILi1EEENS1_14UnaryOpFunctorIN3c107complexIdEELi1ELi1ELi0EEEJNS0_5Log10IS8_EEEEEvT_T0_DpT1_,comdat
	.globl	_ZN2at6native12_GLOBAL__N_125multi_tensor_apply_kernelINS1_18TensorListMetadataILi1EEENS1_14UnaryOpFunctorIN3c107complexIdEELi1ELi1ELi0EEEJNS0_5Log10IS8_EEEEEvT_T0_DpT1_ ; -- Begin function _ZN2at6native12_GLOBAL__N_125multi_tensor_apply_kernelINS1_18TensorListMetadataILi1EEENS1_14UnaryOpFunctorIN3c107complexIdEELi1ELi1ELi0EEEJNS0_5Log10IS8_EEEEEvT_T0_DpT1_
	.p2align	8
	.type	_ZN2at6native12_GLOBAL__N_125multi_tensor_apply_kernelINS1_18TensorListMetadataILi1EEENS1_14UnaryOpFunctorIN3c107complexIdEELi1ELi1ELi0EEEJNS0_5Log10IS8_EEEEEvT_T0_DpT1_,@function
_ZN2at6native12_GLOBAL__N_125multi_tensor_apply_kernelINS1_18TensorListMetadataILi1EEENS1_14UnaryOpFunctorIN3c107complexIdEELi1ELi1ELi0EEEJNS0_5Log10IS8_EEEEEvT_T0_DpT1_: ; @_ZN2at6native12_GLOBAL__N_125multi_tensor_apply_kernelINS1_18TensorListMetadataILi1EEENS1_14UnaryOpFunctorIN3c107complexIdEELi1ELi1ELi0EEEJNS0_5Log10IS8_EEEEEvT_T0_DpT1_
; %bb.0:
	v_mov_b32_e32 v1, s6
	global_load_ubyte v1, v1, s[4:5] offset:1760
	s_add_u32 s0, s4, s6
	s_mul_hi_u32 s1, s6, 3
	s_mul_i32 s6, s6, 3
	s_addc_u32 s2, s5, 0
	s_add_u32 s0, s0, s6
	s_addc_u32 s1, s2, s1
	s_load_dword s0, s[0:1], 0x820
                                        ; implicit-def: $vgpr80 : SGPR spill to VGPR lane
	s_mov_b32 s7, 0
	s_waitcnt vmcnt(0)
	v_readfirstlane_b32 s1, v1
	s_lshl_b32 s1, s1, 3
	s_load_dwordx2 s[2:3], s[4:5], s1 offset:0x0
	v_writelane_b32 v80, s4, 0
	v_writelane_b32 v80, s5, 1
	s_load_dwordx2 s[4:5], s[4:5], s1 offset:0x370
                                        ; kill: killed $sgpr1
	s_waitcnt lgkmcnt(0)
	s_ashr_i32 s1, s0, 31
	s_lshl_b64 s[8:9], s[0:1], 20
	s_add_u32 s33, s2, s8
	s_addc_u32 s58, s3, s9
	s_lshl_b64 s[0:1], s[0:1], 16
	s_and_b32 s6, s33, 63
	s_sub_u32 s2, s4, s0
	s_subb_u32 s3, s5, s1
	s_and_b32 s0, s4, 3
	s_mov_b32 s1, s7
	s_or_b64 s[0:1], s[6:7], s[0:1]
	s_cmp_eq_u64 s[0:1], 0
	s_cbranch_scc1 .LBB185_157
; %bb.1:
	v_writelane_b32 v80, s2, 2
	v_cmp_lt_i64_e64 s[0:1], s[2:3], 1
	v_writelane_b32 v80, s3, 3
	s_and_b64 vcc, exec, s[0:1]
	s_cbranch_vccnz .LBB185_156
; %bb.2:
	v_readlane_b32 s0, v80, 0
	v_readlane_b32 s1, v80, 1
	v_mov_b32_e32 v1, 0x10000
	v_readlane_b32 s4, v80, 2
	s_load_dword s2, s[0:1], 0xd3c
	v_mov_b32_e32 v2, 0
	v_readlane_b32 s5, v80, 3
	v_cmp_lt_i64_e32 vcc, s[4:5], v[1:2]
	s_mov_b32 s26, 0x55555555
	s_and_b64 s[0:1], vcc, exec
	v_cmp_lt_u64_e32 vcc, s[4:5], v[1:2]
	s_cselect_b32 s21, s5, 0
	s_cselect_b32 s20, s4, 0x10000
	s_waitcnt lgkmcnt(0)
	s_and_b32 s59, s2, 0xffff
	s_and_b64 s[0:1], vcc, exec
	s_mov_b32 s34, 0xbf559e2b
	s_mov_b32 s36, 0xd7f4df2e
	;; [unrolled: 1-line block ×24, first 2 shown]
	v_mov_b32_e32 v17, 0
	s_cselect_b32 s23, s5, 0
	s_cselect_b32 s22, s4, 0x10000
	s_mov_b32 s27, 0x3fe55555
	s_mov_b32 s35, 0x3fc3ab76
	s_mov_b32 s37, 0x3fc7474d
	s_mov_b32 s39, 0x3fcc71c0
	s_mov_b32 s41, 0x3fd24924
	s_mov_b32 s43, 0x3fd99999
	s_mov_b32 s45, 0x3fe62e42
	s_mov_b32 s47, 0x3c7abc9e
	s_mov_b32 s57, 0x3eeba404
	s_mov_b32 s55, 0x3f4b2bb0
	s_mov_b32 s65, 0xbfa59976
	s_mov_b32 s67, 0x3fa82d5d
	s_mov_b32 s69, 0xbfaae5ce
	s_mov_b32 s71, 0x3fae1bb4
	s_mov_b32 s73, 0xbfb110e4
	s_mov_b32 s75, 0x3fb3b136
	s_mov_b32 s77, 0xbfb745d1
	s_mov_b32 s79, 0x3fbc71c7
	s_mov_b32 s81, 0xbfc24924
	s_mov_b32 s83, 0x3fc99999
	s_mov_b32 s85, 0xbfd55555
	s_mov_b32 s91, 0x3ff921fb
	s_mov_b32 s93, 0x4005bf0a
	s_mov_b32 s95, 0x40026bb1
	v_mov_b32_e32 v19, 0x6b47b09a
	v_mov_b32_e32 v20, 0x3fc38538
	;; [unrolled: 1-line block ×11, first 2 shown]
	s_lshl_b32 s60, s59, 1
	s_lshl_b32 s61, s59, 2
	s_brev_b32 s62, -2
	s_movk_i32 s63, 0x204
	s_mov_b64 s[88:89], 0
	s_mov_b32 s30, 0x55555780
	s_brev_b32 s29, 4
	s_mov_b32 s87, 0x400921fb
	s_branch .LBB185_4
.LBB185_3:                              ;   in Loop: Header=BB185_4 Depth=1
	s_or_b64 exec, exec, s[2:3]
	s_add_u32 s88, s88, s61
	v_mov_b32_e32 v1, s20
	s_addc_u32 s89, s89, 0
	v_mov_b32_e32 v2, s21
	v_cmp_ge_i64_e32 vcc, s[88:89], v[1:2]
	s_cbranch_vccnz .LBB185_156
.LBB185_4:                              ; =>This Loop Header: Depth=1
                                        ;     Child Loop BB185_23 Depth 2
                                        ;     Child Loop BB185_57 Depth 2
	;; [unrolled: 1-line block ×4, first 2 shown]
	v_mov_b32_e32 v2, s89
	v_add_co_u32_e32 v1, vcc, s88, v0
	v_addc_co_u32_e32 v2, vcc, 0, v2, vcc
	v_cmp_gt_u64_e64 s[8:9], s[22:23], v[1:2]
	v_mov_b32_e32 v7, 0
	v_lshlrev_b64 v[29:30], 4, v[1:2]
	v_mov_b32_e32 v15, 0
	v_mov_b32_e32 v13, 0
	;; [unrolled: 1-line block ×5, first 2 shown]
	s_and_saveexec_b64 s[0:1], s[8:9]
	s_cbranch_execz .LBB185_6
; %bb.5:                                ;   in Loop: Header=BB185_4 Depth=1
	v_mov_b32_e32 v4, s58
	v_add_co_u32_e32 v3, vcc, s33, v29
	v_addc_co_u32_e32 v4, vcc, v4, v30, vcc
	global_load_dwordx4 v[13:16], v[3:4], off
.LBB185_6:                              ;   in Loop: Header=BB185_4 Depth=1
	s_or_b64 exec, exec, s[0:1]
	v_add_co_u32_e32 v3, vcc, s59, v1
	v_addc_co_u32_e32 v4, vcc, 0, v2, vcc
	v_cmp_gt_u64_e64 s[6:7], s[22:23], v[3:4]
	v_lshlrev_b64 v[27:28], 4, v[3:4]
	v_mov_b32_e32 v5, 0
	v_mov_b32_e32 v6, 0
	s_and_saveexec_b64 s[0:1], s[6:7]
	s_cbranch_execz .LBB185_8
; %bb.7:                                ;   in Loop: Header=BB185_4 Depth=1
	v_mov_b32_e32 v4, s58
	v_add_co_u32_e32 v3, vcc, s33, v27
	v_addc_co_u32_e32 v4, vcc, v4, v28, vcc
	global_load_dwordx4 v[5:8], v[3:4], off
.LBB185_8:                              ;   in Loop: Header=BB185_4 Depth=1
	s_or_b64 exec, exec, s[0:1]
	v_add_co_u32_e32 v9, vcc, s60, v1
	v_addc_co_u32_e32 v10, vcc, 0, v2, vcc
	v_cmp_gt_u64_e64 s[2:3], s[22:23], v[9:10]
	v_mov_b32_e32 v3, 0
	v_lshlrev_b64 v[25:26], 4, v[9:10]
	v_mov_b32_e32 v11, 0
	v_mov_b32_e32 v9, 0
	v_mov_b32_e32 v4, 0
	v_mov_b32_e32 v12, 0
	v_mov_b32_e32 v10, 0
	s_and_saveexec_b64 s[0:1], s[2:3]
	s_cbranch_execz .LBB185_10
; %bb.9:                                ;   in Loop: Header=BB185_4 Depth=1
	v_mov_b32_e32 v10, s58
	v_add_co_u32_e32 v9, vcc, s33, v25
	v_addc_co_u32_e32 v10, vcc, v10, v26, vcc
	global_load_dwordx4 v[9:12], v[9:10], off
.LBB185_10:                             ;   in Loop: Header=BB185_4 Depth=1
	s_or_b64 exec, exec, s[0:1]
	s_mul_i32 s0, s59, 3
	v_add_co_u32_e32 v1, vcc, s0, v1
	v_addc_co_u32_e32 v2, vcc, 0, v2, vcc
	v_cmp_gt_u64_e64 s[0:1], s[22:23], v[1:2]
	v_lshlrev_b64 v[23:24], 4, v[1:2]
	v_mov_b32_e32 v1, 0
	v_mov_b32_e32 v2, 0
	s_and_saveexec_b64 s[4:5], s[0:1]
	s_cbranch_execz .LBB185_12
; %bb.11:                               ;   in Loop: Header=BB185_4 Depth=1
	v_mov_b32_e32 v2, s58
	v_add_co_u32_e32 v1, vcc, s33, v23
	v_addc_co_u32_e32 v2, vcc, v2, v24, vcc
	global_load_dwordx4 v[1:4], v[1:2], off
.LBB185_12:                             ;   in Loop: Header=BB185_4 Depth=1
	s_or_b64 exec, exec, s[4:5]
	s_waitcnt vmcnt(0)
	v_cmp_o_f64_e32 vcc, v[13:14], v[15:16]
                                        ; implicit-def: $vgpr33_vgpr34
                                        ; implicit-def: $vgpr31_vgpr32
	s_and_saveexec_b64 s[4:5], vcc
	s_xor_b64 s[18:19], exec, s[4:5]
	s_cbranch_execz .LBB185_40
; %bb.13:                               ;   in Loop: Header=BB185_4 Depth=1
	v_cmp_lt_f64_e64 s[10:11], |v[13:14]|, |v[15:16]|
	v_and_b32_e32 v18, 0x7fffffff, v14
	v_and_b32_e32 v35, 0x7fffffff, v16
	s_mov_b32 s4, 0x85ebc8a0
	s_mov_b32 s5, 0x7fd1ccf3
	v_mov_b32_e32 v36, v15
                                        ; implicit-def: $vgpr33_vgpr34
                                        ; implicit-def: $vgpr31_vgpr32
	v_cndmask_b32_e64 v38, v35, v18, s[10:11]
	v_cndmask_b32_e64 v37, v15, v13, s[10:11]
	v_cmp_nlt_f64_e32 vcc, s[4:5], v[37:38]
	s_and_saveexec_b64 s[4:5], vcc
	s_xor_b64 s[4:5], exec, s[4:5]
	s_cbranch_execz .LBB185_37
; %bb.14:                               ;   in Loop: Header=BB185_4 Depth=1
	v_cndmask_b32_e64 v40, v18, v35, s[10:11]
	v_cndmask_b32_e64 v39, v13, v36, s[10:11]
	v_cmp_neq_f64_e32 vcc, 1.0, v[39:40]
                                        ; implicit-def: $vgpr33_vgpr34
                                        ; implicit-def: $vgpr31_vgpr32
	s_and_saveexec_b64 s[12:13], vcc
	s_xor_b64 s[24:25], exec, s[12:13]
	s_cbranch_execz .LBB185_30
; %bb.15:                               ;   in Loop: Header=BB185_4 Depth=1
	v_max_f64 v[31:32], v[37:38], v[37:38]
	v_max_f64 v[33:34], v[39:40], v[39:40]
	s_mov_b32 s12, 0x4ad4b81f
	s_mov_b32 s13, 0x358dee7a
	v_min_f64 v[35:36], v[33:34], v[31:32]
	v_max_f64 v[31:32], v[33:34], v[31:32]
                                        ; implicit-def: $vgpr33_vgpr34
	v_cmp_ngt_f64_e32 vcc, s[12:13], v[35:36]
	s_mov_b32 s12, 0xc57e649a
	s_mov_b32 s13, 0x4a511b0e
	v_cmp_nlt_f64_e64 s[12:13], s[12:13], v[31:32]
                                        ; implicit-def: $vgpr31_vgpr32
	s_and_b64 s[12:13], s[12:13], vcc
	s_and_saveexec_b64 s[14:15], s[12:13]
	s_xor_b64 s[48:49], exec, s[14:15]
	s_cbranch_execz .LBB185_27
; %bb.16:                               ;   in Loop: Header=BB185_4 Depth=1
	v_cmp_le_f64_e32 vcc, 1.0, v[39:40]
                                        ; implicit-def: $vgpr33_vgpr34
                                        ; implicit-def: $vgpr31_vgpr32
	s_and_saveexec_b64 s[12:13], vcc
	s_xor_b64 s[50:51], exec, s[12:13]
	s_cbranch_execz .LBB185_18
; %bb.17:                               ;   in Loop: Header=BB185_4 Depth=1
	v_add_f64 v[31:32], v[39:40], -1.0
	v_add_f64 v[33:34], v[39:40], 1.0
	s_mov_b32 s31, s27
	s_mov_b32 s86, s90
	;; [unrolled: 1-line block ×4, first 2 shown]
	v_cmp_class_f64_e64 s[52:53], v[15:16], s63
	v_mul_f64 v[31:32], v[31:32], v[33:34]
	v_fma_f64 v[34:35], v[37:38], v[37:38], v[31:32]
	v_add_f64 v[31:32], v[34:35], 1.0
	v_cmp_nge_f64_e64 s[14:15], -1.0, v[34:35]
	v_cmp_neq_f64_e64 s[16:17], s[16:17], v[34:35]
	v_frexp_mant_f64_e32 v[38:39], v[31:32]
	v_frexp_exp_i32_f64_e32 v18, v[31:32]
	v_add_f64 v[36:37], v[31:32], -1.0
	v_cmp_gt_f64_e32 vcc, s[26:27], v[38:39]
	v_add_f64 v[40:41], v[36:37], -v[31:32]
	v_add_f64 v[36:37], v[34:35], -v[36:37]
	v_subbrev_co_u32_e32 v18, vcc, 0, v18, vcc
	v_sub_u32_e32 v33, 0, v18
	v_ldexp_f64 v[31:32], v[31:32], v33
	v_add_f64 v[38:39], v[40:41], 1.0
	v_add_f64 v[40:41], v[31:32], 1.0
	v_add_f64 v[36:37], v[36:37], v[38:39]
	v_add_f64 v[46:47], v[31:32], -1.0
	v_add_f64 v[38:39], v[40:41], -1.0
	v_ldexp_f64 v[36:37], v[36:37], v33
	v_add_f64 v[48:49], v[46:47], 1.0
	v_add_f64 v[38:39], v[31:32], -v[38:39]
	v_add_f64 v[31:32], v[31:32], -v[48:49]
	v_add_f64 v[42:43], v[36:37], v[38:39]
	v_add_f64 v[48:49], v[36:37], v[31:32]
	;; [unrolled: 1-line block ×3, first 2 shown]
	v_rcp_f64_e32 v[44:45], v[38:39]
	v_add_f64 v[40:41], v[38:39], -v[40:41]
	v_add_f64 v[42:43], v[42:43], -v[40:41]
	v_fma_f64 v[50:51], -v[38:39], v[44:45], 1.0
	v_fma_f64 v[44:45], v[50:51], v[44:45], v[44:45]
	v_add_f64 v[50:51], v[46:47], v[48:49]
	v_fma_f64 v[31:32], -v[38:39], v[44:45], 1.0
	v_add_f64 v[46:47], v[50:51], -v[46:47]
	v_fma_f64 v[31:32], v[31:32], v[44:45], v[44:45]
	v_add_f64 v[46:47], v[48:49], -v[46:47]
	v_mul_f64 v[36:37], v[50:51], v[31:32]
	v_mul_f64 v[44:45], v[38:39], v[36:37]
	v_fma_f64 v[40:41], v[36:37], v[38:39], -v[44:45]
	v_fma_f64 v[52:53], v[36:37], v[42:43], v[40:41]
	v_add_f64 v[54:55], v[44:45], v[52:53]
	v_add_f64 v[40:41], v[50:51], -v[54:55]
	v_add_f64 v[44:45], v[54:55], -v[44:45]
	;; [unrolled: 1-line block ×5, first 2 shown]
	v_add_f64 v[46:47], v[46:47], v[48:49]
	v_max_f64 v[48:49], |v[13:14]|, |v[13:14]|
	v_add_f64 v[44:45], v[44:45], v[46:47]
	v_max_f64 v[46:47], |v[15:16]|, |v[15:16]|
	v_add_f64 v[50:51], v[40:41], v[44:45]
	v_max_f64 v[52:53], v[48:49], v[46:47]
	v_min_f64 v[46:47], v[48:49], v[46:47]
	v_mul_f64 v[48:49], v[31:32], v[50:51]
	v_add_f64 v[40:41], v[40:41], -v[50:51]
	v_div_scale_f64 v[54:55], s[12:13], v[52:53], v[52:53], v[46:47]
	s_mov_b32 s12, 0xaf56de9b
	s_mov_b32 s13, 0xbf67952d
	v_mul_f64 v[56:57], v[38:39], v[48:49]
	v_add_f64 v[40:41], v[44:45], v[40:41]
	v_fma_f64 v[38:39], v[48:49], v[38:39], -v[56:57]
	v_rcp_f64_e32 v[58:59], v[54:55]
	v_fma_f64 v[38:39], v[48:49], v[42:43], v[38:39]
	v_add_f64 v[42:43], v[56:57], v[38:39]
	v_fma_f64 v[60:61], -v[54:55], v[58:59], 1.0
	v_add_f64 v[70:71], v[50:51], -v[42:43]
	v_add_f64 v[44:45], v[42:43], -v[56:57]
	v_fma_f64 v[58:59], v[58:59], v[60:61], v[58:59]
	v_div_scale_f64 v[60:61], vcc, v[46:47], v[52:53], v[46:47]
	v_add_f64 v[50:51], v[50:51], -v[70:71]
	v_add_f64 v[38:39], v[44:45], -v[38:39]
	v_fma_f64 v[72:73], -v[54:55], v[58:59], 1.0
	v_add_f64 v[44:45], v[36:37], v[48:49]
	v_add_f64 v[42:43], v[50:51], -v[42:43]
	v_fma_f64 v[50:51], v[58:59], v[72:73], v[58:59]
	v_add_f64 v[36:37], v[44:45], -v[36:37]
	v_add_f64 v[40:41], v[40:41], v[42:43]
	v_mul_f64 v[42:43], v[60:61], v[50:51]
	v_add_f64 v[36:37], v[48:49], -v[36:37]
	v_add_f64 v[38:39], v[38:39], v[40:41]
	v_fma_f64 v[40:41], -v[54:55], v[42:43], v[60:61]
	v_add_f64 v[38:39], v[70:71], v[38:39]
	v_div_fmas_f64 v[40:41], v[40:41], v[50:51], v[42:43]
	v_cmp_gt_i32_e32 vcc, 0, v14
	v_cndmask_b32_e32 v33, v68, v69, vcc
	v_mul_f64 v[31:32], v[31:32], v[38:39]
	v_add_f64 v[31:32], v[36:37], v[31:32]
	v_div_fixup_f64 v[36:37], v[40:41], v[52:53], v[46:47]
	v_add_f64 v[38:39], v[44:45], v[31:32]
	v_mul_f64 v[40:41], v[36:37], v[36:37]
	v_mul_f64 v[42:43], v[38:39], v[38:39]
	v_fma_f64 v[46:47], v[40:41], s[56:57], v[21:22]
	v_fma_f64 v[48:49], v[42:43], s[34:35], v[19:20]
	v_mul_f64 v[50:51], v[38:39], v[42:43]
	v_fma_f64 v[46:47], v[40:41], v[46:47], s[54:55]
	v_cmp_class_f64_e64 s[54:55], v[13:14], s63
	v_ashrrev_i32_e32 v13, 31, v14
	v_fma_f64 v[48:49], v[42:43], v[48:49], s[36:37]
	v_fma_f64 v[46:47], v[40:41], v[46:47], s[12:13]
	s_mov_b32 s12, 0xa595c56f
	s_mov_b32 s13, 0x3f7d6d43
	v_fma_f64 v[48:49], v[42:43], v[48:49], s[38:39]
	v_fma_f64 v[46:47], v[40:41], v[46:47], s[12:13]
	s_mov_b32 s12, 0xa57d9582
	s_mov_b32 s13, 0xbf8c6ea4
	;; [unrolled: 4-line block ×4, first 2 shown]
	v_fma_f64 v[42:43], v[42:43], v[48:49], s[30:31]
	v_ldexp_f64 v[48:49], v[38:39], 1
	v_fma_f64 v[46:47], v[40:41], v[46:47], s[12:13]
	s_mov_b32 s12, 0x5711927a
	s_mov_b32 s13, 0x3fa2c15b
	v_add_f64 v[38:39], v[38:39], -v[44:45]
	v_mul_f64 v[42:43], v[50:51], v[42:43]
	v_cvt_f64_i32_e32 v[50:51], v18
	v_fma_f64 v[46:47], v[40:41], v[46:47], s[12:13]
	v_cmp_eq_f64_e64 s[12:13], 0, v[15:16]
	v_cndmask_b32_e32 v18, v66, v67, vcc
	v_mul_f64 v[52:53], v[50:51], s[44:45]
	v_add_f64 v[31:32], v[31:32], -v[38:39]
	v_add_f64 v[44:45], v[48:49], v[42:43]
	v_fma_f64 v[46:47], v[40:41], v[46:47], s[64:65]
	v_ldexp_f64 v[31:32], v[31:32], 1
	v_add_f64 v[38:39], v[44:45], -v[48:49]
	v_fma_f64 v[48:49], v[50:51], s[44:45], -v[52:53]
	v_fma_f64 v[46:47], v[40:41], v[46:47], s[66:67]
	v_add_f64 v[38:39], v[42:43], -v[38:39]
	v_fma_f64 v[42:43], v[40:41], v[46:47], s[68:69]
	v_fma_f64 v[46:47], v[50:51], s[46:47], v[48:49]
	v_add_f64 v[31:32], v[31:32], v[38:39]
	v_fma_f64 v[38:39], v[40:41], v[42:43], s[70:71]
	v_add_f64 v[42:43], v[52:53], v[46:47]
	v_add_f64 v[48:49], v[44:45], v[31:32]
	v_fma_f64 v[38:39], v[40:41], v[38:39], s[72:73]
	v_add_f64 v[52:53], v[42:43], -v[52:53]
	v_add_f64 v[50:51], v[42:43], v[48:49]
	v_add_f64 v[44:45], v[48:49], -v[44:45]
	v_fma_f64 v[38:39], v[40:41], v[38:39], s[74:75]
	v_add_f64 v[46:47], v[46:47], -v[52:53]
	v_add_f64 v[54:55], v[50:51], -v[42:43]
	;; [unrolled: 1-line block ×3, first 2 shown]
	v_fma_f64 v[38:39], v[40:41], v[38:39], s[76:77]
	v_add_f64 v[56:57], v[50:51], -v[54:55]
	v_add_f64 v[44:45], v[48:49], -v[54:55]
	v_fma_f64 v[38:39], v[40:41], v[38:39], s[78:79]
	v_add_f64 v[48:49], v[46:47], v[31:32]
	v_add_f64 v[42:43], v[42:43], -v[56:57]
	v_fma_f64 v[38:39], v[40:41], v[38:39], s[80:81]
	v_add_f64 v[42:43], v[44:45], v[42:43]
	;; [unrolled: 3-line block ×3, first 2 shown]
	v_add_f64 v[48:49], v[48:49], -v[44:45]
	v_fma_f64 v[38:39], v[40:41], v[38:39], s[84:85]
	v_add_f64 v[31:32], v[31:32], -v[44:45]
	v_add_f64 v[52:53], v[50:51], v[42:43]
	v_mul_f64 v[38:39], v[40:41], v[38:39]
	v_add_f64 v[40:41], v[46:47], -v[48:49]
	v_add_f64 v[44:45], v[52:53], -v[50:51]
	v_fma_f64 v[36:37], v[36:37], v[38:39], v[36:37]
	v_add_f64 v[31:32], v[31:32], v[40:41]
	v_add_f64 v[38:39], v[42:43], -v[44:45]
	v_add_f64 v[40:41], -v[36:37], s[90:91]
	v_add_f64 v[31:32], v[31:32], v[38:39]
	v_cndmask_b32_e64 v37, v37, v41, s[10:11]
	v_cndmask_b32_e64 v36, v36, v40, s[10:11]
	v_add_f64 v[38:39], -v[36:37], s[86:87]
	v_and_b32_e32 v40, 0x54442d18, v13
	v_add_f64 v[31:32], v[52:53], v[31:32]
	v_cndmask_b32_e32 v36, v36, v38, vcc
	v_and_b32_e32 v38, 0x400921fb, v13
	v_cndmask_b32_e64 v36, v36, v40, s[12:13]
	v_mul_f64 v[13:14], v[31:32], 0.5
	v_cndmask_b32_e32 v32, v37, v39, vcc
	v_cndmask_b32_e64 v32, v32, v38, s[12:13]
	s_and_b64 s[12:13], s[14:15], s[16:17]
	v_bfi_b32 v31, s62, v33, v16
	s_and_b64 vcc, s[52:53], s[54:55]
	s_mov_b32 s54, 0x69efb384
	s_mov_b32 s55, 0x3f4b2bb0
	v_cndmask_b32_e64 v33, 0, v13, s[12:13]
	v_cmp_ngt_f64_e64 s[12:13], -1.0, v[34:35]
	v_cndmask_b32_e64 v14, v63, v14, s[16:17]
	v_cndmask_b32_e32 v32, v32, v31, vcc
	v_cndmask_b32_e32 v31, v36, v18, vcc
                                        ; implicit-def: $vgpr37_vgpr38
                                        ; implicit-def: $vgpr39_vgpr40
	v_cndmask_b32_e64 v13, v64, v14, s[12:13]
	v_cmp_neq_f64_e64 s[12:13], -1.0, v[34:35]
	v_cndmask_b32_e64 v34, v65, v13, s[12:13]
.LBB185_18:                             ;   in Loop: Header=BB185_4 Depth=1
	s_andn2_saveexec_b64 s[50:51], s[50:51]
	s_cbranch_execz .LBB185_26
; %bb.19:                               ;   in Loop: Header=BB185_4 Depth=1
	v_mul_f64 v[31:32], v[37:38], v[37:38]
	s_mov_b32 s12, 0x66666666
	s_mov_b32 s13, 0x3fe66666
                                        ; implicit-def: $vgpr33_vgpr34
	v_fma_f64 v[35:36], v[39:40], v[39:40], v[31:32]
                                        ; implicit-def: $vgpr31_vgpr32
	v_cmp_ge_f64_e32 vcc, s[12:13], v[35:36]
	s_and_saveexec_b64 s[12:13], vcc
	s_xor_b64 s[16:17], exec, s[12:13]
	s_cbranch_execz .LBB185_21
; %bb.20:                               ;   in Loop: Header=BB185_4 Depth=1
	v_frexp_mant_f64_e32 v[31:32], v[35:36]
	v_max_f64 v[41:42], |v[15:16]|, |v[15:16]|
	v_max_f64 v[43:44], |v[13:14]|, |v[13:14]|
	s_mov_b32 s31, s27
	s_mov_b32 s86, s90
	v_cmp_class_f64_e64 s[52:53], v[15:16], s63
	v_cmp_gt_f64_e64 s[12:13], s[26:27], v[31:32]
	v_cndmask_b32_e64 v18, 0, 1, s[12:13]
	v_ldexp_f64 v[31:32], v[31:32], v18
	v_frexp_exp_i32_f64_e32 v18, v[35:36]
	v_add_f64 v[33:34], v[31:32], 1.0
	v_add_f64 v[47:48], v[31:32], -1.0
	v_rcp_f64_e32 v[37:38], v[33:34]
	v_add_f64 v[51:52], v[33:34], -1.0
	v_add_f64 v[31:32], v[31:32], -v[51:52]
	v_fma_f64 v[39:40], -v[33:34], v[37:38], 1.0
	v_fma_f64 v[37:38], v[39:40], v[37:38], v[37:38]
	v_max_f64 v[39:40], v[43:44], v[41:42]
	v_min_f64 v[41:42], v[43:44], v[41:42]
	v_fma_f64 v[43:44], -v[33:34], v[37:38], 1.0
	v_div_scale_f64 v[45:46], s[14:15], v[39:40], v[39:40], v[41:42]
	s_mov_b32 s14, 0xaf56de9b
	s_mov_b32 s15, 0xbf67952d
	v_fma_f64 v[37:38], v[43:44], v[37:38], v[37:38]
	v_mul_f64 v[43:44], v[47:48], v[37:38]
	v_rcp_f64_e32 v[49:50], v[45:46]
	v_mul_f64 v[53:54], v[33:34], v[43:44]
	v_fma_f64 v[33:34], v[43:44], v[33:34], -v[53:54]
	v_fma_f64 v[51:52], -v[45:46], v[49:50], 1.0
	v_fma_f64 v[31:32], v[43:44], v[31:32], v[33:34]
	v_fma_f64 v[33:34], v[49:50], v[51:52], v[49:50]
	v_div_scale_f64 v[51:52], vcc, v[41:42], v[39:40], v[41:42]
	v_add_f64 v[49:50], v[53:54], v[31:32]
	v_fma_f64 v[55:56], -v[45:46], v[33:34], 1.0
	v_add_f64 v[57:58], v[47:48], -v[49:50]
	v_add_f64 v[53:54], v[49:50], -v[53:54]
	v_fma_f64 v[33:34], v[33:34], v[55:56], v[33:34]
	v_add_f64 v[47:48], v[47:48], -v[57:58]
	v_add_f64 v[31:32], v[53:54], -v[31:32]
	v_mul_f64 v[55:56], v[51:52], v[33:34]
	v_add_f64 v[47:48], v[47:48], -v[49:50]
	v_fma_f64 v[45:46], -v[45:46], v[55:56], v[51:52]
	v_add_f64 v[31:32], v[31:32], v[47:48]
	v_div_fmas_f64 v[33:34], v[45:46], v[33:34], v[55:56]
	v_subbrev_co_u32_e64 v18, vcc, 0, v18, s[12:13]
	v_cmp_eq_f64_e64 s[12:13], 0, v[15:16]
	v_cmp_gt_i32_e32 vcc, 0, v14
	v_add_f64 v[31:32], v[57:58], v[31:32]
	v_mul_f64 v[31:32], v[37:38], v[31:32]
	v_div_fixup_f64 v[33:34], v[33:34], v[39:40], v[41:42]
	v_add_f64 v[37:38], v[43:44], v[31:32]
	v_mul_f64 v[39:40], v[33:34], v[33:34]
	v_mul_f64 v[41:42], v[37:38], v[37:38]
	v_fma_f64 v[45:46], v[39:40], s[56:57], v[21:22]
	v_fma_f64 v[47:48], v[41:42], s[34:35], v[19:20]
	v_mul_f64 v[49:50], v[37:38], v[41:42]
	v_fma_f64 v[45:46], v[39:40], v[45:46], s[54:55]
	v_cmp_class_f64_e64 s[54:55], v[13:14], s63
	v_ashrrev_i32_e32 v13, 31, v14
	v_fma_f64 v[47:48], v[41:42], v[47:48], s[36:37]
	v_fma_f64 v[45:46], v[39:40], v[45:46], s[14:15]
	s_mov_b32 s14, 0xa595c56f
	s_mov_b32 s15, 0x3f7d6d43
	v_fma_f64 v[47:48], v[41:42], v[47:48], s[38:39]
	v_fma_f64 v[45:46], v[39:40], v[45:46], s[14:15]
	s_mov_b32 s14, 0xa57d9582
	s_mov_b32 s15, 0xbf8c6ea4
	;; [unrolled: 4-line block ×4, first 2 shown]
	v_fma_f64 v[41:42], v[41:42], v[47:48], s[30:31]
	v_ldexp_f64 v[47:48], v[37:38], 1
	v_fma_f64 v[45:46], v[39:40], v[45:46], s[14:15]
	s_mov_b32 s14, 0x5711927a
	s_mov_b32 s15, 0x3fa2c15b
	v_add_f64 v[37:38], v[37:38], -v[43:44]
	v_mul_f64 v[41:42], v[49:50], v[41:42]
	v_cvt_f64_i32_e32 v[49:50], v18
	v_fma_f64 v[45:46], v[39:40], v[45:46], s[14:15]
	v_cmp_neq_f64_e64 s[14:15], 0, v[35:36]
	v_cndmask_b32_e32 v18, v66, v67, vcc
	v_mul_f64 v[51:52], v[49:50], s[44:45]
	v_add_f64 v[31:32], v[31:32], -v[37:38]
	v_add_f64 v[43:44], v[47:48], v[41:42]
	v_fma_f64 v[45:46], v[39:40], v[45:46], s[64:65]
	v_ldexp_f64 v[31:32], v[31:32], 1
	v_add_f64 v[37:38], v[43:44], -v[47:48]
	v_fma_f64 v[47:48], v[49:50], s[44:45], -v[51:52]
	v_fma_f64 v[45:46], v[39:40], v[45:46], s[66:67]
	v_add_f64 v[37:38], v[41:42], -v[37:38]
	v_fma_f64 v[41:42], v[39:40], v[45:46], s[68:69]
	v_fma_f64 v[45:46], v[49:50], s[46:47], v[47:48]
	v_add_f64 v[31:32], v[31:32], v[37:38]
	v_fma_f64 v[37:38], v[39:40], v[41:42], s[70:71]
	v_add_f64 v[41:42], v[51:52], v[45:46]
	v_add_f64 v[47:48], v[43:44], v[31:32]
	v_fma_f64 v[37:38], v[39:40], v[37:38], s[72:73]
	v_add_f64 v[51:52], v[41:42], -v[51:52]
	v_add_f64 v[49:50], v[41:42], v[47:48]
	v_add_f64 v[43:44], v[47:48], -v[43:44]
	v_fma_f64 v[37:38], v[39:40], v[37:38], s[74:75]
	v_add_f64 v[45:46], v[45:46], -v[51:52]
	v_add_f64 v[53:54], v[49:50], -v[41:42]
	;; [unrolled: 1-line block ×3, first 2 shown]
	v_fma_f64 v[37:38], v[39:40], v[37:38], s[76:77]
	v_add_f64 v[55:56], v[49:50], -v[53:54]
	v_add_f64 v[43:44], v[47:48], -v[53:54]
	v_fma_f64 v[37:38], v[39:40], v[37:38], s[78:79]
	v_add_f64 v[47:48], v[45:46], v[31:32]
	v_add_f64 v[41:42], v[41:42], -v[55:56]
	v_fma_f64 v[37:38], v[39:40], v[37:38], s[80:81]
	v_add_f64 v[41:42], v[43:44], v[41:42]
	;; [unrolled: 3-line block ×3, first 2 shown]
	v_add_f64 v[47:48], v[47:48], -v[43:44]
	v_fma_f64 v[37:38], v[39:40], v[37:38], s[84:85]
	v_add_f64 v[31:32], v[31:32], -v[43:44]
	v_add_f64 v[51:52], v[49:50], v[41:42]
	v_mul_f64 v[37:38], v[39:40], v[37:38]
	v_add_f64 v[39:40], v[45:46], -v[47:48]
	v_add_f64 v[43:44], v[51:52], -v[49:50]
	v_fma_f64 v[33:34], v[33:34], v[37:38], v[33:34]
	v_add_f64 v[31:32], v[31:32], v[39:40]
	v_add_f64 v[37:38], v[41:42], -v[43:44]
	v_add_f64 v[39:40], -v[33:34], s[90:91]
	v_add_f64 v[31:32], v[31:32], v[37:38]
	v_cndmask_b32_e64 v34, v34, v40, s[10:11]
	v_cndmask_b32_e64 v33, v33, v39, s[10:11]
	v_add_f64 v[37:38], -v[33:34], s[86:87]
	v_and_b32_e32 v39, 0x54442d18, v13
	v_and_b32_e32 v40, 0x400921fb, v13
	v_add_f64 v[31:32], v[51:52], v[31:32]
	v_cndmask_b32_e32 v33, v33, v37, vcc
	v_cndmask_b32_e32 v37, v68, v69, vcc
	v_cndmask_b32_e64 v35, v33, v39, s[12:13]
	v_mul_f64 v[13:14], v[31:32], 0.5
	v_cndmask_b32_e32 v32, v34, v38, vcc
	v_bfi_b32 v31, s62, v37, v16
	v_cndmask_b32_e64 v32, v32, v40, s[12:13]
	s_and_b64 vcc, s[52:53], s[54:55]
	s_mov_b32 s54, 0x69efb384
	s_mov_b32 s55, 0x3f4b2bb0
	v_cndmask_b32_e32 v32, v32, v31, vcc
	v_cndmask_b32_e64 v34, v65, v14, s[14:15]
	v_cndmask_b32_e64 v33, 0, v13, s[14:15]
	v_cndmask_b32_e32 v31, v35, v18, vcc
                                        ; implicit-def: $vgpr39_vgpr40
                                        ; implicit-def: $vgpr37_vgpr38
.LBB185_21:                             ;   in Loop: Header=BB185_4 Depth=1
	s_andn2_saveexec_b64 s[52:53], s[16:17]
	s_cbranch_execz .LBB185_25
; %bb.22:                               ;   in Loop: Header=BB185_4 Depth=1
	v_and_b32_e32 v18, 0x7ffffff8, v40
	v_and_b32_e32 v34, 0x7ffffff8, v38
	v_mov_b32_e32 v33, v17
	v_add_f64 v[31:32], v[39:40], -v[17:18]
	v_add_f64 v[35:36], v[37:38], -v[33:34]
	v_mov_b32_e32 v39, v17
	v_mov_b32_e32 v43, v17
	v_add_f64 v[45:46], v[17:18], v[17:18]
	v_add_f64 v[47:48], v[33:34], v[33:34]
	v_mul_f64 v[33:34], v[33:34], v[33:34]
	s_mov_b64 s[54:55], 0
	v_and_b32_e32 v40, -8, v32
	v_and_b32_e32 v44, -8, v36
	v_add_f64 v[53:54], v[31:32], -v[39:40]
	v_add_f64 v[55:56], v[35:36], -v[43:44]
	v_add_f64 v[57:58], v[39:40], v[39:40]
	v_add_f64 v[59:60], v[43:44], v[43:44]
	v_mul_f64 v[31:32], v[17:18], v[17:18]
	v_mul_f64 v[37:38], v[45:46], v[39:40]
	;; [unrolled: 1-line block ×11, first 2 shown]
.LBB185_23:                             ;   Parent Loop BB185_4 Depth=1
                                        ; =>  This Inner Loop Header: Depth=2
	v_cmp_nlt_f64_e32 vcc, v[31:32], v[33:34]
	v_cndmask_b32_e32 v56, v32, v34, vcc
	v_cndmask_b32_e32 v55, v31, v33, vcc
	v_cmp_nlt_f64_e64 s[12:13], v[55:56], v[37:38]
	v_cndmask_b32_e32 v32, v34, v32, vcc
	v_cndmask_b32_e32 v31, v33, v31, vcc
	v_cndmask_b32_e64 v58, v56, v38, s[12:13]
	v_cndmask_b32_e64 v57, v55, v37, s[12:13]
	v_cmp_nlt_f64_e64 s[14:15], v[57:58], v[35:36]
	v_cndmask_b32_e64 v34, v38, v56, s[12:13]
	v_cndmask_b32_e64 v33, v37, v55, s[12:13]
	s_and_b64 s[56:57], vcc, s[12:13]
	v_cndmask_b32_e64 v60, v58, v36, s[14:15]
	v_cndmask_b32_e64 v59, v57, v35, s[14:15]
	v_cmp_nlt_f64_e64 s[16:17], v[59:60], v[41:42]
	v_cndmask_b32_e64 v38, v36, v58, s[14:15]
	v_cndmask_b32_e64 v37, v35, v57, s[14:15]
	v_cndmask_b32_e64 v56, v60, v42, s[16:17]
	v_cndmask_b32_e64 v55, v59, v41, s[16:17]
	v_cmp_nlt_f64_e32 vcc, v[55:56], v[43:44]
	v_cndmask_b32_e64 v36, v42, v60, s[16:17]
	v_cndmask_b32_e64 v35, v41, v59, s[16:17]
	s_and_b64 s[16:17], s[14:15], s[16:17]
	v_cndmask_b32_e32 v58, v56, v44, vcc
	v_cndmask_b32_e32 v57, v55, v43, vcc
	v_cmp_nlt_f64_e64 s[12:13], v[57:58], v[51:52]
	v_cndmask_b32_e32 v42, v44, v56, vcc
	v_cndmask_b32_e32 v41, v43, v55, vcc
	v_cndmask_b32_e64 v56, v58, v52, s[12:13]
	v_cndmask_b32_e64 v55, v57, v51, s[12:13]
	v_cmp_nlt_f64_e64 s[14:15], v[55:56], v[49:50]
	v_cndmask_b32_e64 v44, v52, v58, s[12:13]
	v_cndmask_b32_e64 v43, v51, v57, s[12:13]
	s_and_b64 s[12:13], vcc, s[12:13]
	v_cndmask_b32_e64 v58, v56, v50, s[14:15]
	v_cndmask_b32_e64 v57, v55, v49, s[14:15]
	v_cmp_nlt_f64_e32 vcc, v[57:58], v[47:48]
	v_cndmask_b32_e64 v52, v50, v56, s[14:15]
	v_cndmask_b32_e64 v51, v49, v55, s[14:15]
	s_and_b64 s[14:15], s[12:13], s[14:15]
	v_cndmask_b32_e32 v56, v58, v48, vcc
	v_cndmask_b32_e32 v55, v57, v47, vcc
	v_cmp_nlt_f64_e64 s[12:13], v[55:56], v[45:46]
	v_cndmask_b32_e32 v50, v48, v58, vcc
	v_cndmask_b32_e32 v49, v47, v57, vcc
	s_and_b64 s[14:15], s[14:15], vcc
	v_cndmask_b32_e64 v58, v56, v46, s[12:13]
	v_cndmask_b32_e64 v57, v55, v45, s[12:13]
	v_cmp_nlt_f64_e32 vcc, v[57:58], v[39:40]
	v_cndmask_b32_e64 v48, v46, v56, s[12:13]
	v_cndmask_b32_e64 v47, v45, v55, s[12:13]
	s_and_b64 s[14:15], s[14:15], s[12:13]
	v_cndmask_b32_e32 v60, v58, v40, vcc
	v_cndmask_b32_e32 v59, v57, v39, vcc
	v_cmp_nlt_f64_e64 s[12:13], v[59:60], v[53:54]
	s_and_b64 s[14:15], s[14:15], vcc
	v_cndmask_b32_e32 v46, v40, v58, vcc
	v_cndmask_b32_e32 v45, v39, v57, vcc
	v_cndmask_b32_e64 v56, v60, v54, s[12:13]
	v_cndmask_b32_e64 v55, v59, v53, s[12:13]
	v_cndmask_b32_e64 v40, v54, v60, s[12:13]
	v_cndmask_b32_e64 v39, v53, v59, s[12:13]
	s_and_b64 s[12:13], s[14:15], s[12:13]
	s_and_b64 s[12:13], s[12:13], s[16:17]
	;; [unrolled: 1-line block ×3, first 2 shown]
	s_and_b64 s[12:13], exec, s[12:13]
	v_mov_b32_e32 v53, v55
	s_or_b64 s[54:55], s[12:13], s[54:55]
	v_mov_b32_e32 v54, v56
	s_andn2_b64 exec, exec, s[54:55]
	s_cbranch_execnz .LBB185_23
; %bb.24:                               ;   in Loop: Header=BB185_4 Depth=1
	s_or_b64 exec, exec, s[54:55]
	v_add_f64 v[31:32], v[31:32], -1.0
	s_mov_b32 s31, s27
	s_mov_b32 s86, s90
	;; [unrolled: 1-line block ×4, first 2 shown]
	v_cmp_class_f64_e64 s[56:57], v[13:14], s63
	v_cmp_class_f64_e64 s[54:55], v[15:16], s63
	v_add_f64 v[31:32], v[31:32], v[33:34]
	v_add_f64 v[31:32], v[31:32], v[37:38]
	;; [unrolled: 1-line block ×11, first 2 shown]
	v_add_f64 v[31:32], v[34:35], 1.0
	v_cmp_nge_f64_e64 s[14:15], -1.0, v[34:35]
	v_cmp_neq_f64_e64 s[16:17], s[16:17], v[34:35]
	v_frexp_mant_f64_e32 v[38:39], v[31:32]
	v_frexp_exp_i32_f64_e32 v18, v[31:32]
	v_add_f64 v[36:37], v[31:32], -1.0
	v_cmp_gt_f64_e32 vcc, s[26:27], v[38:39]
	v_add_f64 v[40:41], v[36:37], -v[31:32]
	v_add_f64 v[36:37], v[34:35], -v[36:37]
	v_subbrev_co_u32_e32 v18, vcc, 0, v18, vcc
	v_sub_u32_e32 v33, 0, v18
	v_ldexp_f64 v[31:32], v[31:32], v33
	v_add_f64 v[38:39], v[40:41], 1.0
	v_add_f64 v[40:41], v[31:32], 1.0
	v_add_f64 v[36:37], v[36:37], v[38:39]
	v_add_f64 v[46:47], v[31:32], -1.0
	v_add_f64 v[38:39], v[40:41], -1.0
	v_ldexp_f64 v[36:37], v[36:37], v33
	v_add_f64 v[48:49], v[46:47], 1.0
	v_add_f64 v[38:39], v[31:32], -v[38:39]
	v_add_f64 v[31:32], v[31:32], -v[48:49]
	v_add_f64 v[42:43], v[36:37], v[38:39]
	v_add_f64 v[48:49], v[36:37], v[31:32]
	;; [unrolled: 1-line block ×3, first 2 shown]
	v_rcp_f64_e32 v[44:45], v[38:39]
	v_add_f64 v[40:41], v[38:39], -v[40:41]
	v_add_f64 v[42:43], v[42:43], -v[40:41]
	v_fma_f64 v[50:51], -v[38:39], v[44:45], 1.0
	v_fma_f64 v[44:45], v[50:51], v[44:45], v[44:45]
	v_add_f64 v[50:51], v[46:47], v[48:49]
	v_fma_f64 v[31:32], -v[38:39], v[44:45], 1.0
	v_add_f64 v[46:47], v[50:51], -v[46:47]
	v_fma_f64 v[31:32], v[31:32], v[44:45], v[44:45]
	v_add_f64 v[46:47], v[48:49], -v[46:47]
	v_mul_f64 v[36:37], v[50:51], v[31:32]
	v_mul_f64 v[44:45], v[38:39], v[36:37]
	v_fma_f64 v[40:41], v[36:37], v[38:39], -v[44:45]
	v_fma_f64 v[52:53], v[36:37], v[42:43], v[40:41]
	v_add_f64 v[54:55], v[44:45], v[52:53]
	v_add_f64 v[40:41], v[50:51], -v[54:55]
	v_add_f64 v[44:45], v[54:55], -v[44:45]
	v_add_f64 v[50:51], v[50:51], -v[40:41]
	v_add_f64 v[44:45], v[44:45], -v[52:53]
	v_add_f64 v[48:49], v[50:51], -v[54:55]
	v_add_f64 v[46:47], v[46:47], v[48:49]
	v_max_f64 v[48:49], |v[13:14]|, |v[13:14]|
	v_ashrrev_i32_e32 v13, 31, v14
	v_add_f64 v[44:45], v[44:45], v[46:47]
	v_max_f64 v[46:47], |v[15:16]|, |v[15:16]|
	v_add_f64 v[50:51], v[40:41], v[44:45]
	v_max_f64 v[52:53], v[48:49], v[46:47]
	v_min_f64 v[46:47], v[48:49], v[46:47]
	v_mul_f64 v[48:49], v[31:32], v[50:51]
	v_add_f64 v[40:41], v[40:41], -v[50:51]
	v_div_scale_f64 v[54:55], s[12:13], v[52:53], v[52:53], v[46:47]
	s_mov_b32 s12, 0xb5e68a13
	s_mov_b32 s13, 0x3eeba404
	v_mul_f64 v[56:57], v[38:39], v[48:49]
	v_add_f64 v[40:41], v[44:45], v[40:41]
	v_fma_f64 v[38:39], v[48:49], v[38:39], -v[56:57]
	v_rcp_f64_e32 v[58:59], v[54:55]
	v_fma_f64 v[38:39], v[48:49], v[42:43], v[38:39]
	v_add_f64 v[42:43], v[56:57], v[38:39]
	v_fma_f64 v[60:61], -v[54:55], v[58:59], 1.0
	v_add_f64 v[70:71], v[50:51], -v[42:43]
	v_add_f64 v[44:45], v[42:43], -v[56:57]
	v_fma_f64 v[58:59], v[58:59], v[60:61], v[58:59]
	v_div_scale_f64 v[60:61], vcc, v[46:47], v[52:53], v[46:47]
	v_add_f64 v[50:51], v[50:51], -v[70:71]
	v_add_f64 v[38:39], v[44:45], -v[38:39]
	v_fma_f64 v[72:73], -v[54:55], v[58:59], 1.0
	v_add_f64 v[44:45], v[36:37], v[48:49]
	v_add_f64 v[42:43], v[50:51], -v[42:43]
	v_fma_f64 v[50:51], v[58:59], v[72:73], v[58:59]
	v_add_f64 v[36:37], v[44:45], -v[36:37]
	v_add_f64 v[40:41], v[40:41], v[42:43]
	v_mul_f64 v[42:43], v[60:61], v[50:51]
	v_add_f64 v[36:37], v[48:49], -v[36:37]
	v_add_f64 v[38:39], v[38:39], v[40:41]
	v_fma_f64 v[40:41], -v[54:55], v[42:43], v[60:61]
	v_add_f64 v[38:39], v[70:71], v[38:39]
	v_div_fmas_f64 v[40:41], v[40:41], v[50:51], v[42:43]
	v_cmp_gt_i32_e32 vcc, 0, v14
	v_cndmask_b32_e32 v33, v68, v69, vcc
	v_mul_f64 v[31:32], v[31:32], v[38:39]
	v_add_f64 v[31:32], v[36:37], v[31:32]
	v_div_fixup_f64 v[36:37], v[40:41], v[52:53], v[46:47]
	v_add_f64 v[38:39], v[44:45], v[31:32]
	v_mul_f64 v[40:41], v[36:37], v[36:37]
	v_mul_f64 v[42:43], v[38:39], v[38:39]
	v_fma_f64 v[46:47], v[40:41], s[12:13], v[21:22]
	s_mov_b32 s12, 0x69efb384
	s_mov_b32 s13, 0x3f4b2bb0
	v_fma_f64 v[48:49], v[42:43], s[34:35], v[19:20]
	v_mul_f64 v[50:51], v[38:39], v[42:43]
	v_fma_f64 v[46:47], v[40:41], v[46:47], s[12:13]
	s_mov_b32 s12, 0xaf56de9b
	s_mov_b32 s13, 0xbf67952d
	v_fma_f64 v[48:49], v[42:43], v[48:49], s[36:37]
	v_fma_f64 v[46:47], v[40:41], v[46:47], s[12:13]
	s_mov_b32 s12, 0xa595c56f
	s_mov_b32 s13, 0x3f7d6d43
	v_fma_f64 v[48:49], v[42:43], v[48:49], s[38:39]
	;; [unrolled: 4-line block ×5, first 2 shown]
	v_ldexp_f64 v[48:49], v[38:39], 1
	v_fma_f64 v[46:47], v[40:41], v[46:47], s[12:13]
	s_mov_b32 s12, 0x5711927a
	s_mov_b32 s13, 0x3fa2c15b
	v_add_f64 v[38:39], v[38:39], -v[44:45]
	v_mul_f64 v[42:43], v[50:51], v[42:43]
	v_cvt_f64_i32_e32 v[50:51], v18
	v_fma_f64 v[46:47], v[40:41], v[46:47], s[12:13]
	v_cmp_eq_f64_e64 s[12:13], 0, v[15:16]
	v_cndmask_b32_e32 v18, v66, v67, vcc
	v_mul_f64 v[52:53], v[50:51], s[44:45]
	v_add_f64 v[31:32], v[31:32], -v[38:39]
	v_add_f64 v[44:45], v[48:49], v[42:43]
	v_fma_f64 v[46:47], v[40:41], v[46:47], s[64:65]
	v_ldexp_f64 v[31:32], v[31:32], 1
	v_add_f64 v[38:39], v[44:45], -v[48:49]
	v_fma_f64 v[48:49], v[50:51], s[44:45], -v[52:53]
	v_fma_f64 v[46:47], v[40:41], v[46:47], s[66:67]
	v_add_f64 v[38:39], v[42:43], -v[38:39]
	v_fma_f64 v[42:43], v[40:41], v[46:47], s[68:69]
	v_fma_f64 v[46:47], v[50:51], s[46:47], v[48:49]
	v_add_f64 v[31:32], v[31:32], v[38:39]
	v_fma_f64 v[38:39], v[40:41], v[42:43], s[70:71]
	v_add_f64 v[42:43], v[52:53], v[46:47]
	v_add_f64 v[48:49], v[44:45], v[31:32]
	v_fma_f64 v[38:39], v[40:41], v[38:39], s[72:73]
	v_add_f64 v[52:53], v[42:43], -v[52:53]
	v_add_f64 v[50:51], v[42:43], v[48:49]
	v_add_f64 v[44:45], v[48:49], -v[44:45]
	v_fma_f64 v[38:39], v[40:41], v[38:39], s[74:75]
	v_add_f64 v[46:47], v[46:47], -v[52:53]
	v_add_f64 v[54:55], v[50:51], -v[42:43]
	v_add_f64 v[31:32], v[31:32], -v[44:45]
	v_fma_f64 v[38:39], v[40:41], v[38:39], s[76:77]
	v_add_f64 v[56:57], v[50:51], -v[54:55]
	v_add_f64 v[44:45], v[48:49], -v[54:55]
	v_fma_f64 v[38:39], v[40:41], v[38:39], s[78:79]
	v_add_f64 v[48:49], v[46:47], v[31:32]
	v_add_f64 v[42:43], v[42:43], -v[56:57]
	v_fma_f64 v[38:39], v[40:41], v[38:39], s[80:81]
	v_add_f64 v[42:43], v[44:45], v[42:43]
	;; [unrolled: 3-line block ×3, first 2 shown]
	v_add_f64 v[48:49], v[48:49], -v[44:45]
	v_fma_f64 v[38:39], v[40:41], v[38:39], s[84:85]
	v_add_f64 v[31:32], v[31:32], -v[44:45]
	v_add_f64 v[52:53], v[50:51], v[42:43]
	v_mul_f64 v[38:39], v[40:41], v[38:39]
	v_add_f64 v[40:41], v[46:47], -v[48:49]
	v_add_f64 v[44:45], v[52:53], -v[50:51]
	v_fma_f64 v[36:37], v[36:37], v[38:39], v[36:37]
	v_add_f64 v[31:32], v[31:32], v[40:41]
	v_add_f64 v[38:39], v[42:43], -v[44:45]
	v_add_f64 v[40:41], -v[36:37], s[90:91]
	v_add_f64 v[31:32], v[31:32], v[38:39]
	v_cndmask_b32_e64 v37, v37, v41, s[10:11]
	v_cndmask_b32_e64 v36, v36, v40, s[10:11]
	v_add_f64 v[38:39], -v[36:37], s[86:87]
	v_and_b32_e32 v40, 0x54442d18, v13
	v_add_f64 v[31:32], v[52:53], v[31:32]
	v_cndmask_b32_e32 v36, v36, v38, vcc
	v_and_b32_e32 v38, 0x400921fb, v13
	v_cndmask_b32_e64 v36, v36, v40, s[12:13]
	v_mul_f64 v[13:14], v[31:32], 0.5
	v_cndmask_b32_e32 v32, v37, v39, vcc
	v_cndmask_b32_e64 v32, v32, v38, s[12:13]
	s_and_b64 s[12:13], s[14:15], s[16:17]
	v_bfi_b32 v31, s62, v33, v16
	s_and_b64 vcc, s[54:55], s[56:57]
	s_mov_b32 s54, 0x69efb384
	s_mov_b32 s56, 0xb5e68a13
	v_cndmask_b32_e64 v33, 0, v13, s[12:13]
	v_cmp_ngt_f64_e64 s[12:13], -1.0, v[34:35]
	v_cndmask_b32_e64 v14, v63, v14, s[16:17]
	s_mov_b32 s55, 0x3f4b2bb0
	s_mov_b32 s57, 0x3eeba404
	v_cndmask_b32_e32 v32, v32, v31, vcc
	v_cndmask_b32_e32 v31, v36, v18, vcc
	v_cndmask_b32_e64 v13, v64, v14, s[12:13]
	v_cmp_neq_f64_e64 s[12:13], -1.0, v[34:35]
	v_cndmask_b32_e64 v34, v65, v13, s[12:13]
.LBB185_25:                             ;   in Loop: Header=BB185_4 Depth=1
	s_or_b64 exec, exec, s[52:53]
.LBB185_26:                             ;   in Loop: Header=BB185_4 Depth=1
	s_or_b64 exec, exec, s[50:51]
.LBB185_27:                             ;   in Loop: Header=BB185_4 Depth=1
	s_andn2_saveexec_b64 s[16:17], s[48:49]
	s_cbranch_execz .LBB185_29
; %bb.28:                               ;   in Loop: Header=BB185_4 Depth=1
	v_max_f64 v[36:37], |v[15:16]|, |v[15:16]|
	v_max_f64 v[38:39], |v[13:14]|, |v[13:14]|
	v_cmp_class_f64_e64 s[48:49], v[13:14], s63
	v_cmp_class_f64_e64 s[50:51], v[15:16], s63
	s_mov_b32 s31, s27
	s_mov_b32 s86, s90
	v_max_f64 v[31:32], v[38:39], v[36:37]
	v_min_f64 v[36:37], v[38:39], v[36:37]
	v_frexp_exp_i32_f64_e32 v18, v[31:32]
	v_sub_u32_e32 v35, 0, v18
	v_ldexp_f64 v[33:34], |v[15:16]|, v35
	v_ldexp_f64 v[40:41], |v[13:14]|, v35
	v_mul_f64 v[33:34], v[33:34], v[33:34]
	v_fma_f64 v[33:34], v[40:41], v[40:41], v[33:34]
	v_rsq_f64_e32 v[40:41], v[33:34]
	v_cmp_eq_f64_e32 vcc, 0, v[33:34]
	v_mul_f64 v[42:43], v[33:34], v[40:41]
	v_mul_f64 v[40:41], v[40:41], 0.5
	v_fma_f64 v[44:45], -v[40:41], v[42:43], 0.5
	v_fma_f64 v[42:43], v[42:43], v[44:45], v[42:43]
	v_fma_f64 v[40:41], v[40:41], v[44:45], v[40:41]
	v_fma_f64 v[44:45], -v[42:43], v[42:43], v[33:34]
	v_fma_f64 v[40:41], v[44:45], v[40:41], v[42:43]
	v_cndmask_b32_e32 v34, v41, v34, vcc
	v_cndmask_b32_e32 v33, v40, v33, vcc
	v_ldexp_f64 v[33:34], v[33:34], v18
	s_or_b64 vcc, s[50:51], s[48:49]
	v_cndmask_b32_e32 v35, v34, v63, vcc
	v_cndmask_b32_e64 v34, v33, 0, vcc
	v_frexp_mant_f64_e32 v[40:41], v[34:35]
	v_cmp_gt_f64_e64 s[12:13], s[26:27], v[40:41]
	v_cndmask_b32_e64 v13, 0, 1, s[12:13]
	v_ldexp_f64 v[40:41], v[40:41], v13
	v_frexp_exp_i32_f64_e32 v13, v[34:35]
	v_add_f64 v[42:43], v[40:41], 1.0
	v_add_f64 v[48:49], v[40:41], -1.0
	v_rcp_f64_e32 v[44:45], v[42:43]
	v_add_f64 v[52:53], v[42:43], -1.0
	v_add_f64 v[40:41], v[40:41], -v[52:53]
	v_fma_f64 v[46:47], -v[42:43], v[44:45], 1.0
	v_fma_f64 v[38:39], v[46:47], v[44:45], v[44:45]
	v_div_scale_f64 v[44:45], s[14:15], v[31:32], v[31:32], v[36:37]
	s_mov_b32 s14, 0xaf56de9b
	s_mov_b32 s15, 0xbf67952d
	v_fma_f64 v[46:47], -v[42:43], v[38:39], 1.0
	v_fma_f64 v[38:39], v[46:47], v[38:39], v[38:39]
	v_rcp_f64_e32 v[46:47], v[44:45]
	v_mul_f64 v[50:51], v[48:49], v[38:39]
	v_mul_f64 v[54:55], v[42:43], v[50:51]
	v_fma_f64 v[56:57], -v[44:45], v[46:47], 1.0
	v_fma_f64 v[42:43], v[50:51], v[42:43], -v[54:55]
	v_fma_f64 v[46:47], v[46:47], v[56:57], v[46:47]
	v_fma_f64 v[40:41], v[50:51], v[40:41], v[42:43]
	v_div_scale_f64 v[42:43], vcc, v[36:37], v[31:32], v[36:37]
	v_fma_f64 v[52:53], -v[44:45], v[46:47], 1.0
	v_add_f64 v[56:57], v[54:55], v[40:41]
	v_fma_f64 v[46:47], v[46:47], v[52:53], v[46:47]
	v_add_f64 v[52:53], v[48:49], -v[56:57]
	v_add_f64 v[54:55], v[56:57], -v[54:55]
	v_mul_f64 v[58:59], v[42:43], v[46:47]
	v_add_f64 v[48:49], v[48:49], -v[52:53]
	v_add_f64 v[40:41], v[54:55], -v[40:41]
	v_fma_f64 v[42:43], -v[44:45], v[58:59], v[42:43]
	v_add_f64 v[44:45], v[48:49], -v[56:57]
	v_div_fmas_f64 v[42:43], v[42:43], v[46:47], v[58:59]
	v_subbrev_co_u32_e64 v13, vcc, 0, v13, s[12:13]
	v_cmp_eq_f64_e64 s[12:13], 0, v[15:16]
	v_cmp_gt_i32_e32 vcc, 0, v14
	v_add_f64 v[40:41], v[40:41], v[44:45]
	v_cndmask_b32_e32 v18, v66, v67, vcc
	v_add_f64 v[40:41], v[52:53], v[40:41]
	v_div_fixup_f64 v[31:32], v[42:43], v[31:32], v[36:37]
	v_mul_f64 v[36:37], v[38:39], v[40:41]
	v_mul_f64 v[38:39], v[31:32], v[31:32]
	v_add_f64 v[40:41], v[50:51], v[36:37]
	v_fma_f64 v[42:43], v[38:39], s[56:57], v[21:22]
	v_mul_f64 v[44:45], v[40:41], v[40:41]
	v_fma_f64 v[42:43], v[38:39], v[42:43], s[54:55]
	v_fma_f64 v[46:47], v[44:45], s[34:35], v[19:20]
	v_mul_f64 v[48:49], v[40:41], v[44:45]
	v_fma_f64 v[42:43], v[38:39], v[42:43], s[14:15]
	s_mov_b32 s14, 0xa595c56f
	s_mov_b32 s15, 0x3f7d6d43
	v_fma_f64 v[46:47], v[44:45], v[46:47], s[36:37]
	v_fma_f64 v[42:43], v[38:39], v[42:43], s[14:15]
	s_mov_b32 s14, 0xa57d9582
	s_mov_b32 s15, 0xbf8c6ea4
	v_fma_f64 v[46:47], v[44:45], v[46:47], s[38:39]
	v_fma_f64 v[42:43], v[38:39], v[42:43], s[14:15]
	s_mov_b32 s14, 0x5f08b19f
	s_mov_b32 s15, 0x3f967e29
	v_fma_f64 v[46:47], v[44:45], v[46:47], s[40:41]
	v_fma_f64 v[42:43], v[38:39], v[42:43], s[14:15]
	s_mov_b32 s14, 0xfc27006a
	s_mov_b32 s15, 0xbf9e9ae6
	v_fma_f64 v[46:47], v[44:45], v[46:47], s[42:43]
	v_fma_f64 v[42:43], v[38:39], v[42:43], s[14:15]
	s_mov_b32 s14, 0x5711927a
	s_mov_b32 s15, 0x3fa2c15b
	v_fma_f64 v[44:45], v[44:45], v[46:47], s[30:31]
	v_ldexp_f64 v[46:47], v[40:41], 1
	v_add_f64 v[40:41], v[40:41], -v[50:51]
	v_fma_f64 v[42:43], v[38:39], v[42:43], s[14:15]
	v_cvt_f64_i32_e32 v[50:51], v13
	v_ashrrev_i32_e32 v13, 31, v14
	v_and_b32_e32 v33, 0x54442d18, v13
	v_cmp_class_f64_e64 s[14:15], v[34:35], s63
	v_mul_f64 v[44:45], v[48:49], v[44:45]
	v_mul_f64 v[52:53], v[50:51], s[44:45]
	v_add_f64 v[36:37], v[36:37], -v[40:41]
	v_fma_f64 v[42:43], v[38:39], v[42:43], s[64:65]
	v_add_f64 v[48:49], v[46:47], v[44:45]
	v_ldexp_f64 v[36:37], v[36:37], 1
	v_fma_f64 v[42:43], v[38:39], v[42:43], s[66:67]
	v_add_f64 v[40:41], v[48:49], -v[46:47]
	v_fma_f64 v[46:47], v[50:51], s[44:45], -v[52:53]
	v_fma_f64 v[42:43], v[38:39], v[42:43], s[68:69]
	v_add_f64 v[40:41], v[44:45], -v[40:41]
	v_fma_f64 v[44:45], v[50:51], s[46:47], v[46:47]
	v_fma_f64 v[42:43], v[38:39], v[42:43], s[70:71]
	v_add_f64 v[36:37], v[36:37], v[40:41]
	v_fma_f64 v[40:41], v[38:39], v[42:43], s[72:73]
	v_add_f64 v[42:43], v[52:53], v[44:45]
	v_add_f64 v[46:47], v[48:49], v[36:37]
	v_fma_f64 v[40:41], v[38:39], v[40:41], s[74:75]
	v_add_f64 v[52:53], v[42:43], -v[52:53]
	v_add_f64 v[50:51], v[42:43], v[46:47]
	v_add_f64 v[48:49], v[46:47], -v[48:49]
	v_fma_f64 v[40:41], v[38:39], v[40:41], s[76:77]
	v_add_f64 v[44:45], v[44:45], -v[52:53]
	v_add_f64 v[54:55], v[50:51], -v[42:43]
	;; [unrolled: 1-line block ×3, first 2 shown]
	v_fma_f64 v[40:41], v[38:39], v[40:41], s[78:79]
	v_add_f64 v[56:57], v[50:51], -v[54:55]
	v_add_f64 v[46:47], v[46:47], -v[54:55]
	v_add_f64 v[48:49], v[44:45], v[36:37]
	v_fma_f64 v[40:41], v[38:39], v[40:41], s[80:81]
	v_add_f64 v[42:43], v[42:43], -v[56:57]
	v_fma_f64 v[40:41], v[38:39], v[40:41], s[82:83]
	v_add_f64 v[42:43], v[46:47], v[42:43]
	v_add_f64 v[46:47], v[48:49], -v[44:45]
	v_fma_f64 v[40:41], v[38:39], v[40:41], s[84:85]
	v_add_f64 v[42:43], v[48:49], v[42:43]
	v_add_f64 v[36:37], v[36:37], -v[46:47]
	v_mul_f64 v[38:39], v[38:39], v[40:41]
	v_add_f64 v[40:41], v[48:49], -v[46:47]
	v_add_f64 v[48:49], v[50:51], v[42:43]
	v_fma_f64 v[31:32], v[31:32], v[38:39], v[31:32]
	v_add_f64 v[38:39], v[44:45], -v[40:41]
	v_add_f64 v[40:41], v[48:49], -v[50:51]
	v_add_f64 v[44:45], -v[31:32], s[90:91]
	v_add_f64 v[36:37], v[36:37], v[38:39]
	v_add_f64 v[38:39], v[42:43], -v[40:41]
	v_cndmask_b32_e64 v32, v32, v45, s[10:11]
	v_cndmask_b32_e64 v31, v31, v44, s[10:11]
	v_add_f64 v[40:41], -v[31:32], s[86:87]
	v_add_f64 v[36:37], v[36:37], v[38:39]
	v_and_b32_e32 v39, 0x400921fb, v13
	v_cndmask_b32_e32 v38, v68, v69, vcc
	v_cndmask_b32_e32 v31, v31, v40, vcc
	;; [unrolled: 1-line block ×3, first 2 shown]
	v_cndmask_b32_e64 v31, v31, v33, s[12:13]
	v_add_f64 v[13:14], v[48:49], v[36:37]
	v_cndmask_b32_e64 v32, v32, v39, s[12:13]
	v_cmp_ngt_f64_e64 s[12:13], 0, v[34:35]
	v_bfi_b32 v36, s62, v38, v16
	s_and_b64 vcc, s[50:51], s[48:49]
	v_cndmask_b32_e32 v32, v32, v36, vcc
	v_cndmask_b32_e32 v31, v31, v18, vcc
	v_cndmask_b32_e64 v14, v14, v35, s[14:15]
	v_cndmask_b32_e64 v13, v13, v34, s[14:15]
	;; [unrolled: 1-line block ×3, first 2 shown]
	v_cmp_nge_f64_e64 s[12:13], 0, v[34:35]
	v_cndmask_b32_e64 v33, 0, v13, s[12:13]
	v_cmp_neq_f64_e64 s[12:13], 0, v[34:35]
	v_cndmask_b32_e64 v34, v65, v14, s[12:13]
.LBB185_29:                             ;   in Loop: Header=BB185_4 Depth=1
	s_or_b64 exec, exec, s[16:17]
                                        ; implicit-def: $vgpr37_vgpr38
.LBB185_30:                             ;   in Loop: Header=BB185_4 Depth=1
	s_andn2_saveexec_b64 s[16:17], s[24:25]
	s_cbranch_execz .LBB185_36
; %bb.31:                               ;   in Loop: Header=BB185_4 Depth=1
	s_mov_b32 s12, 0x6a3f9475
	s_mov_b32 s13, 0x20ca2fe7
	v_cmp_ngt_f64_e32 vcc, s[12:13], v[37:38]
                                        ; implicit-def: $vgpr33_vgpr34
                                        ; implicit-def: $vgpr31_vgpr32
	s_and_saveexec_b64 s[12:13], vcc
	s_xor_b64 s[24:25], exec, s[12:13]
	s_cbranch_execz .LBB185_33
; %bb.32:                               ;   in Loop: Header=BB185_4 Depth=1
	v_mul_f64 v[31:32], v[37:38], v[37:38]
	s_mov_b32 s31, s27
	s_mov_b32 s86, s90
	;; [unrolled: 1-line block ×3, first 2 shown]
	v_cmp_class_f64_e64 s[48:49], v[15:16], s63
	v_cmp_class_f64_e64 s[50:51], v[13:14], s63
	s_mov_b32 s15, 0x7ff00000
	v_add_f64 v[33:34], v[31:32], 1.0
	v_cmp_neq_f64_e64 s[14:15], s[14:15], v[31:32]
	v_frexp_mant_f64_e32 v[37:38], v[33:34]
	v_frexp_exp_i32_f64_e32 v18, v[33:34]
	v_add_f64 v[35:36], v[33:34], -1.0
	v_cmp_gt_f64_e32 vcc, s[26:27], v[37:38]
	v_add_f64 v[39:40], v[35:36], -v[33:34]
	v_add_f64 v[35:36], v[31:32], -v[35:36]
	v_subbrev_co_u32_e32 v18, vcc, 0, v18, vcc
	v_sub_u32_e32 v41, 0, v18
	v_ldexp_f64 v[33:34], v[33:34], v41
	v_add_f64 v[37:38], v[39:40], 1.0
	v_add_f64 v[39:40], v[33:34], 1.0
	v_add_f64 v[35:36], v[35:36], v[37:38]
	v_add_f64 v[45:46], v[33:34], -1.0
	v_add_f64 v[37:38], v[39:40], -1.0
	v_ldexp_f64 v[35:36], v[35:36], v41
	v_add_f64 v[47:48], v[45:46], 1.0
	v_add_f64 v[37:38], v[33:34], -v[37:38]
	v_add_f64 v[33:34], v[33:34], -v[47:48]
	v_add_f64 v[41:42], v[35:36], v[37:38]
	v_add_f64 v[47:48], v[35:36], v[33:34]
	v_add_f64 v[37:38], v[39:40], v[41:42]
	v_rcp_f64_e32 v[43:44], v[37:38]
	v_add_f64 v[39:40], v[39:40], -v[37:38]
	v_add_f64 v[41:42], v[41:42], v[39:40]
	v_fma_f64 v[49:50], -v[37:38], v[43:44], 1.0
	v_fma_f64 v[43:44], v[49:50], v[43:44], v[43:44]
	v_add_f64 v[49:50], v[45:46], v[47:48]
	v_fma_f64 v[33:34], -v[37:38], v[43:44], 1.0
	v_add_f64 v[45:46], v[45:46], -v[49:50]
	v_fma_f64 v[33:34], v[33:34], v[43:44], v[43:44]
	v_add_f64 v[45:46], v[47:48], v[45:46]
	v_mul_f64 v[35:36], v[49:50], v[33:34]
	v_mul_f64 v[43:44], v[37:38], v[35:36]
	v_fma_f64 v[39:40], v[35:36], v[37:38], -v[43:44]
	v_fma_f64 v[51:52], v[35:36], v[41:42], v[39:40]
	v_add_f64 v[53:54], v[43:44], v[51:52]
	v_add_f64 v[39:40], v[49:50], -v[53:54]
	v_add_f64 v[43:44], v[53:54], -v[43:44]
	;; [unrolled: 1-line block ×5, first 2 shown]
	v_add_f64 v[45:46], v[45:46], v[47:48]
	v_max_f64 v[47:48], |v[13:14]|, |v[13:14]|
	v_ashrrev_i32_e32 v13, 31, v14
	v_add_f64 v[43:44], v[43:44], v[45:46]
	v_max_f64 v[45:46], |v[15:16]|, |v[15:16]|
	v_add_f64 v[49:50], v[39:40], v[43:44]
	v_max_f64 v[51:52], v[47:48], v[45:46]
	v_min_f64 v[45:46], v[47:48], v[45:46]
	v_mul_f64 v[47:48], v[33:34], v[49:50]
	v_add_f64 v[39:40], v[39:40], -v[49:50]
	v_div_scale_f64 v[53:54], s[12:13], v[51:52], v[51:52], v[45:46]
	s_mov_b32 s12, 0xaf56de9b
	s_mov_b32 s13, 0xbf67952d
	v_mul_f64 v[55:56], v[37:38], v[47:48]
	v_add_f64 v[39:40], v[43:44], v[39:40]
	v_fma_f64 v[37:38], v[47:48], v[37:38], -v[55:56]
	v_rcp_f64_e32 v[57:58], v[53:54]
	v_fma_f64 v[37:38], v[47:48], v[41:42], v[37:38]
	v_add_f64 v[41:42], v[55:56], v[37:38]
	v_fma_f64 v[59:60], -v[53:54], v[57:58], 1.0
	v_add_f64 v[61:62], v[49:50], -v[41:42]
	v_add_f64 v[43:44], v[41:42], -v[55:56]
	v_fma_f64 v[57:58], v[57:58], v[59:60], v[57:58]
	v_div_scale_f64 v[59:60], vcc, v[45:46], v[51:52], v[45:46]
	v_add_f64 v[49:50], v[49:50], -v[61:62]
	v_add_f64 v[37:38], v[43:44], -v[37:38]
	v_fma_f64 v[70:71], -v[53:54], v[57:58], 1.0
	v_add_f64 v[43:44], v[35:36], v[47:48]
	v_add_f64 v[41:42], v[49:50], -v[41:42]
	v_fma_f64 v[49:50], v[57:58], v[70:71], v[57:58]
	v_add_f64 v[35:36], v[43:44], -v[35:36]
	v_add_f64 v[39:40], v[39:40], v[41:42]
	v_mul_f64 v[41:42], v[59:60], v[49:50]
	v_add_f64 v[35:36], v[47:48], -v[35:36]
	v_add_f64 v[37:38], v[37:38], v[39:40]
	v_fma_f64 v[39:40], -v[53:54], v[41:42], v[59:60]
	v_add_f64 v[37:38], v[61:62], v[37:38]
	v_div_fmas_f64 v[39:40], v[39:40], v[49:50], v[41:42]
	v_cmp_gt_i32_e32 vcc, 0, v14
	v_mul_f64 v[33:34], v[33:34], v[37:38]
	v_add_f64 v[33:34], v[35:36], v[33:34]
	v_div_fixup_f64 v[35:36], v[39:40], v[51:52], v[45:46]
	v_add_f64 v[37:38], v[43:44], v[33:34]
	v_mul_f64 v[39:40], v[35:36], v[35:36]
	v_mul_f64 v[41:42], v[37:38], v[37:38]
	v_fma_f64 v[45:46], v[39:40], s[56:57], v[21:22]
	v_fma_f64 v[47:48], v[41:42], s[34:35], v[19:20]
	v_mul_f64 v[49:50], v[37:38], v[41:42]
	v_fma_f64 v[45:46], v[39:40], v[45:46], s[54:55]
	v_fma_f64 v[47:48], v[41:42], v[47:48], s[36:37]
	;; [unrolled: 1-line block ×3, first 2 shown]
	s_mov_b32 s12, 0xa595c56f
	s_mov_b32 s13, 0x3f7d6d43
	v_fma_f64 v[47:48], v[41:42], v[47:48], s[38:39]
	v_fma_f64 v[45:46], v[39:40], v[45:46], s[12:13]
	s_mov_b32 s12, 0xa57d9582
	s_mov_b32 s13, 0xbf8c6ea4
	v_fma_f64 v[47:48], v[41:42], v[47:48], s[40:41]
	v_fma_f64 v[45:46], v[39:40], v[45:46], s[12:13]
	;; [unrolled: 4-line block ×3, first 2 shown]
	s_mov_b32 s12, 0xfc27006a
	s_mov_b32 s13, 0xbf9e9ae6
	v_fma_f64 v[41:42], v[41:42], v[47:48], s[30:31]
	v_ldexp_f64 v[47:48], v[37:38], 1
	v_fma_f64 v[45:46], v[39:40], v[45:46], s[12:13]
	s_mov_b32 s12, 0x5711927a
	s_mov_b32 s13, 0x3fa2c15b
	v_add_f64 v[37:38], v[37:38], -v[43:44]
	v_mul_f64 v[41:42], v[49:50], v[41:42]
	v_cvt_f64_i32_e32 v[49:50], v18
	v_fma_f64 v[45:46], v[39:40], v[45:46], s[12:13]
	v_cmp_eq_f64_e64 s[12:13], 0, v[15:16]
	v_cndmask_b32_e32 v18, v66, v67, vcc
	v_mul_f64 v[51:52], v[49:50], s[44:45]
	v_add_f64 v[33:34], v[33:34], -v[37:38]
	v_add_f64 v[43:44], v[47:48], v[41:42]
	v_fma_f64 v[45:46], v[39:40], v[45:46], s[64:65]
	v_ldexp_f64 v[33:34], v[33:34], 1
	v_add_f64 v[37:38], v[43:44], -v[47:48]
	v_fma_f64 v[47:48], v[49:50], s[44:45], -v[51:52]
	v_fma_f64 v[45:46], v[39:40], v[45:46], s[66:67]
	v_add_f64 v[37:38], v[41:42], -v[37:38]
	v_fma_f64 v[41:42], v[39:40], v[45:46], s[68:69]
	v_fma_f64 v[45:46], v[49:50], s[46:47], v[47:48]
	v_add_f64 v[33:34], v[33:34], v[37:38]
	v_fma_f64 v[37:38], v[39:40], v[41:42], s[70:71]
	v_add_f64 v[41:42], v[51:52], v[45:46]
	v_add_f64 v[47:48], v[43:44], v[33:34]
	v_fma_f64 v[37:38], v[39:40], v[37:38], s[72:73]
	v_add_f64 v[51:52], v[41:42], -v[51:52]
	v_add_f64 v[49:50], v[41:42], v[47:48]
	v_add_f64 v[43:44], v[47:48], -v[43:44]
	v_fma_f64 v[37:38], v[39:40], v[37:38], s[74:75]
	v_add_f64 v[45:46], v[45:46], -v[51:52]
	v_add_f64 v[53:54], v[49:50], -v[41:42]
	;; [unrolled: 1-line block ×3, first 2 shown]
	v_fma_f64 v[37:38], v[39:40], v[37:38], s[76:77]
	v_add_f64 v[55:56], v[49:50], -v[53:54]
	v_add_f64 v[43:44], v[47:48], -v[53:54]
	v_fma_f64 v[37:38], v[39:40], v[37:38], s[78:79]
	v_add_f64 v[47:48], v[45:46], v[33:34]
	v_add_f64 v[41:42], v[41:42], -v[55:56]
	v_fma_f64 v[37:38], v[39:40], v[37:38], s[80:81]
	v_add_f64 v[41:42], v[43:44], v[41:42]
	;; [unrolled: 3-line block ×3, first 2 shown]
	v_add_f64 v[47:48], v[47:48], -v[43:44]
	v_fma_f64 v[37:38], v[39:40], v[37:38], s[84:85]
	v_add_f64 v[33:34], v[33:34], -v[43:44]
	v_add_f64 v[51:52], v[49:50], v[41:42]
	v_mul_f64 v[37:38], v[39:40], v[37:38]
	v_add_f64 v[39:40], v[45:46], -v[47:48]
	v_add_f64 v[43:44], v[51:52], -v[49:50]
	v_fma_f64 v[35:36], v[35:36], v[37:38], v[35:36]
	v_add_f64 v[33:34], v[33:34], v[39:40]
	v_add_f64 v[37:38], v[41:42], -v[43:44]
	v_add_f64 v[39:40], -v[35:36], s[90:91]
	v_add_f64 v[33:34], v[33:34], v[37:38]
	v_cndmask_b32_e64 v36, v36, v40, s[10:11]
	v_cndmask_b32_e64 v35, v35, v39, s[10:11]
	v_add_f64 v[37:38], -v[35:36], s[86:87]
	v_and_b32_e32 v39, 0x54442d18, v13
	v_and_b32_e32 v40, 0x400921fb, v13
	v_add_f64 v[33:34], v[51:52], v[33:34]
	v_cndmask_b32_e32 v35, v35, v37, vcc
	v_cndmask_b32_e32 v37, v68, v69, vcc
	v_cndmask_b32_e32 v32, v36, v38, vcc
	v_bfi_b32 v31, s62, v37, v16
	v_mul_f64 v[13:14], v[33:34], 0.5
	v_cndmask_b32_e64 v35, v35, v39, s[12:13]
	v_cndmask_b32_e64 v32, v32, v40, s[12:13]
	s_and_b64 vcc, s[48:49], s[50:51]
	v_cndmask_b32_e32 v32, v32, v31, vcc
	v_cndmask_b32_e32 v31, v35, v18, vcc
                                        ; implicit-def: $vgpr37_vgpr38
	v_cndmask_b32_e64 v34, v63, v14, s[14:15]
	v_cndmask_b32_e64 v33, 0, v13, s[14:15]
.LBB185_33:                             ;   in Loop: Header=BB185_4 Depth=1
	s_andn2_saveexec_b64 s[14:15], s[24:25]
	s_cbranch_execz .LBB185_35
; %bb.34:                               ;   in Loop: Header=BB185_4 Depth=1
	v_max_f64 v[31:32], |v[15:16]|, |v[15:16]|
	v_max_f64 v[33:34], |v[13:14]|, |v[13:14]|
	s_mov_b32 s86, s90
	v_cmp_class_f64_e64 s[24:25], v[15:16], s63
	v_cmp_class_f64_e64 s[48:49], v[13:14], s63
	v_ashrrev_i32_e32 v18, 31, v14
	v_max_f64 v[35:36], v[33:34], v[31:32]
	v_min_f64 v[31:32], v[33:34], v[31:32]
	v_div_scale_f64 v[33:34], s[12:13], v[35:36], v[35:36], v[31:32]
	s_mov_b32 s12, 0xaf56de9b
	s_mov_b32 s13, 0xbf67952d
	v_rcp_f64_e32 v[39:40], v[33:34]
	v_fma_f64 v[41:42], -v[33:34], v[39:40], 1.0
	v_fma_f64 v[39:40], v[39:40], v[41:42], v[39:40]
	v_div_scale_f64 v[41:42], vcc, v[31:32], v[35:36], v[31:32]
	v_fma_f64 v[43:44], -v[33:34], v[39:40], 1.0
	v_fma_f64 v[39:40], v[39:40], v[43:44], v[39:40]
	v_mul_f64 v[43:44], v[41:42], v[39:40]
	v_fma_f64 v[33:34], -v[33:34], v[43:44], v[41:42]
	v_and_b32_e32 v41, 0x54442d18, v18
	v_div_fmas_f64 v[33:34], v[33:34], v[39:40], v[43:44]
	v_mul_f64 v[39:40], v[37:38], 0.5
	v_cmp_gt_i32_e32 vcc, 0, v14
	v_cndmask_b32_e32 v13, v68, v69, vcc
	v_and_b32_e32 v14, 0x400921fb, v18
	v_bfi_b32 v13, s62, v13, v16
	v_div_fixup_f64 v[31:32], v[33:34], v[35:36], v[31:32]
	v_mul_f64 v[33:34], v[31:32], v[31:32]
	v_fma_f64 v[35:36], v[33:34], s[56:57], v[21:22]
	v_fma_f64 v[35:36], v[33:34], v[35:36], s[54:55]
	;; [unrolled: 1-line block ×3, first 2 shown]
	s_mov_b32 s12, 0xa595c56f
	s_mov_b32 s13, 0x3f7d6d43
	v_fma_f64 v[35:36], v[33:34], v[35:36], s[12:13]
	s_mov_b32 s12, 0xa57d9582
	s_mov_b32 s13, 0xbf8c6ea4
	v_fma_f64 v[35:36], v[33:34], v[35:36], s[12:13]
	;; [unrolled: 3-line block ×5, first 2 shown]
	v_cmp_eq_f64_e64 s[12:13], 0, v[15:16]
	v_fma_f64 v[35:36], v[33:34], v[35:36], s[64:65]
	v_fma_f64 v[35:36], v[33:34], v[35:36], s[66:67]
	;; [unrolled: 1-line block ×11, first 2 shown]
	v_mul_f64 v[33:34], v[33:34], v[35:36]
	v_cndmask_b32_e32 v36, v66, v67, vcc
	v_fma_f64 v[31:32], v[31:32], v[33:34], v[31:32]
	v_add_f64 v[33:34], -v[31:32], s[90:91]
	v_cndmask_b32_e64 v32, v32, v34, s[10:11]
	v_cndmask_b32_e64 v31, v31, v33, s[10:11]
	v_add_f64 v[34:35], -v[31:32], s[86:87]
	v_cndmask_b32_e32 v31, v31, v34, vcc
	v_mul_f64 v[33:34], v[37:38], v[39:40]
	v_cndmask_b32_e32 v18, v32, v35, vcc
	v_cndmask_b32_e64 v31, v31, v41, s[12:13]
	v_cndmask_b32_e64 v14, v18, v14, s[12:13]
	s_and_b64 vcc, s[24:25], s[48:49]
	v_cndmask_b32_e32 v32, v14, v13, vcc
	v_cndmask_b32_e32 v31, v31, v36, vcc
.LBB185_35:                             ;   in Loop: Header=BB185_4 Depth=1
	s_or_b64 exec, exec, s[14:15]
.LBB185_36:                             ;   in Loop: Header=BB185_4 Depth=1
	s_or_b64 exec, exec, s[16:17]
.LBB185_37:                             ;   in Loop: Header=BB185_4 Depth=1
	s_andn2_saveexec_b64 s[4:5], s[4:5]
	s_cbranch_execz .LBB185_39
; %bb.38:                               ;   in Loop: Header=BB185_4 Depth=1
	v_div_scale_f64 v[31:32], s[12:13], s[92:93], s[92:93], v[13:14]
	v_div_scale_f64 v[33:34], s[12:13], s[92:93], s[92:93], v[15:16]
	;; [unrolled: 1-line block ×3, first 2 shown]
	s_mov_b32 s31, s27
	s_mov_b32 s86, s90
	v_cmp_class_f64_e64 s[16:17], v[13:14], s63
	v_rcp_f64_e32 v[35:36], v[31:32]
	v_rcp_f64_e32 v[37:38], v[33:34]
	v_fma_f64 v[39:40], -v[31:32], v[35:36], 1.0
	v_fma_f64 v[41:42], -v[33:34], v[37:38], 1.0
	v_fma_f64 v[35:36], v[35:36], v[39:40], v[35:36]
	v_div_scale_f64 v[39:40], vcc, v[13:14], s[92:93], v[13:14]
	v_fma_f64 v[37:38], v[37:38], v[41:42], v[37:38]
	v_fma_f64 v[41:42], -v[31:32], v[35:36], 1.0
	v_fma_f64 v[45:46], -v[33:34], v[37:38], 1.0
	v_fma_f64 v[35:36], v[35:36], v[41:42], v[35:36]
	v_fma_f64 v[37:38], v[37:38], v[45:46], v[37:38]
	v_mul_f64 v[41:42], v[39:40], v[35:36]
	v_mul_f64 v[45:46], v[43:44], v[37:38]
	v_fma_f64 v[31:32], -v[31:32], v[41:42], v[39:40]
	v_fma_f64 v[33:34], -v[33:34], v[45:46], v[43:44]
	v_div_fmas_f64 v[31:32], v[31:32], v[35:36], v[41:42]
	s_mov_b64 vcc, s[12:13]
	v_div_fmas_f64 v[33:34], v[33:34], v[37:38], v[45:46]
	v_max_f64 v[44:45], |v[13:14]|, |v[13:14]|
	v_div_fixup_f64 v[31:32], v[31:32], s[92:93], v[13:14]
	v_ashrrev_i32_e32 v13, 31, v14
	v_div_fixup_f64 v[33:34], v[33:34], s[92:93], v[15:16]
	v_cmp_class_f64_e64 s[12:13], v[31:32], s63
	v_max_f64 v[35:36], |v[31:32]|, |v[33:34]|
	v_cmp_class_f64_e64 s[14:15], v[33:34], s63
	v_frexp_exp_i32_f64_e32 v18, v[35:36]
	v_sub_u32_e32 v37, 0, v18
	v_ldexp_f64 v[35:36], |v[33:34]|, v37
	v_ldexp_f64 v[37:38], |v[31:32]|, v37
	v_mul_f64 v[35:36], v[35:36], v[35:36]
	v_fma_f64 v[35:36], v[37:38], v[37:38], v[35:36]
	v_rsq_f64_e32 v[37:38], v[35:36]
	v_cmp_eq_f64_e32 vcc, 0, v[35:36]
	v_mul_f64 v[39:40], v[35:36], v[37:38]
	v_mul_f64 v[37:38], v[37:38], 0.5
	v_fma_f64 v[41:42], -v[37:38], v[39:40], 0.5
	v_fma_f64 v[39:40], v[39:40], v[41:42], v[39:40]
	v_fma_f64 v[37:38], v[37:38], v[41:42], v[37:38]
	v_fma_f64 v[41:42], -v[39:40], v[39:40], v[35:36]
	v_fma_f64 v[37:38], v[41:42], v[37:38], v[39:40]
	v_max_f64 v[42:43], |v[15:16]|, |v[15:16]|
	v_cndmask_b32_e32 v36, v38, v36, vcc
	v_cndmask_b32_e32 v35, v37, v35, vcc
	v_ldexp_f64 v[35:36], v[35:36], v18
	v_cmp_o_f64_e32 vcc, v[31:32], v[33:34]
	v_cndmask_b32_e32 v18, 0, v35, vcc
	v_cndmask_b32_e32 v31, v64, v36, vcc
	s_or_b64 vcc, s[14:15], s[12:13]
	v_cndmask_b32_e32 v35, v31, v63, vcc
	v_cndmask_b32_e64 v34, v18, 0, vcc
	v_frexp_mant_f64_e32 v[31:32], v[34:35]
	v_cmp_gt_f64_e64 s[12:13], s[26:27], v[31:32]
	v_cndmask_b32_e64 v18, 0, 1, s[12:13]
	v_ldexp_f64 v[31:32], v[31:32], v18
	v_frexp_exp_i32_f64_e32 v18, v[34:35]
	v_add_f64 v[36:37], v[31:32], 1.0
	v_add_f64 v[48:49], v[31:32], -1.0
	v_rcp_f64_e32 v[38:39], v[36:37]
	v_add_f64 v[52:53], v[36:37], -1.0
	v_add_f64 v[31:32], v[31:32], -v[52:53]
	v_fma_f64 v[40:41], -v[36:37], v[38:39], 1.0
	v_fma_f64 v[38:39], v[40:41], v[38:39], v[38:39]
	v_max_f64 v[40:41], v[44:45], v[42:43]
	v_min_f64 v[42:43], v[44:45], v[42:43]
	v_fma_f64 v[44:45], -v[36:37], v[38:39], 1.0
	v_div_scale_f64 v[46:47], s[14:15], v[40:41], v[40:41], v[42:43]
	s_mov_b32 s14, 0xaf56de9b
	s_mov_b32 s15, 0xbf67952d
	v_fma_f64 v[38:39], v[44:45], v[38:39], v[38:39]
	v_mul_f64 v[44:45], v[48:49], v[38:39]
	v_rcp_f64_e32 v[50:51], v[46:47]
	v_mul_f64 v[54:55], v[36:37], v[44:45]
	v_fma_f64 v[36:37], v[44:45], v[36:37], -v[54:55]
	v_fma_f64 v[52:53], -v[46:47], v[50:51], 1.0
	v_fma_f64 v[31:32], v[44:45], v[31:32], v[36:37]
	v_fma_f64 v[36:37], v[50:51], v[52:53], v[50:51]
	v_div_scale_f64 v[52:53], vcc, v[42:43], v[40:41], v[42:43]
	v_add_f64 v[50:51], v[54:55], v[31:32]
	v_fma_f64 v[56:57], -v[46:47], v[36:37], 1.0
	v_add_f64 v[58:59], v[48:49], -v[50:51]
	v_add_f64 v[54:55], v[50:51], -v[54:55]
	v_fma_f64 v[36:37], v[36:37], v[56:57], v[36:37]
	v_add_f64 v[48:49], v[48:49], -v[58:59]
	v_add_f64 v[31:32], v[54:55], -v[31:32]
	v_mul_f64 v[56:57], v[52:53], v[36:37]
	v_add_f64 v[48:49], v[48:49], -v[50:51]
	v_fma_f64 v[46:47], -v[46:47], v[56:57], v[52:53]
	v_add_f64 v[31:32], v[31:32], v[48:49]
	v_div_fmas_f64 v[36:37], v[46:47], v[36:37], v[56:57]
	v_subbrev_co_u32_e64 v18, vcc, 0, v18, s[12:13]
	v_cmp_gt_i32_e32 vcc, 0, v14
	v_cndmask_b32_e32 v33, v68, v69, vcc
	v_cmp_eq_f64_e64 s[12:13], 0, v[15:16]
	v_add_f64 v[31:32], v[58:59], v[31:32]
	v_mul_f64 v[31:32], v[38:39], v[31:32]
	v_div_fixup_f64 v[36:37], v[36:37], v[40:41], v[42:43]
	v_add_f64 v[38:39], v[44:45], v[31:32]
	v_mul_f64 v[40:41], v[36:37], v[36:37]
	v_mul_f64 v[42:43], v[38:39], v[38:39]
	v_fma_f64 v[46:47], v[40:41], s[56:57], v[21:22]
	v_fma_f64 v[48:49], v[42:43], s[34:35], v[19:20]
	v_mul_f64 v[50:51], v[38:39], v[42:43]
	v_fma_f64 v[46:47], v[40:41], v[46:47], s[54:55]
	v_fma_f64 v[48:49], v[42:43], v[48:49], s[36:37]
	;; [unrolled: 1-line block ×3, first 2 shown]
	s_mov_b32 s14, 0xa595c56f
	s_mov_b32 s15, 0x3f7d6d43
	v_fma_f64 v[48:49], v[42:43], v[48:49], s[38:39]
	v_fma_f64 v[46:47], v[40:41], v[46:47], s[14:15]
	s_mov_b32 s14, 0xa57d9582
	s_mov_b32 s15, 0xbf8c6ea4
	v_fma_f64 v[48:49], v[42:43], v[48:49], s[40:41]
	v_fma_f64 v[46:47], v[40:41], v[46:47], s[14:15]
	;; [unrolled: 4-line block ×3, first 2 shown]
	s_mov_b32 s14, 0xfc27006a
	s_mov_b32 s15, 0xbf9e9ae6
	v_fma_f64 v[42:43], v[42:43], v[48:49], s[30:31]
	v_ldexp_f64 v[48:49], v[38:39], 1
	v_fma_f64 v[46:47], v[40:41], v[46:47], s[14:15]
	s_mov_b32 s14, 0x5711927a
	s_mov_b32 s15, 0x3fa2c15b
	v_add_f64 v[38:39], v[38:39], -v[44:45]
	v_mul_f64 v[42:43], v[50:51], v[42:43]
	v_cvt_f64_i32_e32 v[50:51], v18
	v_fma_f64 v[46:47], v[40:41], v[46:47], s[14:15]
	v_cmp_class_f64_e64 s[14:15], v[15:16], s63
	v_cndmask_b32_e32 v18, v66, v67, vcc
	v_mul_f64 v[52:53], v[50:51], s[44:45]
	v_add_f64 v[31:32], v[31:32], -v[38:39]
	v_add_f64 v[44:45], v[48:49], v[42:43]
	v_fma_f64 v[46:47], v[40:41], v[46:47], s[64:65]
	v_ldexp_f64 v[31:32], v[31:32], 1
	v_add_f64 v[38:39], v[44:45], -v[48:49]
	v_fma_f64 v[48:49], v[50:51], s[44:45], -v[52:53]
	v_fma_f64 v[46:47], v[40:41], v[46:47], s[66:67]
	v_add_f64 v[38:39], v[42:43], -v[38:39]
	v_fma_f64 v[42:43], v[40:41], v[46:47], s[68:69]
	v_fma_f64 v[46:47], v[50:51], s[46:47], v[48:49]
	v_add_f64 v[31:32], v[31:32], v[38:39]
	v_fma_f64 v[38:39], v[40:41], v[42:43], s[70:71]
	v_add_f64 v[42:43], v[52:53], v[46:47]
	v_add_f64 v[48:49], v[44:45], v[31:32]
	v_fma_f64 v[38:39], v[40:41], v[38:39], s[72:73]
	v_add_f64 v[52:53], v[42:43], -v[52:53]
	v_add_f64 v[50:51], v[42:43], v[48:49]
	v_add_f64 v[44:45], v[48:49], -v[44:45]
	v_fma_f64 v[38:39], v[40:41], v[38:39], s[74:75]
	v_add_f64 v[46:47], v[46:47], -v[52:53]
	v_add_f64 v[54:55], v[50:51], -v[42:43]
	;; [unrolled: 1-line block ×3, first 2 shown]
	v_fma_f64 v[38:39], v[40:41], v[38:39], s[76:77]
	v_add_f64 v[56:57], v[50:51], -v[54:55]
	v_add_f64 v[44:45], v[48:49], -v[54:55]
	v_fma_f64 v[38:39], v[40:41], v[38:39], s[78:79]
	v_add_f64 v[48:49], v[46:47], v[31:32]
	v_add_f64 v[42:43], v[42:43], -v[56:57]
	v_fma_f64 v[38:39], v[40:41], v[38:39], s[80:81]
	v_add_f64 v[42:43], v[44:45], v[42:43]
	;; [unrolled: 3-line block ×3, first 2 shown]
	v_add_f64 v[48:49], v[48:49], -v[44:45]
	v_fma_f64 v[38:39], v[40:41], v[38:39], s[84:85]
	v_add_f64 v[31:32], v[31:32], -v[44:45]
	v_add_f64 v[52:53], v[50:51], v[42:43]
	v_mul_f64 v[38:39], v[40:41], v[38:39]
	v_add_f64 v[40:41], v[46:47], -v[48:49]
	v_add_f64 v[44:45], v[52:53], -v[50:51]
	v_fma_f64 v[36:37], v[36:37], v[38:39], v[36:37]
	v_add_f64 v[31:32], v[31:32], v[40:41]
	v_add_f64 v[38:39], v[42:43], -v[44:45]
	v_add_f64 v[40:41], -v[36:37], s[90:91]
	v_add_f64 v[31:32], v[31:32], v[38:39]
	v_cndmask_b32_e64 v37, v37, v41, s[10:11]
	v_cndmask_b32_e64 v36, v36, v40, s[10:11]
	v_add_f64 v[38:39], -v[36:37], s[86:87]
	v_cmp_class_f64_e64 s[10:11], v[34:35], s63
	v_and_b32_e32 v40, 0x54442d18, v13
	v_add_f64 v[31:32], v[52:53], v[31:32]
	v_cndmask_b32_e32 v36, v36, v38, vcc
	v_and_b32_e32 v38, 0x400921fb, v13
	v_cndmask_b32_e64 v36, v36, v40, s[12:13]
	v_cndmask_b32_e64 v14, v32, v35, s[10:11]
	;; [unrolled: 1-line block ×3, first 2 shown]
	v_add_f64 v[13:14], v[13:14], 1.0
	v_cmp_ngt_f64_e64 s[10:11], 0, v[34:35]
	v_bfi_b32 v31, s62, v33, v16
	v_cndmask_b32_e32 v32, v37, v39, vcc
	v_cndmask_b32_e64 v32, v32, v38, s[12:13]
	s_and_b64 vcc, s[14:15], s[16:17]
	v_cndmask_b32_e32 v32, v32, v31, vcc
	v_cndmask_b32_e32 v31, v36, v18, vcc
	v_cndmask_b32_e64 v14, v64, v14, s[10:11]
	v_cmp_nge_f64_e64 s[10:11], 0, v[34:35]
	v_cndmask_b32_e64 v33, 0, v13, s[10:11]
	v_cmp_neq_f64_e64 s[10:11], 0, v[34:35]
	v_cndmask_b32_e64 v34, v65, v14, s[10:11]
.LBB185_39:                             ;   in Loop: Header=BB185_4 Depth=1
	s_or_b64 exec, exec, s[4:5]
.LBB185_40:                             ;   in Loop: Header=BB185_4 Depth=1
	s_andn2_saveexec_b64 s[4:5], s[18:19]
	s_cbranch_execz .LBB185_46
; %bb.41:                               ;   in Loop: Header=BB185_4 Depth=1
	v_cmp_nlt_f64_e64 s[10:11], |v[13:14]|, s[28:29]
	v_cmp_nlt_f64_e64 s[12:13], |v[15:16]|, s[28:29]
                                        ; implicit-def: $vgpr34_vgpr35
	s_or_b64 s[10:11], s[12:13], s[10:11]
	s_and_saveexec_b64 s[12:13], s[10:11]
	s_xor_b64 s[10:11], exec, s[12:13]
	s_cbranch_execz .LBB185_43
; %bb.42:                               ;   in Loop: Header=BB185_4 Depth=1
	v_mul_f64 v[13:14], v[13:14], v[13:14]
	v_fma_f64 v[34:35], v[15:16], v[15:16], v[13:14]
.LBB185_43:                             ;   in Loop: Header=BB185_4 Depth=1
	s_andn2_saveexec_b64 s[10:11], s[10:11]
	s_cbranch_execz .LBB185_45
; %bb.44:                               ;   in Loop: Header=BB185_4 Depth=1
	v_mul_f64 v[13:14], v[13:14], 4.0
	v_mul_f64 v[31:32], v[15:16], 4.0
	v_mul_f64 v[13:14], v[13:14], v[13:14]
	v_fma_f64 v[13:14], v[31:32], v[31:32], v[13:14]
	v_ldexp_f64 v[34:35], v[13:14], -4
.LBB185_45:                             ;   in Loop: Header=BB185_4 Depth=1
	s_or_b64 exec, exec, s[10:11]
	v_frexp_mant_f64_e32 v[13:14], v[34:35]
	s_mov_b32 s31, s27
	v_cmp_gt_f64_e32 vcc, s[26:27], v[13:14]
	v_cndmask_b32_e64 v15, 0, 1, vcc
	v_ldexp_f64 v[13:14], v[13:14], v15
	v_frexp_exp_i32_f64_e32 v15, v[34:35]
	v_add_f64 v[31:32], v[13:14], 1.0
	v_add_f64 v[40:41], v[13:14], -1.0
	v_subbrev_co_u32_e32 v15, vcc, 0, v15, vcc
	v_cmp_class_f64_e64 vcc, v[34:35], s63
	v_rcp_f64_e32 v[36:37], v[31:32]
	v_add_f64 v[42:43], v[31:32], -1.0
	v_add_f64 v[13:14], v[13:14], -v[42:43]
	v_fma_f64 v[38:39], -v[31:32], v[36:37], 1.0
	v_fma_f64 v[36:37], v[38:39], v[36:37], v[36:37]
	v_fma_f64 v[38:39], -v[31:32], v[36:37], 1.0
	v_fma_f64 v[36:37], v[38:39], v[36:37], v[36:37]
	v_mul_f64 v[38:39], v[40:41], v[36:37]
	v_mul_f64 v[44:45], v[31:32], v[38:39]
	v_fma_f64 v[31:32], v[38:39], v[31:32], -v[44:45]
	v_fma_f64 v[13:14], v[38:39], v[13:14], v[31:32]
	v_add_f64 v[31:32], v[44:45], v[13:14]
	v_add_f64 v[42:43], v[40:41], -v[31:32]
	v_add_f64 v[44:45], v[31:32], -v[44:45]
	;; [unrolled: 1-line block ×5, first 2 shown]
	v_add_f64 v[13:14], v[13:14], v[31:32]
	v_add_f64 v[13:14], v[42:43], v[13:14]
	v_mul_f64 v[13:14], v[36:37], v[13:14]
	v_add_f64 v[31:32], v[38:39], v[13:14]
	v_mul_f64 v[36:37], v[31:32], v[31:32]
	v_fma_f64 v[40:41], v[36:37], s[34:35], v[19:20]
	v_mul_f64 v[42:43], v[31:32], v[36:37]
	v_fma_f64 v[40:41], v[36:37], v[40:41], s[36:37]
	v_fma_f64 v[40:41], v[36:37], v[40:41], s[38:39]
	;; [unrolled: 1-line block ×5, first 2 shown]
	v_ldexp_f64 v[40:41], v[31:32], 1
	v_add_f64 v[31:32], v[31:32], -v[38:39]
	v_mul_f64 v[36:37], v[42:43], v[36:37]
	v_cvt_f64_i32_e32 v[42:43], v15
	v_add_f64 v[13:14], v[13:14], -v[31:32]
	v_mul_f64 v[44:45], v[42:43], s[44:45]
	v_add_f64 v[38:39], v[40:41], v[36:37]
	v_ldexp_f64 v[13:14], v[13:14], 1
	v_add_f64 v[31:32], v[38:39], -v[40:41]
	v_fma_f64 v[40:41], v[42:43], s[44:45], -v[44:45]
	v_add_f64 v[31:32], v[36:37], -v[31:32]
	v_fma_f64 v[36:37], v[42:43], s[46:47], v[40:41]
	v_add_f64 v[13:14], v[13:14], v[31:32]
	v_add_f64 v[31:32], v[44:45], v[36:37]
	;; [unrolled: 1-line block ×3, first 2 shown]
	v_add_f64 v[44:45], v[31:32], -v[44:45]
	v_add_f64 v[42:43], v[31:32], v[40:41]
	v_add_f64 v[38:39], v[40:41], -v[38:39]
	v_add_f64 v[36:37], v[36:37], -v[44:45]
	;; [unrolled: 1-line block ×6, first 2 shown]
	v_add_f64 v[40:41], v[36:37], v[13:14]
	v_add_f64 v[31:32], v[31:32], -v[48:49]
	v_add_f64 v[31:32], v[38:39], v[31:32]
	v_add_f64 v[38:39], v[40:41], -v[36:37]
	;; [unrolled: 2-line block ×3, first 2 shown]
	v_add_f64 v[13:14], v[13:14], -v[38:39]
	v_add_f64 v[44:45], v[42:43], v[31:32]
	v_add_f64 v[36:37], v[36:37], -v[40:41]
	v_add_f64 v[38:39], v[44:45], -v[42:43]
	v_add_f64 v[13:14], v[13:14], v[36:37]
	v_add_f64 v[31:32], v[31:32], -v[38:39]
	v_add_f64 v[13:14], v[13:14], v[31:32]
	v_mov_b32_e32 v31, 0
	v_mov_b32_e32 v32, 0x7ff80000
	v_add_f64 v[13:14], v[44:45], v[13:14]
	v_cndmask_b32_e32 v13, v13, v34, vcc
	v_cndmask_b32_e32 v14, v14, v35, vcc
	v_cmp_ngt_f64_e32 vcc, 0, v[34:35]
	v_cndmask_b32_e32 v14, v64, v14, vcc
	v_cmp_nge_f64_e32 vcc, 0, v[34:35]
	v_cndmask_b32_e32 v33, 0, v13, vcc
	v_cmp_neq_f64_e32 vcc, 0, v[34:35]
	v_cndmask_b32_e32 v34, v65, v14, vcc
.LBB185_46:                             ;   in Loop: Header=BB185_4 Depth=1
	s_or_b64 exec, exec, s[4:5]
	v_cmp_o_f64_e32 vcc, v[5:6], v[7:8]
                                        ; implicit-def: $vgpr35_vgpr36
                                        ; implicit-def: $vgpr13_vgpr14
	s_and_saveexec_b64 s[4:5], vcc
	s_xor_b64 s[4:5], exec, s[4:5]
	s_cbranch_execz .LBB185_74
; %bb.47:                               ;   in Loop: Header=BB185_4 Depth=1
	v_cmp_lt_f64_e64 s[10:11], |v[5:6]|, |v[7:8]|
	v_and_b32_e32 v15, 0x7fffffff, v6
	v_and_b32_e32 v18, 0x7fffffff, v8
	s_mov_b32 s12, 0x85ebc8a0
	s_mov_b32 s13, 0x7fd1ccf3
	v_mov_b32_e32 v37, v7
                                        ; implicit-def: $vgpr35_vgpr36
                                        ; implicit-def: $vgpr13_vgpr14
	v_cndmask_b32_e64 v40, v18, v15, s[10:11]
	v_cndmask_b32_e64 v39, v7, v5, s[10:11]
	v_cmp_nlt_f64_e32 vcc, s[12:13], v[39:40]
	s_and_saveexec_b64 s[12:13], vcc
	s_xor_b64 s[18:19], exec, s[12:13]
	s_cbranch_execz .LBB185_71
; %bb.48:                               ;   in Loop: Header=BB185_4 Depth=1
	v_cndmask_b32_e64 v42, v15, v18, s[10:11]
	v_cndmask_b32_e64 v41, v5, v37, s[10:11]
	v_cmp_neq_f64_e32 vcc, 1.0, v[41:42]
                                        ; implicit-def: $vgpr35_vgpr36
                                        ; implicit-def: $vgpr13_vgpr14
	s_and_saveexec_b64 s[12:13], vcc
	s_xor_b64 s[24:25], exec, s[12:13]
	s_cbranch_execz .LBB185_64
; %bb.49:                               ;   in Loop: Header=BB185_4 Depth=1
	v_max_f64 v[13:14], v[39:40], v[39:40]
	v_max_f64 v[35:36], v[41:42], v[41:42]
	s_mov_b32 s12, 0x4ad4b81f
	s_mov_b32 s13, 0x358dee7a
	v_min_f64 v[37:38], v[35:36], v[13:14]
	v_max_f64 v[13:14], v[35:36], v[13:14]
                                        ; implicit-def: $vgpr35_vgpr36
	v_cmp_ngt_f64_e32 vcc, s[12:13], v[37:38]
	s_mov_b32 s12, 0xc57e649a
	s_mov_b32 s13, 0x4a511b0e
	v_cmp_nlt_f64_e64 s[12:13], s[12:13], v[13:14]
                                        ; implicit-def: $vgpr13_vgpr14
	s_and_b64 s[12:13], s[12:13], vcc
	s_and_saveexec_b64 s[14:15], s[12:13]
	s_xor_b64 s[48:49], exec, s[14:15]
	s_cbranch_execz .LBB185_61
; %bb.50:                               ;   in Loop: Header=BB185_4 Depth=1
	v_cmp_le_f64_e32 vcc, 1.0, v[41:42]
                                        ; implicit-def: $vgpr35_vgpr36
                                        ; implicit-def: $vgpr13_vgpr14
	s_and_saveexec_b64 s[12:13], vcc
	s_xor_b64 s[50:51], exec, s[12:13]
	s_cbranch_execz .LBB185_52
; %bb.51:                               ;   in Loop: Header=BB185_4 Depth=1
	v_add_f64 v[13:14], v[41:42], -1.0
	v_add_f64 v[35:36], v[41:42], 1.0
	s_mov_b32 s31, s27
	s_mov_b32 s86, s90
	;; [unrolled: 1-line block ×4, first 2 shown]
	v_cmp_class_f64_e64 s[52:53], v[7:8], s63
	v_mul_f64 v[13:14], v[13:14], v[35:36]
	v_fma_f64 v[36:37], v[39:40], v[39:40], v[13:14]
	v_add_f64 v[13:14], v[36:37], 1.0
	v_cmp_nge_f64_e64 s[14:15], -1.0, v[36:37]
	v_cmp_neq_f64_e64 s[16:17], s[16:17], v[36:37]
	v_frexp_mant_f64_e32 v[40:41], v[13:14]
	v_frexp_exp_i32_f64_e32 v15, v[13:14]
	v_add_f64 v[38:39], v[13:14], -1.0
	v_cmp_gt_f64_e32 vcc, s[26:27], v[40:41]
	v_add_f64 v[42:43], v[38:39], -v[13:14]
	v_add_f64 v[38:39], v[36:37], -v[38:39]
	v_subbrev_co_u32_e32 v15, vcc, 0, v15, vcc
	v_sub_u32_e32 v18, 0, v15
	v_ldexp_f64 v[13:14], v[13:14], v18
	v_add_f64 v[40:41], v[42:43], 1.0
	v_add_f64 v[42:43], v[13:14], 1.0
	v_add_f64 v[38:39], v[38:39], v[40:41]
	v_add_f64 v[48:49], v[13:14], -1.0
	v_add_f64 v[40:41], v[42:43], -1.0
	v_ldexp_f64 v[38:39], v[38:39], v18
	v_add_f64 v[50:51], v[48:49], 1.0
	v_add_f64 v[40:41], v[13:14], -v[40:41]
	v_add_f64 v[13:14], v[13:14], -v[50:51]
	v_add_f64 v[44:45], v[38:39], v[40:41]
	v_add_f64 v[50:51], v[38:39], v[13:14]
	;; [unrolled: 1-line block ×3, first 2 shown]
	v_rcp_f64_e32 v[46:47], v[40:41]
	v_add_f64 v[42:43], v[40:41], -v[42:43]
	v_add_f64 v[44:45], v[44:45], -v[42:43]
	v_fma_f64 v[52:53], -v[40:41], v[46:47], 1.0
	v_fma_f64 v[46:47], v[52:53], v[46:47], v[46:47]
	v_add_f64 v[52:53], v[48:49], v[50:51]
	v_fma_f64 v[13:14], -v[40:41], v[46:47], 1.0
	v_add_f64 v[48:49], v[52:53], -v[48:49]
	v_fma_f64 v[13:14], v[13:14], v[46:47], v[46:47]
	v_add_f64 v[48:49], v[50:51], -v[48:49]
	v_mul_f64 v[38:39], v[52:53], v[13:14]
	v_mul_f64 v[46:47], v[40:41], v[38:39]
	v_fma_f64 v[42:43], v[38:39], v[40:41], -v[46:47]
	v_fma_f64 v[54:55], v[38:39], v[44:45], v[42:43]
	v_add_f64 v[56:57], v[46:47], v[54:55]
	v_add_f64 v[42:43], v[52:53], -v[56:57]
	v_add_f64 v[46:47], v[56:57], -v[46:47]
	;; [unrolled: 1-line block ×5, first 2 shown]
	v_add_f64 v[48:49], v[48:49], v[50:51]
	v_max_f64 v[50:51], |v[5:6]|, |v[5:6]|
	v_add_f64 v[46:47], v[46:47], v[48:49]
	v_max_f64 v[48:49], |v[7:8]|, |v[7:8]|
	v_add_f64 v[52:53], v[42:43], v[46:47]
	v_max_f64 v[54:55], v[50:51], v[48:49]
	v_min_f64 v[48:49], v[50:51], v[48:49]
	v_mul_f64 v[50:51], v[13:14], v[52:53]
	v_add_f64 v[42:43], v[42:43], -v[52:53]
	v_div_scale_f64 v[56:57], s[12:13], v[54:55], v[54:55], v[48:49]
	s_mov_b32 s12, 0xaf56de9b
	s_mov_b32 s13, 0xbf67952d
	v_mul_f64 v[58:59], v[40:41], v[50:51]
	v_add_f64 v[42:43], v[46:47], v[42:43]
	v_fma_f64 v[40:41], v[50:51], v[40:41], -v[58:59]
	v_rcp_f64_e32 v[60:61], v[56:57]
	v_fma_f64 v[40:41], v[50:51], v[44:45], v[40:41]
	v_add_f64 v[44:45], v[58:59], v[40:41]
	v_fma_f64 v[70:71], -v[56:57], v[60:61], 1.0
	v_add_f64 v[72:73], v[52:53], -v[44:45]
	v_add_f64 v[46:47], v[44:45], -v[58:59]
	v_fma_f64 v[60:61], v[60:61], v[70:71], v[60:61]
	v_div_scale_f64 v[70:71], vcc, v[48:49], v[54:55], v[48:49]
	v_add_f64 v[52:53], v[52:53], -v[72:73]
	v_add_f64 v[40:41], v[46:47], -v[40:41]
	v_fma_f64 v[74:75], -v[56:57], v[60:61], 1.0
	v_add_f64 v[46:47], v[38:39], v[50:51]
	v_add_f64 v[44:45], v[52:53], -v[44:45]
	v_fma_f64 v[52:53], v[60:61], v[74:75], v[60:61]
	v_add_f64 v[38:39], v[46:47], -v[38:39]
	v_add_f64 v[42:43], v[42:43], v[44:45]
	v_mul_f64 v[44:45], v[70:71], v[52:53]
	v_add_f64 v[38:39], v[50:51], -v[38:39]
	v_add_f64 v[40:41], v[40:41], v[42:43]
	v_fma_f64 v[42:43], -v[56:57], v[44:45], v[70:71]
	v_add_f64 v[40:41], v[72:73], v[40:41]
	v_div_fmas_f64 v[42:43], v[42:43], v[52:53], v[44:45]
	v_cmp_gt_i32_e32 vcc, 0, v6
	v_cndmask_b32_e32 v18, v68, v69, vcc
	v_mul_f64 v[13:14], v[13:14], v[40:41]
	v_add_f64 v[13:14], v[38:39], v[13:14]
	v_div_fixup_f64 v[38:39], v[42:43], v[54:55], v[48:49]
	v_add_f64 v[40:41], v[46:47], v[13:14]
	v_mul_f64 v[42:43], v[38:39], v[38:39]
	v_mul_f64 v[44:45], v[40:41], v[40:41]
	v_fma_f64 v[48:49], v[42:43], s[56:57], v[21:22]
	v_fma_f64 v[50:51], v[44:45], s[34:35], v[19:20]
	v_mul_f64 v[52:53], v[40:41], v[44:45]
	v_fma_f64 v[48:49], v[42:43], v[48:49], s[54:55]
	v_cmp_class_f64_e64 s[54:55], v[5:6], s63
	v_ashrrev_i32_e32 v5, 31, v6
	v_and_b32_e32 v35, 0x54442d18, v5
	v_fma_f64 v[50:51], v[44:45], v[50:51], s[36:37]
	v_fma_f64 v[48:49], v[42:43], v[48:49], s[12:13]
	s_mov_b32 s12, 0xa595c56f
	s_mov_b32 s13, 0x3f7d6d43
	v_fma_f64 v[50:51], v[44:45], v[50:51], s[38:39]
	v_fma_f64 v[48:49], v[42:43], v[48:49], s[12:13]
	s_mov_b32 s12, 0xa57d9582
	s_mov_b32 s13, 0xbf8c6ea4
	;; [unrolled: 4-line block ×4, first 2 shown]
	v_fma_f64 v[44:45], v[44:45], v[50:51], s[30:31]
	v_ldexp_f64 v[50:51], v[40:41], 1
	v_fma_f64 v[48:49], v[42:43], v[48:49], s[12:13]
	s_mov_b32 s12, 0x5711927a
	s_mov_b32 s13, 0x3fa2c15b
	v_add_f64 v[40:41], v[40:41], -v[46:47]
	v_mul_f64 v[44:45], v[52:53], v[44:45]
	v_cvt_f64_i32_e32 v[52:53], v15
	v_fma_f64 v[48:49], v[42:43], v[48:49], s[12:13]
	v_cmp_eq_f64_e64 s[12:13], 0, v[7:8]
	v_cndmask_b32_e32 v15, v66, v67, vcc
	v_mul_f64 v[54:55], v[52:53], s[44:45]
	v_add_f64 v[13:14], v[13:14], -v[40:41]
	v_add_f64 v[46:47], v[50:51], v[44:45]
	v_fma_f64 v[48:49], v[42:43], v[48:49], s[64:65]
	v_ldexp_f64 v[13:14], v[13:14], 1
	v_add_f64 v[40:41], v[46:47], -v[50:51]
	v_fma_f64 v[50:51], v[52:53], s[44:45], -v[54:55]
	v_fma_f64 v[48:49], v[42:43], v[48:49], s[66:67]
	v_add_f64 v[40:41], v[44:45], -v[40:41]
	v_fma_f64 v[44:45], v[42:43], v[48:49], s[68:69]
	v_fma_f64 v[48:49], v[52:53], s[46:47], v[50:51]
	v_add_f64 v[13:14], v[13:14], v[40:41]
	v_fma_f64 v[40:41], v[42:43], v[44:45], s[70:71]
	v_add_f64 v[44:45], v[54:55], v[48:49]
	v_add_f64 v[50:51], v[46:47], v[13:14]
	v_fma_f64 v[40:41], v[42:43], v[40:41], s[72:73]
	v_add_f64 v[54:55], v[44:45], -v[54:55]
	v_add_f64 v[52:53], v[44:45], v[50:51]
	v_add_f64 v[46:47], v[50:51], -v[46:47]
	v_fma_f64 v[40:41], v[42:43], v[40:41], s[74:75]
	v_add_f64 v[48:49], v[48:49], -v[54:55]
	v_add_f64 v[56:57], v[52:53], -v[44:45]
	;; [unrolled: 1-line block ×3, first 2 shown]
	v_fma_f64 v[40:41], v[42:43], v[40:41], s[76:77]
	v_add_f64 v[58:59], v[52:53], -v[56:57]
	v_add_f64 v[46:47], v[50:51], -v[56:57]
	v_fma_f64 v[40:41], v[42:43], v[40:41], s[78:79]
	v_add_f64 v[50:51], v[48:49], v[13:14]
	v_add_f64 v[44:45], v[44:45], -v[58:59]
	v_fma_f64 v[40:41], v[42:43], v[40:41], s[80:81]
	v_add_f64 v[44:45], v[46:47], v[44:45]
	;; [unrolled: 3-line block ×3, first 2 shown]
	v_add_f64 v[50:51], v[50:51], -v[46:47]
	v_fma_f64 v[40:41], v[42:43], v[40:41], s[84:85]
	v_add_f64 v[13:14], v[13:14], -v[46:47]
	v_add_f64 v[54:55], v[52:53], v[44:45]
	v_mul_f64 v[40:41], v[42:43], v[40:41]
	v_add_f64 v[42:43], v[48:49], -v[50:51]
	v_add_f64 v[46:47], v[54:55], -v[52:53]
	v_fma_f64 v[38:39], v[38:39], v[40:41], v[38:39]
	v_add_f64 v[13:14], v[13:14], v[42:43]
	v_add_f64 v[40:41], v[44:45], -v[46:47]
	v_add_f64 v[42:43], -v[38:39], s[90:91]
	v_add_f64 v[13:14], v[13:14], v[40:41]
	v_cndmask_b32_e64 v39, v39, v43, s[10:11]
	v_cndmask_b32_e64 v38, v38, v42, s[10:11]
	v_add_f64 v[40:41], -v[38:39], s[86:87]
	v_add_f64 v[13:14], v[54:55], v[13:14]
	v_cndmask_b32_e32 v38, v38, v40, vcc
	v_and_b32_e32 v40, 0x400921fb, v5
	v_mul_f64 v[5:6], v[13:14], 0.5
	v_cndmask_b32_e32 v14, v39, v41, vcc
	v_bfi_b32 v13, s62, v18, v8
	v_cndmask_b32_e64 v18, v38, v35, s[12:13]
	v_cndmask_b32_e64 v14, v14, v40, s[12:13]
	s_and_b64 s[12:13], s[14:15], s[16:17]
	s_and_b64 vcc, s[52:53], s[54:55]
	s_mov_b32 s54, 0x69efb384
	v_cndmask_b32_e64 v35, 0, v5, s[12:13]
	v_cmp_ngt_f64_e64 s[12:13], -1.0, v[36:37]
	v_cndmask_b32_e64 v6, v63, v6, s[16:17]
	s_mov_b32 s55, 0x3f4b2bb0
	v_cndmask_b32_e32 v14, v14, v13, vcc
	v_cndmask_b32_e32 v13, v18, v15, vcc
                                        ; implicit-def: $vgpr39_vgpr40
                                        ; implicit-def: $vgpr41_vgpr42
	v_cndmask_b32_e64 v5, v64, v6, s[12:13]
	v_cmp_neq_f64_e64 s[12:13], -1.0, v[36:37]
	v_cndmask_b32_e64 v36, v65, v5, s[12:13]
.LBB185_52:                             ;   in Loop: Header=BB185_4 Depth=1
	s_andn2_saveexec_b64 s[50:51], s[50:51]
	s_cbranch_execz .LBB185_60
; %bb.53:                               ;   in Loop: Header=BB185_4 Depth=1
	v_mul_f64 v[13:14], v[39:40], v[39:40]
	s_mov_b32 s12, 0x66666666
	s_mov_b32 s13, 0x3fe66666
                                        ; implicit-def: $vgpr35_vgpr36
	v_fma_f64 v[37:38], v[41:42], v[41:42], v[13:14]
                                        ; implicit-def: $vgpr13_vgpr14
	v_cmp_ge_f64_e32 vcc, s[12:13], v[37:38]
	s_and_saveexec_b64 s[12:13], vcc
	s_xor_b64 s[16:17], exec, s[12:13]
	s_cbranch_execz .LBB185_55
; %bb.54:                               ;   in Loop: Header=BB185_4 Depth=1
	v_frexp_mant_f64_e32 v[13:14], v[37:38]
	v_max_f64 v[43:44], |v[7:8]|, |v[7:8]|
	v_max_f64 v[45:46], |v[5:6]|, |v[5:6]|
	s_mov_b32 s31, s27
	s_mov_b32 s86, s90
	v_cmp_class_f64_e64 s[52:53], v[7:8], s63
	v_cmp_gt_f64_e64 s[12:13], s[26:27], v[13:14]
	v_cndmask_b32_e64 v15, 0, 1, s[12:13]
	v_ldexp_f64 v[13:14], v[13:14], v15
	v_frexp_exp_i32_f64_e32 v15, v[37:38]
	v_add_f64 v[35:36], v[13:14], 1.0
	v_add_f64 v[49:50], v[13:14], -1.0
	v_rcp_f64_e32 v[39:40], v[35:36]
	v_add_f64 v[53:54], v[35:36], -1.0
	v_add_f64 v[13:14], v[13:14], -v[53:54]
	v_fma_f64 v[41:42], -v[35:36], v[39:40], 1.0
	v_fma_f64 v[39:40], v[41:42], v[39:40], v[39:40]
	v_max_f64 v[41:42], v[45:46], v[43:44]
	v_min_f64 v[43:44], v[45:46], v[43:44]
	v_fma_f64 v[45:46], -v[35:36], v[39:40], 1.0
	v_div_scale_f64 v[47:48], s[14:15], v[41:42], v[41:42], v[43:44]
	s_mov_b32 s14, 0xaf56de9b
	s_mov_b32 s15, 0xbf67952d
	v_fma_f64 v[39:40], v[45:46], v[39:40], v[39:40]
	v_mul_f64 v[45:46], v[49:50], v[39:40]
	v_rcp_f64_e32 v[51:52], v[47:48]
	v_mul_f64 v[55:56], v[35:36], v[45:46]
	v_fma_f64 v[35:36], v[45:46], v[35:36], -v[55:56]
	v_fma_f64 v[53:54], -v[47:48], v[51:52], 1.0
	v_fma_f64 v[13:14], v[45:46], v[13:14], v[35:36]
	v_fma_f64 v[35:36], v[51:52], v[53:54], v[51:52]
	v_div_scale_f64 v[53:54], vcc, v[43:44], v[41:42], v[43:44]
	v_add_f64 v[51:52], v[55:56], v[13:14]
	v_fma_f64 v[57:58], -v[47:48], v[35:36], 1.0
	v_add_f64 v[59:60], v[49:50], -v[51:52]
	v_add_f64 v[55:56], v[51:52], -v[55:56]
	v_fma_f64 v[35:36], v[35:36], v[57:58], v[35:36]
	v_add_f64 v[49:50], v[49:50], -v[59:60]
	v_add_f64 v[13:14], v[55:56], -v[13:14]
	v_mul_f64 v[57:58], v[53:54], v[35:36]
	v_add_f64 v[49:50], v[49:50], -v[51:52]
	v_fma_f64 v[47:48], -v[47:48], v[57:58], v[53:54]
	v_add_f64 v[13:14], v[13:14], v[49:50]
	v_div_fmas_f64 v[35:36], v[47:48], v[35:36], v[57:58]
	v_subbrev_co_u32_e64 v15, vcc, 0, v15, s[12:13]
	v_cmp_eq_f64_e64 s[12:13], 0, v[7:8]
	v_cmp_gt_i32_e32 vcc, 0, v6
	v_add_f64 v[13:14], v[59:60], v[13:14]
	v_mul_f64 v[13:14], v[39:40], v[13:14]
	v_div_fixup_f64 v[35:36], v[35:36], v[41:42], v[43:44]
	v_add_f64 v[39:40], v[45:46], v[13:14]
	v_mul_f64 v[41:42], v[35:36], v[35:36]
	v_mul_f64 v[43:44], v[39:40], v[39:40]
	v_fma_f64 v[47:48], v[41:42], s[56:57], v[21:22]
	v_fma_f64 v[49:50], v[43:44], s[34:35], v[19:20]
	v_mul_f64 v[51:52], v[39:40], v[43:44]
	v_fma_f64 v[47:48], v[41:42], v[47:48], s[54:55]
	v_cmp_class_f64_e64 s[54:55], v[5:6], s63
	v_ashrrev_i32_e32 v5, 31, v6
	v_and_b32_e32 v18, 0x54442d18, v5
	v_fma_f64 v[49:50], v[43:44], v[49:50], s[36:37]
	v_fma_f64 v[47:48], v[41:42], v[47:48], s[14:15]
	s_mov_b32 s14, 0xa595c56f
	s_mov_b32 s15, 0x3f7d6d43
	v_fma_f64 v[49:50], v[43:44], v[49:50], s[38:39]
	v_fma_f64 v[47:48], v[41:42], v[47:48], s[14:15]
	s_mov_b32 s14, 0xa57d9582
	s_mov_b32 s15, 0xbf8c6ea4
	;; [unrolled: 4-line block ×4, first 2 shown]
	v_fma_f64 v[43:44], v[43:44], v[49:50], s[30:31]
	v_ldexp_f64 v[49:50], v[39:40], 1
	v_fma_f64 v[47:48], v[41:42], v[47:48], s[14:15]
	s_mov_b32 s14, 0x5711927a
	s_mov_b32 s15, 0x3fa2c15b
	v_add_f64 v[39:40], v[39:40], -v[45:46]
	v_mul_f64 v[43:44], v[51:52], v[43:44]
	v_cvt_f64_i32_e32 v[51:52], v15
	v_fma_f64 v[47:48], v[41:42], v[47:48], s[14:15]
	v_cmp_neq_f64_e64 s[14:15], 0, v[37:38]
	v_cndmask_b32_e32 v15, v66, v67, vcc
	v_mul_f64 v[53:54], v[51:52], s[44:45]
	v_add_f64 v[13:14], v[13:14], -v[39:40]
	v_add_f64 v[45:46], v[49:50], v[43:44]
	v_fma_f64 v[47:48], v[41:42], v[47:48], s[64:65]
	v_ldexp_f64 v[13:14], v[13:14], 1
	v_add_f64 v[39:40], v[45:46], -v[49:50]
	v_fma_f64 v[49:50], v[51:52], s[44:45], -v[53:54]
	v_fma_f64 v[47:48], v[41:42], v[47:48], s[66:67]
	v_add_f64 v[39:40], v[43:44], -v[39:40]
	v_fma_f64 v[43:44], v[41:42], v[47:48], s[68:69]
	v_fma_f64 v[47:48], v[51:52], s[46:47], v[49:50]
	v_add_f64 v[13:14], v[13:14], v[39:40]
	v_fma_f64 v[39:40], v[41:42], v[43:44], s[70:71]
	v_add_f64 v[43:44], v[53:54], v[47:48]
	v_add_f64 v[49:50], v[45:46], v[13:14]
	v_fma_f64 v[39:40], v[41:42], v[39:40], s[72:73]
	v_add_f64 v[53:54], v[43:44], -v[53:54]
	v_add_f64 v[51:52], v[43:44], v[49:50]
	v_add_f64 v[45:46], v[49:50], -v[45:46]
	v_fma_f64 v[39:40], v[41:42], v[39:40], s[74:75]
	v_add_f64 v[47:48], v[47:48], -v[53:54]
	v_add_f64 v[55:56], v[51:52], -v[43:44]
	;; [unrolled: 1-line block ×3, first 2 shown]
	v_fma_f64 v[39:40], v[41:42], v[39:40], s[76:77]
	v_add_f64 v[57:58], v[51:52], -v[55:56]
	v_add_f64 v[45:46], v[49:50], -v[55:56]
	v_fma_f64 v[39:40], v[41:42], v[39:40], s[78:79]
	v_add_f64 v[49:50], v[47:48], v[13:14]
	v_add_f64 v[43:44], v[43:44], -v[57:58]
	v_fma_f64 v[39:40], v[41:42], v[39:40], s[80:81]
	v_add_f64 v[43:44], v[45:46], v[43:44]
	;; [unrolled: 3-line block ×3, first 2 shown]
	v_add_f64 v[49:50], v[49:50], -v[45:46]
	v_fma_f64 v[39:40], v[41:42], v[39:40], s[84:85]
	v_add_f64 v[13:14], v[13:14], -v[45:46]
	v_add_f64 v[53:54], v[51:52], v[43:44]
	v_mul_f64 v[39:40], v[41:42], v[39:40]
	v_add_f64 v[41:42], v[47:48], -v[49:50]
	v_add_f64 v[45:46], v[53:54], -v[51:52]
	v_fma_f64 v[35:36], v[35:36], v[39:40], v[35:36]
	v_add_f64 v[13:14], v[13:14], v[41:42]
	v_add_f64 v[39:40], v[43:44], -v[45:46]
	v_add_f64 v[41:42], -v[35:36], s[90:91]
	v_add_f64 v[13:14], v[13:14], v[39:40]
	v_cndmask_b32_e64 v36, v36, v42, s[10:11]
	v_cndmask_b32_e64 v35, v35, v41, s[10:11]
	v_add_f64 v[39:40], -v[35:36], s[86:87]
	v_and_b32_e32 v41, 0x400921fb, v5
	v_add_f64 v[13:14], v[53:54], v[13:14]
	v_cndmask_b32_e32 v35, v35, v39, vcc
	v_cndmask_b32_e32 v39, v68, v69, vcc
	v_cndmask_b32_e64 v18, v35, v18, s[12:13]
	v_mul_f64 v[5:6], v[13:14], 0.5
	v_cndmask_b32_e32 v14, v36, v40, vcc
	v_bfi_b32 v13, s62, v39, v8
	v_cndmask_b32_e64 v14, v14, v41, s[12:13]
	s_and_b64 vcc, s[52:53], s[54:55]
	s_mov_b32 s54, 0x69efb384
	s_mov_b32 s55, 0x3f4b2bb0
	v_cndmask_b32_e32 v14, v14, v13, vcc
	v_cndmask_b32_e64 v36, v65, v6, s[14:15]
	v_cndmask_b32_e64 v35, 0, v5, s[14:15]
	v_cndmask_b32_e32 v13, v18, v15, vcc
                                        ; implicit-def: $vgpr41_vgpr42
                                        ; implicit-def: $vgpr39_vgpr40
.LBB185_55:                             ;   in Loop: Header=BB185_4 Depth=1
	s_andn2_saveexec_b64 s[52:53], s[16:17]
	s_cbranch_execz .LBB185_59
; %bb.56:                               ;   in Loop: Header=BB185_4 Depth=1
	v_and_b32_e32 v18, 0x7ffffff8, v42
	v_and_b32_e32 v36, 0x7ffffff8, v40
	v_mov_b32_e32 v35, v17
	v_add_f64 v[13:14], v[41:42], -v[17:18]
	v_add_f64 v[37:38], v[39:40], -v[35:36]
	v_mov_b32_e32 v41, v17
	v_mov_b32_e32 v49, v17
	v_add_f64 v[45:46], v[17:18], v[17:18]
	v_add_f64 v[47:48], v[35:36], v[35:36]
	v_mul_f64 v[35:36], v[35:36], v[35:36]
	s_mov_b64 s[54:55], 0
	v_and_b32_e32 v42, -8, v14
	v_and_b32_e32 v50, -8, v38
	v_add_f64 v[55:56], v[13:14], -v[41:42]
	v_add_f64 v[57:58], v[37:38], -v[49:50]
	v_add_f64 v[59:60], v[41:42], v[41:42]
	v_add_f64 v[61:62], v[49:50], v[49:50]
	v_mul_f64 v[13:14], v[17:18], v[17:18]
	v_mul_f64 v[39:40], v[45:46], v[41:42]
	;; [unrolled: 1-line block ×11, first 2 shown]
.LBB185_57:                             ;   Parent Loop BB185_4 Depth=1
                                        ; =>  This Inner Loop Header: Depth=2
	v_cmp_nlt_f64_e32 vcc, v[13:14], v[35:36]
	v_cndmask_b32_e32 v58, v14, v36, vcc
	v_cndmask_b32_e32 v57, v13, v35, vcc
	v_cmp_nlt_f64_e64 s[12:13], v[57:58], v[39:40]
	v_cndmask_b32_e32 v14, v36, v14, vcc
	v_cndmask_b32_e32 v13, v35, v13, vcc
	v_cndmask_b32_e64 v60, v58, v40, s[12:13]
	v_cndmask_b32_e64 v59, v57, v39, s[12:13]
	v_cmp_nlt_f64_e64 s[14:15], v[59:60], v[37:38]
	v_cndmask_b32_e64 v36, v40, v58, s[12:13]
	v_cndmask_b32_e64 v35, v39, v57, s[12:13]
	s_and_b64 s[56:57], vcc, s[12:13]
	v_cndmask_b32_e64 v62, v60, v38, s[14:15]
	v_cndmask_b32_e64 v61, v59, v37, s[14:15]
	v_cmp_nlt_f64_e64 s[16:17], v[61:62], v[43:44]
	v_cndmask_b32_e64 v40, v38, v60, s[14:15]
	v_cndmask_b32_e64 v39, v37, v59, s[14:15]
	;; [unrolled: 1-line block ×4, first 2 shown]
	v_cmp_nlt_f64_e32 vcc, v[57:58], v[49:50]
	v_cndmask_b32_e64 v38, v44, v62, s[16:17]
	v_cndmask_b32_e64 v37, v43, v61, s[16:17]
	s_and_b64 s[16:17], s[14:15], s[16:17]
	v_cndmask_b32_e32 v60, v58, v50, vcc
	v_cndmask_b32_e32 v59, v57, v49, vcc
	v_cmp_nlt_f64_e64 s[12:13], v[59:60], v[53:54]
	v_cndmask_b32_e32 v44, v50, v58, vcc
	v_cndmask_b32_e32 v43, v49, v57, vcc
	v_cndmask_b32_e64 v58, v60, v54, s[12:13]
	v_cndmask_b32_e64 v57, v59, v53, s[12:13]
	v_cmp_nlt_f64_e64 s[14:15], v[57:58], v[51:52]
	v_cndmask_b32_e64 v50, v54, v60, s[12:13]
	v_cndmask_b32_e64 v49, v53, v59, s[12:13]
	s_and_b64 s[12:13], vcc, s[12:13]
	v_cndmask_b32_e64 v60, v58, v52, s[14:15]
	v_cndmask_b32_e64 v59, v57, v51, s[14:15]
	v_cmp_nlt_f64_e32 vcc, v[59:60], v[47:48]
	v_cndmask_b32_e64 v54, v52, v58, s[14:15]
	v_cndmask_b32_e64 v53, v51, v57, s[14:15]
	s_and_b64 s[14:15], s[12:13], s[14:15]
	v_cndmask_b32_e32 v58, v60, v48, vcc
	v_cndmask_b32_e32 v57, v59, v47, vcc
	v_cmp_nlt_f64_e64 s[12:13], v[57:58], v[45:46]
	v_cndmask_b32_e32 v52, v48, v60, vcc
	v_cndmask_b32_e32 v51, v47, v59, vcc
	s_and_b64 s[14:15], s[14:15], vcc
	v_cndmask_b32_e64 v60, v58, v46, s[12:13]
	v_cndmask_b32_e64 v59, v57, v45, s[12:13]
	v_cmp_nlt_f64_e32 vcc, v[59:60], v[41:42]
	v_cndmask_b32_e64 v48, v46, v58, s[12:13]
	v_cndmask_b32_e64 v47, v45, v57, s[12:13]
	s_and_b64 s[14:15], s[14:15], s[12:13]
	v_cndmask_b32_e32 v62, v60, v42, vcc
	v_cndmask_b32_e32 v61, v59, v41, vcc
	v_cmp_nlt_f64_e64 s[12:13], v[61:62], v[55:56]
	s_and_b64 s[14:15], s[14:15], vcc
	v_cndmask_b32_e32 v46, v42, v60, vcc
	v_cndmask_b32_e32 v45, v41, v59, vcc
	v_cndmask_b32_e64 v58, v62, v56, s[12:13]
	v_cndmask_b32_e64 v57, v61, v55, s[12:13]
	;; [unrolled: 1-line block ×4, first 2 shown]
	s_and_b64 s[12:13], s[14:15], s[12:13]
	s_and_b64 s[12:13], s[12:13], s[16:17]
	;; [unrolled: 1-line block ×3, first 2 shown]
	s_and_b64 s[12:13], exec, s[12:13]
	v_mov_b32_e32 v55, v57
	s_or_b64 s[54:55], s[12:13], s[54:55]
	v_mov_b32_e32 v56, v58
	s_andn2_b64 exec, exec, s[54:55]
	s_cbranch_execnz .LBB185_57
; %bb.58:                               ;   in Loop: Header=BB185_4 Depth=1
	s_or_b64 exec, exec, s[54:55]
	v_add_f64 v[13:14], v[13:14], -1.0
	s_mov_b32 s31, s27
	s_mov_b32 s86, s90
	;; [unrolled: 1-line block ×4, first 2 shown]
	v_cmp_class_f64_e64 s[56:57], v[5:6], s63
	v_cmp_class_f64_e64 s[54:55], v[7:8], s63
	v_add_f64 v[13:14], v[13:14], v[35:36]
	v_add_f64 v[13:14], v[13:14], v[39:40]
	;; [unrolled: 1-line block ×11, first 2 shown]
	v_add_f64 v[14:15], v[36:37], 1.0
	v_cmp_nge_f64_e64 s[14:15], -1.0, v[36:37]
	v_cmp_neq_f64_e64 s[16:17], s[16:17], v[36:37]
	v_frexp_mant_f64_e32 v[40:41], v[14:15]
	v_frexp_exp_i32_f64_e32 v13, v[14:15]
	v_add_f64 v[38:39], v[14:15], -1.0
	v_cmp_gt_f64_e32 vcc, s[26:27], v[40:41]
	v_add_f64 v[42:43], v[38:39], -v[14:15]
	v_add_f64 v[38:39], v[36:37], -v[38:39]
	v_subbrev_co_u32_e32 v13, vcc, 0, v13, vcc
	v_sub_u32_e32 v18, 0, v13
	v_ldexp_f64 v[14:15], v[14:15], v18
	v_add_f64 v[40:41], v[42:43], 1.0
	v_add_f64 v[42:43], v[14:15], 1.0
	v_add_f64 v[38:39], v[38:39], v[40:41]
	v_add_f64 v[48:49], v[14:15], -1.0
	v_add_f64 v[40:41], v[42:43], -1.0
	v_ldexp_f64 v[38:39], v[38:39], v18
	v_add_f64 v[50:51], v[48:49], 1.0
	v_add_f64 v[40:41], v[14:15], -v[40:41]
	v_add_f64 v[14:15], v[14:15], -v[50:51]
	v_add_f64 v[40:41], v[38:39], v[40:41]
	v_add_f64 v[14:15], v[38:39], v[14:15]
	;; [unrolled: 1-line block ×4, first 2 shown]
	v_rcp_f64_e32 v[46:47], v[44:45]
	v_add_f64 v[42:43], v[44:45], -v[42:43]
	v_add_f64 v[48:49], v[50:51], -v[48:49]
	;; [unrolled: 1-line block ×4, first 2 shown]
	v_fma_f64 v[52:53], -v[44:45], v[46:47], 1.0
	v_fma_f64 v[46:47], v[52:53], v[46:47], v[46:47]
	v_fma_f64 v[38:39], -v[44:45], v[46:47], 1.0
	v_fma_f64 v[38:39], v[38:39], v[46:47], v[46:47]
	v_mul_f64 v[46:47], v[50:51], v[38:39]
	v_mul_f64 v[52:53], v[44:45], v[46:47]
	v_fma_f64 v[42:43], v[46:47], v[44:45], -v[52:53]
	v_fma_f64 v[42:43], v[46:47], v[40:41], v[42:43]
	v_add_f64 v[54:55], v[52:53], v[42:43]
	v_add_f64 v[56:57], v[50:51], -v[54:55]
	v_add_f64 v[48:49], v[54:55], -v[52:53]
	;; [unrolled: 1-line block ×4, first 2 shown]
	v_max_f64 v[48:49], |v[5:6]|, |v[5:6]|
	v_ashrrev_i32_e32 v5, 31, v6
	v_and_b32_e32 v35, 0x54442d18, v5
	v_add_f64 v[50:51], v[50:51], -v[54:55]
	v_add_f64 v[14:15], v[14:15], v[50:51]
	v_add_f64 v[14:15], v[42:43], v[14:15]
	v_max_f64 v[42:43], |v[7:8]|, |v[7:8]|
	v_add_f64 v[50:51], v[56:57], v[14:15]
	v_max_f64 v[52:53], v[48:49], v[42:43]
	v_min_f64 v[42:43], v[48:49], v[42:43]
	v_mul_f64 v[48:49], v[38:39], v[50:51]
	v_add_f64 v[56:57], v[56:57], -v[50:51]
	v_div_scale_f64 v[54:55], s[12:13], v[52:53], v[52:53], v[42:43]
	s_mov_b32 s12, 0xb5e68a13
	s_mov_b32 s13, 0x3eeba404
	v_mul_f64 v[58:59], v[44:45], v[48:49]
	v_add_f64 v[14:15], v[14:15], v[56:57]
	v_fma_f64 v[44:45], v[48:49], v[44:45], -v[58:59]
	v_rcp_f64_e32 v[60:61], v[54:55]
	v_fma_f64 v[40:41], v[48:49], v[40:41], v[44:45]
	v_add_f64 v[44:45], v[58:59], v[40:41]
	v_fma_f64 v[70:71], -v[54:55], v[60:61], 1.0
	v_add_f64 v[72:73], v[50:51], -v[44:45]
	v_add_f64 v[56:57], v[44:45], -v[58:59]
	v_fma_f64 v[60:61], v[60:61], v[70:71], v[60:61]
	v_div_scale_f64 v[70:71], vcc, v[42:43], v[52:53], v[42:43]
	v_add_f64 v[50:51], v[50:51], -v[72:73]
	v_add_f64 v[40:41], v[56:57], -v[40:41]
	v_fma_f64 v[74:75], -v[54:55], v[60:61], 1.0
	v_add_f64 v[56:57], v[46:47], v[48:49]
	v_add_f64 v[44:45], v[50:51], -v[44:45]
	v_fma_f64 v[50:51], v[60:61], v[74:75], v[60:61]
	v_add_f64 v[46:47], v[56:57], -v[46:47]
	v_add_f64 v[14:15], v[14:15], v[44:45]
	v_mul_f64 v[44:45], v[70:71], v[50:51]
	v_add_f64 v[14:15], v[40:41], v[14:15]
	v_fma_f64 v[40:41], -v[54:55], v[44:45], v[70:71]
	v_add_f64 v[14:15], v[72:73], v[14:15]
	v_div_fmas_f64 v[40:41], v[40:41], v[50:51], v[44:45]
	v_add_f64 v[44:45], v[48:49], -v[46:47]
	v_cmp_gt_i32_e32 vcc, 0, v6
	v_cndmask_b32_e32 v18, v68, v69, vcc
	v_mul_f64 v[14:15], v[38:39], v[14:15]
	v_add_f64 v[14:15], v[44:45], v[14:15]
	v_div_fixup_f64 v[38:39], v[40:41], v[52:53], v[42:43]
	v_cvt_f64_i32_e32 v[52:53], v13
	v_mul_f64 v[54:55], v[52:53], s[44:45]
	v_add_f64 v[40:41], v[56:57], v[14:15]
	v_mul_f64 v[42:43], v[38:39], v[38:39]
	v_mul_f64 v[44:45], v[40:41], v[40:41]
	v_fma_f64 v[46:47], v[42:43], s[12:13], v[21:22]
	s_mov_b32 s12, 0x69efb384
	s_mov_b32 s13, 0x3f4b2bb0
	v_fma_f64 v[48:49], v[44:45], s[34:35], v[19:20]
	v_mul_f64 v[50:51], v[40:41], v[44:45]
	v_fma_f64 v[46:47], v[42:43], v[46:47], s[12:13]
	s_mov_b32 s12, 0xaf56de9b
	s_mov_b32 s13, 0xbf67952d
	v_fma_f64 v[48:49], v[44:45], v[48:49], s[36:37]
	v_fma_f64 v[46:47], v[42:43], v[46:47], s[12:13]
	s_mov_b32 s12, 0xa595c56f
	s_mov_b32 s13, 0x3f7d6d43
	v_fma_f64 v[48:49], v[44:45], v[48:49], s[38:39]
	;; [unrolled: 4-line block ×5, first 2 shown]
	v_ldexp_f64 v[48:49], v[40:41], 1
	v_fma_f64 v[46:47], v[42:43], v[46:47], s[12:13]
	s_mov_b32 s12, 0x5711927a
	s_mov_b32 s13, 0x3fa2c15b
	v_add_f64 v[40:41], v[40:41], -v[56:57]
	v_mul_f64 v[44:45], v[50:51], v[44:45]
	v_fma_f64 v[46:47], v[42:43], v[46:47], s[12:13]
	v_cmp_eq_f64_e64 s[12:13], 0, v[7:8]
	v_add_f64 v[13:14], v[14:15], -v[40:41]
	v_cndmask_b32_e32 v15, v66, v67, vcc
	v_add_f64 v[50:51], v[48:49], v[44:45]
	v_fma_f64 v[46:47], v[42:43], v[46:47], s[64:65]
	v_ldexp_f64 v[13:14], v[13:14], 1
	v_add_f64 v[40:41], v[50:51], -v[48:49]
	v_fma_f64 v[48:49], v[52:53], s[44:45], -v[54:55]
	v_fma_f64 v[46:47], v[42:43], v[46:47], s[66:67]
	v_add_f64 v[40:41], v[44:45], -v[40:41]
	v_fma_f64 v[44:45], v[42:43], v[46:47], s[68:69]
	v_fma_f64 v[46:47], v[52:53], s[46:47], v[48:49]
	v_add_f64 v[13:14], v[13:14], v[40:41]
	v_fma_f64 v[40:41], v[42:43], v[44:45], s[70:71]
	v_add_f64 v[44:45], v[54:55], v[46:47]
	v_add_f64 v[48:49], v[50:51], v[13:14]
	v_fma_f64 v[40:41], v[42:43], v[40:41], s[72:73]
	v_add_f64 v[54:55], v[44:45], -v[54:55]
	v_add_f64 v[52:53], v[44:45], v[48:49]
	v_add_f64 v[50:51], v[48:49], -v[50:51]
	v_fma_f64 v[40:41], v[42:43], v[40:41], s[74:75]
	v_add_f64 v[46:47], v[46:47], -v[54:55]
	v_add_f64 v[56:57], v[52:53], -v[44:45]
	;; [unrolled: 1-line block ×3, first 2 shown]
	v_fma_f64 v[40:41], v[42:43], v[40:41], s[76:77]
	v_add_f64 v[58:59], v[52:53], -v[56:57]
	v_add_f64 v[48:49], v[48:49], -v[56:57]
	v_fma_f64 v[40:41], v[42:43], v[40:41], s[78:79]
	v_add_f64 v[50:51], v[46:47], v[13:14]
	v_add_f64 v[44:45], v[44:45], -v[58:59]
	v_fma_f64 v[40:41], v[42:43], v[40:41], s[80:81]
	v_add_f64 v[44:45], v[48:49], v[44:45]
	;; [unrolled: 3-line block ×3, first 2 shown]
	v_add_f64 v[50:51], v[50:51], -v[48:49]
	v_fma_f64 v[40:41], v[42:43], v[40:41], s[84:85]
	v_add_f64 v[13:14], v[13:14], -v[48:49]
	v_add_f64 v[54:55], v[52:53], v[44:45]
	v_mul_f64 v[40:41], v[42:43], v[40:41]
	v_add_f64 v[42:43], v[46:47], -v[50:51]
	v_add_f64 v[46:47], v[54:55], -v[52:53]
	v_fma_f64 v[38:39], v[38:39], v[40:41], v[38:39]
	v_add_f64 v[13:14], v[13:14], v[42:43]
	v_add_f64 v[40:41], v[44:45], -v[46:47]
	v_add_f64 v[42:43], -v[38:39], s[90:91]
	v_add_f64 v[13:14], v[13:14], v[40:41]
	v_cndmask_b32_e64 v39, v39, v43, s[10:11]
	v_cndmask_b32_e64 v38, v38, v42, s[10:11]
	v_add_f64 v[40:41], -v[38:39], s[86:87]
	v_add_f64 v[13:14], v[54:55], v[13:14]
	v_cndmask_b32_e32 v38, v38, v40, vcc
	v_and_b32_e32 v40, 0x400921fb, v5
	v_mul_f64 v[5:6], v[13:14], 0.5
	v_cndmask_b32_e32 v14, v39, v41, vcc
	v_bfi_b32 v13, s62, v18, v8
	v_cndmask_b32_e64 v18, v38, v35, s[12:13]
	v_cndmask_b32_e64 v14, v14, v40, s[12:13]
	s_and_b64 s[12:13], s[14:15], s[16:17]
	s_and_b64 vcc, s[54:55], s[56:57]
	s_mov_b32 s54, 0x69efb384
	v_cndmask_b32_e64 v35, 0, v5, s[12:13]
	v_cmp_ngt_f64_e64 s[12:13], -1.0, v[36:37]
	v_cndmask_b32_e64 v6, v63, v6, s[16:17]
	s_mov_b32 s56, 0xb5e68a13
	s_mov_b32 s55, 0x3f4b2bb0
	;; [unrolled: 1-line block ×3, first 2 shown]
	v_cndmask_b32_e32 v14, v14, v13, vcc
	v_cndmask_b32_e32 v13, v18, v15, vcc
	v_cndmask_b32_e64 v5, v64, v6, s[12:13]
	v_cmp_neq_f64_e64 s[12:13], -1.0, v[36:37]
	v_cndmask_b32_e64 v36, v65, v5, s[12:13]
.LBB185_59:                             ;   in Loop: Header=BB185_4 Depth=1
	s_or_b64 exec, exec, s[52:53]
.LBB185_60:                             ;   in Loop: Header=BB185_4 Depth=1
	s_or_b64 exec, exec, s[50:51]
.LBB185_61:                             ;   in Loop: Header=BB185_4 Depth=1
	s_andn2_saveexec_b64 s[16:17], s[48:49]
	s_cbranch_execz .LBB185_63
; %bb.62:                               ;   in Loop: Header=BB185_4 Depth=1
	v_max_f64 v[13:14], |v[7:8]|, |v[7:8]|
	v_max_f64 v[38:39], |v[5:6]|, |v[5:6]|
	v_cmp_class_f64_e64 s[48:49], v[5:6], s63
	v_cmp_class_f64_e64 s[50:51], v[7:8], s63
	s_mov_b32 s31, s27
	s_mov_b32 s86, s90
	v_max_f64 v[40:41], v[38:39], v[13:14]
	v_min_f64 v[13:14], v[38:39], v[13:14]
	v_frexp_exp_i32_f64_e32 v15, v[40:41]
	v_sub_u32_e32 v18, 0, v15
	v_ldexp_f64 v[35:36], |v[7:8]|, v18
	v_ldexp_f64 v[42:43], |v[5:6]|, v18
	v_mul_f64 v[35:36], v[35:36], v[35:36]
	v_fma_f64 v[35:36], v[42:43], v[42:43], v[35:36]
	v_rsq_f64_e32 v[42:43], v[35:36]
	v_cmp_eq_f64_e32 vcc, 0, v[35:36]
	v_mul_f64 v[44:45], v[35:36], v[42:43]
	v_mul_f64 v[42:43], v[42:43], 0.5
	v_fma_f64 v[46:47], -v[42:43], v[44:45], 0.5
	v_fma_f64 v[44:45], v[44:45], v[46:47], v[44:45]
	v_fma_f64 v[42:43], v[42:43], v[46:47], v[42:43]
	v_fma_f64 v[46:47], -v[44:45], v[44:45], v[35:36]
	v_fma_f64 v[42:43], v[46:47], v[42:43], v[44:45]
	v_cndmask_b32_e32 v36, v43, v36, vcc
	v_cndmask_b32_e32 v35, v42, v35, vcc
	v_ldexp_f64 v[35:36], v[35:36], v15
	s_or_b64 vcc, s[50:51], s[48:49]
	v_cndmask_b32_e32 v37, v36, v63, vcc
	v_cndmask_b32_e64 v36, v35, 0, vcc
	v_frexp_mant_f64_e32 v[42:43], v[36:37]
	v_cmp_gt_f64_e64 s[12:13], s[26:27], v[42:43]
	v_cndmask_b32_e64 v5, 0, 1, s[12:13]
	v_ldexp_f64 v[42:43], v[42:43], v5
	v_frexp_exp_i32_f64_e32 v5, v[36:37]
	v_add_f64 v[44:45], v[42:43], 1.0
	v_add_f64 v[50:51], v[42:43], -1.0
	v_rcp_f64_e32 v[46:47], v[44:45]
	v_add_f64 v[54:55], v[44:45], -1.0
	v_add_f64 v[42:43], v[42:43], -v[54:55]
	v_fma_f64 v[48:49], -v[44:45], v[46:47], 1.0
	v_fma_f64 v[38:39], v[48:49], v[46:47], v[46:47]
	v_div_scale_f64 v[46:47], s[14:15], v[40:41], v[40:41], v[13:14]
	s_mov_b32 s14, 0xaf56de9b
	s_mov_b32 s15, 0xbf67952d
	v_fma_f64 v[48:49], -v[44:45], v[38:39], 1.0
	v_fma_f64 v[38:39], v[48:49], v[38:39], v[38:39]
	v_rcp_f64_e32 v[48:49], v[46:47]
	v_mul_f64 v[52:53], v[50:51], v[38:39]
	v_mul_f64 v[56:57], v[44:45], v[52:53]
	v_fma_f64 v[58:59], -v[46:47], v[48:49], 1.0
	v_fma_f64 v[44:45], v[52:53], v[44:45], -v[56:57]
	v_fma_f64 v[48:49], v[48:49], v[58:59], v[48:49]
	v_fma_f64 v[42:43], v[52:53], v[42:43], v[44:45]
	v_div_scale_f64 v[44:45], vcc, v[13:14], v[40:41], v[13:14]
	v_fma_f64 v[54:55], -v[46:47], v[48:49], 1.0
	v_add_f64 v[58:59], v[56:57], v[42:43]
	v_fma_f64 v[48:49], v[48:49], v[54:55], v[48:49]
	v_add_f64 v[54:55], v[50:51], -v[58:59]
	v_add_f64 v[56:57], v[58:59], -v[56:57]
	v_mul_f64 v[60:61], v[44:45], v[48:49]
	v_add_f64 v[50:51], v[50:51], -v[54:55]
	v_add_f64 v[42:43], v[56:57], -v[42:43]
	v_fma_f64 v[44:45], -v[46:47], v[60:61], v[44:45]
	v_add_f64 v[46:47], v[50:51], -v[58:59]
	v_div_fmas_f64 v[44:45], v[44:45], v[48:49], v[60:61]
	v_subbrev_co_u32_e64 v5, vcc, 0, v5, s[12:13]
	v_cmp_eq_f64_e64 s[12:13], 0, v[7:8]
	v_cmp_gt_i32_e32 vcc, 0, v6
	v_add_f64 v[42:43], v[42:43], v[46:47]
	v_cndmask_b32_e32 v35, v68, v69, vcc
	v_cndmask_b32_e32 v15, v66, v67, vcc
	v_bfi_b32 v35, s62, v35, v8
	v_add_f64 v[42:43], v[54:55], v[42:43]
	v_div_fixup_f64 v[13:14], v[44:45], v[40:41], v[13:14]
	v_mul_f64 v[38:39], v[38:39], v[42:43]
	v_mul_f64 v[40:41], v[13:14], v[13:14]
	v_add_f64 v[42:43], v[52:53], v[38:39]
	v_fma_f64 v[44:45], v[40:41], s[56:57], v[21:22]
	v_mul_f64 v[46:47], v[42:43], v[42:43]
	v_fma_f64 v[44:45], v[40:41], v[44:45], s[54:55]
	v_fma_f64 v[48:49], v[46:47], s[34:35], v[19:20]
	v_mul_f64 v[50:51], v[42:43], v[46:47]
	v_fma_f64 v[44:45], v[40:41], v[44:45], s[14:15]
	s_mov_b32 s14, 0xa595c56f
	s_mov_b32 s15, 0x3f7d6d43
	v_fma_f64 v[48:49], v[46:47], v[48:49], s[36:37]
	v_fma_f64 v[44:45], v[40:41], v[44:45], s[14:15]
	s_mov_b32 s14, 0xa57d9582
	s_mov_b32 s15, 0xbf8c6ea4
	v_fma_f64 v[48:49], v[46:47], v[48:49], s[38:39]
	v_fma_f64 v[44:45], v[40:41], v[44:45], s[14:15]
	s_mov_b32 s14, 0x5f08b19f
	s_mov_b32 s15, 0x3f967e29
	v_fma_f64 v[48:49], v[46:47], v[48:49], s[40:41]
	v_fma_f64 v[44:45], v[40:41], v[44:45], s[14:15]
	s_mov_b32 s14, 0xfc27006a
	s_mov_b32 s15, 0xbf9e9ae6
	v_fma_f64 v[48:49], v[46:47], v[48:49], s[42:43]
	v_fma_f64 v[44:45], v[40:41], v[44:45], s[14:15]
	s_mov_b32 s14, 0x5711927a
	s_mov_b32 s15, 0x3fa2c15b
	v_fma_f64 v[46:47], v[46:47], v[48:49], s[30:31]
	v_ldexp_f64 v[48:49], v[42:43], 1
	v_add_f64 v[42:43], v[42:43], -v[52:53]
	v_fma_f64 v[44:45], v[40:41], v[44:45], s[14:15]
	v_cvt_f64_i32_e32 v[52:53], v5
	v_ashrrev_i32_e32 v5, 31, v6
	v_and_b32_e32 v18, 0x54442d18, v5
	v_cmp_class_f64_e64 s[14:15], v[36:37], s63
	v_mul_f64 v[46:47], v[50:51], v[46:47]
	v_mul_f64 v[54:55], v[52:53], s[44:45]
	v_add_f64 v[38:39], v[38:39], -v[42:43]
	v_fma_f64 v[44:45], v[40:41], v[44:45], s[64:65]
	v_add_f64 v[50:51], v[48:49], v[46:47]
	v_ldexp_f64 v[38:39], v[38:39], 1
	v_fma_f64 v[44:45], v[40:41], v[44:45], s[66:67]
	v_add_f64 v[42:43], v[50:51], -v[48:49]
	v_fma_f64 v[48:49], v[52:53], s[44:45], -v[54:55]
	v_fma_f64 v[44:45], v[40:41], v[44:45], s[68:69]
	v_add_f64 v[42:43], v[46:47], -v[42:43]
	v_fma_f64 v[46:47], v[52:53], s[46:47], v[48:49]
	v_fma_f64 v[44:45], v[40:41], v[44:45], s[70:71]
	v_add_f64 v[38:39], v[38:39], v[42:43]
	v_fma_f64 v[42:43], v[40:41], v[44:45], s[72:73]
	v_add_f64 v[44:45], v[54:55], v[46:47]
	v_add_f64 v[48:49], v[50:51], v[38:39]
	v_fma_f64 v[42:43], v[40:41], v[42:43], s[74:75]
	v_add_f64 v[54:55], v[44:45], -v[54:55]
	v_add_f64 v[52:53], v[44:45], v[48:49]
	v_add_f64 v[50:51], v[48:49], -v[50:51]
	v_fma_f64 v[42:43], v[40:41], v[42:43], s[76:77]
	v_add_f64 v[46:47], v[46:47], -v[54:55]
	v_add_f64 v[56:57], v[52:53], -v[44:45]
	;; [unrolled: 1-line block ×3, first 2 shown]
	v_fma_f64 v[42:43], v[40:41], v[42:43], s[78:79]
	v_add_f64 v[58:59], v[52:53], -v[56:57]
	v_add_f64 v[48:49], v[48:49], -v[56:57]
	v_add_f64 v[50:51], v[46:47], v[38:39]
	v_fma_f64 v[42:43], v[40:41], v[42:43], s[80:81]
	v_add_f64 v[44:45], v[44:45], -v[58:59]
	v_fma_f64 v[42:43], v[40:41], v[42:43], s[82:83]
	v_add_f64 v[44:45], v[48:49], v[44:45]
	v_add_f64 v[48:49], v[50:51], -v[46:47]
	v_fma_f64 v[42:43], v[40:41], v[42:43], s[84:85]
	v_add_f64 v[44:45], v[50:51], v[44:45]
	v_add_f64 v[38:39], v[38:39], -v[48:49]
	v_mul_f64 v[40:41], v[40:41], v[42:43]
	v_add_f64 v[42:43], v[50:51], -v[48:49]
	v_add_f64 v[50:51], v[52:53], v[44:45]
	v_fma_f64 v[13:14], v[13:14], v[40:41], v[13:14]
	v_add_f64 v[40:41], v[46:47], -v[42:43]
	v_add_f64 v[42:43], v[50:51], -v[52:53]
	v_add_f64 v[46:47], -v[13:14], s[90:91]
	v_add_f64 v[38:39], v[38:39], v[40:41]
	v_add_f64 v[40:41], v[44:45], -v[42:43]
	v_cndmask_b32_e64 v14, v14, v47, s[10:11]
	v_cndmask_b32_e64 v13, v13, v46, s[10:11]
	v_add_f64 v[42:43], -v[13:14], s[86:87]
	v_add_f64 v[38:39], v[38:39], v[40:41]
	v_and_b32_e32 v40, 0x400921fb, v5
	v_cndmask_b32_e32 v13, v13, v42, vcc
	v_cndmask_b32_e32 v14, v14, v43, vcc
	v_cndmask_b32_e64 v13, v13, v18, s[12:13]
	v_add_f64 v[5:6], v[50:51], v[38:39]
	v_cndmask_b32_e64 v14, v14, v40, s[12:13]
	v_cmp_ngt_f64_e64 s[12:13], 0, v[36:37]
	s_and_b64 vcc, s[50:51], s[48:49]
	v_cndmask_b32_e32 v14, v14, v35, vcc
	v_cndmask_b32_e32 v13, v13, v15, vcc
	v_cndmask_b32_e64 v6, v6, v37, s[14:15]
	v_cndmask_b32_e64 v5, v5, v36, s[14:15]
	;; [unrolled: 1-line block ×3, first 2 shown]
	v_cmp_nge_f64_e64 s[12:13], 0, v[36:37]
	v_cndmask_b32_e64 v35, 0, v5, s[12:13]
	v_cmp_neq_f64_e64 s[12:13], 0, v[36:37]
	v_cndmask_b32_e64 v36, v65, v6, s[12:13]
.LBB185_63:                             ;   in Loop: Header=BB185_4 Depth=1
	s_or_b64 exec, exec, s[16:17]
                                        ; implicit-def: $vgpr39_vgpr40
.LBB185_64:                             ;   in Loop: Header=BB185_4 Depth=1
	s_andn2_saveexec_b64 s[16:17], s[24:25]
	s_cbranch_execz .LBB185_70
; %bb.65:                               ;   in Loop: Header=BB185_4 Depth=1
	s_mov_b32 s12, 0x6a3f9475
	s_mov_b32 s13, 0x20ca2fe7
	v_cmp_ngt_f64_e32 vcc, s[12:13], v[39:40]
                                        ; implicit-def: $vgpr35_vgpr36
                                        ; implicit-def: $vgpr13_vgpr14
	s_and_saveexec_b64 s[12:13], vcc
	s_xor_b64 s[24:25], exec, s[12:13]
	s_cbranch_execz .LBB185_67
; %bb.66:                               ;   in Loop: Header=BB185_4 Depth=1
	v_mul_f64 v[13:14], v[39:40], v[39:40]
	s_mov_b32 s31, s27
	s_mov_b32 s86, s90
	;; [unrolled: 1-line block ×3, first 2 shown]
	v_cmp_class_f64_e64 s[48:49], v[7:8], s63
	v_cmp_class_f64_e64 s[50:51], v[5:6], s63
	s_mov_b32 s15, 0x7ff00000
	v_add_f64 v[35:36], v[13:14], 1.0
	v_cmp_neq_f64_e64 s[14:15], s[14:15], v[13:14]
	v_frexp_mant_f64_e32 v[39:40], v[35:36]
	v_frexp_exp_i32_f64_e32 v15, v[35:36]
	v_add_f64 v[37:38], v[35:36], -1.0
	v_cmp_gt_f64_e32 vcc, s[26:27], v[39:40]
	v_add_f64 v[41:42], v[37:38], -v[35:36]
	v_add_f64 v[37:38], v[13:14], -v[37:38]
	v_subbrev_co_u32_e32 v15, vcc, 0, v15, vcc
	v_sub_u32_e32 v18, 0, v15
	v_ldexp_f64 v[35:36], v[35:36], v18
	v_add_f64 v[39:40], v[41:42], 1.0
	v_add_f64 v[41:42], v[35:36], 1.0
	v_add_f64 v[37:38], v[37:38], v[39:40]
	v_add_f64 v[47:48], v[35:36], -1.0
	v_add_f64 v[39:40], v[41:42], -1.0
	v_ldexp_f64 v[37:38], v[37:38], v18
	v_add_f64 v[49:50], v[47:48], 1.0
	v_add_f64 v[39:40], v[35:36], -v[39:40]
	v_add_f64 v[35:36], v[35:36], -v[49:50]
	v_add_f64 v[39:40], v[37:38], v[39:40]
	v_add_f64 v[35:36], v[37:38], v[35:36]
	;; [unrolled: 1-line block ×4, first 2 shown]
	v_rcp_f64_e32 v[45:46], v[43:44]
	v_add_f64 v[41:42], v[41:42], -v[43:44]
	v_add_f64 v[47:48], v[47:48], -v[49:50]
	v_add_f64 v[39:40], v[39:40], v[41:42]
	v_add_f64 v[35:36], v[35:36], v[47:48]
	v_fma_f64 v[51:52], -v[43:44], v[45:46], 1.0
	v_fma_f64 v[45:46], v[51:52], v[45:46], v[45:46]
	v_fma_f64 v[37:38], -v[43:44], v[45:46], 1.0
	v_fma_f64 v[37:38], v[37:38], v[45:46], v[45:46]
	v_mul_f64 v[45:46], v[49:50], v[37:38]
	v_mul_f64 v[51:52], v[43:44], v[45:46]
	v_fma_f64 v[41:42], v[45:46], v[43:44], -v[51:52]
	v_fma_f64 v[41:42], v[45:46], v[39:40], v[41:42]
	v_add_f64 v[53:54], v[51:52], v[41:42]
	v_add_f64 v[55:56], v[49:50], -v[53:54]
	v_add_f64 v[47:48], v[53:54], -v[51:52]
	;; [unrolled: 1-line block ×4, first 2 shown]
	v_max_f64 v[47:48], |v[5:6]|, |v[5:6]|
	v_ashrrev_i32_e32 v5, 31, v6
	v_and_b32_e32 v18, 0x54442d18, v5
	v_add_f64 v[49:50], v[49:50], -v[53:54]
	v_add_f64 v[35:36], v[35:36], v[49:50]
	v_add_f64 v[35:36], v[41:42], v[35:36]
	v_max_f64 v[41:42], |v[7:8]|, |v[7:8]|
	v_add_f64 v[49:50], v[55:56], v[35:36]
	v_max_f64 v[51:52], v[47:48], v[41:42]
	v_min_f64 v[41:42], v[47:48], v[41:42]
	v_mul_f64 v[47:48], v[37:38], v[49:50]
	v_add_f64 v[55:56], v[55:56], -v[49:50]
	v_div_scale_f64 v[53:54], s[12:13], v[51:52], v[51:52], v[41:42]
	s_mov_b32 s12, 0xaf56de9b
	s_mov_b32 s13, 0xbf67952d
	v_mul_f64 v[57:58], v[43:44], v[47:48]
	v_add_f64 v[35:36], v[35:36], v[55:56]
	v_fma_f64 v[43:44], v[47:48], v[43:44], -v[57:58]
	v_rcp_f64_e32 v[59:60], v[53:54]
	v_fma_f64 v[39:40], v[47:48], v[39:40], v[43:44]
	v_add_f64 v[43:44], v[57:58], v[39:40]
	v_fma_f64 v[61:62], -v[53:54], v[59:60], 1.0
	v_add_f64 v[70:71], v[49:50], -v[43:44]
	v_add_f64 v[55:56], v[43:44], -v[57:58]
	v_fma_f64 v[59:60], v[59:60], v[61:62], v[59:60]
	v_div_scale_f64 v[61:62], vcc, v[41:42], v[51:52], v[41:42]
	v_add_f64 v[49:50], v[49:50], -v[70:71]
	v_add_f64 v[39:40], v[55:56], -v[39:40]
	v_fma_f64 v[72:73], -v[53:54], v[59:60], 1.0
	v_add_f64 v[55:56], v[45:46], v[47:48]
	v_add_f64 v[43:44], v[49:50], -v[43:44]
	v_fma_f64 v[49:50], v[59:60], v[72:73], v[59:60]
	v_add_f64 v[45:46], v[55:56], -v[45:46]
	v_add_f64 v[35:36], v[35:36], v[43:44]
	v_mul_f64 v[43:44], v[61:62], v[49:50]
	v_add_f64 v[35:36], v[39:40], v[35:36]
	v_fma_f64 v[39:40], -v[53:54], v[43:44], v[61:62]
	v_add_f64 v[35:36], v[70:71], v[35:36]
	v_div_fmas_f64 v[39:40], v[39:40], v[49:50], v[43:44]
	v_add_f64 v[43:44], v[47:48], -v[45:46]
	v_cmp_gt_i32_e32 vcc, 0, v6
	v_mul_f64 v[35:36], v[37:38], v[35:36]
	v_add_f64 v[35:36], v[43:44], v[35:36]
	v_div_fixup_f64 v[37:38], v[39:40], v[51:52], v[41:42]
	v_cvt_f64_i32_e32 v[51:52], v15
	v_cndmask_b32_e32 v15, v66, v67, vcc
	v_mul_f64 v[53:54], v[51:52], s[44:45]
	v_add_f64 v[39:40], v[55:56], v[35:36]
	v_mul_f64 v[41:42], v[37:38], v[37:38]
	v_mul_f64 v[43:44], v[39:40], v[39:40]
	v_fma_f64 v[45:46], v[41:42], s[56:57], v[21:22]
	v_fma_f64 v[47:48], v[43:44], s[34:35], v[19:20]
	v_mul_f64 v[49:50], v[39:40], v[43:44]
	v_fma_f64 v[45:46], v[41:42], v[45:46], s[54:55]
	v_fma_f64 v[47:48], v[43:44], v[47:48], s[36:37]
	;; [unrolled: 1-line block ×3, first 2 shown]
	s_mov_b32 s12, 0xa595c56f
	s_mov_b32 s13, 0x3f7d6d43
	v_fma_f64 v[47:48], v[43:44], v[47:48], s[38:39]
	v_fma_f64 v[45:46], v[41:42], v[45:46], s[12:13]
	s_mov_b32 s12, 0xa57d9582
	s_mov_b32 s13, 0xbf8c6ea4
	v_fma_f64 v[47:48], v[43:44], v[47:48], s[40:41]
	v_fma_f64 v[45:46], v[41:42], v[45:46], s[12:13]
	;; [unrolled: 4-line block ×3, first 2 shown]
	s_mov_b32 s12, 0xfc27006a
	s_mov_b32 s13, 0xbf9e9ae6
	v_fma_f64 v[43:44], v[43:44], v[47:48], s[30:31]
	v_ldexp_f64 v[47:48], v[39:40], 1
	v_fma_f64 v[45:46], v[41:42], v[45:46], s[12:13]
	s_mov_b32 s12, 0x5711927a
	s_mov_b32 s13, 0x3fa2c15b
	v_add_f64 v[39:40], v[39:40], -v[55:56]
	v_mul_f64 v[43:44], v[49:50], v[43:44]
	v_fma_f64 v[45:46], v[41:42], v[45:46], s[12:13]
	v_cmp_eq_f64_e64 s[12:13], 0, v[7:8]
	v_add_f64 v[35:36], v[35:36], -v[39:40]
	v_add_f64 v[49:50], v[47:48], v[43:44]
	v_fma_f64 v[45:46], v[41:42], v[45:46], s[64:65]
	v_ldexp_f64 v[35:36], v[35:36], 1
	v_add_f64 v[39:40], v[49:50], -v[47:48]
	v_fma_f64 v[47:48], v[51:52], s[44:45], -v[53:54]
	v_fma_f64 v[45:46], v[41:42], v[45:46], s[66:67]
	v_add_f64 v[39:40], v[43:44], -v[39:40]
	v_fma_f64 v[43:44], v[41:42], v[45:46], s[68:69]
	v_fma_f64 v[45:46], v[51:52], s[46:47], v[47:48]
	v_add_f64 v[35:36], v[35:36], v[39:40]
	v_fma_f64 v[39:40], v[41:42], v[43:44], s[70:71]
	v_add_f64 v[43:44], v[53:54], v[45:46]
	v_add_f64 v[47:48], v[49:50], v[35:36]
	v_fma_f64 v[39:40], v[41:42], v[39:40], s[72:73]
	v_add_f64 v[53:54], v[43:44], -v[53:54]
	v_add_f64 v[51:52], v[43:44], v[47:48]
	v_add_f64 v[49:50], v[47:48], -v[49:50]
	v_fma_f64 v[39:40], v[41:42], v[39:40], s[74:75]
	v_add_f64 v[45:46], v[45:46], -v[53:54]
	v_add_f64 v[55:56], v[51:52], -v[43:44]
	;; [unrolled: 1-line block ×3, first 2 shown]
	v_fma_f64 v[39:40], v[41:42], v[39:40], s[76:77]
	v_add_f64 v[57:58], v[51:52], -v[55:56]
	v_add_f64 v[47:48], v[47:48], -v[55:56]
	v_fma_f64 v[39:40], v[41:42], v[39:40], s[78:79]
	v_add_f64 v[49:50], v[45:46], v[35:36]
	v_add_f64 v[43:44], v[43:44], -v[57:58]
	v_fma_f64 v[39:40], v[41:42], v[39:40], s[80:81]
	v_add_f64 v[43:44], v[47:48], v[43:44]
	v_add_f64 v[47:48], v[49:50], -v[45:46]
	v_fma_f64 v[39:40], v[41:42], v[39:40], s[82:83]
	v_add_f64 v[43:44], v[49:50], v[43:44]
	v_add_f64 v[49:50], v[49:50], -v[47:48]
	v_fma_f64 v[39:40], v[41:42], v[39:40], s[84:85]
	v_add_f64 v[35:36], v[35:36], -v[47:48]
	v_add_f64 v[53:54], v[51:52], v[43:44]
	v_mul_f64 v[39:40], v[41:42], v[39:40]
	v_add_f64 v[41:42], v[45:46], -v[49:50]
	v_add_f64 v[45:46], v[53:54], -v[51:52]
	v_fma_f64 v[37:38], v[37:38], v[39:40], v[37:38]
	v_add_f64 v[35:36], v[35:36], v[41:42]
	v_add_f64 v[39:40], v[43:44], -v[45:46]
	v_add_f64 v[41:42], -v[37:38], s[90:91]
	v_add_f64 v[35:36], v[35:36], v[39:40]
	v_cndmask_b32_e64 v38, v38, v42, s[10:11]
	v_cndmask_b32_e64 v37, v37, v41, s[10:11]
	v_add_f64 v[39:40], -v[37:38], s[86:87]
	v_and_b32_e32 v41, 0x400921fb, v5
	v_add_f64 v[35:36], v[53:54], v[35:36]
	v_cndmask_b32_e32 v37, v37, v39, vcc
	v_cndmask_b32_e32 v39, v68, v69, vcc
	;; [unrolled: 1-line block ×3, first 2 shown]
	v_bfi_b32 v13, s62, v39, v8
	v_mul_f64 v[5:6], v[35:36], 0.5
	v_cndmask_b32_e64 v18, v37, v18, s[12:13]
	v_cndmask_b32_e64 v14, v14, v41, s[12:13]
	s_and_b64 vcc, s[48:49], s[50:51]
	v_cndmask_b32_e32 v14, v14, v13, vcc
	v_cndmask_b32_e32 v13, v18, v15, vcc
                                        ; implicit-def: $vgpr39_vgpr40
	v_cndmask_b32_e64 v36, v63, v6, s[14:15]
	v_cndmask_b32_e64 v35, 0, v5, s[14:15]
.LBB185_67:                             ;   in Loop: Header=BB185_4 Depth=1
	s_andn2_saveexec_b64 s[14:15], s[24:25]
	s_cbranch_execz .LBB185_69
; %bb.68:                               ;   in Loop: Header=BB185_4 Depth=1
	v_max_f64 v[13:14], |v[7:8]|, |v[7:8]|
	v_max_f64 v[35:36], |v[5:6]|, |v[5:6]|
	s_mov_b32 s86, s90
	v_cmp_class_f64_e64 s[24:25], v[7:8], s63
	v_cmp_class_f64_e64 s[48:49], v[5:6], s63
	v_ashrrev_i32_e32 v15, 31, v6
	v_max_f64 v[37:38], v[35:36], v[13:14]
	v_min_f64 v[13:14], v[35:36], v[13:14]
	v_div_scale_f64 v[35:36], s[12:13], v[37:38], v[37:38], v[13:14]
	s_mov_b32 s12, 0xaf56de9b
	s_mov_b32 s13, 0xbf67952d
	v_rcp_f64_e32 v[41:42], v[35:36]
	v_fma_f64 v[43:44], -v[35:36], v[41:42], 1.0
	v_fma_f64 v[41:42], v[41:42], v[43:44], v[41:42]
	v_div_scale_f64 v[43:44], vcc, v[13:14], v[37:38], v[13:14]
	v_fma_f64 v[45:46], -v[35:36], v[41:42], 1.0
	v_fma_f64 v[41:42], v[41:42], v[45:46], v[41:42]
	v_mul_f64 v[45:46], v[43:44], v[41:42]
	v_fma_f64 v[35:36], -v[35:36], v[45:46], v[43:44]
	v_div_fmas_f64 v[35:36], v[35:36], v[41:42], v[45:46]
	v_mul_f64 v[41:42], v[39:40], 0.5
	v_cmp_gt_i32_e32 vcc, 0, v6
	v_cndmask_b32_e32 v5, v68, v69, vcc
	v_and_b32_e32 v6, 0x400921fb, v15
	v_cndmask_b32_e32 v18, v66, v67, vcc
	v_bfi_b32 v5, s62, v5, v8
	v_div_fixup_f64 v[13:14], v[35:36], v[37:38], v[13:14]
	v_mul_f64 v[35:36], v[13:14], v[13:14]
	v_fma_f64 v[37:38], v[35:36], s[56:57], v[21:22]
	v_fma_f64 v[37:38], v[35:36], v[37:38], s[54:55]
	;; [unrolled: 1-line block ×3, first 2 shown]
	s_mov_b32 s12, 0xa595c56f
	s_mov_b32 s13, 0x3f7d6d43
	v_fma_f64 v[37:38], v[35:36], v[37:38], s[12:13]
	s_mov_b32 s12, 0xa57d9582
	s_mov_b32 s13, 0xbf8c6ea4
	v_fma_f64 v[37:38], v[35:36], v[37:38], s[12:13]
	;; [unrolled: 3-line block ×5, first 2 shown]
	v_cmp_eq_f64_e64 s[12:13], 0, v[7:8]
	v_fma_f64 v[37:38], v[35:36], v[37:38], s[64:65]
	v_fma_f64 v[37:38], v[35:36], v[37:38], s[66:67]
	;; [unrolled: 1-line block ×11, first 2 shown]
	v_mul_f64 v[35:36], v[35:36], v[37:38]
	v_and_b32_e32 v38, 0x54442d18, v15
	v_fma_f64 v[13:14], v[13:14], v[35:36], v[13:14]
	v_add_f64 v[35:36], -v[13:14], s[90:91]
	v_cndmask_b32_e64 v14, v14, v36, s[10:11]
	v_cndmask_b32_e64 v13, v13, v35, s[10:11]
	v_add_f64 v[36:37], -v[13:14], s[86:87]
	v_cndmask_b32_e32 v13, v13, v36, vcc
	v_mul_f64 v[35:36], v[39:40], v[41:42]
	v_cndmask_b32_e32 v14, v14, v37, vcc
	v_cndmask_b32_e64 v13, v13, v38, s[12:13]
	v_cndmask_b32_e64 v6, v14, v6, s[12:13]
	s_and_b64 vcc, s[24:25], s[48:49]
	v_cndmask_b32_e32 v14, v6, v5, vcc
	v_cndmask_b32_e32 v13, v13, v18, vcc
.LBB185_69:                             ;   in Loop: Header=BB185_4 Depth=1
	s_or_b64 exec, exec, s[14:15]
.LBB185_70:                             ;   in Loop: Header=BB185_4 Depth=1
	s_or_b64 exec, exec, s[16:17]
.LBB185_71:                             ;   in Loop: Header=BB185_4 Depth=1
	s_andn2_saveexec_b64 s[14:15], s[18:19]
	s_cbranch_execz .LBB185_73
; %bb.72:                               ;   in Loop: Header=BB185_4 Depth=1
	v_div_scale_f64 v[13:14], s[12:13], s[92:93], s[92:93], v[5:6]
	v_div_scale_f64 v[35:36], s[12:13], s[92:93], s[92:93], v[7:8]
	;; [unrolled: 1-line block ×3, first 2 shown]
	s_mov_b32 s31, s27
	s_mov_b32 s86, s90
	v_cmp_class_f64_e64 s[18:19], v[5:6], s63
	v_rcp_f64_e32 v[37:38], v[13:14]
	v_rcp_f64_e32 v[39:40], v[35:36]
	v_fma_f64 v[41:42], -v[13:14], v[37:38], 1.0
	v_fma_f64 v[43:44], -v[35:36], v[39:40], 1.0
	v_fma_f64 v[37:38], v[37:38], v[41:42], v[37:38]
	v_div_scale_f64 v[41:42], vcc, v[5:6], s[92:93], v[5:6]
	v_fma_f64 v[39:40], v[39:40], v[43:44], v[39:40]
	v_fma_f64 v[43:44], -v[13:14], v[37:38], 1.0
	v_fma_f64 v[47:48], -v[35:36], v[39:40], 1.0
	v_fma_f64 v[37:38], v[37:38], v[43:44], v[37:38]
	v_fma_f64 v[39:40], v[39:40], v[47:48], v[39:40]
	v_mul_f64 v[43:44], v[41:42], v[37:38]
	v_mul_f64 v[47:48], v[45:46], v[39:40]
	v_fma_f64 v[13:14], -v[13:14], v[43:44], v[41:42]
	v_fma_f64 v[35:36], -v[35:36], v[47:48], v[45:46]
	v_div_fmas_f64 v[13:14], v[13:14], v[37:38], v[43:44]
	s_mov_b64 vcc, s[12:13]
	v_div_fmas_f64 v[35:36], v[35:36], v[39:40], v[47:48]
	v_max_f64 v[46:47], |v[5:6]|, |v[5:6]|
	v_div_fixup_f64 v[13:14], v[13:14], s[92:93], v[5:6]
	v_ashrrev_i32_e32 v5, 31, v6
	v_div_fixup_f64 v[35:36], v[35:36], s[92:93], v[7:8]
	v_cmp_class_f64_e64 s[12:13], v[13:14], s63
	v_max_f64 v[37:38], |v[13:14]|, |v[35:36]|
	v_cmp_class_f64_e64 s[16:17], v[35:36], s63
	v_frexp_exp_i32_f64_e32 v15, v[37:38]
	v_sub_u32_e32 v18, 0, v15
	v_ldexp_f64 v[37:38], |v[35:36]|, v18
	v_ldexp_f64 v[39:40], |v[13:14]|, v18
	v_mul_f64 v[37:38], v[37:38], v[37:38]
	v_fma_f64 v[37:38], v[39:40], v[39:40], v[37:38]
	v_rsq_f64_e32 v[39:40], v[37:38]
	v_cmp_eq_f64_e32 vcc, 0, v[37:38]
	v_mul_f64 v[41:42], v[37:38], v[39:40]
	v_mul_f64 v[39:40], v[39:40], 0.5
	v_fma_f64 v[43:44], -v[39:40], v[41:42], 0.5
	v_fma_f64 v[41:42], v[41:42], v[43:44], v[41:42]
	v_fma_f64 v[39:40], v[39:40], v[43:44], v[39:40]
	v_fma_f64 v[43:44], -v[41:42], v[41:42], v[37:38]
	v_fma_f64 v[39:40], v[43:44], v[39:40], v[41:42]
	v_max_f64 v[44:45], |v[7:8]|, |v[7:8]|
	v_cndmask_b32_e32 v38, v40, v38, vcc
	v_cndmask_b32_e32 v37, v39, v37, vcc
	v_ldexp_f64 v[37:38], v[37:38], v15
	v_cmp_o_f64_e32 vcc, v[13:14], v[35:36]
	v_and_b32_e32 v35, 0x54442d18, v5
	v_cndmask_b32_e32 v13, 0, v37, vcc
	v_cndmask_b32_e32 v14, v64, v38, vcc
	s_or_b64 vcc, s[16:17], s[12:13]
	v_cndmask_b32_e32 v37, v14, v63, vcc
	v_cndmask_b32_e64 v36, v13, 0, vcc
	v_frexp_mant_f64_e32 v[13:14], v[36:37]
	v_cmp_gt_f64_e64 s[12:13], s[26:27], v[13:14]
	v_cndmask_b32_e64 v15, 0, 1, s[12:13]
	v_ldexp_f64 v[13:14], v[13:14], v15
	v_frexp_exp_i32_f64_e32 v15, v[36:37]
	v_add_f64 v[38:39], v[13:14], 1.0
	v_add_f64 v[50:51], v[13:14], -1.0
	v_rcp_f64_e32 v[40:41], v[38:39]
	v_add_f64 v[54:55], v[38:39], -1.0
	v_add_f64 v[13:14], v[13:14], -v[54:55]
	v_fma_f64 v[42:43], -v[38:39], v[40:41], 1.0
	v_fma_f64 v[40:41], v[42:43], v[40:41], v[40:41]
	v_max_f64 v[42:43], v[46:47], v[44:45]
	v_min_f64 v[44:45], v[46:47], v[44:45]
	v_fma_f64 v[46:47], -v[38:39], v[40:41], 1.0
	v_div_scale_f64 v[48:49], s[16:17], v[42:43], v[42:43], v[44:45]
	s_mov_b32 s16, 0xaf56de9b
	s_mov_b32 s17, 0xbf67952d
	v_fma_f64 v[40:41], v[46:47], v[40:41], v[40:41]
	v_mul_f64 v[46:47], v[50:51], v[40:41]
	v_rcp_f64_e32 v[52:53], v[48:49]
	v_mul_f64 v[56:57], v[38:39], v[46:47]
	v_fma_f64 v[38:39], v[46:47], v[38:39], -v[56:57]
	v_fma_f64 v[54:55], -v[48:49], v[52:53], 1.0
	v_fma_f64 v[13:14], v[46:47], v[13:14], v[38:39]
	v_fma_f64 v[38:39], v[52:53], v[54:55], v[52:53]
	v_div_scale_f64 v[54:55], vcc, v[44:45], v[42:43], v[44:45]
	v_add_f64 v[52:53], v[56:57], v[13:14]
	v_fma_f64 v[58:59], -v[48:49], v[38:39], 1.0
	v_add_f64 v[60:61], v[50:51], -v[52:53]
	v_add_f64 v[56:57], v[52:53], -v[56:57]
	v_fma_f64 v[38:39], v[38:39], v[58:59], v[38:39]
	v_add_f64 v[50:51], v[50:51], -v[60:61]
	v_add_f64 v[13:14], v[56:57], -v[13:14]
	v_mul_f64 v[58:59], v[54:55], v[38:39]
	v_add_f64 v[50:51], v[50:51], -v[52:53]
	v_fma_f64 v[48:49], -v[48:49], v[58:59], v[54:55]
	v_add_f64 v[13:14], v[13:14], v[50:51]
	v_div_fmas_f64 v[38:39], v[48:49], v[38:39], v[58:59]
	v_subbrev_co_u32_e64 v15, vcc, 0, v15, s[12:13]
	v_cmp_class_f64_e64 vcc, v[36:37], s63
	v_cmp_eq_f64_e64 s[12:13], 0, v[7:8]
	v_add_f64 v[13:14], v[60:61], v[13:14]
	v_mul_f64 v[13:14], v[40:41], v[13:14]
	v_div_fixup_f64 v[38:39], v[38:39], v[42:43], v[44:45]
	v_add_f64 v[40:41], v[46:47], v[13:14]
	v_mul_f64 v[42:43], v[38:39], v[38:39]
	v_mul_f64 v[44:45], v[40:41], v[40:41]
	v_fma_f64 v[48:49], v[42:43], s[56:57], v[21:22]
	v_fma_f64 v[50:51], v[44:45], s[34:35], v[19:20]
	v_mul_f64 v[52:53], v[40:41], v[44:45]
	v_fma_f64 v[48:49], v[42:43], v[48:49], s[54:55]
	v_fma_f64 v[50:51], v[44:45], v[50:51], s[36:37]
	;; [unrolled: 1-line block ×3, first 2 shown]
	s_mov_b32 s16, 0xa595c56f
	s_mov_b32 s17, 0x3f7d6d43
	v_fma_f64 v[50:51], v[44:45], v[50:51], s[38:39]
	v_fma_f64 v[48:49], v[42:43], v[48:49], s[16:17]
	s_mov_b32 s16, 0xa57d9582
	s_mov_b32 s17, 0xbf8c6ea4
	v_fma_f64 v[50:51], v[44:45], v[50:51], s[40:41]
	v_fma_f64 v[48:49], v[42:43], v[48:49], s[16:17]
	;; [unrolled: 4-line block ×3, first 2 shown]
	s_mov_b32 s16, 0xfc27006a
	s_mov_b32 s17, 0xbf9e9ae6
	v_fma_f64 v[44:45], v[44:45], v[50:51], s[30:31]
	v_ldexp_f64 v[50:51], v[40:41], 1
	v_fma_f64 v[48:49], v[42:43], v[48:49], s[16:17]
	s_mov_b32 s16, 0x5711927a
	s_mov_b32 s17, 0x3fa2c15b
	v_add_f64 v[40:41], v[40:41], -v[46:47]
	v_mul_f64 v[44:45], v[52:53], v[44:45]
	v_cvt_f64_i32_e32 v[52:53], v15
	v_fma_f64 v[48:49], v[42:43], v[48:49], s[16:17]
	v_cmp_class_f64_e64 s[16:17], v[7:8], s63
	v_mul_f64 v[54:55], v[52:53], s[44:45]
	v_add_f64 v[13:14], v[13:14], -v[40:41]
	v_add_f64 v[46:47], v[50:51], v[44:45]
	v_fma_f64 v[48:49], v[42:43], v[48:49], s[64:65]
	v_ldexp_f64 v[13:14], v[13:14], 1
	v_add_f64 v[40:41], v[46:47], -v[50:51]
	v_fma_f64 v[50:51], v[52:53], s[44:45], -v[54:55]
	v_fma_f64 v[48:49], v[42:43], v[48:49], s[66:67]
	v_add_f64 v[40:41], v[44:45], -v[40:41]
	v_fma_f64 v[44:45], v[42:43], v[48:49], s[68:69]
	v_fma_f64 v[48:49], v[52:53], s[46:47], v[50:51]
	v_add_f64 v[13:14], v[13:14], v[40:41]
	v_fma_f64 v[40:41], v[42:43], v[44:45], s[70:71]
	v_add_f64 v[44:45], v[54:55], v[48:49]
	v_add_f64 v[50:51], v[46:47], v[13:14]
	v_fma_f64 v[40:41], v[42:43], v[40:41], s[72:73]
	v_add_f64 v[54:55], v[44:45], -v[54:55]
	v_add_f64 v[52:53], v[44:45], v[50:51]
	v_add_f64 v[46:47], v[50:51], -v[46:47]
	v_fma_f64 v[40:41], v[42:43], v[40:41], s[74:75]
	v_add_f64 v[48:49], v[48:49], -v[54:55]
	v_add_f64 v[56:57], v[52:53], -v[44:45]
	v_add_f64 v[13:14], v[13:14], -v[46:47]
	v_fma_f64 v[40:41], v[42:43], v[40:41], s[76:77]
	v_add_f64 v[58:59], v[52:53], -v[56:57]
	v_add_f64 v[46:47], v[50:51], -v[56:57]
	v_fma_f64 v[40:41], v[42:43], v[40:41], s[78:79]
	v_add_f64 v[50:51], v[48:49], v[13:14]
	v_add_f64 v[44:45], v[44:45], -v[58:59]
	v_fma_f64 v[40:41], v[42:43], v[40:41], s[80:81]
	v_add_f64 v[44:45], v[46:47], v[44:45]
	;; [unrolled: 3-line block ×3, first 2 shown]
	v_add_f64 v[50:51], v[50:51], -v[46:47]
	v_fma_f64 v[40:41], v[42:43], v[40:41], s[84:85]
	v_add_f64 v[13:14], v[13:14], -v[46:47]
	v_add_f64 v[54:55], v[52:53], v[44:45]
	v_mul_f64 v[40:41], v[42:43], v[40:41]
	v_add_f64 v[42:43], v[48:49], -v[50:51]
	v_add_f64 v[46:47], v[54:55], -v[52:53]
	v_fma_f64 v[38:39], v[38:39], v[40:41], v[38:39]
	v_add_f64 v[13:14], v[13:14], v[42:43]
	v_add_f64 v[40:41], v[44:45], -v[46:47]
	v_add_f64 v[42:43], -v[38:39], s[90:91]
	v_add_f64 v[13:14], v[13:14], v[40:41]
	v_cndmask_b32_e64 v39, v39, v43, s[10:11]
	v_cndmask_b32_e64 v38, v38, v42, s[10:11]
	v_add_f64 v[40:41], -v[38:39], s[86:87]
	v_cmp_gt_i32_e64 s[10:11], 0, v6
	v_cndmask_b32_e64 v15, v66, v67, s[10:11]
	v_cndmask_b32_e64 v18, v68, v69, s[10:11]
	v_add_f64 v[13:14], v[54:55], v[13:14]
	v_cndmask_b32_e64 v38, v38, v40, s[10:11]
	v_and_b32_e32 v40, 0x400921fb, v5
	v_cndmask_b32_e32 v6, v14, v37, vcc
	v_cndmask_b32_e32 v5, v13, v36, vcc
	v_add_f64 v[5:6], v[5:6], 1.0
	v_cndmask_b32_e64 v14, v39, v41, s[10:11]
	v_cmp_ngt_f64_e64 s[10:11], 0, v[36:37]
	v_bfi_b32 v13, s62, v18, v8
	v_cndmask_b32_e64 v18, v38, v35, s[12:13]
	v_cndmask_b32_e64 v14, v14, v40, s[12:13]
	s_and_b64 vcc, s[16:17], s[18:19]
	v_cndmask_b32_e32 v14, v14, v13, vcc
	v_cndmask_b32_e32 v13, v18, v15, vcc
	v_cndmask_b32_e64 v6, v64, v6, s[10:11]
	v_cmp_nge_f64_e64 s[10:11], 0, v[36:37]
	v_cndmask_b32_e64 v35, 0, v5, s[10:11]
	v_cmp_neq_f64_e64 s[10:11], 0, v[36:37]
	v_cndmask_b32_e64 v36, v65, v6, s[10:11]
.LBB185_73:                             ;   in Loop: Header=BB185_4 Depth=1
	s_or_b64 exec, exec, s[14:15]
.LBB185_74:                             ;   in Loop: Header=BB185_4 Depth=1
	s_andn2_saveexec_b64 s[4:5], s[4:5]
	s_cbranch_execz .LBB185_80
; %bb.75:                               ;   in Loop: Header=BB185_4 Depth=1
	v_cmp_nlt_f64_e64 s[10:11], |v[5:6]|, s[28:29]
	v_cmp_nlt_f64_e64 s[12:13], |v[7:8]|, s[28:29]
                                        ; implicit-def: $vgpr36_vgpr37
	s_or_b64 s[10:11], s[12:13], s[10:11]
	s_and_saveexec_b64 s[12:13], s[10:11]
	s_xor_b64 s[10:11], exec, s[12:13]
	s_cbranch_execz .LBB185_77
; %bb.76:                               ;   in Loop: Header=BB185_4 Depth=1
	v_mul_f64 v[5:6], v[5:6], v[5:6]
	v_fma_f64 v[36:37], v[7:8], v[7:8], v[5:6]
.LBB185_77:                             ;   in Loop: Header=BB185_4 Depth=1
	s_andn2_saveexec_b64 s[10:11], s[10:11]
	s_cbranch_execz .LBB185_79
; %bb.78:                               ;   in Loop: Header=BB185_4 Depth=1
	v_mul_f64 v[5:6], v[5:6], 4.0
	v_mul_f64 v[13:14], v[7:8], 4.0
	v_mul_f64 v[5:6], v[5:6], v[5:6]
	v_fma_f64 v[5:6], v[13:14], v[13:14], v[5:6]
	v_ldexp_f64 v[36:37], v[5:6], -4
.LBB185_79:                             ;   in Loop: Header=BB185_4 Depth=1
	s_or_b64 exec, exec, s[10:11]
	v_frexp_mant_f64_e32 v[5:6], v[36:37]
	s_mov_b32 s31, s27
	v_cmp_gt_f64_e32 vcc, s[26:27], v[5:6]
	v_cndmask_b32_e64 v7, 0, 1, vcc
	v_ldexp_f64 v[5:6], v[5:6], v7
	v_frexp_exp_i32_f64_e32 v7, v[36:37]
	v_add_f64 v[13:14], v[5:6], 1.0
	v_add_f64 v[42:43], v[5:6], -1.0
	v_subbrev_co_u32_e32 v7, vcc, 0, v7, vcc
	v_cmp_class_f64_e64 vcc, v[36:37], s63
	v_rcp_f64_e32 v[38:39], v[13:14]
	v_add_f64 v[44:45], v[13:14], -1.0
	v_add_f64 v[5:6], v[5:6], -v[44:45]
	v_fma_f64 v[40:41], -v[13:14], v[38:39], 1.0
	v_fma_f64 v[38:39], v[40:41], v[38:39], v[38:39]
	v_fma_f64 v[40:41], -v[13:14], v[38:39], 1.0
	v_fma_f64 v[38:39], v[40:41], v[38:39], v[38:39]
	v_mul_f64 v[40:41], v[42:43], v[38:39]
	v_mul_f64 v[46:47], v[13:14], v[40:41]
	v_fma_f64 v[13:14], v[40:41], v[13:14], -v[46:47]
	v_fma_f64 v[5:6], v[40:41], v[5:6], v[13:14]
	v_add_f64 v[13:14], v[46:47], v[5:6]
	v_add_f64 v[44:45], v[42:43], -v[13:14]
	v_add_f64 v[46:47], v[13:14], -v[46:47]
	v_add_f64 v[42:43], v[42:43], -v[44:45]
	v_add_f64 v[5:6], v[46:47], -v[5:6]
	v_add_f64 v[13:14], v[42:43], -v[13:14]
	v_add_f64 v[5:6], v[5:6], v[13:14]
	v_add_f64 v[5:6], v[44:45], v[5:6]
	v_mul_f64 v[5:6], v[38:39], v[5:6]
	v_add_f64 v[13:14], v[40:41], v[5:6]
	v_mul_f64 v[38:39], v[13:14], v[13:14]
	v_fma_f64 v[42:43], v[38:39], s[34:35], v[19:20]
	v_mul_f64 v[44:45], v[13:14], v[38:39]
	v_fma_f64 v[42:43], v[38:39], v[42:43], s[36:37]
	v_fma_f64 v[42:43], v[38:39], v[42:43], s[38:39]
	;; [unrolled: 1-line block ×5, first 2 shown]
	v_ldexp_f64 v[42:43], v[13:14], 1
	v_add_f64 v[13:14], v[13:14], -v[40:41]
	v_mul_f64 v[38:39], v[44:45], v[38:39]
	v_cvt_f64_i32_e32 v[44:45], v7
	v_add_f64 v[5:6], v[5:6], -v[13:14]
	v_mul_f64 v[46:47], v[44:45], s[44:45]
	v_add_f64 v[40:41], v[42:43], v[38:39]
	v_ldexp_f64 v[5:6], v[5:6], 1
	v_add_f64 v[13:14], v[40:41], -v[42:43]
	v_fma_f64 v[42:43], v[44:45], s[44:45], -v[46:47]
	v_add_f64 v[13:14], v[38:39], -v[13:14]
	v_fma_f64 v[38:39], v[44:45], s[46:47], v[42:43]
	v_add_f64 v[5:6], v[5:6], v[13:14]
	v_add_f64 v[13:14], v[46:47], v[38:39]
	;; [unrolled: 1-line block ×3, first 2 shown]
	v_add_f64 v[46:47], v[13:14], -v[46:47]
	v_add_f64 v[44:45], v[13:14], v[42:43]
	v_add_f64 v[40:41], v[42:43], -v[40:41]
	v_add_f64 v[38:39], v[38:39], -v[46:47]
	;; [unrolled: 1-line block ×6, first 2 shown]
	v_add_f64 v[42:43], v[38:39], v[5:6]
	v_add_f64 v[13:14], v[13:14], -v[50:51]
	v_add_f64 v[13:14], v[40:41], v[13:14]
	v_add_f64 v[40:41], v[42:43], -v[38:39]
	;; [unrolled: 2-line block ×3, first 2 shown]
	v_add_f64 v[5:6], v[5:6], -v[40:41]
	v_add_f64 v[46:47], v[44:45], v[13:14]
	v_add_f64 v[38:39], v[38:39], -v[42:43]
	v_add_f64 v[40:41], v[46:47], -v[44:45]
	v_add_f64 v[5:6], v[5:6], v[38:39]
	v_add_f64 v[13:14], v[13:14], -v[40:41]
	v_add_f64 v[5:6], v[5:6], v[13:14]
	v_mov_b32_e32 v13, 0
	v_mov_b32_e32 v14, 0x7ff80000
	v_add_f64 v[5:6], v[46:47], v[5:6]
	v_cndmask_b32_e32 v5, v5, v36, vcc
	v_cndmask_b32_e32 v6, v6, v37, vcc
	v_cmp_ngt_f64_e32 vcc, 0, v[36:37]
	v_cndmask_b32_e32 v6, v64, v6, vcc
	v_cmp_nge_f64_e32 vcc, 0, v[36:37]
	v_cndmask_b32_e32 v35, 0, v5, vcc
	v_cmp_neq_f64_e32 vcc, 0, v[36:37]
	v_cndmask_b32_e32 v36, v65, v6, vcc
.LBB185_80:                             ;   in Loop: Header=BB185_4 Depth=1
	s_or_b64 exec, exec, s[4:5]
	v_cmp_o_f64_e32 vcc, v[9:10], v[11:12]
                                        ; implicit-def: $vgpr37_vgpr38
                                        ; implicit-def: $vgpr5_vgpr6
	s_and_saveexec_b64 s[4:5], vcc
	s_xor_b64 s[4:5], exec, s[4:5]
	s_cbranch_execz .LBB185_108
; %bb.81:                               ;   in Loop: Header=BB185_4 Depth=1
	v_cmp_lt_f64_e64 s[10:11], |v[9:10]|, |v[11:12]|
	v_and_b32_e32 v7, 0x7fffffff, v10
	v_and_b32_e32 v15, 0x7fffffff, v12
	s_mov_b32 s12, 0x85ebc8a0
	s_mov_b32 s13, 0x7fd1ccf3
	v_mov_b32_e32 v18, v11
                                        ; implicit-def: $vgpr37_vgpr38
                                        ; implicit-def: $vgpr5_vgpr6
	v_cndmask_b32_e64 v42, v15, v7, s[10:11]
	v_cndmask_b32_e64 v41, v11, v9, s[10:11]
	v_cmp_nlt_f64_e32 vcc, s[12:13], v[41:42]
	s_and_saveexec_b64 s[12:13], vcc
	s_xor_b64 s[18:19], exec, s[12:13]
	s_cbranch_execz .LBB185_105
; %bb.82:                               ;   in Loop: Header=BB185_4 Depth=1
	v_cndmask_b32_e64 v44, v7, v15, s[10:11]
	v_cndmask_b32_e64 v43, v9, v18, s[10:11]
	v_cmp_neq_f64_e32 vcc, 1.0, v[43:44]
                                        ; implicit-def: $vgpr37_vgpr38
                                        ; implicit-def: $vgpr5_vgpr6
	s_and_saveexec_b64 s[12:13], vcc
	s_xor_b64 s[24:25], exec, s[12:13]
	s_cbranch_execz .LBB185_98
; %bb.83:                               ;   in Loop: Header=BB185_4 Depth=1
	v_max_f64 v[5:6], v[41:42], v[41:42]
	v_max_f64 v[37:38], v[43:44], v[43:44]
	s_mov_b32 s12, 0x4ad4b81f
	s_mov_b32 s13, 0x358dee7a
	v_min_f64 v[39:40], v[37:38], v[5:6]
	v_max_f64 v[5:6], v[37:38], v[5:6]
                                        ; implicit-def: $vgpr37_vgpr38
	v_cmp_ngt_f64_e32 vcc, s[12:13], v[39:40]
	s_mov_b32 s12, 0xc57e649a
	s_mov_b32 s13, 0x4a511b0e
	v_cmp_nlt_f64_e64 s[12:13], s[12:13], v[5:6]
                                        ; implicit-def: $vgpr5_vgpr6
	s_and_b64 s[12:13], s[12:13], vcc
	s_and_saveexec_b64 s[14:15], s[12:13]
	s_xor_b64 s[48:49], exec, s[14:15]
	s_cbranch_execz .LBB185_95
; %bb.84:                               ;   in Loop: Header=BB185_4 Depth=1
	v_cmp_le_f64_e32 vcc, 1.0, v[43:44]
                                        ; implicit-def: $vgpr37_vgpr38
                                        ; implicit-def: $vgpr5_vgpr6
	s_and_saveexec_b64 s[12:13], vcc
	s_xor_b64 s[50:51], exec, s[12:13]
	s_cbranch_execz .LBB185_86
; %bb.85:                               ;   in Loop: Header=BB185_4 Depth=1
	v_add_f64 v[5:6], v[43:44], -1.0
	v_add_f64 v[37:38], v[43:44], 1.0
	s_mov_b32 s31, s27
	s_mov_b32 s86, s90
	;; [unrolled: 1-line block ×4, first 2 shown]
	v_cmp_class_f64_e64 s[52:53], v[11:12], s63
	v_mul_f64 v[5:6], v[5:6], v[37:38]
	v_fma_f64 v[38:39], v[41:42], v[41:42], v[5:6]
	v_add_f64 v[6:7], v[38:39], 1.0
	v_cmp_nge_f64_e64 s[14:15], -1.0, v[38:39]
	v_cmp_neq_f64_e64 s[16:17], s[16:17], v[38:39]
	v_frexp_mant_f64_e32 v[42:43], v[6:7]
	v_frexp_exp_i32_f64_e32 v5, v[6:7]
	v_add_f64 v[40:41], v[6:7], -1.0
	v_cmp_gt_f64_e32 vcc, s[26:27], v[42:43]
	v_add_f64 v[44:45], v[40:41], -v[6:7]
	v_add_f64 v[40:41], v[38:39], -v[40:41]
	v_subbrev_co_u32_e32 v5, vcc, 0, v5, vcc
	v_sub_u32_e32 v15, 0, v5
	v_ldexp_f64 v[6:7], v[6:7], v15
	v_add_f64 v[42:43], v[44:45], 1.0
	v_add_f64 v[44:45], v[6:7], 1.0
	v_add_f64 v[40:41], v[40:41], v[42:43]
	v_add_f64 v[50:51], v[6:7], -1.0
	v_add_f64 v[42:43], v[44:45], -1.0
	v_ldexp_f64 v[40:41], v[40:41], v15
	v_add_f64 v[52:53], v[50:51], 1.0
	v_add_f64 v[42:43], v[6:7], -v[42:43]
	v_add_f64 v[6:7], v[6:7], -v[52:53]
	v_add_f64 v[42:43], v[40:41], v[42:43]
	v_add_f64 v[6:7], v[40:41], v[6:7]
	;; [unrolled: 1-line block ×4, first 2 shown]
	v_rcp_f64_e32 v[48:49], v[46:47]
	v_add_f64 v[44:45], v[46:47], -v[44:45]
	v_add_f64 v[50:51], v[52:53], -v[50:51]
	;; [unrolled: 1-line block ×4, first 2 shown]
	v_fma_f64 v[54:55], -v[46:47], v[48:49], 1.0
	v_fma_f64 v[48:49], v[54:55], v[48:49], v[48:49]
	v_fma_f64 v[40:41], -v[46:47], v[48:49], 1.0
	v_fma_f64 v[40:41], v[40:41], v[48:49], v[48:49]
	v_mul_f64 v[48:49], v[52:53], v[40:41]
	v_mul_f64 v[54:55], v[46:47], v[48:49]
	v_fma_f64 v[44:45], v[48:49], v[46:47], -v[54:55]
	v_fma_f64 v[44:45], v[48:49], v[42:43], v[44:45]
	v_add_f64 v[56:57], v[54:55], v[44:45]
	v_add_f64 v[58:59], v[52:53], -v[56:57]
	v_add_f64 v[50:51], v[56:57], -v[54:55]
	;; [unrolled: 1-line block ×4, first 2 shown]
	v_max_f64 v[50:51], |v[9:10]|, |v[9:10]|
	v_add_f64 v[52:53], v[52:53], -v[56:57]
	v_add_f64 v[6:7], v[6:7], v[52:53]
	v_add_f64 v[6:7], v[44:45], v[6:7]
	v_max_f64 v[44:45], |v[11:12]|, |v[11:12]|
	v_add_f64 v[52:53], v[58:59], v[6:7]
	v_max_f64 v[54:55], v[50:51], v[44:45]
	v_min_f64 v[44:45], v[50:51], v[44:45]
	v_mul_f64 v[50:51], v[40:41], v[52:53]
	v_add_f64 v[58:59], v[58:59], -v[52:53]
	v_div_scale_f64 v[56:57], s[12:13], v[54:55], v[54:55], v[44:45]
	s_mov_b32 s12, 0xaf56de9b
	s_mov_b32 s13, 0xbf67952d
	v_mul_f64 v[60:61], v[46:47], v[50:51]
	v_add_f64 v[6:7], v[6:7], v[58:59]
	v_fma_f64 v[46:47], v[50:51], v[46:47], -v[60:61]
	v_rcp_f64_e32 v[70:71], v[56:57]
	v_fma_f64 v[42:43], v[50:51], v[42:43], v[46:47]
	v_add_f64 v[46:47], v[60:61], v[42:43]
	v_fma_f64 v[72:73], -v[56:57], v[70:71], 1.0
	v_add_f64 v[74:75], v[52:53], -v[46:47]
	v_add_f64 v[58:59], v[46:47], -v[60:61]
	v_fma_f64 v[70:71], v[70:71], v[72:73], v[70:71]
	v_div_scale_f64 v[72:73], vcc, v[44:45], v[54:55], v[44:45]
	v_add_f64 v[52:53], v[52:53], -v[74:75]
	v_add_f64 v[42:43], v[58:59], -v[42:43]
	v_fma_f64 v[76:77], -v[56:57], v[70:71], 1.0
	v_add_f64 v[58:59], v[48:49], v[50:51]
	v_add_f64 v[46:47], v[52:53], -v[46:47]
	v_fma_f64 v[52:53], v[70:71], v[76:77], v[70:71]
	v_add_f64 v[48:49], v[58:59], -v[48:49]
	v_add_f64 v[6:7], v[6:7], v[46:47]
	v_mul_f64 v[46:47], v[72:73], v[52:53]
	v_add_f64 v[6:7], v[42:43], v[6:7]
	v_fma_f64 v[42:43], -v[56:57], v[46:47], v[72:73]
	v_add_f64 v[6:7], v[74:75], v[6:7]
	v_div_fmas_f64 v[42:43], v[42:43], v[52:53], v[46:47]
	v_add_f64 v[46:47], v[50:51], -v[48:49]
	v_cmp_gt_i32_e32 vcc, 0, v10
	v_cndmask_b32_e32 v18, v68, v69, vcc
	v_cndmask_b32_e32 v15, v66, v67, vcc
	v_mul_f64 v[6:7], v[40:41], v[6:7]
	v_add_f64 v[6:7], v[46:47], v[6:7]
	v_div_fixup_f64 v[40:41], v[42:43], v[54:55], v[44:45]
	v_cvt_f64_i32_e32 v[54:55], v5
	v_mul_f64 v[56:57], v[54:55], s[44:45]
	v_add_f64 v[42:43], v[58:59], v[6:7]
	v_mul_f64 v[44:45], v[40:41], v[40:41]
	v_mul_f64 v[46:47], v[42:43], v[42:43]
	v_fma_f64 v[48:49], v[44:45], s[56:57], v[21:22]
	v_fma_f64 v[50:51], v[46:47], s[34:35], v[19:20]
	v_mul_f64 v[52:53], v[42:43], v[46:47]
	v_fma_f64 v[48:49], v[44:45], v[48:49], s[54:55]
	v_cmp_class_f64_e64 s[54:55], v[9:10], s63
	v_fma_f64 v[50:51], v[46:47], v[50:51], s[36:37]
	v_fma_f64 v[48:49], v[44:45], v[48:49], s[12:13]
	s_mov_b32 s12, 0xa595c56f
	s_mov_b32 s13, 0x3f7d6d43
	v_fma_f64 v[50:51], v[46:47], v[50:51], s[38:39]
	v_fma_f64 v[48:49], v[44:45], v[48:49], s[12:13]
	s_mov_b32 s12, 0xa57d9582
	s_mov_b32 s13, 0xbf8c6ea4
	;; [unrolled: 4-line block ×4, first 2 shown]
	v_fma_f64 v[46:47], v[46:47], v[50:51], s[30:31]
	v_ldexp_f64 v[50:51], v[42:43], 1
	v_fma_f64 v[48:49], v[44:45], v[48:49], s[12:13]
	s_mov_b32 s12, 0x5711927a
	s_mov_b32 s13, 0x3fa2c15b
	v_add_f64 v[42:43], v[42:43], -v[58:59]
	v_mul_f64 v[46:47], v[52:53], v[46:47]
	v_fma_f64 v[48:49], v[44:45], v[48:49], s[12:13]
	v_cmp_eq_f64_e64 s[12:13], 0, v[11:12]
	v_add_f64 v[5:6], v[6:7], -v[42:43]
	v_ashrrev_i32_e32 v7, 31, v10
	v_and_b32_e32 v37, 0x54442d18, v7
	v_add_f64 v[52:53], v[50:51], v[46:47]
	v_and_b32_e32 v7, 0x400921fb, v7
	v_fma_f64 v[48:49], v[44:45], v[48:49], s[64:65]
	v_ldexp_f64 v[5:6], v[5:6], 1
	v_add_f64 v[42:43], v[52:53], -v[50:51]
	v_fma_f64 v[50:51], v[54:55], s[44:45], -v[56:57]
	v_fma_f64 v[48:49], v[44:45], v[48:49], s[66:67]
	v_add_f64 v[42:43], v[46:47], -v[42:43]
	v_fma_f64 v[46:47], v[44:45], v[48:49], s[68:69]
	v_fma_f64 v[48:49], v[54:55], s[46:47], v[50:51]
	v_add_f64 v[5:6], v[5:6], v[42:43]
	v_fma_f64 v[42:43], v[44:45], v[46:47], s[70:71]
	v_add_f64 v[46:47], v[56:57], v[48:49]
	v_add_f64 v[50:51], v[52:53], v[5:6]
	v_fma_f64 v[42:43], v[44:45], v[42:43], s[72:73]
	v_add_f64 v[56:57], v[46:47], -v[56:57]
	v_add_f64 v[54:55], v[46:47], v[50:51]
	v_add_f64 v[52:53], v[50:51], -v[52:53]
	v_fma_f64 v[42:43], v[44:45], v[42:43], s[74:75]
	v_add_f64 v[48:49], v[48:49], -v[56:57]
	v_add_f64 v[58:59], v[54:55], -v[46:47]
	;; [unrolled: 1-line block ×3, first 2 shown]
	v_fma_f64 v[42:43], v[44:45], v[42:43], s[76:77]
	v_add_f64 v[60:61], v[54:55], -v[58:59]
	v_add_f64 v[50:51], v[50:51], -v[58:59]
	v_fma_f64 v[42:43], v[44:45], v[42:43], s[78:79]
	v_add_f64 v[52:53], v[48:49], v[5:6]
	v_add_f64 v[46:47], v[46:47], -v[60:61]
	v_fma_f64 v[42:43], v[44:45], v[42:43], s[80:81]
	v_add_f64 v[46:47], v[50:51], v[46:47]
	;; [unrolled: 3-line block ×3, first 2 shown]
	v_add_f64 v[52:53], v[52:53], -v[50:51]
	v_fma_f64 v[42:43], v[44:45], v[42:43], s[84:85]
	v_add_f64 v[5:6], v[5:6], -v[50:51]
	v_add_f64 v[56:57], v[54:55], v[46:47]
	v_mul_f64 v[42:43], v[44:45], v[42:43]
	v_add_f64 v[44:45], v[48:49], -v[52:53]
	v_add_f64 v[48:49], v[56:57], -v[54:55]
	v_fma_f64 v[40:41], v[40:41], v[42:43], v[40:41]
	v_add_f64 v[5:6], v[5:6], v[44:45]
	v_add_f64 v[42:43], v[46:47], -v[48:49]
	v_add_f64 v[44:45], -v[40:41], s[90:91]
	v_add_f64 v[5:6], v[5:6], v[42:43]
	v_cndmask_b32_e64 v41, v41, v45, s[10:11]
	v_cndmask_b32_e64 v40, v40, v44, s[10:11]
	v_add_f64 v[42:43], -v[40:41], s[86:87]
	v_add_f64 v[5:6], v[56:57], v[5:6]
	v_cndmask_b32_e32 v40, v40, v42, vcc
	v_mul_f64 v[9:10], v[5:6], 0.5
	v_cndmask_b32_e32 v6, v41, v43, vcc
	v_bfi_b32 v5, s62, v18, v12
	v_cndmask_b32_e64 v18, v40, v37, s[12:13]
	v_cndmask_b32_e64 v6, v6, v7, s[12:13]
	s_and_b64 s[12:13], s[14:15], s[16:17]
	s_and_b64 vcc, s[52:53], s[54:55]
	v_cndmask_b32_e32 v6, v6, v5, vcc
	v_cndmask_b32_e64 v37, 0, v9, s[12:13]
	v_cmp_ngt_f64_e64 s[12:13], -1.0, v[38:39]
	v_cndmask_b32_e64 v5, v63, v10, s[16:17]
	s_mov_b32 s54, 0x69efb384
	s_mov_b32 s55, 0x3f4b2bb0
                                        ; implicit-def: $vgpr41_vgpr42
                                        ; implicit-def: $vgpr43_vgpr44
	v_cndmask_b32_e64 v5, v64, v5, s[12:13]
	v_cmp_neq_f64_e64 s[12:13], -1.0, v[38:39]
	v_cndmask_b32_e64 v38, v65, v5, s[12:13]
	v_cndmask_b32_e32 v5, v18, v15, vcc
.LBB185_86:                             ;   in Loop: Header=BB185_4 Depth=1
	s_andn2_saveexec_b64 s[50:51], s[50:51]
	s_cbranch_execz .LBB185_94
; %bb.87:                               ;   in Loop: Header=BB185_4 Depth=1
	v_mul_f64 v[5:6], v[41:42], v[41:42]
	s_mov_b32 s12, 0x66666666
	s_mov_b32 s13, 0x3fe66666
                                        ; implicit-def: $vgpr37_vgpr38
	v_fma_f64 v[39:40], v[43:44], v[43:44], v[5:6]
                                        ; implicit-def: $vgpr5_vgpr6
	v_cmp_ge_f64_e32 vcc, s[12:13], v[39:40]
	s_and_saveexec_b64 s[12:13], vcc
	s_xor_b64 s[16:17], exec, s[12:13]
	s_cbranch_execz .LBB185_89
; %bb.88:                               ;   in Loop: Header=BB185_4 Depth=1
	v_frexp_mant_f64_e32 v[5:6], v[39:40]
	v_max_f64 v[45:46], |v[11:12]|, |v[11:12]|
	v_max_f64 v[47:48], |v[9:10]|, |v[9:10]|
	s_mov_b32 s31, s27
	s_mov_b32 s86, s90
	v_cmp_class_f64_e64 s[52:53], v[11:12], s63
	v_cmp_gt_f64_e64 s[12:13], s[26:27], v[5:6]
	v_cndmask_b32_e64 v7, 0, 1, s[12:13]
	v_ldexp_f64 v[5:6], v[5:6], v7
	v_frexp_exp_i32_f64_e32 v7, v[39:40]
	v_add_f64 v[37:38], v[5:6], 1.0
	v_add_f64 v[51:52], v[5:6], -1.0
	v_rcp_f64_e32 v[41:42], v[37:38]
	v_add_f64 v[55:56], v[37:38], -1.0
	v_add_f64 v[5:6], v[5:6], -v[55:56]
	v_fma_f64 v[43:44], -v[37:38], v[41:42], 1.0
	v_fma_f64 v[41:42], v[43:44], v[41:42], v[41:42]
	v_max_f64 v[43:44], v[47:48], v[45:46]
	v_min_f64 v[45:46], v[47:48], v[45:46]
	v_fma_f64 v[47:48], -v[37:38], v[41:42], 1.0
	v_div_scale_f64 v[49:50], s[14:15], v[43:44], v[43:44], v[45:46]
	s_mov_b32 s14, 0xaf56de9b
	s_mov_b32 s15, 0xbf67952d
	v_fma_f64 v[41:42], v[47:48], v[41:42], v[41:42]
	v_mul_f64 v[47:48], v[51:52], v[41:42]
	v_rcp_f64_e32 v[53:54], v[49:50]
	v_mul_f64 v[57:58], v[37:38], v[47:48]
	v_fma_f64 v[37:38], v[47:48], v[37:38], -v[57:58]
	v_fma_f64 v[55:56], -v[49:50], v[53:54], 1.0
	v_fma_f64 v[5:6], v[47:48], v[5:6], v[37:38]
	v_fma_f64 v[37:38], v[53:54], v[55:56], v[53:54]
	v_div_scale_f64 v[55:56], vcc, v[45:46], v[43:44], v[45:46]
	v_add_f64 v[53:54], v[57:58], v[5:6]
	v_fma_f64 v[59:60], -v[49:50], v[37:38], 1.0
	v_add_f64 v[61:62], v[51:52], -v[53:54]
	v_add_f64 v[57:58], v[53:54], -v[57:58]
	v_fma_f64 v[37:38], v[37:38], v[59:60], v[37:38]
	v_add_f64 v[51:52], v[51:52], -v[61:62]
	v_add_f64 v[5:6], v[57:58], -v[5:6]
	v_mul_f64 v[59:60], v[55:56], v[37:38]
	v_add_f64 v[51:52], v[51:52], -v[53:54]
	v_fma_f64 v[49:50], -v[49:50], v[59:60], v[55:56]
	v_add_f64 v[5:6], v[5:6], v[51:52]
	v_div_fmas_f64 v[37:38], v[49:50], v[37:38], v[59:60]
	v_subbrev_co_u32_e64 v7, vcc, 0, v7, s[12:13]
	v_cmp_eq_f64_e64 s[12:13], 0, v[11:12]
	v_cmp_gt_i32_e32 vcc, 0, v10
	v_cndmask_b32_e32 v15, v66, v67, vcc
	v_add_f64 v[5:6], v[61:62], v[5:6]
	v_mul_f64 v[5:6], v[41:42], v[5:6]
	v_div_fixup_f64 v[37:38], v[37:38], v[43:44], v[45:46]
	v_add_f64 v[41:42], v[47:48], v[5:6]
	v_mul_f64 v[43:44], v[37:38], v[37:38]
	v_mul_f64 v[45:46], v[41:42], v[41:42]
	v_fma_f64 v[49:50], v[43:44], s[56:57], v[21:22]
	v_fma_f64 v[51:52], v[45:46], s[34:35], v[19:20]
	v_mul_f64 v[53:54], v[41:42], v[45:46]
	v_fma_f64 v[49:50], v[43:44], v[49:50], s[54:55]
	v_cmp_class_f64_e64 s[54:55], v[9:10], s63
	v_fma_f64 v[51:52], v[45:46], v[51:52], s[36:37]
	v_fma_f64 v[49:50], v[43:44], v[49:50], s[14:15]
	s_mov_b32 s14, 0xa595c56f
	s_mov_b32 s15, 0x3f7d6d43
	v_fma_f64 v[51:52], v[45:46], v[51:52], s[38:39]
	v_fma_f64 v[49:50], v[43:44], v[49:50], s[14:15]
	s_mov_b32 s14, 0xa57d9582
	s_mov_b32 s15, 0xbf8c6ea4
	;; [unrolled: 4-line block ×4, first 2 shown]
	v_fma_f64 v[45:46], v[45:46], v[51:52], s[30:31]
	v_ldexp_f64 v[51:52], v[41:42], 1
	v_fma_f64 v[49:50], v[43:44], v[49:50], s[14:15]
	s_mov_b32 s14, 0x5711927a
	s_mov_b32 s15, 0x3fa2c15b
	v_add_f64 v[41:42], v[41:42], -v[47:48]
	v_mul_f64 v[45:46], v[53:54], v[45:46]
	v_cvt_f64_i32_e32 v[53:54], v7
	v_fma_f64 v[49:50], v[43:44], v[49:50], s[14:15]
	v_ashrrev_i32_e32 v7, 31, v10
	v_cmp_neq_f64_e64 s[14:15], 0, v[39:40]
	v_mul_f64 v[55:56], v[53:54], s[44:45]
	v_add_f64 v[5:6], v[5:6], -v[41:42]
	v_and_b32_e32 v18, 0x54442d18, v7
	v_add_f64 v[47:48], v[51:52], v[45:46]
	v_and_b32_e32 v7, 0x400921fb, v7
	v_fma_f64 v[49:50], v[43:44], v[49:50], s[64:65]
	v_ldexp_f64 v[5:6], v[5:6], 1
	v_add_f64 v[41:42], v[47:48], -v[51:52]
	v_fma_f64 v[51:52], v[53:54], s[44:45], -v[55:56]
	v_fma_f64 v[49:50], v[43:44], v[49:50], s[66:67]
	v_add_f64 v[41:42], v[45:46], -v[41:42]
	v_fma_f64 v[45:46], v[43:44], v[49:50], s[68:69]
	v_fma_f64 v[49:50], v[53:54], s[46:47], v[51:52]
	v_add_f64 v[5:6], v[5:6], v[41:42]
	v_fma_f64 v[41:42], v[43:44], v[45:46], s[70:71]
	v_add_f64 v[45:46], v[55:56], v[49:50]
	v_add_f64 v[51:52], v[47:48], v[5:6]
	v_fma_f64 v[41:42], v[43:44], v[41:42], s[72:73]
	v_add_f64 v[55:56], v[45:46], -v[55:56]
	v_add_f64 v[53:54], v[45:46], v[51:52]
	v_add_f64 v[47:48], v[51:52], -v[47:48]
	v_fma_f64 v[41:42], v[43:44], v[41:42], s[74:75]
	v_add_f64 v[49:50], v[49:50], -v[55:56]
	v_add_f64 v[57:58], v[53:54], -v[45:46]
	;; [unrolled: 1-line block ×3, first 2 shown]
	v_fma_f64 v[41:42], v[43:44], v[41:42], s[76:77]
	v_add_f64 v[59:60], v[53:54], -v[57:58]
	v_add_f64 v[47:48], v[51:52], -v[57:58]
	v_fma_f64 v[41:42], v[43:44], v[41:42], s[78:79]
	v_add_f64 v[51:52], v[49:50], v[5:6]
	v_add_f64 v[45:46], v[45:46], -v[59:60]
	v_fma_f64 v[41:42], v[43:44], v[41:42], s[80:81]
	v_add_f64 v[45:46], v[47:48], v[45:46]
	v_add_f64 v[47:48], v[51:52], -v[49:50]
	v_fma_f64 v[41:42], v[43:44], v[41:42], s[82:83]
	v_add_f64 v[45:46], v[51:52], v[45:46]
	v_add_f64 v[51:52], v[51:52], -v[47:48]
	v_fma_f64 v[41:42], v[43:44], v[41:42], s[84:85]
	v_add_f64 v[5:6], v[5:6], -v[47:48]
	v_add_f64 v[55:56], v[53:54], v[45:46]
	v_mul_f64 v[41:42], v[43:44], v[41:42]
	v_add_f64 v[43:44], v[49:50], -v[51:52]
	v_add_f64 v[47:48], v[55:56], -v[53:54]
	v_fma_f64 v[37:38], v[37:38], v[41:42], v[37:38]
	v_add_f64 v[5:6], v[5:6], v[43:44]
	v_add_f64 v[41:42], v[45:46], -v[47:48]
	v_add_f64 v[43:44], -v[37:38], s[90:91]
	v_add_f64 v[5:6], v[5:6], v[41:42]
	v_cndmask_b32_e64 v38, v38, v44, s[10:11]
	v_cndmask_b32_e64 v37, v37, v43, s[10:11]
	v_add_f64 v[41:42], -v[37:38], s[86:87]
                                        ; implicit-def: $vgpr43_vgpr44
	v_add_f64 v[5:6], v[55:56], v[5:6]
	v_cndmask_b32_e32 v37, v37, v41, vcc
	v_cndmask_b32_e32 v41, v68, v69, vcc
	v_cndmask_b32_e64 v18, v37, v18, s[12:13]
	v_mul_f64 v[9:10], v[5:6], 0.5
	v_cndmask_b32_e32 v6, v38, v42, vcc
	v_bfi_b32 v5, s62, v41, v12
	v_cndmask_b32_e64 v6, v6, v7, s[12:13]
	s_and_b64 vcc, s[52:53], s[54:55]
	s_mov_b32 s54, 0x69efb384
	s_mov_b32 s55, 0x3f4b2bb0
	v_cndmask_b32_e32 v6, v6, v5, vcc
	v_cndmask_b32_e64 v38, v65, v10, s[14:15]
	v_cndmask_b32_e64 v37, 0, v9, s[14:15]
	v_cndmask_b32_e32 v5, v18, v15, vcc
                                        ; implicit-def: $vgpr41_vgpr42
.LBB185_89:                             ;   in Loop: Header=BB185_4 Depth=1
	s_andn2_saveexec_b64 s[52:53], s[16:17]
	s_cbranch_execz .LBB185_93
; %bb.90:                               ;   in Loop: Header=BB185_4 Depth=1
	v_and_b32_e32 v18, 0x7ffffff8, v44
	v_and_b32_e32 v38, 0x7ffffff8, v42
	v_mov_b32_e32 v37, v17
	v_add_f64 v[5:6], v[43:44], -v[17:18]
	v_add_f64 v[39:40], v[41:42], -v[37:38]
	v_mov_b32_e32 v43, v17
	v_mov_b32_e32 v51, v17
	v_add_f64 v[47:48], v[17:18], v[17:18]
	v_add_f64 v[49:50], v[37:38], v[37:38]
	v_mul_f64 v[37:38], v[37:38], v[37:38]
	s_mov_b64 s[54:55], 0
	v_and_b32_e32 v44, -8, v6
	v_and_b32_e32 v52, -8, v40
	v_add_f64 v[57:58], v[5:6], -v[43:44]
	v_add_f64 v[59:60], v[39:40], -v[51:52]
	v_add_f64 v[61:62], v[43:44], v[43:44]
	v_add_f64 v[70:71], v[51:52], v[51:52]
	v_mul_f64 v[5:6], v[17:18], v[17:18]
	v_mul_f64 v[41:42], v[47:48], v[43:44]
	;; [unrolled: 1-line block ×11, first 2 shown]
.LBB185_91:                             ;   Parent Loop BB185_4 Depth=1
                                        ; =>  This Inner Loop Header: Depth=2
	v_cmp_nlt_f64_e32 vcc, v[5:6], v[37:38]
	v_cndmask_b32_e32 v60, v6, v38, vcc
	v_cndmask_b32_e32 v59, v5, v37, vcc
	v_cmp_nlt_f64_e64 s[12:13], v[59:60], v[41:42]
	v_cndmask_b32_e32 v6, v38, v6, vcc
	v_cndmask_b32_e32 v5, v37, v5, vcc
	v_cndmask_b32_e64 v62, v60, v42, s[12:13]
	v_cndmask_b32_e64 v61, v59, v41, s[12:13]
	v_cmp_nlt_f64_e64 s[14:15], v[61:62], v[39:40]
	v_cndmask_b32_e64 v38, v42, v60, s[12:13]
	v_cndmask_b32_e64 v37, v41, v59, s[12:13]
	s_and_b64 s[56:57], vcc, s[12:13]
	v_cndmask_b32_e64 v71, v62, v40, s[14:15]
	v_cndmask_b32_e64 v70, v61, v39, s[14:15]
	v_cmp_nlt_f64_e64 s[16:17], v[70:71], v[45:46]
	v_cndmask_b32_e64 v42, v40, v62, s[14:15]
	v_cndmask_b32_e64 v41, v39, v61, s[14:15]
	;; [unrolled: 1-line block ×4, first 2 shown]
	v_cmp_nlt_f64_e32 vcc, v[59:60], v[51:52]
	v_cndmask_b32_e64 v40, v46, v71, s[16:17]
	v_cndmask_b32_e64 v39, v45, v70, s[16:17]
	s_and_b64 s[16:17], s[14:15], s[16:17]
	v_cndmask_b32_e32 v62, v60, v52, vcc
	v_cndmask_b32_e32 v61, v59, v51, vcc
	v_cmp_nlt_f64_e64 s[12:13], v[61:62], v[55:56]
	v_cndmask_b32_e32 v46, v52, v60, vcc
	v_cndmask_b32_e32 v45, v51, v59, vcc
	v_cndmask_b32_e64 v60, v62, v56, s[12:13]
	v_cndmask_b32_e64 v59, v61, v55, s[12:13]
	v_cmp_nlt_f64_e64 s[14:15], v[59:60], v[53:54]
	v_cndmask_b32_e64 v52, v56, v62, s[12:13]
	v_cndmask_b32_e64 v51, v55, v61, s[12:13]
	s_and_b64 s[12:13], vcc, s[12:13]
	v_cndmask_b32_e64 v62, v60, v54, s[14:15]
	v_cndmask_b32_e64 v61, v59, v53, s[14:15]
	v_cmp_nlt_f64_e32 vcc, v[61:62], v[49:50]
	v_cndmask_b32_e64 v56, v54, v60, s[14:15]
	v_cndmask_b32_e64 v55, v53, v59, s[14:15]
	s_and_b64 s[14:15], s[12:13], s[14:15]
	v_cndmask_b32_e32 v60, v62, v50, vcc
	v_cndmask_b32_e32 v59, v61, v49, vcc
	v_cmp_nlt_f64_e64 s[12:13], v[59:60], v[47:48]
	v_cndmask_b32_e32 v54, v50, v62, vcc
	v_cndmask_b32_e32 v53, v49, v61, vcc
	s_and_b64 s[14:15], s[14:15], vcc
	v_cndmask_b32_e64 v62, v60, v48, s[12:13]
	v_cndmask_b32_e64 v61, v59, v47, s[12:13]
	v_cmp_nlt_f64_e32 vcc, v[61:62], v[43:44]
	v_cndmask_b32_e64 v50, v48, v60, s[12:13]
	v_cndmask_b32_e64 v49, v47, v59, s[12:13]
	s_and_b64 s[14:15], s[14:15], s[12:13]
	v_cndmask_b32_e32 v71, v62, v44, vcc
	v_cndmask_b32_e32 v70, v61, v43, vcc
	v_cmp_nlt_f64_e64 s[12:13], v[70:71], v[57:58]
	s_and_b64 s[14:15], s[14:15], vcc
	v_cndmask_b32_e32 v48, v44, v62, vcc
	v_cndmask_b32_e32 v47, v43, v61, vcc
	v_cndmask_b32_e64 v60, v71, v58, s[12:13]
	v_cndmask_b32_e64 v59, v70, v57, s[12:13]
	;; [unrolled: 1-line block ×4, first 2 shown]
	s_and_b64 s[12:13], s[14:15], s[12:13]
	s_and_b64 s[12:13], s[12:13], s[16:17]
	;; [unrolled: 1-line block ×3, first 2 shown]
	s_and_b64 s[12:13], exec, s[12:13]
	v_mov_b32_e32 v57, v59
	s_or_b64 s[54:55], s[12:13], s[54:55]
	v_mov_b32_e32 v58, v60
	s_andn2_b64 exec, exec, s[54:55]
	s_cbranch_execnz .LBB185_91
; %bb.92:                               ;   in Loop: Header=BB185_4 Depth=1
	s_or_b64 exec, exec, s[54:55]
	v_add_f64 v[5:6], v[5:6], -1.0
	s_mov_b32 s31, s27
	s_mov_b32 s86, s90
	;; [unrolled: 1-line block ×4, first 2 shown]
	v_cmp_class_f64_e64 s[56:57], v[9:10], s63
	v_cmp_class_f64_e64 s[54:55], v[11:12], s63
	v_add_f64 v[5:6], v[5:6], v[37:38]
	v_add_f64 v[5:6], v[5:6], v[41:42]
	;; [unrolled: 1-line block ×11, first 2 shown]
	v_add_f64 v[6:7], v[38:39], 1.0
	v_cmp_nge_f64_e64 s[14:15], -1.0, v[38:39]
	v_cmp_neq_f64_e64 s[16:17], s[16:17], v[38:39]
	v_frexp_mant_f64_e32 v[42:43], v[6:7]
	v_frexp_exp_i32_f64_e32 v5, v[6:7]
	v_add_f64 v[40:41], v[6:7], -1.0
	v_cmp_gt_f64_e32 vcc, s[26:27], v[42:43]
	v_add_f64 v[44:45], v[40:41], -v[6:7]
	v_add_f64 v[40:41], v[38:39], -v[40:41]
	v_subbrev_co_u32_e32 v5, vcc, 0, v5, vcc
	v_sub_u32_e32 v15, 0, v5
	v_ldexp_f64 v[6:7], v[6:7], v15
	v_add_f64 v[42:43], v[44:45], 1.0
	v_add_f64 v[44:45], v[6:7], 1.0
	v_add_f64 v[40:41], v[40:41], v[42:43]
	v_add_f64 v[50:51], v[6:7], -1.0
	v_add_f64 v[42:43], v[44:45], -1.0
	v_ldexp_f64 v[40:41], v[40:41], v15
	v_add_f64 v[52:53], v[50:51], 1.0
	v_add_f64 v[42:43], v[6:7], -v[42:43]
	v_add_f64 v[6:7], v[6:7], -v[52:53]
	v_add_f64 v[42:43], v[40:41], v[42:43]
	v_add_f64 v[6:7], v[40:41], v[6:7]
	v_add_f64 v[46:47], v[44:45], v[42:43]
	v_add_f64 v[52:53], v[50:51], v[6:7]
	v_rcp_f64_e32 v[48:49], v[46:47]
	v_add_f64 v[44:45], v[46:47], -v[44:45]
	v_add_f64 v[50:51], v[52:53], -v[50:51]
	;; [unrolled: 1-line block ×4, first 2 shown]
	v_fma_f64 v[54:55], -v[46:47], v[48:49], 1.0
	v_fma_f64 v[48:49], v[54:55], v[48:49], v[48:49]
	v_fma_f64 v[40:41], -v[46:47], v[48:49], 1.0
	v_fma_f64 v[40:41], v[40:41], v[48:49], v[48:49]
	v_mul_f64 v[48:49], v[52:53], v[40:41]
	v_mul_f64 v[54:55], v[46:47], v[48:49]
	v_fma_f64 v[44:45], v[48:49], v[46:47], -v[54:55]
	v_fma_f64 v[44:45], v[48:49], v[42:43], v[44:45]
	v_add_f64 v[56:57], v[54:55], v[44:45]
	v_add_f64 v[58:59], v[52:53], -v[56:57]
	v_add_f64 v[50:51], v[56:57], -v[54:55]
	;; [unrolled: 1-line block ×4, first 2 shown]
	v_max_f64 v[50:51], |v[9:10]|, |v[9:10]|
	v_add_f64 v[52:53], v[52:53], -v[56:57]
	v_add_f64 v[6:7], v[6:7], v[52:53]
	v_add_f64 v[6:7], v[44:45], v[6:7]
	v_max_f64 v[44:45], |v[11:12]|, |v[11:12]|
	v_add_f64 v[52:53], v[58:59], v[6:7]
	v_max_f64 v[54:55], v[50:51], v[44:45]
	v_min_f64 v[44:45], v[50:51], v[44:45]
	v_mul_f64 v[50:51], v[40:41], v[52:53]
	v_add_f64 v[58:59], v[58:59], -v[52:53]
	v_div_scale_f64 v[56:57], s[12:13], v[54:55], v[54:55], v[44:45]
	s_mov_b32 s12, 0xb5e68a13
	s_mov_b32 s13, 0x3eeba404
	v_mul_f64 v[60:61], v[46:47], v[50:51]
	v_add_f64 v[6:7], v[6:7], v[58:59]
	v_fma_f64 v[46:47], v[50:51], v[46:47], -v[60:61]
	v_rcp_f64_e32 v[70:71], v[56:57]
	v_fma_f64 v[42:43], v[50:51], v[42:43], v[46:47]
	v_add_f64 v[46:47], v[60:61], v[42:43]
	v_fma_f64 v[72:73], -v[56:57], v[70:71], 1.0
	v_add_f64 v[74:75], v[52:53], -v[46:47]
	v_add_f64 v[58:59], v[46:47], -v[60:61]
	v_fma_f64 v[70:71], v[70:71], v[72:73], v[70:71]
	v_div_scale_f64 v[72:73], vcc, v[44:45], v[54:55], v[44:45]
	v_add_f64 v[52:53], v[52:53], -v[74:75]
	v_add_f64 v[42:43], v[58:59], -v[42:43]
	v_fma_f64 v[76:77], -v[56:57], v[70:71], 1.0
	v_add_f64 v[58:59], v[48:49], v[50:51]
	v_add_f64 v[46:47], v[52:53], -v[46:47]
	v_fma_f64 v[52:53], v[70:71], v[76:77], v[70:71]
	v_add_f64 v[48:49], v[58:59], -v[48:49]
	v_add_f64 v[6:7], v[6:7], v[46:47]
	v_mul_f64 v[46:47], v[72:73], v[52:53]
	v_add_f64 v[6:7], v[42:43], v[6:7]
	v_fma_f64 v[42:43], -v[56:57], v[46:47], v[72:73]
	v_add_f64 v[6:7], v[74:75], v[6:7]
	v_div_fmas_f64 v[42:43], v[42:43], v[52:53], v[46:47]
	v_add_f64 v[46:47], v[50:51], -v[48:49]
	v_cmp_gt_i32_e32 vcc, 0, v10
	v_cndmask_b32_e32 v18, v68, v69, vcc
	v_cndmask_b32_e32 v15, v66, v67, vcc
	v_mul_f64 v[6:7], v[40:41], v[6:7]
	v_add_f64 v[6:7], v[46:47], v[6:7]
	v_div_fixup_f64 v[40:41], v[42:43], v[54:55], v[44:45]
	v_cvt_f64_i32_e32 v[54:55], v5
	v_mul_f64 v[56:57], v[54:55], s[44:45]
	v_add_f64 v[42:43], v[58:59], v[6:7]
	v_mul_f64 v[44:45], v[40:41], v[40:41]
	v_mul_f64 v[46:47], v[42:43], v[42:43]
	v_fma_f64 v[48:49], v[44:45], s[12:13], v[21:22]
	s_mov_b32 s12, 0x69efb384
	s_mov_b32 s13, 0x3f4b2bb0
	v_fma_f64 v[50:51], v[46:47], s[34:35], v[19:20]
	v_mul_f64 v[52:53], v[42:43], v[46:47]
	v_fma_f64 v[48:49], v[44:45], v[48:49], s[12:13]
	s_mov_b32 s12, 0xaf56de9b
	s_mov_b32 s13, 0xbf67952d
	v_fma_f64 v[50:51], v[46:47], v[50:51], s[36:37]
	v_fma_f64 v[48:49], v[44:45], v[48:49], s[12:13]
	s_mov_b32 s12, 0xa595c56f
	s_mov_b32 s13, 0x3f7d6d43
	v_fma_f64 v[50:51], v[46:47], v[50:51], s[38:39]
	;; [unrolled: 4-line block ×5, first 2 shown]
	v_ldexp_f64 v[50:51], v[42:43], 1
	v_fma_f64 v[48:49], v[44:45], v[48:49], s[12:13]
	s_mov_b32 s12, 0x5711927a
	s_mov_b32 s13, 0x3fa2c15b
	v_add_f64 v[42:43], v[42:43], -v[58:59]
	v_mul_f64 v[46:47], v[52:53], v[46:47]
	v_fma_f64 v[48:49], v[44:45], v[48:49], s[12:13]
	v_cmp_eq_f64_e64 s[12:13], 0, v[11:12]
	v_add_f64 v[5:6], v[6:7], -v[42:43]
	v_ashrrev_i32_e32 v7, 31, v10
	v_and_b32_e32 v37, 0x54442d18, v7
	v_add_f64 v[52:53], v[50:51], v[46:47]
	v_and_b32_e32 v7, 0x400921fb, v7
	v_fma_f64 v[48:49], v[44:45], v[48:49], s[64:65]
	v_ldexp_f64 v[5:6], v[5:6], 1
	v_add_f64 v[42:43], v[52:53], -v[50:51]
	v_fma_f64 v[50:51], v[54:55], s[44:45], -v[56:57]
	v_fma_f64 v[48:49], v[44:45], v[48:49], s[66:67]
	v_add_f64 v[42:43], v[46:47], -v[42:43]
	v_fma_f64 v[46:47], v[44:45], v[48:49], s[68:69]
	v_fma_f64 v[48:49], v[54:55], s[46:47], v[50:51]
	v_add_f64 v[5:6], v[5:6], v[42:43]
	v_fma_f64 v[42:43], v[44:45], v[46:47], s[70:71]
	v_add_f64 v[46:47], v[56:57], v[48:49]
	v_add_f64 v[50:51], v[52:53], v[5:6]
	v_fma_f64 v[42:43], v[44:45], v[42:43], s[72:73]
	v_add_f64 v[56:57], v[46:47], -v[56:57]
	v_add_f64 v[54:55], v[46:47], v[50:51]
	v_add_f64 v[52:53], v[50:51], -v[52:53]
	v_fma_f64 v[42:43], v[44:45], v[42:43], s[74:75]
	v_add_f64 v[48:49], v[48:49], -v[56:57]
	v_add_f64 v[58:59], v[54:55], -v[46:47]
	;; [unrolled: 1-line block ×3, first 2 shown]
	v_fma_f64 v[42:43], v[44:45], v[42:43], s[76:77]
	v_add_f64 v[60:61], v[54:55], -v[58:59]
	v_add_f64 v[50:51], v[50:51], -v[58:59]
	v_fma_f64 v[42:43], v[44:45], v[42:43], s[78:79]
	v_add_f64 v[52:53], v[48:49], v[5:6]
	v_add_f64 v[46:47], v[46:47], -v[60:61]
	v_fma_f64 v[42:43], v[44:45], v[42:43], s[80:81]
	v_add_f64 v[46:47], v[50:51], v[46:47]
	;; [unrolled: 3-line block ×3, first 2 shown]
	v_add_f64 v[52:53], v[52:53], -v[50:51]
	v_fma_f64 v[42:43], v[44:45], v[42:43], s[84:85]
	v_add_f64 v[5:6], v[5:6], -v[50:51]
	v_add_f64 v[56:57], v[54:55], v[46:47]
	v_mul_f64 v[42:43], v[44:45], v[42:43]
	v_add_f64 v[44:45], v[48:49], -v[52:53]
	v_add_f64 v[48:49], v[56:57], -v[54:55]
	v_fma_f64 v[40:41], v[40:41], v[42:43], v[40:41]
	v_add_f64 v[5:6], v[5:6], v[44:45]
	v_add_f64 v[42:43], v[46:47], -v[48:49]
	v_add_f64 v[44:45], -v[40:41], s[90:91]
	v_add_f64 v[5:6], v[5:6], v[42:43]
	v_cndmask_b32_e64 v41, v41, v45, s[10:11]
	v_cndmask_b32_e64 v40, v40, v44, s[10:11]
	v_add_f64 v[42:43], -v[40:41], s[86:87]
	v_add_f64 v[5:6], v[56:57], v[5:6]
	v_cndmask_b32_e32 v40, v40, v42, vcc
	v_mul_f64 v[9:10], v[5:6], 0.5
	v_cndmask_b32_e32 v6, v41, v43, vcc
	v_bfi_b32 v5, s62, v18, v12
	v_cndmask_b32_e64 v18, v40, v37, s[12:13]
	v_cndmask_b32_e64 v6, v6, v7, s[12:13]
	s_and_b64 s[12:13], s[14:15], s[16:17]
	s_and_b64 vcc, s[54:55], s[56:57]
	v_cndmask_b32_e32 v6, v6, v5, vcc
	v_cndmask_b32_e64 v37, 0, v9, s[12:13]
	v_cmp_ngt_f64_e64 s[12:13], -1.0, v[38:39]
	v_cndmask_b32_e64 v5, v63, v10, s[16:17]
	s_mov_b32 s54, 0x69efb384
	s_mov_b32 s56, 0xb5e68a13
	;; [unrolled: 1-line block ×4, first 2 shown]
	v_cndmask_b32_e64 v5, v64, v5, s[12:13]
	v_cmp_neq_f64_e64 s[12:13], -1.0, v[38:39]
	v_cndmask_b32_e64 v38, v65, v5, s[12:13]
	v_cndmask_b32_e32 v5, v18, v15, vcc
.LBB185_93:                             ;   in Loop: Header=BB185_4 Depth=1
	s_or_b64 exec, exec, s[52:53]
.LBB185_94:                             ;   in Loop: Header=BB185_4 Depth=1
	s_or_b64 exec, exec, s[50:51]
.LBB185_95:                             ;   in Loop: Header=BB185_4 Depth=1
	s_andn2_saveexec_b64 s[16:17], s[48:49]
	s_cbranch_execz .LBB185_97
; %bb.96:                               ;   in Loop: Header=BB185_4 Depth=1
	v_max_f64 v[5:6], |v[11:12]|, |v[11:12]|
	v_max_f64 v[40:41], |v[9:10]|, |v[9:10]|
	v_cmp_class_f64_e64 s[48:49], v[9:10], s63
	v_cmp_class_f64_e64 s[50:51], v[11:12], s63
	s_mov_b32 s31, s27
	s_mov_b32 s86, s90
	v_max_f64 v[42:43], v[40:41], v[5:6]
	v_min_f64 v[5:6], v[40:41], v[5:6]
	v_frexp_exp_i32_f64_e32 v7, v[42:43]
	v_sub_u32_e32 v15, 0, v7
	v_ldexp_f64 v[37:38], |v[11:12]|, v15
	v_ldexp_f64 v[44:45], |v[9:10]|, v15
	v_mul_f64 v[37:38], v[37:38], v[37:38]
	v_fma_f64 v[37:38], v[44:45], v[44:45], v[37:38]
	v_rsq_f64_e32 v[44:45], v[37:38]
	v_cmp_eq_f64_e32 vcc, 0, v[37:38]
	v_mul_f64 v[46:47], v[37:38], v[44:45]
	v_mul_f64 v[44:45], v[44:45], 0.5
	v_fma_f64 v[48:49], -v[44:45], v[46:47], 0.5
	v_fma_f64 v[46:47], v[46:47], v[48:49], v[46:47]
	v_fma_f64 v[44:45], v[44:45], v[48:49], v[44:45]
	v_fma_f64 v[48:49], -v[46:47], v[46:47], v[37:38]
	v_fma_f64 v[44:45], v[48:49], v[44:45], v[46:47]
	v_cndmask_b32_e32 v38, v45, v38, vcc
	v_cndmask_b32_e32 v37, v44, v37, vcc
	v_ldexp_f64 v[37:38], v[37:38], v7
	s_or_b64 vcc, s[50:51], s[48:49]
	v_cndmask_b32_e32 v39, v38, v63, vcc
	v_cndmask_b32_e64 v38, v37, 0, vcc
	v_frexp_mant_f64_e32 v[44:45], v[38:39]
	v_cmp_gt_f64_e64 s[12:13], s[26:27], v[44:45]
	v_cndmask_b32_e64 v7, 0, 1, s[12:13]
	v_ldexp_f64 v[44:45], v[44:45], v7
	v_frexp_exp_i32_f64_e32 v7, v[38:39]
	v_add_f64 v[46:47], v[44:45], 1.0
	v_add_f64 v[52:53], v[44:45], -1.0
	v_rcp_f64_e32 v[48:49], v[46:47]
	v_add_f64 v[56:57], v[46:47], -1.0
	v_add_f64 v[44:45], v[44:45], -v[56:57]
	v_fma_f64 v[50:51], -v[46:47], v[48:49], 1.0
	v_fma_f64 v[40:41], v[50:51], v[48:49], v[48:49]
	v_div_scale_f64 v[48:49], s[14:15], v[42:43], v[42:43], v[5:6]
	s_mov_b32 s14, 0xaf56de9b
	s_mov_b32 s15, 0xbf67952d
	v_fma_f64 v[50:51], -v[46:47], v[40:41], 1.0
	v_fma_f64 v[40:41], v[50:51], v[40:41], v[40:41]
	v_rcp_f64_e32 v[50:51], v[48:49]
	v_mul_f64 v[54:55], v[52:53], v[40:41]
	v_mul_f64 v[58:59], v[46:47], v[54:55]
	v_fma_f64 v[60:61], -v[48:49], v[50:51], 1.0
	v_fma_f64 v[46:47], v[54:55], v[46:47], -v[58:59]
	v_fma_f64 v[50:51], v[50:51], v[60:61], v[50:51]
	v_fma_f64 v[44:45], v[54:55], v[44:45], v[46:47]
	v_div_scale_f64 v[46:47], vcc, v[5:6], v[42:43], v[5:6]
	v_fma_f64 v[56:57], -v[48:49], v[50:51], 1.0
	v_add_f64 v[60:61], v[58:59], v[44:45]
	v_fma_f64 v[50:51], v[50:51], v[56:57], v[50:51]
	v_add_f64 v[56:57], v[52:53], -v[60:61]
	v_add_f64 v[58:59], v[60:61], -v[58:59]
	v_mul_f64 v[70:71], v[46:47], v[50:51]
	v_add_f64 v[52:53], v[52:53], -v[56:57]
	v_add_f64 v[44:45], v[58:59], -v[44:45]
	v_fma_f64 v[46:47], -v[48:49], v[70:71], v[46:47]
	v_add_f64 v[48:49], v[52:53], -v[60:61]
	v_div_fmas_f64 v[46:47], v[46:47], v[50:51], v[70:71]
	v_subbrev_co_u32_e64 v7, vcc, 0, v7, s[12:13]
	v_cmp_eq_f64_e64 s[12:13], 0, v[11:12]
	v_cmp_gt_i32_e32 vcc, 0, v10
	v_add_f64 v[44:45], v[44:45], v[48:49]
	v_cndmask_b32_e32 v37, v68, v69, vcc
	v_cndmask_b32_e32 v15, v66, v67, vcc
	v_bfi_b32 v37, s62, v37, v12
	v_add_f64 v[44:45], v[56:57], v[44:45]
	v_div_fixup_f64 v[5:6], v[46:47], v[42:43], v[5:6]
	v_mul_f64 v[40:41], v[40:41], v[44:45]
	v_mul_f64 v[42:43], v[5:6], v[5:6]
	v_add_f64 v[44:45], v[54:55], v[40:41]
	v_fma_f64 v[46:47], v[42:43], s[56:57], v[21:22]
	v_mul_f64 v[48:49], v[44:45], v[44:45]
	v_fma_f64 v[46:47], v[42:43], v[46:47], s[54:55]
	v_fma_f64 v[50:51], v[48:49], s[34:35], v[19:20]
	v_mul_f64 v[52:53], v[44:45], v[48:49]
	v_fma_f64 v[46:47], v[42:43], v[46:47], s[14:15]
	s_mov_b32 s14, 0xa595c56f
	s_mov_b32 s15, 0x3f7d6d43
	v_fma_f64 v[50:51], v[48:49], v[50:51], s[36:37]
	v_fma_f64 v[46:47], v[42:43], v[46:47], s[14:15]
	s_mov_b32 s14, 0xa57d9582
	s_mov_b32 s15, 0xbf8c6ea4
	v_fma_f64 v[50:51], v[48:49], v[50:51], s[38:39]
	;; [unrolled: 4-line block ×5, first 2 shown]
	v_ldexp_f64 v[50:51], v[44:45], 1
	v_add_f64 v[44:45], v[44:45], -v[54:55]
	v_fma_f64 v[46:47], v[42:43], v[46:47], s[14:15]
	v_cvt_f64_i32_e32 v[54:55], v7
	v_ashrrev_i32_e32 v7, 31, v10
	v_and_b32_e32 v18, 0x54442d18, v7
	v_and_b32_e32 v7, 0x400921fb, v7
	v_mul_f64 v[48:49], v[52:53], v[48:49]
	v_mul_f64 v[56:57], v[54:55], s[44:45]
	v_add_f64 v[40:41], v[40:41], -v[44:45]
	v_fma_f64 v[46:47], v[42:43], v[46:47], s[64:65]
	v_cmp_class_f64_e64 s[14:15], v[38:39], s63
	v_add_f64 v[52:53], v[50:51], v[48:49]
	v_ldexp_f64 v[40:41], v[40:41], 1
	v_fma_f64 v[46:47], v[42:43], v[46:47], s[66:67]
	v_add_f64 v[44:45], v[52:53], -v[50:51]
	v_fma_f64 v[50:51], v[54:55], s[44:45], -v[56:57]
	v_fma_f64 v[46:47], v[42:43], v[46:47], s[68:69]
	v_add_f64 v[44:45], v[48:49], -v[44:45]
	v_fma_f64 v[48:49], v[54:55], s[46:47], v[50:51]
	v_fma_f64 v[46:47], v[42:43], v[46:47], s[70:71]
	v_add_f64 v[40:41], v[40:41], v[44:45]
	v_fma_f64 v[44:45], v[42:43], v[46:47], s[72:73]
	v_add_f64 v[46:47], v[56:57], v[48:49]
	v_add_f64 v[50:51], v[52:53], v[40:41]
	v_fma_f64 v[44:45], v[42:43], v[44:45], s[74:75]
	v_add_f64 v[56:57], v[46:47], -v[56:57]
	v_add_f64 v[54:55], v[46:47], v[50:51]
	v_add_f64 v[52:53], v[50:51], -v[52:53]
	v_fma_f64 v[44:45], v[42:43], v[44:45], s[76:77]
	v_add_f64 v[48:49], v[48:49], -v[56:57]
	v_add_f64 v[58:59], v[54:55], -v[46:47]
	;; [unrolled: 1-line block ×3, first 2 shown]
	v_fma_f64 v[44:45], v[42:43], v[44:45], s[78:79]
	v_add_f64 v[60:61], v[54:55], -v[58:59]
	v_add_f64 v[50:51], v[50:51], -v[58:59]
	v_add_f64 v[52:53], v[48:49], v[40:41]
	v_fma_f64 v[44:45], v[42:43], v[44:45], s[80:81]
	v_add_f64 v[46:47], v[46:47], -v[60:61]
	v_fma_f64 v[44:45], v[42:43], v[44:45], s[82:83]
	v_add_f64 v[46:47], v[50:51], v[46:47]
	v_add_f64 v[50:51], v[52:53], -v[48:49]
	v_fma_f64 v[44:45], v[42:43], v[44:45], s[84:85]
	v_add_f64 v[46:47], v[52:53], v[46:47]
	v_add_f64 v[40:41], v[40:41], -v[50:51]
	v_mul_f64 v[42:43], v[42:43], v[44:45]
	v_add_f64 v[44:45], v[52:53], -v[50:51]
	v_add_f64 v[52:53], v[54:55], v[46:47]
	v_fma_f64 v[5:6], v[5:6], v[42:43], v[5:6]
	v_add_f64 v[42:43], v[48:49], -v[44:45]
	v_add_f64 v[44:45], v[52:53], -v[54:55]
	v_add_f64 v[48:49], -v[5:6], s[90:91]
	v_add_f64 v[40:41], v[40:41], v[42:43]
	v_add_f64 v[42:43], v[46:47], -v[44:45]
	v_cndmask_b32_e64 v6, v6, v49, s[10:11]
	v_cndmask_b32_e64 v5, v5, v48, s[10:11]
	v_add_f64 v[44:45], -v[5:6], s[86:87]
	v_add_f64 v[40:41], v[40:41], v[42:43]
	v_cndmask_b32_e32 v5, v5, v44, vcc
	v_cndmask_b32_e32 v6, v6, v45, vcc
	v_cndmask_b32_e64 v5, v5, v18, s[12:13]
	v_add_f64 v[9:10], v[52:53], v[40:41]
	v_cndmask_b32_e64 v6, v6, v7, s[12:13]
	v_cmp_ngt_f64_e64 s[12:13], 0, v[38:39]
	s_and_b64 vcc, s[50:51], s[48:49]
	v_cndmask_b32_e32 v6, v6, v37, vcc
	v_cndmask_b32_e32 v5, v5, v15, vcc
	v_cndmask_b32_e64 v7, v9, v38, s[14:15]
	v_cndmask_b32_e64 v9, v10, v39, s[14:15]
	;; [unrolled: 1-line block ×3, first 2 shown]
	v_cmp_nge_f64_e64 s[12:13], 0, v[38:39]
	v_cndmask_b32_e64 v37, 0, v7, s[12:13]
	v_cmp_neq_f64_e64 s[12:13], 0, v[38:39]
	v_cndmask_b32_e64 v38, v65, v9, s[12:13]
.LBB185_97:                             ;   in Loop: Header=BB185_4 Depth=1
	s_or_b64 exec, exec, s[16:17]
                                        ; implicit-def: $vgpr41_vgpr42
.LBB185_98:                             ;   in Loop: Header=BB185_4 Depth=1
	s_andn2_saveexec_b64 s[16:17], s[24:25]
	s_cbranch_execz .LBB185_104
; %bb.99:                               ;   in Loop: Header=BB185_4 Depth=1
	s_mov_b32 s12, 0x6a3f9475
	s_mov_b32 s13, 0x20ca2fe7
	v_cmp_ngt_f64_e32 vcc, s[12:13], v[41:42]
                                        ; implicit-def: $vgpr37_vgpr38
                                        ; implicit-def: $vgpr5_vgpr6
	s_and_saveexec_b64 s[12:13], vcc
	s_xor_b64 s[24:25], exec, s[12:13]
	s_cbranch_execz .LBB185_101
; %bb.100:                              ;   in Loop: Header=BB185_4 Depth=1
	v_mul_f64 v[5:6], v[41:42], v[41:42]
	s_mov_b32 s31, s27
	s_mov_b32 s86, s90
	;; [unrolled: 1-line block ×3, first 2 shown]
	v_cmp_class_f64_e64 s[48:49], v[11:12], s63
	v_cmp_class_f64_e64 s[50:51], v[9:10], s63
	s_mov_b32 s15, 0x7ff00000
	v_add_f64 v[37:38], v[5:6], 1.0
	v_cmp_neq_f64_e64 s[14:15], s[14:15], v[5:6]
	v_frexp_mant_f64_e32 v[41:42], v[37:38]
	v_frexp_exp_i32_f64_e32 v7, v[37:38]
	v_add_f64 v[39:40], v[37:38], -1.0
	v_cmp_gt_f64_e32 vcc, s[26:27], v[41:42]
	v_add_f64 v[43:44], v[39:40], -v[37:38]
	v_add_f64 v[39:40], v[5:6], -v[39:40]
	v_subbrev_co_u32_e32 v7, vcc, 0, v7, vcc
	v_sub_u32_e32 v15, 0, v7
	v_ldexp_f64 v[37:38], v[37:38], v15
	v_add_f64 v[41:42], v[43:44], 1.0
	v_add_f64 v[43:44], v[37:38], 1.0
	v_add_f64 v[39:40], v[39:40], v[41:42]
	v_add_f64 v[49:50], v[37:38], -1.0
	v_add_f64 v[41:42], v[43:44], -1.0
	v_ldexp_f64 v[39:40], v[39:40], v15
	v_add_f64 v[51:52], v[49:50], 1.0
	v_add_f64 v[41:42], v[37:38], -v[41:42]
	v_add_f64 v[37:38], v[37:38], -v[51:52]
	v_add_f64 v[41:42], v[39:40], v[41:42]
	v_add_f64 v[37:38], v[39:40], v[37:38]
	;; [unrolled: 1-line block ×4, first 2 shown]
	v_rcp_f64_e32 v[47:48], v[45:46]
	v_add_f64 v[43:44], v[43:44], -v[45:46]
	v_add_f64 v[49:50], v[49:50], -v[51:52]
	v_add_f64 v[41:42], v[41:42], v[43:44]
	v_add_f64 v[37:38], v[37:38], v[49:50]
	v_fma_f64 v[53:54], -v[45:46], v[47:48], 1.0
	v_fma_f64 v[47:48], v[53:54], v[47:48], v[47:48]
	v_fma_f64 v[39:40], -v[45:46], v[47:48], 1.0
	v_fma_f64 v[39:40], v[39:40], v[47:48], v[47:48]
	v_mul_f64 v[47:48], v[51:52], v[39:40]
	v_mul_f64 v[53:54], v[45:46], v[47:48]
	v_fma_f64 v[43:44], v[47:48], v[45:46], -v[53:54]
	v_fma_f64 v[43:44], v[47:48], v[41:42], v[43:44]
	v_add_f64 v[55:56], v[53:54], v[43:44]
	v_add_f64 v[57:58], v[51:52], -v[55:56]
	v_add_f64 v[49:50], v[55:56], -v[53:54]
	;; [unrolled: 1-line block ×4, first 2 shown]
	v_max_f64 v[49:50], |v[9:10]|, |v[9:10]|
	v_add_f64 v[51:52], v[51:52], -v[55:56]
	v_add_f64 v[37:38], v[37:38], v[51:52]
	v_add_f64 v[37:38], v[43:44], v[37:38]
	v_max_f64 v[43:44], |v[11:12]|, |v[11:12]|
	v_add_f64 v[51:52], v[57:58], v[37:38]
	v_max_f64 v[53:54], v[49:50], v[43:44]
	v_min_f64 v[43:44], v[49:50], v[43:44]
	v_mul_f64 v[49:50], v[39:40], v[51:52]
	v_add_f64 v[57:58], v[57:58], -v[51:52]
	v_div_scale_f64 v[55:56], s[12:13], v[53:54], v[53:54], v[43:44]
	s_mov_b32 s12, 0xaf56de9b
	s_mov_b32 s13, 0xbf67952d
	v_mul_f64 v[59:60], v[45:46], v[49:50]
	v_add_f64 v[37:38], v[37:38], v[57:58]
	v_fma_f64 v[45:46], v[49:50], v[45:46], -v[59:60]
	v_rcp_f64_e32 v[61:62], v[55:56]
	v_fma_f64 v[41:42], v[49:50], v[41:42], v[45:46]
	v_add_f64 v[45:46], v[59:60], v[41:42]
	v_fma_f64 v[70:71], -v[55:56], v[61:62], 1.0
	v_add_f64 v[72:73], v[51:52], -v[45:46]
	v_add_f64 v[57:58], v[45:46], -v[59:60]
	v_fma_f64 v[61:62], v[61:62], v[70:71], v[61:62]
	v_div_scale_f64 v[70:71], vcc, v[43:44], v[53:54], v[43:44]
	v_add_f64 v[51:52], v[51:52], -v[72:73]
	v_add_f64 v[41:42], v[57:58], -v[41:42]
	v_fma_f64 v[74:75], -v[55:56], v[61:62], 1.0
	v_add_f64 v[57:58], v[47:48], v[49:50]
	v_add_f64 v[45:46], v[51:52], -v[45:46]
	v_fma_f64 v[51:52], v[61:62], v[74:75], v[61:62]
	v_add_f64 v[47:48], v[57:58], -v[47:48]
	v_add_f64 v[37:38], v[37:38], v[45:46]
	v_mul_f64 v[45:46], v[70:71], v[51:52]
	v_add_f64 v[37:38], v[41:42], v[37:38]
	v_fma_f64 v[41:42], -v[55:56], v[45:46], v[70:71]
	v_add_f64 v[37:38], v[72:73], v[37:38]
	v_div_fmas_f64 v[41:42], v[41:42], v[51:52], v[45:46]
	v_add_f64 v[45:46], v[49:50], -v[47:48]
	v_cmp_gt_i32_e32 vcc, 0, v10
	v_cndmask_b32_e32 v15, v66, v67, vcc
	v_mul_f64 v[37:38], v[39:40], v[37:38]
	v_add_f64 v[37:38], v[45:46], v[37:38]
	v_div_fixup_f64 v[39:40], v[41:42], v[53:54], v[43:44]
	v_cvt_f64_i32_e32 v[53:54], v7
	v_ashrrev_i32_e32 v7, 31, v10
	v_and_b32_e32 v18, 0x54442d18, v7
	v_and_b32_e32 v7, 0x400921fb, v7
	v_mul_f64 v[55:56], v[53:54], s[44:45]
	v_add_f64 v[41:42], v[57:58], v[37:38]
	v_mul_f64 v[43:44], v[39:40], v[39:40]
	v_mul_f64 v[45:46], v[41:42], v[41:42]
	v_fma_f64 v[47:48], v[43:44], s[56:57], v[21:22]
	v_fma_f64 v[49:50], v[45:46], s[34:35], v[19:20]
	v_mul_f64 v[51:52], v[41:42], v[45:46]
	v_fma_f64 v[47:48], v[43:44], v[47:48], s[54:55]
	v_fma_f64 v[49:50], v[45:46], v[49:50], s[36:37]
	;; [unrolled: 1-line block ×3, first 2 shown]
	s_mov_b32 s12, 0xa595c56f
	s_mov_b32 s13, 0x3f7d6d43
	v_fma_f64 v[49:50], v[45:46], v[49:50], s[38:39]
	v_fma_f64 v[47:48], v[43:44], v[47:48], s[12:13]
	s_mov_b32 s12, 0xa57d9582
	s_mov_b32 s13, 0xbf8c6ea4
	v_fma_f64 v[49:50], v[45:46], v[49:50], s[40:41]
	v_fma_f64 v[47:48], v[43:44], v[47:48], s[12:13]
	;; [unrolled: 4-line block ×3, first 2 shown]
	s_mov_b32 s12, 0xfc27006a
	s_mov_b32 s13, 0xbf9e9ae6
	v_fma_f64 v[45:46], v[45:46], v[49:50], s[30:31]
	v_ldexp_f64 v[49:50], v[41:42], 1
	v_fma_f64 v[47:48], v[43:44], v[47:48], s[12:13]
	s_mov_b32 s12, 0x5711927a
	s_mov_b32 s13, 0x3fa2c15b
	v_add_f64 v[41:42], v[41:42], -v[57:58]
	v_mul_f64 v[45:46], v[51:52], v[45:46]
	v_fma_f64 v[47:48], v[43:44], v[47:48], s[12:13]
	v_cmp_eq_f64_e64 s[12:13], 0, v[11:12]
	v_add_f64 v[37:38], v[37:38], -v[41:42]
	v_add_f64 v[51:52], v[49:50], v[45:46]
	v_fma_f64 v[47:48], v[43:44], v[47:48], s[64:65]
	v_ldexp_f64 v[37:38], v[37:38], 1
	v_add_f64 v[41:42], v[51:52], -v[49:50]
	v_fma_f64 v[49:50], v[53:54], s[44:45], -v[55:56]
	v_fma_f64 v[47:48], v[43:44], v[47:48], s[66:67]
	v_add_f64 v[41:42], v[45:46], -v[41:42]
	v_fma_f64 v[45:46], v[43:44], v[47:48], s[68:69]
	v_fma_f64 v[47:48], v[53:54], s[46:47], v[49:50]
	v_add_f64 v[37:38], v[37:38], v[41:42]
	v_fma_f64 v[41:42], v[43:44], v[45:46], s[70:71]
	v_add_f64 v[45:46], v[55:56], v[47:48]
	v_add_f64 v[49:50], v[51:52], v[37:38]
	v_fma_f64 v[41:42], v[43:44], v[41:42], s[72:73]
	v_add_f64 v[55:56], v[45:46], -v[55:56]
	v_add_f64 v[53:54], v[45:46], v[49:50]
	v_add_f64 v[51:52], v[49:50], -v[51:52]
	v_fma_f64 v[41:42], v[43:44], v[41:42], s[74:75]
	v_add_f64 v[47:48], v[47:48], -v[55:56]
	v_add_f64 v[57:58], v[53:54], -v[45:46]
	;; [unrolled: 1-line block ×3, first 2 shown]
	v_fma_f64 v[41:42], v[43:44], v[41:42], s[76:77]
	v_add_f64 v[59:60], v[53:54], -v[57:58]
	v_add_f64 v[49:50], v[49:50], -v[57:58]
	v_fma_f64 v[41:42], v[43:44], v[41:42], s[78:79]
	v_add_f64 v[51:52], v[47:48], v[37:38]
	v_add_f64 v[45:46], v[45:46], -v[59:60]
	v_fma_f64 v[41:42], v[43:44], v[41:42], s[80:81]
	v_add_f64 v[45:46], v[49:50], v[45:46]
	;; [unrolled: 3-line block ×3, first 2 shown]
	v_add_f64 v[51:52], v[51:52], -v[49:50]
	v_fma_f64 v[41:42], v[43:44], v[41:42], s[84:85]
	v_add_f64 v[37:38], v[37:38], -v[49:50]
	v_add_f64 v[55:56], v[53:54], v[45:46]
	v_mul_f64 v[41:42], v[43:44], v[41:42]
	v_add_f64 v[43:44], v[47:48], -v[51:52]
	v_add_f64 v[47:48], v[55:56], -v[53:54]
	v_fma_f64 v[39:40], v[39:40], v[41:42], v[39:40]
	v_add_f64 v[37:38], v[37:38], v[43:44]
	v_add_f64 v[41:42], v[45:46], -v[47:48]
	v_add_f64 v[43:44], -v[39:40], s[90:91]
	v_add_f64 v[37:38], v[37:38], v[41:42]
	v_cndmask_b32_e64 v40, v40, v44, s[10:11]
	v_cndmask_b32_e64 v39, v39, v43, s[10:11]
	v_add_f64 v[41:42], -v[39:40], s[86:87]
	v_add_f64 v[37:38], v[55:56], v[37:38]
	v_cndmask_b32_e32 v39, v39, v41, vcc
	v_cndmask_b32_e32 v41, v68, v69, vcc
	;; [unrolled: 1-line block ×3, first 2 shown]
	v_bfi_b32 v5, s62, v41, v12
	v_mul_f64 v[9:10], v[37:38], 0.5
	v_cndmask_b32_e64 v18, v39, v18, s[12:13]
	v_cndmask_b32_e64 v6, v6, v7, s[12:13]
	s_and_b64 vcc, s[48:49], s[50:51]
	v_cndmask_b32_e32 v6, v6, v5, vcc
	v_cndmask_b32_e32 v5, v18, v15, vcc
                                        ; implicit-def: $vgpr41_vgpr42
	v_cndmask_b32_e64 v38, v63, v10, s[14:15]
	v_cndmask_b32_e64 v37, 0, v9, s[14:15]
.LBB185_101:                            ;   in Loop: Header=BB185_4 Depth=1
	s_andn2_saveexec_b64 s[14:15], s[24:25]
	s_cbranch_execz .LBB185_103
; %bb.102:                              ;   in Loop: Header=BB185_4 Depth=1
	v_max_f64 v[5:6], |v[11:12]|, |v[11:12]|
	v_max_f64 v[37:38], |v[9:10]|, |v[9:10]|
	s_mov_b32 s86, s90
	v_cmp_class_f64_e64 s[24:25], v[11:12], s63
	v_cmp_class_f64_e64 s[48:49], v[9:10], s63
	v_ashrrev_i32_e32 v7, 31, v10
	v_and_b32_e32 v18, 0x54442d18, v7
	v_and_b32_e32 v7, 0x400921fb, v7
	v_max_f64 v[39:40], v[37:38], v[5:6]
	v_min_f64 v[5:6], v[37:38], v[5:6]
	v_div_scale_f64 v[37:38], s[12:13], v[39:40], v[39:40], v[5:6]
	s_mov_b32 s12, 0xaf56de9b
	s_mov_b32 s13, 0xbf67952d
	v_rcp_f64_e32 v[43:44], v[37:38]
	v_fma_f64 v[45:46], -v[37:38], v[43:44], 1.0
	v_fma_f64 v[43:44], v[43:44], v[45:46], v[43:44]
	v_div_scale_f64 v[45:46], vcc, v[5:6], v[39:40], v[5:6]
	v_fma_f64 v[47:48], -v[37:38], v[43:44], 1.0
	v_fma_f64 v[43:44], v[43:44], v[47:48], v[43:44]
	v_mul_f64 v[47:48], v[45:46], v[43:44]
	v_fma_f64 v[37:38], -v[37:38], v[47:48], v[45:46]
	v_div_fmas_f64 v[37:38], v[37:38], v[43:44], v[47:48]
	v_mul_f64 v[43:44], v[41:42], 0.5
	v_cmp_gt_i32_e32 vcc, 0, v10
	v_cndmask_b32_e32 v9, v68, v69, vcc
	v_cndmask_b32_e32 v15, v66, v67, vcc
	v_bfi_b32 v9, s62, v9, v12
	v_div_fixup_f64 v[5:6], v[37:38], v[39:40], v[5:6]
	v_mul_f64 v[37:38], v[5:6], v[5:6]
	v_fma_f64 v[39:40], v[37:38], s[56:57], v[21:22]
	v_fma_f64 v[39:40], v[37:38], v[39:40], s[54:55]
	v_fma_f64 v[39:40], v[37:38], v[39:40], s[12:13]
	s_mov_b32 s12, 0xa595c56f
	s_mov_b32 s13, 0x3f7d6d43
	v_fma_f64 v[39:40], v[37:38], v[39:40], s[12:13]
	s_mov_b32 s12, 0xa57d9582
	s_mov_b32 s13, 0xbf8c6ea4
	v_fma_f64 v[39:40], v[37:38], v[39:40], s[12:13]
	;; [unrolled: 3-line block ×5, first 2 shown]
	v_cmp_eq_f64_e64 s[12:13], 0, v[11:12]
	v_fma_f64 v[39:40], v[37:38], v[39:40], s[64:65]
	v_fma_f64 v[39:40], v[37:38], v[39:40], s[66:67]
	;; [unrolled: 1-line block ×11, first 2 shown]
	v_mul_f64 v[37:38], v[37:38], v[39:40]
	v_fma_f64 v[5:6], v[5:6], v[37:38], v[5:6]
	v_add_f64 v[37:38], -v[5:6], s[90:91]
	v_cndmask_b32_e64 v6, v6, v38, s[10:11]
	v_cndmask_b32_e64 v5, v5, v37, s[10:11]
	v_add_f64 v[38:39], -v[5:6], s[86:87]
	v_cndmask_b32_e32 v5, v5, v38, vcc
	v_mul_f64 v[37:38], v[41:42], v[43:44]
	v_cndmask_b32_e32 v6, v6, v39, vcc
	v_cndmask_b32_e64 v5, v5, v18, s[12:13]
	v_cndmask_b32_e64 v6, v6, v7, s[12:13]
	s_and_b64 vcc, s[24:25], s[48:49]
	v_cndmask_b32_e32 v6, v6, v9, vcc
	v_cndmask_b32_e32 v5, v5, v15, vcc
.LBB185_103:                            ;   in Loop: Header=BB185_4 Depth=1
	s_or_b64 exec, exec, s[14:15]
.LBB185_104:                            ;   in Loop: Header=BB185_4 Depth=1
	s_or_b64 exec, exec, s[16:17]
.LBB185_105:                            ;   in Loop: Header=BB185_4 Depth=1
	s_andn2_saveexec_b64 s[14:15], s[18:19]
	s_cbranch_execz .LBB185_107
; %bb.106:                              ;   in Loop: Header=BB185_4 Depth=1
	v_div_scale_f64 v[5:6], s[12:13], s[92:93], s[92:93], v[9:10]
	v_div_scale_f64 v[37:38], s[12:13], s[92:93], s[92:93], v[11:12]
	v_div_scale_f64 v[47:48], s[12:13], v[11:12], s[92:93], v[11:12]
	s_mov_b32 s31, s27
	s_mov_b32 s86, s90
	v_cmp_class_f64_e64 s[18:19], v[9:10], s63
	v_rcp_f64_e32 v[39:40], v[5:6]
	v_rcp_f64_e32 v[41:42], v[37:38]
	v_fma_f64 v[43:44], -v[5:6], v[39:40], 1.0
	v_fma_f64 v[45:46], -v[37:38], v[41:42], 1.0
	v_fma_f64 v[39:40], v[39:40], v[43:44], v[39:40]
	v_div_scale_f64 v[43:44], vcc, v[9:10], s[92:93], v[9:10]
	v_fma_f64 v[41:42], v[41:42], v[45:46], v[41:42]
	v_fma_f64 v[45:46], -v[5:6], v[39:40], 1.0
	v_fma_f64 v[49:50], -v[37:38], v[41:42], 1.0
	v_fma_f64 v[39:40], v[39:40], v[45:46], v[39:40]
	v_fma_f64 v[41:42], v[41:42], v[49:50], v[41:42]
	v_mul_f64 v[45:46], v[43:44], v[39:40]
	v_mul_f64 v[49:50], v[47:48], v[41:42]
	v_fma_f64 v[5:6], -v[5:6], v[45:46], v[43:44]
	v_fma_f64 v[37:38], -v[37:38], v[49:50], v[47:48]
	v_div_fmas_f64 v[5:6], v[5:6], v[39:40], v[45:46]
	s_mov_b64 vcc, s[12:13]
	v_div_fmas_f64 v[37:38], v[37:38], v[41:42], v[49:50]
	v_max_f64 v[48:49], |v[9:10]|, |v[9:10]|
	v_div_fixup_f64 v[5:6], v[5:6], s[92:93], v[9:10]
	v_div_fixup_f64 v[37:38], v[37:38], s[92:93], v[11:12]
	v_cmp_class_f64_e64 s[12:13], v[5:6], s63
	v_max_f64 v[39:40], |v[5:6]|, |v[37:38]|
	v_cmp_class_f64_e64 s[16:17], v[37:38], s63
	v_frexp_exp_i32_f64_e32 v7, v[39:40]
	v_sub_u32_e32 v15, 0, v7
	v_ldexp_f64 v[39:40], |v[37:38]|, v15
	v_ldexp_f64 v[41:42], |v[5:6]|, v15
	v_mul_f64 v[39:40], v[39:40], v[39:40]
	v_fma_f64 v[39:40], v[41:42], v[41:42], v[39:40]
	v_rsq_f64_e32 v[41:42], v[39:40]
	v_cmp_eq_f64_e32 vcc, 0, v[39:40]
	v_mul_f64 v[43:44], v[39:40], v[41:42]
	v_mul_f64 v[41:42], v[41:42], 0.5
	v_fma_f64 v[45:46], -v[41:42], v[43:44], 0.5
	v_fma_f64 v[43:44], v[43:44], v[45:46], v[43:44]
	v_fma_f64 v[41:42], v[41:42], v[45:46], v[41:42]
	v_fma_f64 v[45:46], -v[43:44], v[43:44], v[39:40]
	v_fma_f64 v[41:42], v[45:46], v[41:42], v[43:44]
	v_max_f64 v[46:47], |v[11:12]|, |v[11:12]|
	v_cndmask_b32_e32 v40, v42, v40, vcc
	v_cndmask_b32_e32 v39, v41, v39, vcc
	v_ldexp_f64 v[39:40], v[39:40], v7
	v_cmp_o_f64_e32 vcc, v[5:6], v[37:38]
	v_cndmask_b32_e32 v5, 0, v39, vcc
	v_cndmask_b32_e32 v6, v64, v40, vcc
	s_or_b64 vcc, s[16:17], s[12:13]
	v_cndmask_b32_e32 v39, v6, v63, vcc
	v_cndmask_b32_e64 v38, v5, 0, vcc
	v_frexp_mant_f64_e32 v[5:6], v[38:39]
	v_cmp_gt_f64_e64 s[12:13], s[26:27], v[5:6]
	v_cndmask_b32_e64 v7, 0, 1, s[12:13]
	v_ldexp_f64 v[5:6], v[5:6], v7
	v_frexp_exp_i32_f64_e32 v7, v[38:39]
	v_add_f64 v[40:41], v[5:6], 1.0
	v_add_f64 v[52:53], v[5:6], -1.0
	v_rcp_f64_e32 v[42:43], v[40:41]
	v_add_f64 v[56:57], v[40:41], -1.0
	v_add_f64 v[5:6], v[5:6], -v[56:57]
	v_fma_f64 v[44:45], -v[40:41], v[42:43], 1.0
	v_fma_f64 v[42:43], v[44:45], v[42:43], v[42:43]
	v_max_f64 v[44:45], v[48:49], v[46:47]
	v_min_f64 v[46:47], v[48:49], v[46:47]
	v_fma_f64 v[48:49], -v[40:41], v[42:43], 1.0
	v_div_scale_f64 v[50:51], s[16:17], v[44:45], v[44:45], v[46:47]
	s_mov_b32 s16, 0xaf56de9b
	s_mov_b32 s17, 0xbf67952d
	v_fma_f64 v[42:43], v[48:49], v[42:43], v[42:43]
	v_mul_f64 v[48:49], v[52:53], v[42:43]
	v_rcp_f64_e32 v[54:55], v[50:51]
	v_mul_f64 v[58:59], v[40:41], v[48:49]
	v_fma_f64 v[40:41], v[48:49], v[40:41], -v[58:59]
	v_fma_f64 v[56:57], -v[50:51], v[54:55], 1.0
	v_fma_f64 v[5:6], v[48:49], v[5:6], v[40:41]
	v_fma_f64 v[40:41], v[54:55], v[56:57], v[54:55]
	v_div_scale_f64 v[56:57], vcc, v[46:47], v[44:45], v[46:47]
	v_add_f64 v[54:55], v[58:59], v[5:6]
	v_fma_f64 v[60:61], -v[50:51], v[40:41], 1.0
	v_add_f64 v[70:71], v[52:53], -v[54:55]
	v_add_f64 v[58:59], v[54:55], -v[58:59]
	v_fma_f64 v[40:41], v[40:41], v[60:61], v[40:41]
	v_add_f64 v[52:53], v[52:53], -v[70:71]
	v_add_f64 v[5:6], v[58:59], -v[5:6]
	v_mul_f64 v[60:61], v[56:57], v[40:41]
	v_add_f64 v[52:53], v[52:53], -v[54:55]
	v_fma_f64 v[50:51], -v[50:51], v[60:61], v[56:57]
	v_add_f64 v[5:6], v[5:6], v[52:53]
	v_div_fmas_f64 v[40:41], v[50:51], v[40:41], v[60:61]
	v_subbrev_co_u32_e64 v7, vcc, 0, v7, s[12:13]
	v_cmp_class_f64_e64 vcc, v[38:39], s63
	v_cmp_eq_f64_e64 s[12:13], 0, v[11:12]
	v_add_f64 v[5:6], v[70:71], v[5:6]
	v_mul_f64 v[5:6], v[42:43], v[5:6]
	v_div_fixup_f64 v[40:41], v[40:41], v[44:45], v[46:47]
	v_add_f64 v[42:43], v[48:49], v[5:6]
	v_mul_f64 v[44:45], v[40:41], v[40:41]
	v_mul_f64 v[46:47], v[42:43], v[42:43]
	v_fma_f64 v[50:51], v[44:45], s[56:57], v[21:22]
	v_fma_f64 v[52:53], v[46:47], s[34:35], v[19:20]
	v_mul_f64 v[54:55], v[42:43], v[46:47]
	v_fma_f64 v[50:51], v[44:45], v[50:51], s[54:55]
	v_fma_f64 v[52:53], v[46:47], v[52:53], s[36:37]
	;; [unrolled: 1-line block ×3, first 2 shown]
	s_mov_b32 s16, 0xa595c56f
	s_mov_b32 s17, 0x3f7d6d43
	v_fma_f64 v[52:53], v[46:47], v[52:53], s[38:39]
	v_fma_f64 v[50:51], v[44:45], v[50:51], s[16:17]
	s_mov_b32 s16, 0xa57d9582
	s_mov_b32 s17, 0xbf8c6ea4
	v_fma_f64 v[52:53], v[46:47], v[52:53], s[40:41]
	v_fma_f64 v[50:51], v[44:45], v[50:51], s[16:17]
	;; [unrolled: 4-line block ×3, first 2 shown]
	s_mov_b32 s16, 0xfc27006a
	s_mov_b32 s17, 0xbf9e9ae6
	v_fma_f64 v[46:47], v[46:47], v[52:53], s[30:31]
	v_ldexp_f64 v[52:53], v[42:43], 1
	v_fma_f64 v[50:51], v[44:45], v[50:51], s[16:17]
	s_mov_b32 s16, 0x5711927a
	s_mov_b32 s17, 0x3fa2c15b
	v_add_f64 v[42:43], v[42:43], -v[48:49]
	v_mul_f64 v[46:47], v[54:55], v[46:47]
	v_cvt_f64_i32_e32 v[54:55], v7
	v_fma_f64 v[50:51], v[44:45], v[50:51], s[16:17]
	v_cmp_class_f64_e64 s[16:17], v[11:12], s63
	v_ashrrev_i32_e32 v7, 31, v10
	v_mul_f64 v[56:57], v[54:55], s[44:45]
	v_add_f64 v[5:6], v[5:6], -v[42:43]
	v_and_b32_e32 v37, 0x54442d18, v7
	v_add_f64 v[48:49], v[52:53], v[46:47]
	v_and_b32_e32 v7, 0x400921fb, v7
	v_fma_f64 v[50:51], v[44:45], v[50:51], s[64:65]
	v_ldexp_f64 v[5:6], v[5:6], 1
	v_add_f64 v[42:43], v[48:49], -v[52:53]
	v_fma_f64 v[52:53], v[54:55], s[44:45], -v[56:57]
	v_fma_f64 v[50:51], v[44:45], v[50:51], s[66:67]
	v_add_f64 v[42:43], v[46:47], -v[42:43]
	v_fma_f64 v[46:47], v[44:45], v[50:51], s[68:69]
	v_fma_f64 v[50:51], v[54:55], s[46:47], v[52:53]
	v_add_f64 v[5:6], v[5:6], v[42:43]
	v_fma_f64 v[42:43], v[44:45], v[46:47], s[70:71]
	v_add_f64 v[46:47], v[56:57], v[50:51]
	v_add_f64 v[52:53], v[48:49], v[5:6]
	v_fma_f64 v[42:43], v[44:45], v[42:43], s[72:73]
	v_add_f64 v[56:57], v[46:47], -v[56:57]
	v_add_f64 v[54:55], v[46:47], v[52:53]
	v_add_f64 v[48:49], v[52:53], -v[48:49]
	v_fma_f64 v[42:43], v[44:45], v[42:43], s[74:75]
	v_add_f64 v[50:51], v[50:51], -v[56:57]
	v_add_f64 v[58:59], v[54:55], -v[46:47]
	;; [unrolled: 1-line block ×3, first 2 shown]
	v_fma_f64 v[42:43], v[44:45], v[42:43], s[76:77]
	v_add_f64 v[60:61], v[54:55], -v[58:59]
	v_add_f64 v[48:49], v[52:53], -v[58:59]
	v_fma_f64 v[42:43], v[44:45], v[42:43], s[78:79]
	v_add_f64 v[52:53], v[50:51], v[5:6]
	v_add_f64 v[46:47], v[46:47], -v[60:61]
	v_fma_f64 v[42:43], v[44:45], v[42:43], s[80:81]
	v_add_f64 v[46:47], v[48:49], v[46:47]
	;; [unrolled: 3-line block ×3, first 2 shown]
	v_add_f64 v[52:53], v[52:53], -v[48:49]
	v_fma_f64 v[42:43], v[44:45], v[42:43], s[84:85]
	v_add_f64 v[5:6], v[5:6], -v[48:49]
	v_add_f64 v[56:57], v[54:55], v[46:47]
	v_mul_f64 v[42:43], v[44:45], v[42:43]
	v_add_f64 v[44:45], v[50:51], -v[52:53]
	v_add_f64 v[48:49], v[56:57], -v[54:55]
	v_fma_f64 v[40:41], v[40:41], v[42:43], v[40:41]
	v_add_f64 v[5:6], v[5:6], v[44:45]
	v_add_f64 v[42:43], v[46:47], -v[48:49]
	v_add_f64 v[44:45], -v[40:41], s[90:91]
	v_add_f64 v[5:6], v[5:6], v[42:43]
	v_cndmask_b32_e64 v41, v41, v45, s[10:11]
	v_cndmask_b32_e64 v40, v40, v44, s[10:11]
	v_add_f64 v[42:43], -v[40:41], s[86:87]
	v_cmp_gt_i32_e64 s[10:11], 0, v10
	v_cndmask_b32_e64 v15, v66, v67, s[10:11]
	v_cndmask_b32_e64 v18, v68, v69, s[10:11]
	v_add_f64 v[5:6], v[56:57], v[5:6]
	v_cndmask_b32_e64 v40, v40, v42, s[10:11]
	v_cndmask_b32_e32 v6, v6, v39, vcc
	v_cndmask_b32_e32 v5, v5, v38, vcc
	v_add_f64 v[9:10], v[5:6], 1.0
	v_cndmask_b32_e64 v6, v41, v43, s[10:11]
	v_cmp_ngt_f64_e64 s[10:11], 0, v[38:39]
	v_bfi_b32 v5, s62, v18, v12
	v_cndmask_b32_e64 v6, v6, v7, s[12:13]
	s_and_b64 vcc, s[16:17], s[18:19]
	v_cndmask_b32_e32 v6, v6, v5, vcc
	v_cndmask_b32_e64 v18, v40, v37, s[12:13]
	v_cndmask_b32_e64 v5, v64, v10, s[10:11]
	v_cmp_nge_f64_e64 s[10:11], 0, v[38:39]
	v_cndmask_b32_e64 v37, 0, v9, s[10:11]
	v_cmp_neq_f64_e64 s[10:11], 0, v[38:39]
	v_cndmask_b32_e64 v38, v65, v5, s[10:11]
	v_cndmask_b32_e32 v5, v18, v15, vcc
.LBB185_107:                            ;   in Loop: Header=BB185_4 Depth=1
	s_or_b64 exec, exec, s[14:15]
.LBB185_108:                            ;   in Loop: Header=BB185_4 Depth=1
	s_andn2_saveexec_b64 s[4:5], s[4:5]
	s_cbranch_execz .LBB185_114
; %bb.109:                              ;   in Loop: Header=BB185_4 Depth=1
	v_cmp_nlt_f64_e64 s[10:11], |v[9:10]|, s[28:29]
	v_cmp_nlt_f64_e64 s[12:13], |v[11:12]|, s[28:29]
                                        ; implicit-def: $vgpr38_vgpr39
	s_or_b64 s[10:11], s[12:13], s[10:11]
	s_and_saveexec_b64 s[12:13], s[10:11]
	s_xor_b64 s[10:11], exec, s[12:13]
	s_cbranch_execz .LBB185_111
; %bb.110:                              ;   in Loop: Header=BB185_4 Depth=1
	v_mul_f64 v[5:6], v[9:10], v[9:10]
	v_fma_f64 v[38:39], v[11:12], v[11:12], v[5:6]
.LBB185_111:                            ;   in Loop: Header=BB185_4 Depth=1
	s_andn2_saveexec_b64 s[10:11], s[10:11]
	s_cbranch_execz .LBB185_113
; %bb.112:                              ;   in Loop: Header=BB185_4 Depth=1
	v_mul_f64 v[5:6], v[9:10], 4.0
	v_mul_f64 v[9:10], v[11:12], 4.0
	v_mul_f64 v[5:6], v[5:6], v[5:6]
	v_fma_f64 v[5:6], v[9:10], v[9:10], v[5:6]
	v_ldexp_f64 v[38:39], v[5:6], -4
.LBB185_113:                            ;   in Loop: Header=BB185_4 Depth=1
	s_or_b64 exec, exec, s[10:11]
	v_frexp_mant_f64_e32 v[5:6], v[38:39]
	s_mov_b32 s31, s27
	v_cmp_gt_f64_e32 vcc, s[26:27], v[5:6]
	v_cndmask_b32_e64 v7, 0, 1, vcc
	v_ldexp_f64 v[5:6], v[5:6], v7
	v_frexp_exp_i32_f64_e32 v7, v[38:39]
	v_add_f64 v[9:10], v[5:6], 1.0
	v_add_f64 v[44:45], v[5:6], -1.0
	v_subbrev_co_u32_e32 v7, vcc, 0, v7, vcc
	v_cmp_class_f64_e64 vcc, v[38:39], s63
	v_rcp_f64_e32 v[40:41], v[9:10]
	v_add_f64 v[46:47], v[9:10], -1.0
	v_add_f64 v[5:6], v[5:6], -v[46:47]
	v_fma_f64 v[42:43], -v[9:10], v[40:41], 1.0
	v_fma_f64 v[40:41], v[42:43], v[40:41], v[40:41]
	v_fma_f64 v[42:43], -v[9:10], v[40:41], 1.0
	v_fma_f64 v[40:41], v[42:43], v[40:41], v[40:41]
	v_mul_f64 v[42:43], v[44:45], v[40:41]
	v_mul_f64 v[48:49], v[9:10], v[42:43]
	v_fma_f64 v[9:10], v[42:43], v[9:10], -v[48:49]
	v_fma_f64 v[5:6], v[42:43], v[5:6], v[9:10]
	v_add_f64 v[9:10], v[48:49], v[5:6]
	v_add_f64 v[46:47], v[44:45], -v[9:10]
	v_add_f64 v[48:49], v[9:10], -v[48:49]
	;; [unrolled: 1-line block ×5, first 2 shown]
	v_add_f64 v[5:6], v[5:6], v[9:10]
	v_add_f64 v[5:6], v[46:47], v[5:6]
	v_mul_f64 v[5:6], v[40:41], v[5:6]
	v_add_f64 v[9:10], v[42:43], v[5:6]
	v_mul_f64 v[40:41], v[9:10], v[9:10]
	v_fma_f64 v[44:45], v[40:41], s[34:35], v[19:20]
	v_mul_f64 v[46:47], v[9:10], v[40:41]
	v_fma_f64 v[44:45], v[40:41], v[44:45], s[36:37]
	v_fma_f64 v[44:45], v[40:41], v[44:45], s[38:39]
	v_fma_f64 v[44:45], v[40:41], v[44:45], s[40:41]
	v_fma_f64 v[44:45], v[40:41], v[44:45], s[42:43]
	v_fma_f64 v[40:41], v[40:41], v[44:45], s[30:31]
	v_ldexp_f64 v[44:45], v[9:10], 1
	v_add_f64 v[9:10], v[9:10], -v[42:43]
	v_mul_f64 v[40:41], v[46:47], v[40:41]
	v_cvt_f64_i32_e32 v[46:47], v7
	v_add_f64 v[5:6], v[5:6], -v[9:10]
	v_mul_f64 v[48:49], v[46:47], s[44:45]
	v_add_f64 v[42:43], v[44:45], v[40:41]
	v_ldexp_f64 v[5:6], v[5:6], 1
	v_add_f64 v[9:10], v[42:43], -v[44:45]
	v_fma_f64 v[44:45], v[46:47], s[44:45], -v[48:49]
	v_add_f64 v[9:10], v[40:41], -v[9:10]
	v_fma_f64 v[40:41], v[46:47], s[46:47], v[44:45]
	v_add_f64 v[5:6], v[5:6], v[9:10]
	v_add_f64 v[9:10], v[48:49], v[40:41]
	;; [unrolled: 1-line block ×3, first 2 shown]
	v_add_f64 v[48:49], v[9:10], -v[48:49]
	v_add_f64 v[46:47], v[9:10], v[44:45]
	v_add_f64 v[42:43], v[44:45], -v[42:43]
	v_add_f64 v[40:41], v[40:41], -v[48:49]
	;; [unrolled: 1-line block ×6, first 2 shown]
	v_add_f64 v[44:45], v[40:41], v[5:6]
	v_add_f64 v[9:10], v[9:10], -v[52:53]
	v_add_f64 v[9:10], v[42:43], v[9:10]
	v_add_f64 v[42:43], v[44:45], -v[40:41]
	;; [unrolled: 2-line block ×3, first 2 shown]
	v_add_f64 v[5:6], v[5:6], -v[42:43]
	v_add_f64 v[48:49], v[46:47], v[9:10]
	v_add_f64 v[40:41], v[40:41], -v[44:45]
	v_add_f64 v[42:43], v[48:49], -v[46:47]
	v_add_f64 v[5:6], v[5:6], v[40:41]
	v_add_f64 v[9:10], v[9:10], -v[42:43]
	v_add_f64 v[5:6], v[5:6], v[9:10]
	v_add_f64 v[9:10], v[48:49], v[5:6]
	v_mov_b32_e32 v5, 0
	v_mov_b32_e32 v6, 0x7ff80000
	v_cndmask_b32_e32 v7, v9, v38, vcc
	v_cndmask_b32_e32 v9, v10, v39, vcc
	v_cmp_ngt_f64_e32 vcc, 0, v[38:39]
	v_cndmask_b32_e32 v9, v64, v9, vcc
	v_cmp_nge_f64_e32 vcc, 0, v[38:39]
	v_cndmask_b32_e32 v37, 0, v7, vcc
	v_cmp_neq_f64_e32 vcc, 0, v[38:39]
	v_cndmask_b32_e32 v38, v65, v9, vcc
.LBB185_114:                            ;   in Loop: Header=BB185_4 Depth=1
	s_or_b64 exec, exec, s[4:5]
	v_cmp_o_f64_e32 vcc, v[1:2], v[3:4]
                                        ; implicit-def: $vgpr39_vgpr40
                                        ; implicit-def: $vgpr9_vgpr10
	s_and_saveexec_b64 s[4:5], vcc
	s_xor_b64 s[4:5], exec, s[4:5]
	s_cbranch_execnz .LBB185_120
; %bb.115:                              ;   in Loop: Header=BB185_4 Depth=1
	s_andn2_saveexec_b64 s[4:5], s[4:5]
	s_cbranch_execnz .LBB185_147
.LBB185_116:                            ;   in Loop: Header=BB185_4 Depth=1
	s_or_b64 exec, exec, s[4:5]
	s_and_saveexec_b64 s[4:5], s[8:9]
	s_xor_b64 s[4:5], exec, s[4:5]
	s_cbranch_execnz .LBB185_152
.LBB185_117:                            ;   in Loop: Header=BB185_4 Depth=1
	s_or_b64 exec, exec, s[4:5]
	s_and_saveexec_b64 s[4:5], s[6:7]
	s_cbranch_execnz .LBB185_153
.LBB185_118:                            ;   in Loop: Header=BB185_4 Depth=1
	s_or_b64 exec, exec, s[4:5]
	s_and_saveexec_b64 s[4:5], s[2:3]
	s_cbranch_execnz .LBB185_154
.LBB185_119:                            ;   in Loop: Header=BB185_4 Depth=1
	s_or_b64 exec, exec, s[4:5]
	s_and_saveexec_b64 s[2:3], s[0:1]
	s_cbranch_execz .LBB185_3
	s_branch .LBB185_155
.LBB185_120:                            ;   in Loop: Header=BB185_4 Depth=1
	v_cmp_lt_f64_e64 s[10:11], |v[1:2]|, |v[3:4]|
	v_and_b32_e32 v7, 0x7fffffff, v2
	v_and_b32_e32 v11, 0x7fffffff, v4
	s_mov_b32 s12, 0x85ebc8a0
	s_mov_b32 s13, 0x7fd1ccf3
	v_mov_b32_e32 v15, v3
                                        ; implicit-def: $vgpr39_vgpr40
                                        ; implicit-def: $vgpr9_vgpr10
	v_cndmask_b32_e64 v44, v11, v7, s[10:11]
	v_cndmask_b32_e64 v43, v3, v1, s[10:11]
	v_cmp_nlt_f64_e32 vcc, s[12:13], v[43:44]
	s_and_saveexec_b64 s[12:13], vcc
	s_xor_b64 s[18:19], exec, s[12:13]
	s_cbranch_execz .LBB185_144
; %bb.121:                              ;   in Loop: Header=BB185_4 Depth=1
	v_cndmask_b32_e64 v46, v7, v11, s[10:11]
	v_cndmask_b32_e64 v45, v1, v15, s[10:11]
	v_cmp_neq_f64_e32 vcc, 1.0, v[45:46]
                                        ; implicit-def: $vgpr39_vgpr40
                                        ; implicit-def: $vgpr9_vgpr10
	s_and_saveexec_b64 s[12:13], vcc
	s_xor_b64 s[24:25], exec, s[12:13]
	s_cbranch_execz .LBB185_137
; %bb.122:                              ;   in Loop: Header=BB185_4 Depth=1
	v_max_f64 v[9:10], v[43:44], v[43:44]
	v_max_f64 v[39:40], v[45:46], v[45:46]
	s_mov_b32 s12, 0x4ad4b81f
	s_mov_b32 s13, 0x358dee7a
	v_min_f64 v[41:42], v[39:40], v[9:10]
	v_max_f64 v[9:10], v[39:40], v[9:10]
                                        ; implicit-def: $vgpr39_vgpr40
	v_cmp_ngt_f64_e32 vcc, s[12:13], v[41:42]
	s_mov_b32 s12, 0xc57e649a
	s_mov_b32 s13, 0x4a511b0e
	v_cmp_nlt_f64_e64 s[12:13], s[12:13], v[9:10]
                                        ; implicit-def: $vgpr9_vgpr10
	s_and_b64 s[12:13], s[12:13], vcc
	s_and_saveexec_b64 s[14:15], s[12:13]
	s_xor_b64 s[48:49], exec, s[14:15]
	s_cbranch_execz .LBB185_134
; %bb.123:                              ;   in Loop: Header=BB185_4 Depth=1
	v_cmp_le_f64_e32 vcc, 1.0, v[45:46]
                                        ; implicit-def: $vgpr39_vgpr40
                                        ; implicit-def: $vgpr9_vgpr10
	s_and_saveexec_b64 s[12:13], vcc
	s_xor_b64 s[50:51], exec, s[12:13]
	s_cbranch_execz .LBB185_125
; %bb.124:                              ;   in Loop: Header=BB185_4 Depth=1
	v_add_f64 v[9:10], v[45:46], -1.0
	v_add_f64 v[39:40], v[45:46], 1.0
	s_mov_b32 s31, s27
	s_mov_b32 s86, s90
	;; [unrolled: 1-line block ×4, first 2 shown]
	v_cmp_class_f64_e64 s[52:53], v[3:4], s63
	v_mul_f64 v[9:10], v[9:10], v[39:40]
	v_fma_f64 v[40:41], v[43:44], v[43:44], v[9:10]
	v_add_f64 v[9:10], v[40:41], 1.0
	v_cmp_nge_f64_e64 s[14:15], -1.0, v[40:41]
	v_cmp_neq_f64_e64 s[16:17], s[16:17], v[40:41]
	v_frexp_mant_f64_e32 v[44:45], v[9:10]
	v_frexp_exp_i32_f64_e32 v7, v[9:10]
	v_add_f64 v[42:43], v[9:10], -1.0
	v_cmp_gt_f64_e32 vcc, s[26:27], v[44:45]
	v_add_f64 v[46:47], v[42:43], -v[9:10]
	v_add_f64 v[42:43], v[40:41], -v[42:43]
	v_subbrev_co_u32_e32 v7, vcc, 0, v7, vcc
	v_sub_u32_e32 v11, 0, v7
	v_ldexp_f64 v[9:10], v[9:10], v11
	v_add_f64 v[44:45], v[46:47], 1.0
	v_add_f64 v[46:47], v[9:10], 1.0
	v_add_f64 v[42:43], v[42:43], v[44:45]
	v_add_f64 v[52:53], v[9:10], -1.0
	v_add_f64 v[44:45], v[46:47], -1.0
	v_ldexp_f64 v[42:43], v[42:43], v11
	v_add_f64 v[54:55], v[52:53], 1.0
	v_add_f64 v[44:45], v[9:10], -v[44:45]
	v_add_f64 v[9:10], v[9:10], -v[54:55]
	v_add_f64 v[44:45], v[42:43], v[44:45]
	v_add_f64 v[9:10], v[42:43], v[9:10]
	;; [unrolled: 1-line block ×4, first 2 shown]
	v_rcp_f64_e32 v[50:51], v[48:49]
	v_add_f64 v[46:47], v[48:49], -v[46:47]
	v_add_f64 v[52:53], v[54:55], -v[52:53]
	v_add_f64 v[44:45], v[44:45], -v[46:47]
	v_add_f64 v[9:10], v[9:10], -v[52:53]
	v_fma_f64 v[56:57], -v[48:49], v[50:51], 1.0
	v_fma_f64 v[50:51], v[56:57], v[50:51], v[50:51]
	v_fma_f64 v[42:43], -v[48:49], v[50:51], 1.0
	v_fma_f64 v[42:43], v[42:43], v[50:51], v[50:51]
	v_mul_f64 v[50:51], v[54:55], v[42:43]
	v_mul_f64 v[56:57], v[48:49], v[50:51]
	v_fma_f64 v[46:47], v[50:51], v[48:49], -v[56:57]
	v_fma_f64 v[46:47], v[50:51], v[44:45], v[46:47]
	v_add_f64 v[58:59], v[56:57], v[46:47]
	v_add_f64 v[60:61], v[54:55], -v[58:59]
	v_add_f64 v[52:53], v[58:59], -v[56:57]
	;; [unrolled: 1-line block ×4, first 2 shown]
	v_max_f64 v[52:53], |v[1:2]|, |v[1:2]|
	v_add_f64 v[54:55], v[54:55], -v[58:59]
	v_add_f64 v[9:10], v[9:10], v[54:55]
	v_add_f64 v[9:10], v[46:47], v[9:10]
	v_max_f64 v[46:47], |v[3:4]|, |v[3:4]|
	v_add_f64 v[54:55], v[60:61], v[9:10]
	v_max_f64 v[56:57], v[52:53], v[46:47]
	v_min_f64 v[46:47], v[52:53], v[46:47]
	v_mul_f64 v[52:53], v[42:43], v[54:55]
	v_add_f64 v[60:61], v[60:61], -v[54:55]
	v_div_scale_f64 v[58:59], s[12:13], v[56:57], v[56:57], v[46:47]
	s_mov_b32 s12, 0xaf56de9b
	s_mov_b32 s13, 0xbf67952d
	v_mul_f64 v[70:71], v[48:49], v[52:53]
	v_add_f64 v[9:10], v[9:10], v[60:61]
	v_fma_f64 v[48:49], v[52:53], v[48:49], -v[70:71]
	v_rcp_f64_e32 v[72:73], v[58:59]
	v_fma_f64 v[44:45], v[52:53], v[44:45], v[48:49]
	v_add_f64 v[48:49], v[70:71], v[44:45]
	v_fma_f64 v[74:75], -v[58:59], v[72:73], 1.0
	v_add_f64 v[76:77], v[54:55], -v[48:49]
	v_add_f64 v[60:61], v[48:49], -v[70:71]
	v_fma_f64 v[72:73], v[72:73], v[74:75], v[72:73]
	v_div_scale_f64 v[74:75], vcc, v[46:47], v[56:57], v[46:47]
	v_add_f64 v[54:55], v[54:55], -v[76:77]
	v_add_f64 v[44:45], v[60:61], -v[44:45]
	v_fma_f64 v[78:79], -v[58:59], v[72:73], 1.0
	v_add_f64 v[60:61], v[50:51], v[52:53]
	v_add_f64 v[48:49], v[54:55], -v[48:49]
	v_fma_f64 v[54:55], v[72:73], v[78:79], v[72:73]
	v_add_f64 v[50:51], v[60:61], -v[50:51]
	v_add_f64 v[9:10], v[9:10], v[48:49]
	v_mul_f64 v[48:49], v[74:75], v[54:55]
	v_add_f64 v[9:10], v[44:45], v[9:10]
	v_fma_f64 v[44:45], -v[58:59], v[48:49], v[74:75]
	v_add_f64 v[9:10], v[76:77], v[9:10]
	v_div_fmas_f64 v[44:45], v[44:45], v[54:55], v[48:49]
	v_add_f64 v[48:49], v[52:53], -v[50:51]
	v_cmp_gt_i32_e32 vcc, 0, v2
	v_cndmask_b32_e32 v11, v68, v69, vcc
	v_mul_f64 v[9:10], v[42:43], v[9:10]
	v_add_f64 v[9:10], v[48:49], v[9:10]
	v_div_fixup_f64 v[42:43], v[44:45], v[56:57], v[46:47]
	v_cvt_f64_i32_e32 v[56:57], v7
	v_cndmask_b32_e32 v7, v66, v67, vcc
	v_mul_f64 v[58:59], v[56:57], s[44:45]
	v_add_f64 v[44:45], v[60:61], v[9:10]
	v_mul_f64 v[46:47], v[42:43], v[42:43]
	v_mul_f64 v[48:49], v[44:45], v[44:45]
	v_fma_f64 v[50:51], v[46:47], s[56:57], v[21:22]
	v_fma_f64 v[52:53], v[48:49], s[34:35], v[19:20]
	v_mul_f64 v[54:55], v[44:45], v[48:49]
	v_fma_f64 v[50:51], v[46:47], v[50:51], s[54:55]
	v_cmp_class_f64_e64 s[54:55], v[1:2], s63
	v_ashrrev_i32_e32 v1, 31, v2
	v_and_b32_e32 v15, 0x54442d18, v1
	v_and_b32_e32 v39, 0x400921fb, v1
	v_fma_f64 v[52:53], v[48:49], v[52:53], s[36:37]
	v_fma_f64 v[50:51], v[46:47], v[50:51], s[12:13]
	s_mov_b32 s12, 0xa595c56f
	s_mov_b32 s13, 0x3f7d6d43
	v_fma_f64 v[52:53], v[48:49], v[52:53], s[38:39]
	v_fma_f64 v[50:51], v[46:47], v[50:51], s[12:13]
	s_mov_b32 s12, 0xa57d9582
	s_mov_b32 s13, 0xbf8c6ea4
	;; [unrolled: 4-line block ×4, first 2 shown]
	v_fma_f64 v[48:49], v[48:49], v[52:53], s[30:31]
	v_ldexp_f64 v[52:53], v[44:45], 1
	v_fma_f64 v[50:51], v[46:47], v[50:51], s[12:13]
	s_mov_b32 s12, 0x5711927a
	s_mov_b32 s13, 0x3fa2c15b
	v_add_f64 v[44:45], v[44:45], -v[60:61]
	v_mul_f64 v[48:49], v[54:55], v[48:49]
	v_fma_f64 v[50:51], v[46:47], v[50:51], s[12:13]
	v_cmp_eq_f64_e64 s[12:13], 0, v[3:4]
	v_add_f64 v[9:10], v[9:10], -v[44:45]
	v_add_f64 v[54:55], v[52:53], v[48:49]
	v_fma_f64 v[50:51], v[46:47], v[50:51], s[64:65]
	v_ldexp_f64 v[9:10], v[9:10], 1
	v_add_f64 v[44:45], v[54:55], -v[52:53]
	v_fma_f64 v[52:53], v[56:57], s[44:45], -v[58:59]
	v_fma_f64 v[50:51], v[46:47], v[50:51], s[66:67]
	v_add_f64 v[44:45], v[48:49], -v[44:45]
	v_fma_f64 v[48:49], v[46:47], v[50:51], s[68:69]
	v_fma_f64 v[50:51], v[56:57], s[46:47], v[52:53]
	v_add_f64 v[9:10], v[9:10], v[44:45]
	v_fma_f64 v[44:45], v[46:47], v[48:49], s[70:71]
	v_add_f64 v[48:49], v[58:59], v[50:51]
	v_add_f64 v[52:53], v[54:55], v[9:10]
	v_fma_f64 v[44:45], v[46:47], v[44:45], s[72:73]
	v_add_f64 v[58:59], v[48:49], -v[58:59]
	v_add_f64 v[56:57], v[48:49], v[52:53]
	v_add_f64 v[54:55], v[52:53], -v[54:55]
	v_fma_f64 v[44:45], v[46:47], v[44:45], s[74:75]
	v_add_f64 v[50:51], v[50:51], -v[58:59]
	v_add_f64 v[60:61], v[56:57], -v[48:49]
	v_add_f64 v[9:10], v[9:10], -v[54:55]
	v_fma_f64 v[44:45], v[46:47], v[44:45], s[76:77]
	v_add_f64 v[70:71], v[56:57], -v[60:61]
	v_add_f64 v[52:53], v[52:53], -v[60:61]
	v_fma_f64 v[44:45], v[46:47], v[44:45], s[78:79]
	v_add_f64 v[54:55], v[50:51], v[9:10]
	v_add_f64 v[48:49], v[48:49], -v[70:71]
	v_fma_f64 v[44:45], v[46:47], v[44:45], s[80:81]
	v_add_f64 v[48:49], v[52:53], v[48:49]
	;; [unrolled: 3-line block ×3, first 2 shown]
	v_add_f64 v[54:55], v[54:55], -v[52:53]
	v_fma_f64 v[44:45], v[46:47], v[44:45], s[84:85]
	v_add_f64 v[9:10], v[9:10], -v[52:53]
	v_add_f64 v[58:59], v[56:57], v[48:49]
	v_mul_f64 v[44:45], v[46:47], v[44:45]
	v_add_f64 v[46:47], v[50:51], -v[54:55]
	v_add_f64 v[50:51], v[58:59], -v[56:57]
	v_fma_f64 v[42:43], v[42:43], v[44:45], v[42:43]
	v_add_f64 v[9:10], v[9:10], v[46:47]
	v_add_f64 v[44:45], v[48:49], -v[50:51]
	v_add_f64 v[46:47], -v[42:43], s[90:91]
	v_add_f64 v[9:10], v[9:10], v[44:45]
	v_cndmask_b32_e64 v43, v43, v47, s[10:11]
	v_cndmask_b32_e64 v42, v42, v46, s[10:11]
	v_add_f64 v[44:45], -v[42:43], s[86:87]
	v_add_f64 v[9:10], v[58:59], v[9:10]
	v_cndmask_b32_e32 v18, v42, v44, vcc
	v_mul_f64 v[1:2], v[9:10], 0.5
	v_cndmask_b32_e32 v10, v43, v45, vcc
	v_bfi_b32 v9, s62, v11, v4
	v_cndmask_b32_e64 v11, v18, v15, s[12:13]
	v_cndmask_b32_e64 v10, v10, v39, s[12:13]
	s_and_b64 s[12:13], s[14:15], s[16:17]
	s_and_b64 vcc, s[52:53], s[54:55]
	s_mov_b32 s54, 0x69efb384
	v_cndmask_b32_e64 v39, 0, v1, s[12:13]
	v_cmp_ngt_f64_e64 s[12:13], -1.0, v[40:41]
	v_cndmask_b32_e64 v2, v63, v2, s[16:17]
	s_mov_b32 s55, 0x3f4b2bb0
	v_cndmask_b32_e32 v10, v10, v9, vcc
	v_cndmask_b32_e32 v9, v11, v7, vcc
                                        ; implicit-def: $vgpr43_vgpr44
                                        ; implicit-def: $vgpr45_vgpr46
	v_cndmask_b32_e64 v1, v64, v2, s[12:13]
	v_cmp_neq_f64_e64 s[12:13], -1.0, v[40:41]
	v_cndmask_b32_e64 v40, v65, v1, s[12:13]
.LBB185_125:                            ;   in Loop: Header=BB185_4 Depth=1
	s_andn2_saveexec_b64 s[50:51], s[50:51]
	s_cbranch_execz .LBB185_133
; %bb.126:                              ;   in Loop: Header=BB185_4 Depth=1
	v_mul_f64 v[9:10], v[43:44], v[43:44]
	s_mov_b32 s12, 0x66666666
	s_mov_b32 s13, 0x3fe66666
                                        ; implicit-def: $vgpr39_vgpr40
	v_fma_f64 v[41:42], v[45:46], v[45:46], v[9:10]
                                        ; implicit-def: $vgpr9_vgpr10
	v_cmp_ge_f64_e32 vcc, s[12:13], v[41:42]
	s_and_saveexec_b64 s[12:13], vcc
	s_xor_b64 s[16:17], exec, s[12:13]
	s_cbranch_execz .LBB185_128
; %bb.127:                              ;   in Loop: Header=BB185_4 Depth=1
	v_frexp_mant_f64_e32 v[9:10], v[41:42]
	v_max_f64 v[47:48], |v[3:4]|, |v[3:4]|
	v_max_f64 v[49:50], |v[1:2]|, |v[1:2]|
	s_mov_b32 s31, s27
	s_mov_b32 s86, s90
	v_cmp_class_f64_e64 s[52:53], v[3:4], s63
	v_cmp_gt_f64_e64 s[12:13], s[26:27], v[9:10]
	v_cndmask_b32_e64 v7, 0, 1, s[12:13]
	v_ldexp_f64 v[9:10], v[9:10], v7
	v_frexp_exp_i32_f64_e32 v7, v[41:42]
	v_add_f64 v[39:40], v[9:10], 1.0
	v_add_f64 v[53:54], v[9:10], -1.0
	v_rcp_f64_e32 v[43:44], v[39:40]
	v_add_f64 v[57:58], v[39:40], -1.0
	v_add_f64 v[9:10], v[9:10], -v[57:58]
	v_fma_f64 v[45:46], -v[39:40], v[43:44], 1.0
	v_fma_f64 v[43:44], v[45:46], v[43:44], v[43:44]
	v_max_f64 v[45:46], v[49:50], v[47:48]
	v_min_f64 v[47:48], v[49:50], v[47:48]
	v_fma_f64 v[49:50], -v[39:40], v[43:44], 1.0
	v_div_scale_f64 v[51:52], s[14:15], v[45:46], v[45:46], v[47:48]
	s_mov_b32 s14, 0xaf56de9b
	s_mov_b32 s15, 0xbf67952d
	v_fma_f64 v[43:44], v[49:50], v[43:44], v[43:44]
	v_mul_f64 v[49:50], v[53:54], v[43:44]
	v_rcp_f64_e32 v[55:56], v[51:52]
	v_mul_f64 v[59:60], v[39:40], v[49:50]
	v_fma_f64 v[39:40], v[49:50], v[39:40], -v[59:60]
	v_fma_f64 v[57:58], -v[51:52], v[55:56], 1.0
	v_fma_f64 v[9:10], v[49:50], v[9:10], v[39:40]
	v_fma_f64 v[39:40], v[55:56], v[57:58], v[55:56]
	v_div_scale_f64 v[57:58], vcc, v[47:48], v[45:46], v[47:48]
	v_add_f64 v[55:56], v[59:60], v[9:10]
	v_fma_f64 v[61:62], -v[51:52], v[39:40], 1.0
	v_add_f64 v[70:71], v[53:54], -v[55:56]
	v_add_f64 v[59:60], v[55:56], -v[59:60]
	v_fma_f64 v[39:40], v[39:40], v[61:62], v[39:40]
	v_add_f64 v[53:54], v[53:54], -v[70:71]
	v_add_f64 v[9:10], v[59:60], -v[9:10]
	v_mul_f64 v[61:62], v[57:58], v[39:40]
	v_add_f64 v[53:54], v[53:54], -v[55:56]
	v_fma_f64 v[51:52], -v[51:52], v[61:62], v[57:58]
	v_add_f64 v[9:10], v[9:10], v[53:54]
	v_div_fmas_f64 v[39:40], v[51:52], v[39:40], v[61:62]
	v_subbrev_co_u32_e64 v7, vcc, 0, v7, s[12:13]
	v_cmp_gt_i32_e32 vcc, 0, v2
	v_cmp_eq_f64_e64 s[12:13], 0, v[3:4]
	v_cndmask_b32_e32 v18, v68, v69, vcc
	v_add_f64 v[9:10], v[70:71], v[9:10]
	v_mul_f64 v[9:10], v[43:44], v[9:10]
	v_div_fixup_f64 v[39:40], v[39:40], v[45:46], v[47:48]
	v_add_f64 v[43:44], v[49:50], v[9:10]
	v_mul_f64 v[45:46], v[39:40], v[39:40]
	v_mul_f64 v[47:48], v[43:44], v[43:44]
	v_fma_f64 v[51:52], v[45:46], s[56:57], v[21:22]
	v_fma_f64 v[53:54], v[47:48], s[34:35], v[19:20]
	v_mul_f64 v[55:56], v[43:44], v[47:48]
	v_fma_f64 v[51:52], v[45:46], v[51:52], s[54:55]
	v_cmp_class_f64_e64 s[54:55], v[1:2], s63
	v_ashrrev_i32_e32 v1, 31, v2
	v_and_b32_e32 v11, 0x54442d18, v1
	v_fma_f64 v[53:54], v[47:48], v[53:54], s[36:37]
	v_fma_f64 v[51:52], v[45:46], v[51:52], s[14:15]
	s_mov_b32 s14, 0xa595c56f
	s_mov_b32 s15, 0x3f7d6d43
	v_fma_f64 v[53:54], v[47:48], v[53:54], s[38:39]
	v_fma_f64 v[51:52], v[45:46], v[51:52], s[14:15]
	s_mov_b32 s14, 0xa57d9582
	s_mov_b32 s15, 0xbf8c6ea4
	;; [unrolled: 4-line block ×4, first 2 shown]
	v_fma_f64 v[47:48], v[47:48], v[53:54], s[30:31]
	v_ldexp_f64 v[53:54], v[43:44], 1
	v_fma_f64 v[51:52], v[45:46], v[51:52], s[14:15]
	s_mov_b32 s14, 0x5711927a
	s_mov_b32 s15, 0x3fa2c15b
	v_add_f64 v[43:44], v[43:44], -v[49:50]
	v_mul_f64 v[47:48], v[55:56], v[47:48]
	v_cvt_f64_i32_e32 v[55:56], v7
	v_fma_f64 v[51:52], v[45:46], v[51:52], s[14:15]
	v_cmp_neq_f64_e64 s[14:15], 0, v[41:42]
	v_cndmask_b32_e32 v7, v66, v67, vcc
	v_mul_f64 v[57:58], v[55:56], s[44:45]
	v_add_f64 v[9:10], v[9:10], -v[43:44]
	v_add_f64 v[49:50], v[53:54], v[47:48]
	v_fma_f64 v[51:52], v[45:46], v[51:52], s[64:65]
	v_ldexp_f64 v[9:10], v[9:10], 1
	v_add_f64 v[43:44], v[49:50], -v[53:54]
	v_fma_f64 v[53:54], v[55:56], s[44:45], -v[57:58]
	v_fma_f64 v[51:52], v[45:46], v[51:52], s[66:67]
	v_add_f64 v[43:44], v[47:48], -v[43:44]
	v_fma_f64 v[47:48], v[45:46], v[51:52], s[68:69]
	v_fma_f64 v[51:52], v[55:56], s[46:47], v[53:54]
	v_add_f64 v[9:10], v[9:10], v[43:44]
	v_fma_f64 v[43:44], v[45:46], v[47:48], s[70:71]
	v_add_f64 v[47:48], v[57:58], v[51:52]
	v_add_f64 v[53:54], v[49:50], v[9:10]
	v_fma_f64 v[43:44], v[45:46], v[43:44], s[72:73]
	v_add_f64 v[57:58], v[47:48], -v[57:58]
	v_add_f64 v[55:56], v[47:48], v[53:54]
	v_add_f64 v[49:50], v[53:54], -v[49:50]
	v_fma_f64 v[43:44], v[45:46], v[43:44], s[74:75]
	v_add_f64 v[51:52], v[51:52], -v[57:58]
	v_add_f64 v[59:60], v[55:56], -v[47:48]
	;; [unrolled: 1-line block ×3, first 2 shown]
	v_fma_f64 v[43:44], v[45:46], v[43:44], s[76:77]
	v_add_f64 v[61:62], v[55:56], -v[59:60]
	v_add_f64 v[49:50], v[53:54], -v[59:60]
	v_fma_f64 v[43:44], v[45:46], v[43:44], s[78:79]
	v_add_f64 v[53:54], v[51:52], v[9:10]
	v_add_f64 v[47:48], v[47:48], -v[61:62]
	v_fma_f64 v[43:44], v[45:46], v[43:44], s[80:81]
	v_add_f64 v[47:48], v[49:50], v[47:48]
	;; [unrolled: 3-line block ×3, first 2 shown]
	v_add_f64 v[53:54], v[53:54], -v[49:50]
	v_fma_f64 v[43:44], v[45:46], v[43:44], s[84:85]
	v_add_f64 v[9:10], v[9:10], -v[49:50]
	v_add_f64 v[57:58], v[55:56], v[47:48]
	v_mul_f64 v[43:44], v[45:46], v[43:44]
	v_add_f64 v[45:46], v[51:52], -v[53:54]
	v_add_f64 v[49:50], v[57:58], -v[55:56]
	v_fma_f64 v[39:40], v[39:40], v[43:44], v[39:40]
	v_add_f64 v[9:10], v[9:10], v[45:46]
	v_add_f64 v[43:44], v[47:48], -v[49:50]
	v_add_f64 v[45:46], -v[39:40], s[90:91]
	v_add_f64 v[9:10], v[9:10], v[43:44]
	v_cndmask_b32_e64 v40, v40, v46, s[10:11]
	v_cndmask_b32_e64 v39, v39, v45, s[10:11]
	v_add_f64 v[43:44], -v[39:40], s[86:87]
                                        ; implicit-def: $vgpr45_vgpr46
	v_add_f64 v[9:10], v[57:58], v[9:10]
	v_cndmask_b32_e32 v15, v39, v43, vcc
	v_and_b32_e32 v39, 0x400921fb, v1
	v_cndmask_b32_e64 v11, v15, v11, s[12:13]
	v_mul_f64 v[1:2], v[9:10], 0.5
	v_cndmask_b32_e32 v10, v40, v44, vcc
	v_bfi_b32 v9, s62, v18, v4
	v_cndmask_b32_e64 v10, v10, v39, s[12:13]
	s_and_b64 vcc, s[52:53], s[54:55]
	s_mov_b32 s54, 0x69efb384
	s_mov_b32 s55, 0x3f4b2bb0
	v_cndmask_b32_e32 v10, v10, v9, vcc
	v_cndmask_b32_e64 v40, v65, v2, s[14:15]
	v_cndmask_b32_e64 v39, 0, v1, s[14:15]
	v_cndmask_b32_e32 v9, v11, v7, vcc
                                        ; implicit-def: $vgpr43_vgpr44
.LBB185_128:                            ;   in Loop: Header=BB185_4 Depth=1
	s_andn2_saveexec_b64 s[52:53], s[16:17]
	s_cbranch_execz .LBB185_132
; %bb.129:                              ;   in Loop: Header=BB185_4 Depth=1
	v_and_b32_e32 v18, 0x7ffffff8, v46
	v_and_b32_e32 v40, 0x7ffffff8, v44
	v_mov_b32_e32 v39, v17
	v_add_f64 v[9:10], v[45:46], -v[17:18]
	v_add_f64 v[41:42], v[43:44], -v[39:40]
	v_mov_b32_e32 v45, v17
	v_mov_b32_e32 v53, v17
	v_add_f64 v[49:50], v[17:18], v[17:18]
	v_add_f64 v[51:52], v[39:40], v[39:40]
	v_mul_f64 v[39:40], v[39:40], v[39:40]
	s_mov_b64 s[54:55], 0
	v_and_b32_e32 v46, -8, v10
	v_and_b32_e32 v54, -8, v42
	v_add_f64 v[59:60], v[9:10], -v[45:46]
	v_add_f64 v[61:62], v[41:42], -v[53:54]
	v_add_f64 v[70:71], v[45:46], v[45:46]
	v_add_f64 v[72:73], v[53:54], v[53:54]
	v_mul_f64 v[9:10], v[17:18], v[17:18]
	v_mul_f64 v[43:44], v[49:50], v[45:46]
	;; [unrolled: 1-line block ×11, first 2 shown]
.LBB185_130:                            ;   Parent Loop BB185_4 Depth=1
                                        ; =>  This Inner Loop Header: Depth=2
	v_cmp_nlt_f64_e32 vcc, v[9:10], v[39:40]
	v_cndmask_b32_e32 v62, v10, v40, vcc
	v_cndmask_b32_e32 v61, v9, v39, vcc
	v_cmp_nlt_f64_e64 s[12:13], v[61:62], v[43:44]
	v_cndmask_b32_e32 v10, v40, v10, vcc
	v_cndmask_b32_e32 v9, v39, v9, vcc
	v_cndmask_b32_e64 v71, v62, v44, s[12:13]
	v_cndmask_b32_e64 v70, v61, v43, s[12:13]
	v_cmp_nlt_f64_e64 s[14:15], v[70:71], v[41:42]
	v_cndmask_b32_e64 v40, v44, v62, s[12:13]
	v_cndmask_b32_e64 v39, v43, v61, s[12:13]
	s_and_b64 s[56:57], vcc, s[12:13]
	v_cndmask_b32_e64 v73, v71, v42, s[14:15]
	v_cndmask_b32_e64 v72, v70, v41, s[14:15]
	v_cmp_nlt_f64_e64 s[16:17], v[72:73], v[47:48]
	v_cndmask_b32_e64 v44, v42, v71, s[14:15]
	v_cndmask_b32_e64 v43, v41, v70, s[14:15]
	;; [unrolled: 1-line block ×4, first 2 shown]
	v_cmp_nlt_f64_e32 vcc, v[61:62], v[53:54]
	v_cndmask_b32_e64 v42, v48, v73, s[16:17]
	v_cndmask_b32_e64 v41, v47, v72, s[16:17]
	s_and_b64 s[16:17], s[14:15], s[16:17]
	v_cndmask_b32_e32 v71, v62, v54, vcc
	v_cndmask_b32_e32 v70, v61, v53, vcc
	v_cmp_nlt_f64_e64 s[12:13], v[70:71], v[57:58]
	v_cndmask_b32_e32 v48, v54, v62, vcc
	v_cndmask_b32_e32 v47, v53, v61, vcc
	v_cndmask_b32_e64 v62, v71, v58, s[12:13]
	v_cndmask_b32_e64 v61, v70, v57, s[12:13]
	v_cmp_nlt_f64_e64 s[14:15], v[61:62], v[55:56]
	v_cndmask_b32_e64 v54, v58, v71, s[12:13]
	v_cndmask_b32_e64 v53, v57, v70, s[12:13]
	s_and_b64 s[12:13], vcc, s[12:13]
	v_cndmask_b32_e64 v71, v62, v56, s[14:15]
	v_cndmask_b32_e64 v70, v61, v55, s[14:15]
	v_cmp_nlt_f64_e32 vcc, v[70:71], v[51:52]
	v_cndmask_b32_e64 v58, v56, v62, s[14:15]
	v_cndmask_b32_e64 v57, v55, v61, s[14:15]
	s_and_b64 s[14:15], s[12:13], s[14:15]
	v_cndmask_b32_e32 v62, v71, v52, vcc
	v_cndmask_b32_e32 v61, v70, v51, vcc
	v_cmp_nlt_f64_e64 s[12:13], v[61:62], v[49:50]
	v_cndmask_b32_e32 v56, v52, v71, vcc
	v_cndmask_b32_e32 v55, v51, v70, vcc
	s_and_b64 s[14:15], s[14:15], vcc
	v_cndmask_b32_e64 v71, v62, v50, s[12:13]
	v_cndmask_b32_e64 v70, v61, v49, s[12:13]
	v_cmp_nlt_f64_e32 vcc, v[70:71], v[45:46]
	v_cndmask_b32_e64 v52, v50, v62, s[12:13]
	v_cndmask_b32_e64 v51, v49, v61, s[12:13]
	s_and_b64 s[14:15], s[14:15], s[12:13]
	v_cndmask_b32_e32 v73, v71, v46, vcc
	v_cndmask_b32_e32 v72, v70, v45, vcc
	v_cmp_nlt_f64_e64 s[12:13], v[72:73], v[59:60]
	s_and_b64 s[14:15], s[14:15], vcc
	v_cndmask_b32_e32 v50, v46, v71, vcc
	v_cndmask_b32_e32 v49, v45, v70, vcc
	v_cndmask_b32_e64 v62, v73, v60, s[12:13]
	v_cndmask_b32_e64 v61, v72, v59, s[12:13]
	;; [unrolled: 1-line block ×4, first 2 shown]
	s_and_b64 s[12:13], s[14:15], s[12:13]
	s_and_b64 s[12:13], s[12:13], s[16:17]
	;; [unrolled: 1-line block ×3, first 2 shown]
	s_and_b64 s[12:13], exec, s[12:13]
	v_mov_b32_e32 v59, v61
	s_or_b64 s[54:55], s[12:13], s[54:55]
	v_mov_b32_e32 v60, v62
	s_andn2_b64 exec, exec, s[54:55]
	s_cbranch_execnz .LBB185_130
; %bb.131:                              ;   in Loop: Header=BB185_4 Depth=1
	s_or_b64 exec, exec, s[54:55]
	v_add_f64 v[9:10], v[9:10], -1.0
	s_mov_b32 s31, s27
	s_mov_b32 s86, s90
	;; [unrolled: 1-line block ×4, first 2 shown]
	v_cmp_class_f64_e64 s[56:57], v[1:2], s63
	v_cmp_class_f64_e64 s[54:55], v[3:4], s63
	v_add_f64 v[9:10], v[9:10], v[39:40]
	v_add_f64 v[9:10], v[9:10], v[43:44]
	;; [unrolled: 1-line block ×11, first 2 shown]
	v_add_f64 v[9:10], v[40:41], 1.0
	v_cmp_nge_f64_e64 s[14:15], -1.0, v[40:41]
	v_cmp_neq_f64_e64 s[16:17], s[16:17], v[40:41]
	v_frexp_mant_f64_e32 v[44:45], v[9:10]
	v_frexp_exp_i32_f64_e32 v7, v[9:10]
	v_add_f64 v[42:43], v[9:10], -1.0
	v_cmp_gt_f64_e32 vcc, s[26:27], v[44:45]
	v_add_f64 v[46:47], v[42:43], -v[9:10]
	v_add_f64 v[42:43], v[40:41], -v[42:43]
	v_subbrev_co_u32_e32 v7, vcc, 0, v7, vcc
	v_sub_u32_e32 v11, 0, v7
	v_ldexp_f64 v[9:10], v[9:10], v11
	v_add_f64 v[44:45], v[46:47], 1.0
	v_add_f64 v[46:47], v[9:10], 1.0
	v_add_f64 v[42:43], v[42:43], v[44:45]
	v_add_f64 v[52:53], v[9:10], -1.0
	v_add_f64 v[44:45], v[46:47], -1.0
	v_ldexp_f64 v[42:43], v[42:43], v11
	v_add_f64 v[54:55], v[52:53], 1.0
	v_add_f64 v[44:45], v[9:10], -v[44:45]
	v_add_f64 v[9:10], v[9:10], -v[54:55]
	v_add_f64 v[44:45], v[42:43], v[44:45]
	v_add_f64 v[9:10], v[42:43], v[9:10]
	;; [unrolled: 1-line block ×4, first 2 shown]
	v_rcp_f64_e32 v[50:51], v[48:49]
	v_add_f64 v[46:47], v[48:49], -v[46:47]
	v_add_f64 v[52:53], v[54:55], -v[52:53]
	;; [unrolled: 1-line block ×4, first 2 shown]
	v_fma_f64 v[56:57], -v[48:49], v[50:51], 1.0
	v_fma_f64 v[50:51], v[56:57], v[50:51], v[50:51]
	v_fma_f64 v[42:43], -v[48:49], v[50:51], 1.0
	v_fma_f64 v[42:43], v[42:43], v[50:51], v[50:51]
	v_mul_f64 v[50:51], v[54:55], v[42:43]
	v_mul_f64 v[56:57], v[48:49], v[50:51]
	v_fma_f64 v[46:47], v[50:51], v[48:49], -v[56:57]
	v_fma_f64 v[46:47], v[50:51], v[44:45], v[46:47]
	v_add_f64 v[58:59], v[56:57], v[46:47]
	v_add_f64 v[60:61], v[54:55], -v[58:59]
	v_add_f64 v[52:53], v[58:59], -v[56:57]
	v_add_f64 v[54:55], v[54:55], -v[60:61]
	v_add_f64 v[46:47], v[52:53], -v[46:47]
	v_max_f64 v[52:53], |v[1:2]|, |v[1:2]|
	v_ashrrev_i32_e32 v1, 31, v2
	v_and_b32_e32 v15, 0x54442d18, v1
	v_and_b32_e32 v39, 0x400921fb, v1
	v_add_f64 v[54:55], v[54:55], -v[58:59]
	v_add_f64 v[9:10], v[9:10], v[54:55]
	v_add_f64 v[9:10], v[46:47], v[9:10]
	v_max_f64 v[46:47], |v[3:4]|, |v[3:4]|
	v_add_f64 v[54:55], v[60:61], v[9:10]
	v_max_f64 v[56:57], v[52:53], v[46:47]
	v_min_f64 v[46:47], v[52:53], v[46:47]
	v_mul_f64 v[52:53], v[42:43], v[54:55]
	v_add_f64 v[60:61], v[60:61], -v[54:55]
	v_div_scale_f64 v[58:59], s[12:13], v[56:57], v[56:57], v[46:47]
	s_mov_b32 s12, 0xb5e68a13
	s_mov_b32 s13, 0x3eeba404
	v_mul_f64 v[70:71], v[48:49], v[52:53]
	v_add_f64 v[9:10], v[9:10], v[60:61]
	v_fma_f64 v[48:49], v[52:53], v[48:49], -v[70:71]
	v_rcp_f64_e32 v[72:73], v[58:59]
	v_fma_f64 v[44:45], v[52:53], v[44:45], v[48:49]
	v_add_f64 v[48:49], v[70:71], v[44:45]
	v_fma_f64 v[74:75], -v[58:59], v[72:73], 1.0
	v_add_f64 v[76:77], v[54:55], -v[48:49]
	v_add_f64 v[60:61], v[48:49], -v[70:71]
	v_fma_f64 v[72:73], v[72:73], v[74:75], v[72:73]
	v_div_scale_f64 v[74:75], vcc, v[46:47], v[56:57], v[46:47]
	v_add_f64 v[54:55], v[54:55], -v[76:77]
	v_add_f64 v[44:45], v[60:61], -v[44:45]
	v_fma_f64 v[78:79], -v[58:59], v[72:73], 1.0
	v_add_f64 v[60:61], v[50:51], v[52:53]
	v_add_f64 v[48:49], v[54:55], -v[48:49]
	v_fma_f64 v[54:55], v[72:73], v[78:79], v[72:73]
	v_add_f64 v[50:51], v[60:61], -v[50:51]
	v_add_f64 v[9:10], v[9:10], v[48:49]
	v_mul_f64 v[48:49], v[74:75], v[54:55]
	v_add_f64 v[9:10], v[44:45], v[9:10]
	v_fma_f64 v[44:45], -v[58:59], v[48:49], v[74:75]
	v_add_f64 v[9:10], v[76:77], v[9:10]
	v_div_fmas_f64 v[44:45], v[44:45], v[54:55], v[48:49]
	v_add_f64 v[48:49], v[52:53], -v[50:51]
	v_cmp_gt_i32_e32 vcc, 0, v2
	v_cndmask_b32_e32 v11, v68, v69, vcc
	v_mul_f64 v[9:10], v[42:43], v[9:10]
	v_add_f64 v[9:10], v[48:49], v[9:10]
	v_div_fixup_f64 v[42:43], v[44:45], v[56:57], v[46:47]
	v_cvt_f64_i32_e32 v[56:57], v7
	v_cndmask_b32_e32 v7, v66, v67, vcc
	v_mul_f64 v[58:59], v[56:57], s[44:45]
	v_add_f64 v[44:45], v[60:61], v[9:10]
	v_mul_f64 v[46:47], v[42:43], v[42:43]
	v_mul_f64 v[48:49], v[44:45], v[44:45]
	v_fma_f64 v[50:51], v[46:47], s[12:13], v[21:22]
	s_mov_b32 s12, 0x69efb384
	s_mov_b32 s13, 0x3f4b2bb0
	v_fma_f64 v[52:53], v[48:49], s[34:35], v[19:20]
	v_mul_f64 v[54:55], v[44:45], v[48:49]
	v_fma_f64 v[50:51], v[46:47], v[50:51], s[12:13]
	s_mov_b32 s12, 0xaf56de9b
	s_mov_b32 s13, 0xbf67952d
	v_fma_f64 v[52:53], v[48:49], v[52:53], s[36:37]
	v_fma_f64 v[50:51], v[46:47], v[50:51], s[12:13]
	s_mov_b32 s12, 0xa595c56f
	s_mov_b32 s13, 0x3f7d6d43
	v_fma_f64 v[52:53], v[48:49], v[52:53], s[38:39]
	v_fma_f64 v[50:51], v[46:47], v[50:51], s[12:13]
	s_mov_b32 s12, 0xa57d9582
	s_mov_b32 s13, 0xbf8c6ea4
	v_fma_f64 v[52:53], v[48:49], v[52:53], s[40:41]
	v_fma_f64 v[50:51], v[46:47], v[50:51], s[12:13]
	s_mov_b32 s12, 0x5f08b19f
	s_mov_b32 s13, 0x3f967e29
	v_fma_f64 v[52:53], v[48:49], v[52:53], s[42:43]
	v_fma_f64 v[50:51], v[46:47], v[50:51], s[12:13]
	s_mov_b32 s12, 0xfc27006a
	s_mov_b32 s13, 0xbf9e9ae6
	v_fma_f64 v[48:49], v[48:49], v[52:53], s[30:31]
	v_ldexp_f64 v[52:53], v[44:45], 1
	v_fma_f64 v[50:51], v[46:47], v[50:51], s[12:13]
	s_mov_b32 s12, 0x5711927a
	s_mov_b32 s13, 0x3fa2c15b
	v_add_f64 v[44:45], v[44:45], -v[60:61]
	v_mul_f64 v[48:49], v[54:55], v[48:49]
	v_fma_f64 v[50:51], v[46:47], v[50:51], s[12:13]
	v_cmp_eq_f64_e64 s[12:13], 0, v[3:4]
	v_add_f64 v[9:10], v[9:10], -v[44:45]
	v_add_f64 v[54:55], v[52:53], v[48:49]
	v_fma_f64 v[50:51], v[46:47], v[50:51], s[64:65]
	v_ldexp_f64 v[9:10], v[9:10], 1
	v_add_f64 v[44:45], v[54:55], -v[52:53]
	v_fma_f64 v[52:53], v[56:57], s[44:45], -v[58:59]
	v_fma_f64 v[50:51], v[46:47], v[50:51], s[66:67]
	v_add_f64 v[44:45], v[48:49], -v[44:45]
	v_fma_f64 v[48:49], v[46:47], v[50:51], s[68:69]
	v_fma_f64 v[50:51], v[56:57], s[46:47], v[52:53]
	v_add_f64 v[9:10], v[9:10], v[44:45]
	v_fma_f64 v[44:45], v[46:47], v[48:49], s[70:71]
	v_add_f64 v[48:49], v[58:59], v[50:51]
	v_add_f64 v[52:53], v[54:55], v[9:10]
	v_fma_f64 v[44:45], v[46:47], v[44:45], s[72:73]
	v_add_f64 v[58:59], v[48:49], -v[58:59]
	v_add_f64 v[56:57], v[48:49], v[52:53]
	v_add_f64 v[54:55], v[52:53], -v[54:55]
	v_fma_f64 v[44:45], v[46:47], v[44:45], s[74:75]
	v_add_f64 v[50:51], v[50:51], -v[58:59]
	v_add_f64 v[60:61], v[56:57], -v[48:49]
	;; [unrolled: 1-line block ×3, first 2 shown]
	v_fma_f64 v[44:45], v[46:47], v[44:45], s[76:77]
	v_add_f64 v[70:71], v[56:57], -v[60:61]
	v_add_f64 v[52:53], v[52:53], -v[60:61]
	v_fma_f64 v[44:45], v[46:47], v[44:45], s[78:79]
	v_add_f64 v[54:55], v[50:51], v[9:10]
	v_add_f64 v[48:49], v[48:49], -v[70:71]
	v_fma_f64 v[44:45], v[46:47], v[44:45], s[80:81]
	v_add_f64 v[48:49], v[52:53], v[48:49]
	;; [unrolled: 3-line block ×3, first 2 shown]
	v_add_f64 v[54:55], v[54:55], -v[52:53]
	v_fma_f64 v[44:45], v[46:47], v[44:45], s[84:85]
	v_add_f64 v[9:10], v[9:10], -v[52:53]
	v_add_f64 v[58:59], v[56:57], v[48:49]
	v_mul_f64 v[44:45], v[46:47], v[44:45]
	v_add_f64 v[46:47], v[50:51], -v[54:55]
	v_add_f64 v[50:51], v[58:59], -v[56:57]
	v_fma_f64 v[42:43], v[42:43], v[44:45], v[42:43]
	v_add_f64 v[9:10], v[9:10], v[46:47]
	v_add_f64 v[44:45], v[48:49], -v[50:51]
	v_add_f64 v[46:47], -v[42:43], s[90:91]
	v_add_f64 v[9:10], v[9:10], v[44:45]
	v_cndmask_b32_e64 v43, v43, v47, s[10:11]
	v_cndmask_b32_e64 v42, v42, v46, s[10:11]
	v_add_f64 v[44:45], -v[42:43], s[86:87]
	v_add_f64 v[9:10], v[58:59], v[9:10]
	v_cndmask_b32_e32 v18, v42, v44, vcc
	v_mul_f64 v[1:2], v[9:10], 0.5
	v_cndmask_b32_e32 v10, v43, v45, vcc
	v_bfi_b32 v9, s62, v11, v4
	v_cndmask_b32_e64 v11, v18, v15, s[12:13]
	v_cndmask_b32_e64 v10, v10, v39, s[12:13]
	s_and_b64 s[12:13], s[14:15], s[16:17]
	s_and_b64 vcc, s[54:55], s[56:57]
	s_mov_b32 s54, 0x69efb384
	v_cndmask_b32_e64 v39, 0, v1, s[12:13]
	v_cmp_ngt_f64_e64 s[12:13], -1.0, v[40:41]
	v_cndmask_b32_e64 v2, v63, v2, s[16:17]
	s_mov_b32 s56, 0xb5e68a13
	s_mov_b32 s55, 0x3f4b2bb0
	;; [unrolled: 1-line block ×3, first 2 shown]
	v_cndmask_b32_e32 v10, v10, v9, vcc
	v_cndmask_b32_e32 v9, v11, v7, vcc
	v_cndmask_b32_e64 v1, v64, v2, s[12:13]
	v_cmp_neq_f64_e64 s[12:13], -1.0, v[40:41]
	v_cndmask_b32_e64 v40, v65, v1, s[12:13]
.LBB185_132:                            ;   in Loop: Header=BB185_4 Depth=1
	s_or_b64 exec, exec, s[52:53]
.LBB185_133:                            ;   in Loop: Header=BB185_4 Depth=1
	s_or_b64 exec, exec, s[50:51]
.LBB185_134:                            ;   in Loop: Header=BB185_4 Depth=1
	s_andn2_saveexec_b64 s[16:17], s[48:49]
	s_cbranch_execz .LBB185_136
; %bb.135:                              ;   in Loop: Header=BB185_4 Depth=1
	v_max_f64 v[9:10], |v[3:4]|, |v[3:4]|
	v_max_f64 v[42:43], |v[1:2]|, |v[1:2]|
	v_cmp_class_f64_e64 s[48:49], v[1:2], s63
	v_cmp_class_f64_e64 s[50:51], v[3:4], s63
	s_mov_b32 s31, s27
	s_mov_b32 s86, s90
	v_max_f64 v[44:45], v[42:43], v[9:10]
	v_min_f64 v[9:10], v[42:43], v[9:10]
	v_frexp_exp_i32_f64_e32 v7, v[44:45]
	v_sub_u32_e32 v11, 0, v7
	v_ldexp_f64 v[39:40], |v[3:4]|, v11
	v_ldexp_f64 v[46:47], |v[1:2]|, v11
	v_mul_f64 v[39:40], v[39:40], v[39:40]
	v_fma_f64 v[39:40], v[46:47], v[46:47], v[39:40]
	v_rsq_f64_e32 v[46:47], v[39:40]
	v_cmp_eq_f64_e32 vcc, 0, v[39:40]
	v_mul_f64 v[48:49], v[39:40], v[46:47]
	v_mul_f64 v[46:47], v[46:47], 0.5
	v_fma_f64 v[50:51], -v[46:47], v[48:49], 0.5
	v_fma_f64 v[48:49], v[48:49], v[50:51], v[48:49]
	v_fma_f64 v[46:47], v[46:47], v[50:51], v[46:47]
	v_fma_f64 v[50:51], -v[48:49], v[48:49], v[39:40]
	v_fma_f64 v[46:47], v[50:51], v[46:47], v[48:49]
	v_cndmask_b32_e32 v40, v47, v40, vcc
	v_cndmask_b32_e32 v39, v46, v39, vcc
	v_ldexp_f64 v[39:40], v[39:40], v7
	s_or_b64 vcc, s[50:51], s[48:49]
	v_cndmask_b32_e32 v41, v40, v63, vcc
	v_cndmask_b32_e64 v40, v39, 0, vcc
	v_frexp_mant_f64_e32 v[46:47], v[40:41]
	v_cmp_gt_f64_e64 s[12:13], s[26:27], v[46:47]
	v_cndmask_b32_e64 v1, 0, 1, s[12:13]
	v_ldexp_f64 v[46:47], v[46:47], v1
	v_frexp_exp_i32_f64_e32 v1, v[40:41]
	v_add_f64 v[48:49], v[46:47], 1.0
	v_add_f64 v[54:55], v[46:47], -1.0
	v_rcp_f64_e32 v[50:51], v[48:49]
	v_add_f64 v[58:59], v[48:49], -1.0
	v_add_f64 v[46:47], v[46:47], -v[58:59]
	v_fma_f64 v[52:53], -v[48:49], v[50:51], 1.0
	v_fma_f64 v[42:43], v[52:53], v[50:51], v[50:51]
	v_div_scale_f64 v[50:51], s[14:15], v[44:45], v[44:45], v[9:10]
	s_mov_b32 s14, 0xaf56de9b
	s_mov_b32 s15, 0xbf67952d
	v_fma_f64 v[52:53], -v[48:49], v[42:43], 1.0
	v_fma_f64 v[42:43], v[52:53], v[42:43], v[42:43]
	v_rcp_f64_e32 v[52:53], v[50:51]
	v_mul_f64 v[56:57], v[54:55], v[42:43]
	v_mul_f64 v[60:61], v[48:49], v[56:57]
	v_fma_f64 v[70:71], -v[50:51], v[52:53], 1.0
	v_fma_f64 v[48:49], v[56:57], v[48:49], -v[60:61]
	v_fma_f64 v[52:53], v[52:53], v[70:71], v[52:53]
	v_fma_f64 v[46:47], v[56:57], v[46:47], v[48:49]
	v_div_scale_f64 v[48:49], vcc, v[9:10], v[44:45], v[9:10]
	v_fma_f64 v[58:59], -v[50:51], v[52:53], 1.0
	v_add_f64 v[70:71], v[60:61], v[46:47]
	v_fma_f64 v[52:53], v[52:53], v[58:59], v[52:53]
	v_add_f64 v[58:59], v[54:55], -v[70:71]
	v_add_f64 v[60:61], v[70:71], -v[60:61]
	v_mul_f64 v[72:73], v[48:49], v[52:53]
	v_add_f64 v[54:55], v[54:55], -v[58:59]
	v_add_f64 v[46:47], v[60:61], -v[46:47]
	v_fma_f64 v[48:49], -v[50:51], v[72:73], v[48:49]
	v_add_f64 v[50:51], v[54:55], -v[70:71]
	v_div_fmas_f64 v[48:49], v[48:49], v[52:53], v[72:73]
	v_subbrev_co_u32_e64 v1, vcc, 0, v1, s[12:13]
	v_cmp_eq_f64_e64 s[12:13], 0, v[3:4]
	v_cmp_gt_i32_e32 vcc, 0, v2
	v_add_f64 v[46:47], v[46:47], v[50:51]
	v_cndmask_b32_e32 v15, v68, v69, vcc
	v_cndmask_b32_e32 v7, v66, v67, vcc
	v_bfi_b32 v15, s62, v15, v4
	v_add_f64 v[46:47], v[58:59], v[46:47]
	v_div_fixup_f64 v[9:10], v[48:49], v[44:45], v[9:10]
	v_mul_f64 v[42:43], v[42:43], v[46:47]
	v_mul_f64 v[44:45], v[9:10], v[9:10]
	v_add_f64 v[46:47], v[56:57], v[42:43]
	v_fma_f64 v[48:49], v[44:45], s[56:57], v[21:22]
	v_mul_f64 v[50:51], v[46:47], v[46:47]
	v_fma_f64 v[48:49], v[44:45], v[48:49], s[54:55]
	v_fma_f64 v[52:53], v[50:51], s[34:35], v[19:20]
	v_mul_f64 v[54:55], v[46:47], v[50:51]
	v_fma_f64 v[48:49], v[44:45], v[48:49], s[14:15]
	s_mov_b32 s14, 0xa595c56f
	s_mov_b32 s15, 0x3f7d6d43
	v_fma_f64 v[52:53], v[50:51], v[52:53], s[36:37]
	v_fma_f64 v[48:49], v[44:45], v[48:49], s[14:15]
	s_mov_b32 s14, 0xa57d9582
	s_mov_b32 s15, 0xbf8c6ea4
	v_fma_f64 v[52:53], v[50:51], v[52:53], s[38:39]
	;; [unrolled: 4-line block ×5, first 2 shown]
	v_ldexp_f64 v[52:53], v[46:47], 1
	v_add_f64 v[46:47], v[46:47], -v[56:57]
	v_fma_f64 v[48:49], v[44:45], v[48:49], s[14:15]
	v_cvt_f64_i32_e32 v[56:57], v1
	v_ashrrev_i32_e32 v1, 31, v2
	v_and_b32_e32 v11, 0x54442d18, v1
	v_and_b32_e32 v18, 0x400921fb, v1
	v_mul_f64 v[50:51], v[54:55], v[50:51]
	v_mul_f64 v[58:59], v[56:57], s[44:45]
	v_add_f64 v[42:43], v[42:43], -v[46:47]
	v_fma_f64 v[48:49], v[44:45], v[48:49], s[64:65]
	v_cmp_class_f64_e64 s[14:15], v[40:41], s63
	v_add_f64 v[54:55], v[52:53], v[50:51]
	v_ldexp_f64 v[42:43], v[42:43], 1
	v_fma_f64 v[48:49], v[44:45], v[48:49], s[66:67]
	v_add_f64 v[46:47], v[54:55], -v[52:53]
	v_fma_f64 v[52:53], v[56:57], s[44:45], -v[58:59]
	v_fma_f64 v[48:49], v[44:45], v[48:49], s[68:69]
	v_add_f64 v[46:47], v[50:51], -v[46:47]
	v_fma_f64 v[50:51], v[56:57], s[46:47], v[52:53]
	v_fma_f64 v[48:49], v[44:45], v[48:49], s[70:71]
	v_add_f64 v[42:43], v[42:43], v[46:47]
	v_fma_f64 v[46:47], v[44:45], v[48:49], s[72:73]
	v_add_f64 v[48:49], v[58:59], v[50:51]
	v_add_f64 v[52:53], v[54:55], v[42:43]
	v_fma_f64 v[46:47], v[44:45], v[46:47], s[74:75]
	v_add_f64 v[58:59], v[48:49], -v[58:59]
	v_add_f64 v[56:57], v[48:49], v[52:53]
	v_add_f64 v[54:55], v[52:53], -v[54:55]
	v_fma_f64 v[46:47], v[44:45], v[46:47], s[76:77]
	v_add_f64 v[50:51], v[50:51], -v[58:59]
	v_add_f64 v[60:61], v[56:57], -v[48:49]
	;; [unrolled: 1-line block ×3, first 2 shown]
	v_fma_f64 v[46:47], v[44:45], v[46:47], s[78:79]
	v_add_f64 v[70:71], v[56:57], -v[60:61]
	v_add_f64 v[52:53], v[52:53], -v[60:61]
	v_add_f64 v[54:55], v[50:51], v[42:43]
	v_fma_f64 v[46:47], v[44:45], v[46:47], s[80:81]
	v_add_f64 v[48:49], v[48:49], -v[70:71]
	v_fma_f64 v[46:47], v[44:45], v[46:47], s[82:83]
	v_add_f64 v[48:49], v[52:53], v[48:49]
	v_add_f64 v[52:53], v[54:55], -v[50:51]
	v_fma_f64 v[46:47], v[44:45], v[46:47], s[84:85]
	v_add_f64 v[48:49], v[54:55], v[48:49]
	v_add_f64 v[42:43], v[42:43], -v[52:53]
	v_mul_f64 v[44:45], v[44:45], v[46:47]
	v_add_f64 v[46:47], v[54:55], -v[52:53]
	v_add_f64 v[54:55], v[56:57], v[48:49]
	v_fma_f64 v[9:10], v[9:10], v[44:45], v[9:10]
	v_add_f64 v[44:45], v[50:51], -v[46:47]
	v_add_f64 v[46:47], v[54:55], -v[56:57]
	v_add_f64 v[50:51], -v[9:10], s[90:91]
	v_add_f64 v[42:43], v[42:43], v[44:45]
	v_add_f64 v[44:45], v[48:49], -v[46:47]
	v_cndmask_b32_e64 v10, v10, v51, s[10:11]
	v_cndmask_b32_e64 v9, v9, v50, s[10:11]
	v_add_f64 v[46:47], -v[9:10], s[86:87]
	v_add_f64 v[42:43], v[42:43], v[44:45]
	v_cndmask_b32_e32 v9, v9, v46, vcc
	v_cndmask_b32_e32 v10, v10, v47, vcc
	v_cndmask_b32_e64 v9, v9, v11, s[12:13]
	v_add_f64 v[1:2], v[54:55], v[42:43]
	v_cndmask_b32_e64 v10, v10, v18, s[12:13]
	v_cmp_ngt_f64_e64 s[12:13], 0, v[40:41]
	s_and_b64 vcc, s[50:51], s[48:49]
	v_cndmask_b32_e32 v10, v10, v15, vcc
	v_cndmask_b32_e32 v9, v9, v7, vcc
	v_cndmask_b32_e64 v2, v2, v41, s[14:15]
	v_cndmask_b32_e64 v1, v1, v40, s[14:15]
	;; [unrolled: 1-line block ×3, first 2 shown]
	v_cmp_nge_f64_e64 s[12:13], 0, v[40:41]
	v_cndmask_b32_e64 v39, 0, v1, s[12:13]
	v_cmp_neq_f64_e64 s[12:13], 0, v[40:41]
	v_cndmask_b32_e64 v40, v65, v2, s[12:13]
.LBB185_136:                            ;   in Loop: Header=BB185_4 Depth=1
	s_or_b64 exec, exec, s[16:17]
                                        ; implicit-def: $vgpr43_vgpr44
.LBB185_137:                            ;   in Loop: Header=BB185_4 Depth=1
	s_andn2_saveexec_b64 s[16:17], s[24:25]
	s_cbranch_execz .LBB185_143
; %bb.138:                              ;   in Loop: Header=BB185_4 Depth=1
	s_mov_b32 s12, 0x6a3f9475
	s_mov_b32 s13, 0x20ca2fe7
	v_cmp_ngt_f64_e32 vcc, s[12:13], v[43:44]
                                        ; implicit-def: $vgpr39_vgpr40
                                        ; implicit-def: $vgpr9_vgpr10
	s_and_saveexec_b64 s[12:13], vcc
	s_xor_b64 s[24:25], exec, s[12:13]
	s_cbranch_execz .LBB185_140
; %bb.139:                              ;   in Loop: Header=BB185_4 Depth=1
	v_mul_f64 v[9:10], v[43:44], v[43:44]
	s_mov_b32 s31, s27
	s_mov_b32 s86, s90
	;; [unrolled: 1-line block ×3, first 2 shown]
	v_cmp_class_f64_e64 s[48:49], v[3:4], s63
	v_cmp_class_f64_e64 s[50:51], v[1:2], s63
	s_mov_b32 s15, 0x7ff00000
	v_add_f64 v[39:40], v[9:10], 1.0
	v_cmp_neq_f64_e64 s[14:15], s[14:15], v[9:10]
	v_frexp_mant_f64_e32 v[43:44], v[39:40]
	v_frexp_exp_i32_f64_e32 v7, v[39:40]
	v_add_f64 v[41:42], v[39:40], -1.0
	v_cmp_gt_f64_e32 vcc, s[26:27], v[43:44]
	v_add_f64 v[45:46], v[41:42], -v[39:40]
	v_add_f64 v[41:42], v[9:10], -v[41:42]
	v_subbrev_co_u32_e32 v7, vcc, 0, v7, vcc
	v_sub_u32_e32 v11, 0, v7
	v_ldexp_f64 v[39:40], v[39:40], v11
	v_add_f64 v[43:44], v[45:46], 1.0
	v_add_f64 v[45:46], v[39:40], 1.0
	v_add_f64 v[41:42], v[41:42], v[43:44]
	v_add_f64 v[51:52], v[39:40], -1.0
	v_add_f64 v[43:44], v[45:46], -1.0
	v_ldexp_f64 v[41:42], v[41:42], v11
	v_add_f64 v[53:54], v[51:52], 1.0
	v_add_f64 v[43:44], v[39:40], -v[43:44]
	v_add_f64 v[39:40], v[39:40], -v[53:54]
	v_add_f64 v[43:44], v[41:42], v[43:44]
	v_add_f64 v[39:40], v[41:42], v[39:40]
	v_add_f64 v[47:48], v[45:46], v[43:44]
	v_add_f64 v[53:54], v[51:52], v[39:40]
	v_rcp_f64_e32 v[49:50], v[47:48]
	v_add_f64 v[45:46], v[45:46], -v[47:48]
	v_add_f64 v[51:52], v[51:52], -v[53:54]
	v_add_f64 v[43:44], v[43:44], v[45:46]
	v_add_f64 v[39:40], v[39:40], v[51:52]
	v_fma_f64 v[55:56], -v[47:48], v[49:50], 1.0
	v_fma_f64 v[49:50], v[55:56], v[49:50], v[49:50]
	v_fma_f64 v[41:42], -v[47:48], v[49:50], 1.0
	v_fma_f64 v[41:42], v[41:42], v[49:50], v[49:50]
	v_mul_f64 v[49:50], v[53:54], v[41:42]
	v_mul_f64 v[55:56], v[47:48], v[49:50]
	v_fma_f64 v[45:46], v[49:50], v[47:48], -v[55:56]
	v_fma_f64 v[45:46], v[49:50], v[43:44], v[45:46]
	v_add_f64 v[57:58], v[55:56], v[45:46]
	v_add_f64 v[59:60], v[53:54], -v[57:58]
	v_add_f64 v[51:52], v[57:58], -v[55:56]
	;; [unrolled: 1-line block ×4, first 2 shown]
	v_max_f64 v[51:52], |v[1:2]|, |v[1:2]|
	v_ashrrev_i32_e32 v1, 31, v2
	v_and_b32_e32 v11, 0x54442d18, v1
	v_add_f64 v[53:54], v[53:54], -v[57:58]
	v_add_f64 v[39:40], v[39:40], v[53:54]
	v_add_f64 v[39:40], v[45:46], v[39:40]
	v_max_f64 v[45:46], |v[3:4]|, |v[3:4]|
	v_add_f64 v[53:54], v[59:60], v[39:40]
	v_max_f64 v[55:56], v[51:52], v[45:46]
	v_min_f64 v[45:46], v[51:52], v[45:46]
	v_mul_f64 v[51:52], v[41:42], v[53:54]
	v_add_f64 v[59:60], v[59:60], -v[53:54]
	v_div_scale_f64 v[57:58], s[12:13], v[55:56], v[55:56], v[45:46]
	s_mov_b32 s12, 0xaf56de9b
	s_mov_b32 s13, 0xbf67952d
	v_mul_f64 v[61:62], v[47:48], v[51:52]
	v_add_f64 v[39:40], v[39:40], v[59:60]
	v_fma_f64 v[47:48], v[51:52], v[47:48], -v[61:62]
	v_rcp_f64_e32 v[70:71], v[57:58]
	v_fma_f64 v[43:44], v[51:52], v[43:44], v[47:48]
	v_add_f64 v[47:48], v[61:62], v[43:44]
	v_fma_f64 v[72:73], -v[57:58], v[70:71], 1.0
	v_add_f64 v[74:75], v[53:54], -v[47:48]
	v_add_f64 v[59:60], v[47:48], -v[61:62]
	v_fma_f64 v[70:71], v[70:71], v[72:73], v[70:71]
	v_div_scale_f64 v[72:73], vcc, v[45:46], v[55:56], v[45:46]
	v_add_f64 v[53:54], v[53:54], -v[74:75]
	v_add_f64 v[43:44], v[59:60], -v[43:44]
	v_fma_f64 v[76:77], -v[57:58], v[70:71], 1.0
	v_add_f64 v[59:60], v[49:50], v[51:52]
	v_add_f64 v[47:48], v[53:54], -v[47:48]
	v_fma_f64 v[53:54], v[70:71], v[76:77], v[70:71]
	v_add_f64 v[49:50], v[59:60], -v[49:50]
	v_add_f64 v[39:40], v[39:40], v[47:48]
	v_mul_f64 v[47:48], v[72:73], v[53:54]
	v_add_f64 v[39:40], v[43:44], v[39:40]
	v_fma_f64 v[43:44], -v[57:58], v[47:48], v[72:73]
	v_add_f64 v[39:40], v[74:75], v[39:40]
	v_div_fmas_f64 v[43:44], v[43:44], v[53:54], v[47:48]
	v_add_f64 v[47:48], v[51:52], -v[49:50]
	v_cmp_gt_i32_e32 vcc, 0, v2
	v_cndmask_b32_e32 v18, v68, v69, vcc
	v_bfi_b32 v9, s62, v18, v4
	v_mul_f64 v[39:40], v[41:42], v[39:40]
	v_add_f64 v[39:40], v[47:48], v[39:40]
	v_div_fixup_f64 v[41:42], v[43:44], v[55:56], v[45:46]
	v_cvt_f64_i32_e32 v[55:56], v7
	v_cndmask_b32_e32 v7, v66, v67, vcc
	v_mul_f64 v[57:58], v[55:56], s[44:45]
	v_add_f64 v[43:44], v[59:60], v[39:40]
	v_mul_f64 v[45:46], v[41:42], v[41:42]
	v_mul_f64 v[47:48], v[43:44], v[43:44]
	v_fma_f64 v[49:50], v[45:46], s[56:57], v[21:22]
	v_fma_f64 v[51:52], v[47:48], s[34:35], v[19:20]
	v_mul_f64 v[53:54], v[43:44], v[47:48]
	v_fma_f64 v[49:50], v[45:46], v[49:50], s[54:55]
	v_fma_f64 v[51:52], v[47:48], v[51:52], s[36:37]
	;; [unrolled: 1-line block ×3, first 2 shown]
	s_mov_b32 s12, 0xa595c56f
	s_mov_b32 s13, 0x3f7d6d43
	v_fma_f64 v[51:52], v[47:48], v[51:52], s[38:39]
	v_fma_f64 v[49:50], v[45:46], v[49:50], s[12:13]
	s_mov_b32 s12, 0xa57d9582
	s_mov_b32 s13, 0xbf8c6ea4
	v_fma_f64 v[51:52], v[47:48], v[51:52], s[40:41]
	v_fma_f64 v[49:50], v[45:46], v[49:50], s[12:13]
	;; [unrolled: 4-line block ×3, first 2 shown]
	s_mov_b32 s12, 0xfc27006a
	s_mov_b32 s13, 0xbf9e9ae6
	v_fma_f64 v[47:48], v[47:48], v[51:52], s[30:31]
	v_ldexp_f64 v[51:52], v[43:44], 1
	v_fma_f64 v[49:50], v[45:46], v[49:50], s[12:13]
	s_mov_b32 s12, 0x5711927a
	s_mov_b32 s13, 0x3fa2c15b
	v_add_f64 v[43:44], v[43:44], -v[59:60]
	v_mul_f64 v[47:48], v[53:54], v[47:48]
	v_fma_f64 v[49:50], v[45:46], v[49:50], s[12:13]
	v_cmp_eq_f64_e64 s[12:13], 0, v[3:4]
	v_add_f64 v[39:40], v[39:40], -v[43:44]
	v_add_f64 v[53:54], v[51:52], v[47:48]
	v_fma_f64 v[49:50], v[45:46], v[49:50], s[64:65]
	v_ldexp_f64 v[39:40], v[39:40], 1
	v_add_f64 v[43:44], v[53:54], -v[51:52]
	v_fma_f64 v[51:52], v[55:56], s[44:45], -v[57:58]
	v_fma_f64 v[49:50], v[45:46], v[49:50], s[66:67]
	v_add_f64 v[43:44], v[47:48], -v[43:44]
	v_fma_f64 v[47:48], v[45:46], v[49:50], s[68:69]
	v_fma_f64 v[49:50], v[55:56], s[46:47], v[51:52]
	v_add_f64 v[39:40], v[39:40], v[43:44]
	v_fma_f64 v[43:44], v[45:46], v[47:48], s[70:71]
	v_add_f64 v[47:48], v[57:58], v[49:50]
	v_add_f64 v[51:52], v[53:54], v[39:40]
	v_fma_f64 v[43:44], v[45:46], v[43:44], s[72:73]
	v_add_f64 v[57:58], v[47:48], -v[57:58]
	v_add_f64 v[55:56], v[47:48], v[51:52]
	v_add_f64 v[53:54], v[51:52], -v[53:54]
	v_fma_f64 v[43:44], v[45:46], v[43:44], s[74:75]
	v_add_f64 v[49:50], v[49:50], -v[57:58]
	v_add_f64 v[59:60], v[55:56], -v[47:48]
	;; [unrolled: 1-line block ×3, first 2 shown]
	v_fma_f64 v[43:44], v[45:46], v[43:44], s[76:77]
	v_add_f64 v[61:62], v[55:56], -v[59:60]
	v_add_f64 v[51:52], v[51:52], -v[59:60]
	v_fma_f64 v[43:44], v[45:46], v[43:44], s[78:79]
	v_add_f64 v[53:54], v[49:50], v[39:40]
	v_add_f64 v[47:48], v[47:48], -v[61:62]
	v_fma_f64 v[43:44], v[45:46], v[43:44], s[80:81]
	v_add_f64 v[47:48], v[51:52], v[47:48]
	;; [unrolled: 3-line block ×3, first 2 shown]
	v_add_f64 v[53:54], v[53:54], -v[51:52]
	v_fma_f64 v[43:44], v[45:46], v[43:44], s[84:85]
	v_add_f64 v[39:40], v[39:40], -v[51:52]
	v_add_f64 v[57:58], v[55:56], v[47:48]
	v_mul_f64 v[43:44], v[45:46], v[43:44]
	v_add_f64 v[45:46], v[49:50], -v[53:54]
	v_add_f64 v[49:50], v[57:58], -v[55:56]
	v_fma_f64 v[41:42], v[41:42], v[43:44], v[41:42]
	v_add_f64 v[39:40], v[39:40], v[45:46]
	v_add_f64 v[43:44], v[47:48], -v[49:50]
	v_add_f64 v[45:46], -v[41:42], s[90:91]
	v_add_f64 v[39:40], v[39:40], v[43:44]
	v_cndmask_b32_e64 v42, v42, v46, s[10:11]
	v_cndmask_b32_e64 v41, v41, v45, s[10:11]
	v_add_f64 v[43:44], -v[41:42], s[86:87]
	v_add_f64 v[39:40], v[57:58], v[39:40]
	v_cndmask_b32_e32 v15, v41, v43, vcc
	v_and_b32_e32 v41, 0x400921fb, v1
	v_cndmask_b32_e32 v10, v42, v44, vcc
	v_cndmask_b32_e64 v11, v15, v11, s[12:13]
	v_mul_f64 v[1:2], v[39:40], 0.5
	v_cndmask_b32_e64 v10, v10, v41, s[12:13]
	s_and_b64 vcc, s[48:49], s[50:51]
	v_cndmask_b32_e32 v10, v10, v9, vcc
	v_cndmask_b32_e32 v9, v11, v7, vcc
                                        ; implicit-def: $vgpr43_vgpr44
	v_cndmask_b32_e64 v40, v63, v2, s[14:15]
	v_cndmask_b32_e64 v39, 0, v1, s[14:15]
.LBB185_140:                            ;   in Loop: Header=BB185_4 Depth=1
	s_andn2_saveexec_b64 s[14:15], s[24:25]
	s_cbranch_execz .LBB185_142
; %bb.141:                              ;   in Loop: Header=BB185_4 Depth=1
	v_max_f64 v[9:10], |v[3:4]|, |v[3:4]|
	v_max_f64 v[39:40], |v[1:2]|, |v[1:2]|
	s_mov_b32 s86, s90
	v_cmp_class_f64_e64 s[24:25], v[3:4], s63
	v_cmp_class_f64_e64 s[48:49], v[1:2], s63
	v_ashrrev_i32_e32 v7, 31, v2
	v_and_b32_e32 v15, 0x54442d18, v7
	v_max_f64 v[41:42], v[39:40], v[9:10]
	v_min_f64 v[9:10], v[39:40], v[9:10]
	v_div_scale_f64 v[39:40], s[12:13], v[41:42], v[41:42], v[9:10]
	s_mov_b32 s12, 0xaf56de9b
	s_mov_b32 s13, 0xbf67952d
	v_rcp_f64_e32 v[45:46], v[39:40]
	v_fma_f64 v[47:48], -v[39:40], v[45:46], 1.0
	v_fma_f64 v[45:46], v[45:46], v[47:48], v[45:46]
	v_div_scale_f64 v[47:48], vcc, v[9:10], v[41:42], v[9:10]
	v_fma_f64 v[49:50], -v[39:40], v[45:46], 1.0
	v_fma_f64 v[45:46], v[45:46], v[49:50], v[45:46]
	v_mul_f64 v[49:50], v[47:48], v[45:46]
	v_fma_f64 v[39:40], -v[39:40], v[49:50], v[47:48]
	v_div_fmas_f64 v[39:40], v[39:40], v[45:46], v[49:50]
	v_mul_f64 v[45:46], v[43:44], 0.5
	v_cmp_gt_i32_e32 vcc, 0, v2
	v_cndmask_b32_e32 v1, v68, v69, vcc
	v_and_b32_e32 v2, 0x400921fb, v7
	v_cndmask_b32_e32 v11, v66, v67, vcc
	v_bfi_b32 v1, s62, v1, v4
	v_div_fixup_f64 v[9:10], v[39:40], v[41:42], v[9:10]
	v_mul_f64 v[39:40], v[9:10], v[9:10]
	v_fma_f64 v[41:42], v[39:40], s[56:57], v[21:22]
	v_fma_f64 v[41:42], v[39:40], v[41:42], s[54:55]
	;; [unrolled: 1-line block ×3, first 2 shown]
	s_mov_b32 s12, 0xa595c56f
	s_mov_b32 s13, 0x3f7d6d43
	v_fma_f64 v[41:42], v[39:40], v[41:42], s[12:13]
	s_mov_b32 s12, 0xa57d9582
	s_mov_b32 s13, 0xbf8c6ea4
	v_fma_f64 v[41:42], v[39:40], v[41:42], s[12:13]
	;; [unrolled: 3-line block ×5, first 2 shown]
	v_cmp_eq_f64_e64 s[12:13], 0, v[3:4]
	v_fma_f64 v[41:42], v[39:40], v[41:42], s[64:65]
	v_fma_f64 v[41:42], v[39:40], v[41:42], s[66:67]
	;; [unrolled: 1-line block ×11, first 2 shown]
	v_mul_f64 v[39:40], v[39:40], v[41:42]
	v_fma_f64 v[9:10], v[9:10], v[39:40], v[9:10]
	v_add_f64 v[39:40], -v[9:10], s[90:91]
	v_cndmask_b32_e64 v10, v10, v40, s[10:11]
	v_cndmask_b32_e64 v9, v9, v39, s[10:11]
	v_add_f64 v[40:41], -v[9:10], s[86:87]
	v_cndmask_b32_e32 v9, v9, v40, vcc
	v_mul_f64 v[39:40], v[43:44], v[45:46]
	v_cndmask_b32_e32 v7, v10, v41, vcc
	v_cndmask_b32_e64 v9, v9, v15, s[12:13]
	v_cndmask_b32_e64 v2, v7, v2, s[12:13]
	s_and_b64 vcc, s[24:25], s[48:49]
	v_cndmask_b32_e32 v10, v2, v1, vcc
	v_cndmask_b32_e32 v9, v9, v11, vcc
.LBB185_142:                            ;   in Loop: Header=BB185_4 Depth=1
	s_or_b64 exec, exec, s[14:15]
.LBB185_143:                            ;   in Loop: Header=BB185_4 Depth=1
	s_or_b64 exec, exec, s[16:17]
.LBB185_144:                            ;   in Loop: Header=BB185_4 Depth=1
	s_andn2_saveexec_b64 s[14:15], s[18:19]
	s_cbranch_execz .LBB185_146
; %bb.145:                              ;   in Loop: Header=BB185_4 Depth=1
	v_div_scale_f64 v[9:10], s[12:13], s[92:93], s[92:93], v[1:2]
	v_div_scale_f64 v[39:40], s[12:13], s[92:93], s[92:93], v[3:4]
	;; [unrolled: 1-line block ×3, first 2 shown]
	s_mov_b32 s31, s27
	s_mov_b32 s86, s90
	v_cmp_class_f64_e64 s[18:19], v[1:2], s63
	v_rcp_f64_e32 v[41:42], v[9:10]
	v_rcp_f64_e32 v[43:44], v[39:40]
	v_fma_f64 v[45:46], -v[9:10], v[41:42], 1.0
	v_fma_f64 v[47:48], -v[39:40], v[43:44], 1.0
	v_fma_f64 v[41:42], v[41:42], v[45:46], v[41:42]
	v_div_scale_f64 v[45:46], vcc, v[1:2], s[92:93], v[1:2]
	v_fma_f64 v[43:44], v[43:44], v[47:48], v[43:44]
	v_fma_f64 v[47:48], -v[9:10], v[41:42], 1.0
	v_fma_f64 v[51:52], -v[39:40], v[43:44], 1.0
	v_fma_f64 v[41:42], v[41:42], v[47:48], v[41:42]
	v_fma_f64 v[43:44], v[43:44], v[51:52], v[43:44]
	v_mul_f64 v[47:48], v[45:46], v[41:42]
	v_mul_f64 v[51:52], v[49:50], v[43:44]
	v_fma_f64 v[9:10], -v[9:10], v[47:48], v[45:46]
	v_fma_f64 v[39:40], -v[39:40], v[51:52], v[49:50]
	v_div_fmas_f64 v[9:10], v[9:10], v[41:42], v[47:48]
	s_mov_b64 vcc, s[12:13]
	v_div_fmas_f64 v[39:40], v[39:40], v[43:44], v[51:52]
	v_max_f64 v[50:51], |v[1:2]|, |v[1:2]|
	v_div_fixup_f64 v[9:10], v[9:10], s[92:93], v[1:2]
	v_ashrrev_i32_e32 v1, 31, v2
	v_and_b32_e32 v15, 0x54442d18, v1
	v_div_fixup_f64 v[39:40], v[39:40], s[92:93], v[3:4]
	v_cmp_class_f64_e64 s[12:13], v[9:10], s63
	v_max_f64 v[41:42], |v[9:10]|, |v[39:40]|
	v_cmp_class_f64_e64 s[16:17], v[39:40], s63
	v_frexp_exp_i32_f64_e32 v7, v[41:42]
	v_sub_u32_e32 v11, 0, v7
	v_ldexp_f64 v[41:42], |v[39:40]|, v11
	v_ldexp_f64 v[43:44], |v[9:10]|, v11
	v_mul_f64 v[41:42], v[41:42], v[41:42]
	v_fma_f64 v[41:42], v[43:44], v[43:44], v[41:42]
	v_rsq_f64_e32 v[43:44], v[41:42]
	v_cmp_eq_f64_e32 vcc, 0, v[41:42]
	v_mul_f64 v[45:46], v[41:42], v[43:44]
	v_mul_f64 v[43:44], v[43:44], 0.5
	v_fma_f64 v[47:48], -v[43:44], v[45:46], 0.5
	v_fma_f64 v[45:46], v[45:46], v[47:48], v[45:46]
	v_fma_f64 v[43:44], v[43:44], v[47:48], v[43:44]
	v_fma_f64 v[47:48], -v[45:46], v[45:46], v[41:42]
	v_fma_f64 v[43:44], v[47:48], v[43:44], v[45:46]
	v_max_f64 v[48:49], |v[3:4]|, |v[3:4]|
	v_cndmask_b32_e32 v42, v44, v42, vcc
	v_cndmask_b32_e32 v41, v43, v41, vcc
	v_ldexp_f64 v[41:42], v[41:42], v7
	v_cmp_o_f64_e32 vcc, v[9:10], v[39:40]
	v_and_b32_e32 v39, 0x400921fb, v1
	v_cndmask_b32_e32 v7, 0, v41, vcc
	v_cndmask_b32_e32 v9, v64, v42, vcc
	s_or_b64 vcc, s[16:17], s[12:13]
	v_cndmask_b32_e32 v41, v9, v63, vcc
	v_cndmask_b32_e64 v40, v7, 0, vcc
	v_frexp_mant_f64_e32 v[9:10], v[40:41]
	v_cmp_gt_f64_e64 s[12:13], s[26:27], v[9:10]
	v_cndmask_b32_e64 v7, 0, 1, s[12:13]
	v_ldexp_f64 v[9:10], v[9:10], v7
	v_frexp_exp_i32_f64_e32 v7, v[40:41]
	v_add_f64 v[42:43], v[9:10], 1.0
	v_add_f64 v[54:55], v[9:10], -1.0
	v_rcp_f64_e32 v[44:45], v[42:43]
	v_add_f64 v[58:59], v[42:43], -1.0
	v_add_f64 v[9:10], v[9:10], -v[58:59]
	v_fma_f64 v[46:47], -v[42:43], v[44:45], 1.0
	v_fma_f64 v[44:45], v[46:47], v[44:45], v[44:45]
	v_max_f64 v[46:47], v[50:51], v[48:49]
	v_min_f64 v[48:49], v[50:51], v[48:49]
	v_fma_f64 v[50:51], -v[42:43], v[44:45], 1.0
	v_div_scale_f64 v[52:53], s[16:17], v[46:47], v[46:47], v[48:49]
	s_mov_b32 s16, 0xaf56de9b
	s_mov_b32 s17, 0xbf67952d
	v_fma_f64 v[44:45], v[50:51], v[44:45], v[44:45]
	v_mul_f64 v[50:51], v[54:55], v[44:45]
	v_rcp_f64_e32 v[56:57], v[52:53]
	v_mul_f64 v[60:61], v[42:43], v[50:51]
	v_fma_f64 v[42:43], v[50:51], v[42:43], -v[60:61]
	v_fma_f64 v[58:59], -v[52:53], v[56:57], 1.0
	v_fma_f64 v[9:10], v[50:51], v[9:10], v[42:43]
	v_fma_f64 v[42:43], v[56:57], v[58:59], v[56:57]
	v_div_scale_f64 v[58:59], vcc, v[48:49], v[46:47], v[48:49]
	v_add_f64 v[56:57], v[60:61], v[9:10]
	v_fma_f64 v[70:71], -v[52:53], v[42:43], 1.0
	v_add_f64 v[72:73], v[54:55], -v[56:57]
	v_add_f64 v[60:61], v[56:57], -v[60:61]
	v_fma_f64 v[42:43], v[42:43], v[70:71], v[42:43]
	v_add_f64 v[54:55], v[54:55], -v[72:73]
	v_add_f64 v[9:10], v[60:61], -v[9:10]
	v_mul_f64 v[70:71], v[58:59], v[42:43]
	v_add_f64 v[54:55], v[54:55], -v[56:57]
	v_fma_f64 v[52:53], -v[52:53], v[70:71], v[58:59]
	v_add_f64 v[9:10], v[9:10], v[54:55]
	v_div_fmas_f64 v[42:43], v[52:53], v[42:43], v[70:71]
	v_subbrev_co_u32_e64 v7, vcc, 0, v7, s[12:13]
	v_cmp_class_f64_e64 vcc, v[40:41], s63
	v_cmp_eq_f64_e64 s[12:13], 0, v[3:4]
	v_add_f64 v[9:10], v[72:73], v[9:10]
	v_mul_f64 v[9:10], v[44:45], v[9:10]
	v_div_fixup_f64 v[42:43], v[42:43], v[46:47], v[48:49]
	v_add_f64 v[44:45], v[50:51], v[9:10]
	v_mul_f64 v[46:47], v[42:43], v[42:43]
	v_mul_f64 v[48:49], v[44:45], v[44:45]
	v_fma_f64 v[52:53], v[46:47], s[56:57], v[21:22]
	v_fma_f64 v[54:55], v[48:49], s[34:35], v[19:20]
	v_mul_f64 v[56:57], v[44:45], v[48:49]
	v_fma_f64 v[52:53], v[46:47], v[52:53], s[54:55]
	v_fma_f64 v[54:55], v[48:49], v[54:55], s[36:37]
	;; [unrolled: 1-line block ×3, first 2 shown]
	s_mov_b32 s16, 0xa595c56f
	s_mov_b32 s17, 0x3f7d6d43
	v_fma_f64 v[54:55], v[48:49], v[54:55], s[38:39]
	v_fma_f64 v[52:53], v[46:47], v[52:53], s[16:17]
	s_mov_b32 s16, 0xa57d9582
	s_mov_b32 s17, 0xbf8c6ea4
	v_fma_f64 v[54:55], v[48:49], v[54:55], s[40:41]
	v_fma_f64 v[52:53], v[46:47], v[52:53], s[16:17]
	;; [unrolled: 4-line block ×3, first 2 shown]
	s_mov_b32 s16, 0xfc27006a
	s_mov_b32 s17, 0xbf9e9ae6
	v_fma_f64 v[48:49], v[48:49], v[54:55], s[30:31]
	v_ldexp_f64 v[54:55], v[44:45], 1
	v_fma_f64 v[52:53], v[46:47], v[52:53], s[16:17]
	s_mov_b32 s16, 0x5711927a
	s_mov_b32 s17, 0x3fa2c15b
	v_add_f64 v[44:45], v[44:45], -v[50:51]
	v_mul_f64 v[48:49], v[56:57], v[48:49]
	v_cvt_f64_i32_e32 v[56:57], v7
	v_fma_f64 v[52:53], v[46:47], v[52:53], s[16:17]
	v_cmp_class_f64_e64 s[16:17], v[3:4], s63
	v_mul_f64 v[58:59], v[56:57], s[44:45]
	v_add_f64 v[9:10], v[9:10], -v[44:45]
	v_add_f64 v[50:51], v[54:55], v[48:49]
	v_fma_f64 v[52:53], v[46:47], v[52:53], s[64:65]
	v_ldexp_f64 v[9:10], v[9:10], 1
	v_add_f64 v[44:45], v[50:51], -v[54:55]
	v_fma_f64 v[54:55], v[56:57], s[44:45], -v[58:59]
	v_fma_f64 v[52:53], v[46:47], v[52:53], s[66:67]
	v_add_f64 v[44:45], v[48:49], -v[44:45]
	v_fma_f64 v[48:49], v[46:47], v[52:53], s[68:69]
	v_fma_f64 v[52:53], v[56:57], s[46:47], v[54:55]
	v_add_f64 v[9:10], v[9:10], v[44:45]
	v_fma_f64 v[44:45], v[46:47], v[48:49], s[70:71]
	v_add_f64 v[48:49], v[58:59], v[52:53]
	v_add_f64 v[54:55], v[50:51], v[9:10]
	v_fma_f64 v[44:45], v[46:47], v[44:45], s[72:73]
	v_add_f64 v[58:59], v[48:49], -v[58:59]
	v_add_f64 v[56:57], v[48:49], v[54:55]
	v_add_f64 v[50:51], v[54:55], -v[50:51]
	v_fma_f64 v[44:45], v[46:47], v[44:45], s[74:75]
	v_add_f64 v[52:53], v[52:53], -v[58:59]
	v_add_f64 v[60:61], v[56:57], -v[48:49]
	;; [unrolled: 1-line block ×3, first 2 shown]
	v_fma_f64 v[44:45], v[46:47], v[44:45], s[76:77]
	v_add_f64 v[70:71], v[56:57], -v[60:61]
	v_add_f64 v[50:51], v[54:55], -v[60:61]
	v_fma_f64 v[44:45], v[46:47], v[44:45], s[78:79]
	v_add_f64 v[54:55], v[52:53], v[9:10]
	v_add_f64 v[48:49], v[48:49], -v[70:71]
	v_fma_f64 v[44:45], v[46:47], v[44:45], s[80:81]
	v_add_f64 v[48:49], v[50:51], v[48:49]
	;; [unrolled: 3-line block ×3, first 2 shown]
	v_add_f64 v[54:55], v[54:55], -v[50:51]
	v_fma_f64 v[44:45], v[46:47], v[44:45], s[84:85]
	v_add_f64 v[9:10], v[9:10], -v[50:51]
	v_add_f64 v[58:59], v[56:57], v[48:49]
	v_mul_f64 v[44:45], v[46:47], v[44:45]
	v_add_f64 v[46:47], v[52:53], -v[54:55]
	v_add_f64 v[50:51], v[58:59], -v[56:57]
	v_fma_f64 v[42:43], v[42:43], v[44:45], v[42:43]
	v_add_f64 v[9:10], v[9:10], v[46:47]
	v_add_f64 v[44:45], v[48:49], -v[50:51]
	v_add_f64 v[46:47], -v[42:43], s[90:91]
	v_add_f64 v[9:10], v[9:10], v[44:45]
	v_cndmask_b32_e64 v43, v43, v47, s[10:11]
	v_cndmask_b32_e64 v42, v42, v46, s[10:11]
	v_add_f64 v[44:45], -v[42:43], s[86:87]
	v_cmp_gt_i32_e64 s[10:11], 0, v2
	v_cndmask_b32_e64 v7, v66, v67, s[10:11]
	v_cndmask_b32_e64 v11, v68, v69, s[10:11]
	v_add_f64 v[9:10], v[58:59], v[9:10]
	v_cndmask_b32_e64 v18, v42, v44, s[10:11]
	v_cndmask_b32_e32 v2, v10, v41, vcc
	v_cndmask_b32_e32 v1, v9, v40, vcc
	v_add_f64 v[1:2], v[1:2], 1.0
	v_cndmask_b32_e64 v10, v43, v45, s[10:11]
	v_cmp_ngt_f64_e64 s[10:11], 0, v[40:41]
	v_cndmask_b32_e64 v10, v10, v39, s[12:13]
	v_bfi_b32 v9, s62, v11, v4
	v_cndmask_b32_e64 v11, v18, v15, s[12:13]
	s_and_b64 vcc, s[16:17], s[18:19]
	v_cndmask_b32_e32 v10, v10, v9, vcc
	v_cndmask_b32_e32 v9, v11, v7, vcc
	v_cndmask_b32_e64 v2, v64, v2, s[10:11]
	v_cmp_nge_f64_e64 s[10:11], 0, v[40:41]
	v_cndmask_b32_e64 v39, 0, v1, s[10:11]
	v_cmp_neq_f64_e64 s[10:11], 0, v[40:41]
	v_cndmask_b32_e64 v40, v65, v2, s[10:11]
.LBB185_146:                            ;   in Loop: Header=BB185_4 Depth=1
	s_or_b64 exec, exec, s[14:15]
	s_andn2_saveexec_b64 s[4:5], s[4:5]
	s_cbranch_execz .LBB185_116
.LBB185_147:                            ;   in Loop: Header=BB185_4 Depth=1
	v_cmp_nlt_f64_e64 s[10:11], |v[1:2]|, s[28:29]
	v_cmp_nlt_f64_e64 s[12:13], |v[3:4]|, s[28:29]
                                        ; implicit-def: $vgpr40_vgpr41
	s_or_b64 s[10:11], s[12:13], s[10:11]
	s_and_saveexec_b64 s[12:13], s[10:11]
	s_xor_b64 s[10:11], exec, s[12:13]
	s_cbranch_execz .LBB185_149
; %bb.148:                              ;   in Loop: Header=BB185_4 Depth=1
	v_mul_f64 v[1:2], v[1:2], v[1:2]
	v_fma_f64 v[40:41], v[3:4], v[3:4], v[1:2]
.LBB185_149:                            ;   in Loop: Header=BB185_4 Depth=1
	s_andn2_saveexec_b64 s[10:11], s[10:11]
	s_cbranch_execz .LBB185_151
; %bb.150:                              ;   in Loop: Header=BB185_4 Depth=1
	v_mul_f64 v[1:2], v[1:2], 4.0
	v_mul_f64 v[9:10], v[3:4], 4.0
	v_mul_f64 v[1:2], v[1:2], v[1:2]
	v_fma_f64 v[1:2], v[9:10], v[9:10], v[1:2]
	v_ldexp_f64 v[40:41], v[1:2], -4
.LBB185_151:                            ;   in Loop: Header=BB185_4 Depth=1
	s_or_b64 exec, exec, s[10:11]
	v_frexp_mant_f64_e32 v[1:2], v[40:41]
	s_mov_b32 s31, s27
	v_cmp_gt_f64_e32 vcc, s[26:27], v[1:2]
	v_cndmask_b32_e64 v3, 0, 1, vcc
	v_ldexp_f64 v[1:2], v[1:2], v3
	v_frexp_exp_i32_f64_e32 v3, v[40:41]
	v_add_f64 v[9:10], v[1:2], 1.0
	v_add_f64 v[46:47], v[1:2], -1.0
	v_subbrev_co_u32_e32 v3, vcc, 0, v3, vcc
	v_cmp_class_f64_e64 vcc, v[40:41], s63
	v_rcp_f64_e32 v[42:43], v[9:10]
	v_add_f64 v[48:49], v[9:10], -1.0
	v_add_f64 v[1:2], v[1:2], -v[48:49]
	v_fma_f64 v[44:45], -v[9:10], v[42:43], 1.0
	v_fma_f64 v[42:43], v[44:45], v[42:43], v[42:43]
	v_fma_f64 v[44:45], -v[9:10], v[42:43], 1.0
	v_fma_f64 v[42:43], v[44:45], v[42:43], v[42:43]
	v_mul_f64 v[44:45], v[46:47], v[42:43]
	v_mul_f64 v[50:51], v[9:10], v[44:45]
	v_fma_f64 v[9:10], v[44:45], v[9:10], -v[50:51]
	v_fma_f64 v[1:2], v[44:45], v[1:2], v[9:10]
	v_add_f64 v[9:10], v[50:51], v[1:2]
	v_add_f64 v[48:49], v[46:47], -v[9:10]
	v_add_f64 v[50:51], v[9:10], -v[50:51]
	;; [unrolled: 1-line block ×5, first 2 shown]
	v_add_f64 v[1:2], v[1:2], v[9:10]
	v_add_f64 v[1:2], v[48:49], v[1:2]
	v_mul_f64 v[1:2], v[42:43], v[1:2]
	v_add_f64 v[9:10], v[44:45], v[1:2]
	v_mul_f64 v[42:43], v[9:10], v[9:10]
	v_fma_f64 v[46:47], v[42:43], s[34:35], v[19:20]
	v_mul_f64 v[48:49], v[9:10], v[42:43]
	v_fma_f64 v[46:47], v[42:43], v[46:47], s[36:37]
	v_fma_f64 v[46:47], v[42:43], v[46:47], s[38:39]
	;; [unrolled: 1-line block ×5, first 2 shown]
	v_ldexp_f64 v[46:47], v[9:10], 1
	v_add_f64 v[9:10], v[9:10], -v[44:45]
	v_mul_f64 v[42:43], v[48:49], v[42:43]
	v_cvt_f64_i32_e32 v[48:49], v3
	v_add_f64 v[1:2], v[1:2], -v[9:10]
	v_mul_f64 v[50:51], v[48:49], s[44:45]
	v_add_f64 v[44:45], v[46:47], v[42:43]
	v_ldexp_f64 v[1:2], v[1:2], 1
	v_add_f64 v[9:10], v[44:45], -v[46:47]
	v_fma_f64 v[46:47], v[48:49], s[44:45], -v[50:51]
	v_add_f64 v[9:10], v[42:43], -v[9:10]
	v_fma_f64 v[42:43], v[48:49], s[46:47], v[46:47]
	v_add_f64 v[1:2], v[1:2], v[9:10]
	v_add_f64 v[9:10], v[50:51], v[42:43]
	;; [unrolled: 1-line block ×3, first 2 shown]
	v_add_f64 v[50:51], v[9:10], -v[50:51]
	v_add_f64 v[48:49], v[9:10], v[46:47]
	v_add_f64 v[44:45], v[46:47], -v[44:45]
	v_add_f64 v[42:43], v[42:43], -v[50:51]
	;; [unrolled: 1-line block ×6, first 2 shown]
	v_add_f64 v[46:47], v[42:43], v[1:2]
	v_add_f64 v[9:10], v[9:10], -v[54:55]
	v_add_f64 v[9:10], v[44:45], v[9:10]
	v_add_f64 v[44:45], v[46:47], -v[42:43]
	;; [unrolled: 2-line block ×3, first 2 shown]
	v_add_f64 v[1:2], v[1:2], -v[44:45]
	v_add_f64 v[50:51], v[48:49], v[9:10]
	v_add_f64 v[42:43], v[42:43], -v[46:47]
	v_add_f64 v[44:45], v[50:51], -v[48:49]
	v_add_f64 v[1:2], v[1:2], v[42:43]
	v_add_f64 v[9:10], v[9:10], -v[44:45]
	v_add_f64 v[1:2], v[1:2], v[9:10]
	v_mov_b32_e32 v9, 0
	v_mov_b32_e32 v10, 0x7ff80000
	v_add_f64 v[1:2], v[50:51], v[1:2]
	v_cndmask_b32_e32 v1, v1, v40, vcc
	v_cndmask_b32_e32 v2, v2, v41, vcc
	v_cmp_ngt_f64_e32 vcc, 0, v[40:41]
	v_cndmask_b32_e32 v2, v64, v2, vcc
	v_cmp_nge_f64_e32 vcc, 0, v[40:41]
	v_cndmask_b32_e32 v39, 0, v1, vcc
	v_cmp_neq_f64_e32 vcc, 0, v[40:41]
	v_cndmask_b32_e32 v40, v65, v2, vcc
	s_or_b64 exec, exec, s[4:5]
	s_and_saveexec_b64 s[4:5], s[8:9]
	s_xor_b64 s[4:5], exec, s[4:5]
	s_cbranch_execz .LBB185_117
.LBB185_152:                            ;   in Loop: Header=BB185_4 Depth=1
	v_div_scale_f64 v[1:2], s[8:9], s[94:95], s[94:95], v[33:34]
	v_bfi_b32 v32, s62, v32, v16
	v_div_scale_f64 v[15:16], s[8:9], s[94:95], s[94:95], v[31:32]
	v_div_scale_f64 v[49:50], s[8:9], v[31:32], s[94:95], v[31:32]
	v_rcp_f64_e32 v[41:42], v[1:2]
	v_rcp_f64_e32 v[43:44], v[15:16]
	v_fma_f64 v[45:46], -v[1:2], v[41:42], 1.0
	v_fma_f64 v[47:48], -v[15:16], v[43:44], 1.0
	v_fma_f64 v[41:42], v[41:42], v[45:46], v[41:42]
	v_div_scale_f64 v[45:46], vcc, v[33:34], s[94:95], v[33:34]
	v_fma_f64 v[43:44], v[43:44], v[47:48], v[43:44]
	v_fma_f64 v[47:48], -v[1:2], v[41:42], 1.0
	v_fma_f64 v[51:52], -v[15:16], v[43:44], 1.0
	v_fma_f64 v[41:42], v[41:42], v[47:48], v[41:42]
	v_fma_f64 v[43:44], v[43:44], v[51:52], v[43:44]
	v_mul_f64 v[47:48], v[45:46], v[41:42]
	v_mul_f64 v[51:52], v[49:50], v[43:44]
	v_fma_f64 v[1:2], -v[1:2], v[47:48], v[45:46]
	v_fma_f64 v[15:16], -v[15:16], v[51:52], v[49:50]
	v_div_fmas_f64 v[1:2], v[1:2], v[41:42], v[47:48]
	s_mov_b64 vcc, s[8:9]
	v_div_fmas_f64 v[15:16], v[15:16], v[43:44], v[51:52]
	v_div_fixup_f64 v[41:42], v[1:2], s[94:95], v[33:34]
	v_mov_b32_e32 v2, s58
	v_add_co_u32_e32 v1, vcc, s33, v29
	v_div_fixup_f64 v[43:44], v[15:16], s[94:95], v[31:32]
	v_addc_co_u32_e32 v2, vcc, v2, v30, vcc
	global_store_dwordx4 v[1:2], v[41:44], off
	s_or_b64 exec, exec, s[4:5]
	s_and_saveexec_b64 s[4:5], s[6:7]
	s_cbranch_execz .LBB185_118
.LBB185_153:                            ;   in Loop: Header=BB185_4 Depth=1
	v_div_scale_f64 v[1:2], s[6:7], s[94:95], s[94:95], v[35:36]
	v_bfi_b32 v14, s62, v14, v8
	v_div_scale_f64 v[7:8], s[6:7], s[94:95], s[94:95], v[13:14]
	v_div_scale_f64 v[41:42], s[6:7], v[13:14], s[94:95], v[13:14]
	v_rcp_f64_e32 v[15:16], v[1:2]
	v_rcp_f64_e32 v[29:30], v[7:8]
	v_fma_f64 v[31:32], -v[1:2], v[15:16], 1.0
	v_fma_f64 v[33:34], -v[7:8], v[29:30], 1.0
	v_fma_f64 v[15:16], v[15:16], v[31:32], v[15:16]
	v_div_scale_f64 v[31:32], vcc, v[35:36], s[94:95], v[35:36]
	v_fma_f64 v[29:30], v[29:30], v[33:34], v[29:30]
	v_fma_f64 v[33:34], -v[1:2], v[15:16], 1.0
	v_fma_f64 v[43:44], -v[7:8], v[29:30], 1.0
	v_fma_f64 v[15:16], v[15:16], v[33:34], v[15:16]
	v_fma_f64 v[29:30], v[29:30], v[43:44], v[29:30]
	v_mul_f64 v[33:34], v[31:32], v[15:16]
	v_mul_f64 v[43:44], v[41:42], v[29:30]
	v_fma_f64 v[1:2], -v[1:2], v[33:34], v[31:32]
	v_fma_f64 v[7:8], -v[7:8], v[43:44], v[41:42]
	v_div_fmas_f64 v[1:2], v[1:2], v[15:16], v[33:34]
	s_mov_b64 vcc, s[6:7]
	v_div_fmas_f64 v[7:8], v[7:8], v[29:30], v[43:44]
	v_div_fixup_f64 v[29:30], v[1:2], s[94:95], v[35:36]
	v_mov_b32_e32 v2, s58
	v_add_co_u32_e32 v1, vcc, s33, v27
	v_div_fixup_f64 v[31:32], v[7:8], s[94:95], v[13:14]
	v_addc_co_u32_e32 v2, vcc, v2, v28, vcc
	global_store_dwordx4 v[1:2], v[29:32], off
	s_or_b64 exec, exec, s[4:5]
	s_and_saveexec_b64 s[4:5], s[2:3]
	s_cbranch_execz .LBB185_119
.LBB185_154:                            ;   in Loop: Header=BB185_4 Depth=1
	v_div_scale_f64 v[1:2], s[2:3], s[94:95], s[94:95], v[37:38]
	v_bfi_b32 v6, s62, v6, v12
	v_div_scale_f64 v[7:8], s[2:3], s[94:95], s[94:95], v[5:6]
	v_div_scale_f64 v[29:30], s[2:3], v[5:6], s[94:95], v[5:6]
	v_rcp_f64_e32 v[11:12], v[1:2]
	v_rcp_f64_e32 v[13:14], v[7:8]
	v_fma_f64 v[15:16], -v[1:2], v[11:12], 1.0
	v_fma_f64 v[27:28], -v[7:8], v[13:14], 1.0
	v_fma_f64 v[11:12], v[11:12], v[15:16], v[11:12]
	v_div_scale_f64 v[15:16], vcc, v[37:38], s[94:95], v[37:38]
	v_fma_f64 v[13:14], v[13:14], v[27:28], v[13:14]
	v_fma_f64 v[27:28], -v[1:2], v[11:12], 1.0
	v_fma_f64 v[31:32], -v[7:8], v[13:14], 1.0
	v_fma_f64 v[11:12], v[11:12], v[27:28], v[11:12]
	v_fma_f64 v[13:14], v[13:14], v[31:32], v[13:14]
	v_mul_f64 v[27:28], v[15:16], v[11:12]
	v_mul_f64 v[31:32], v[29:30], v[13:14]
	v_fma_f64 v[1:2], -v[1:2], v[27:28], v[15:16]
	v_fma_f64 v[7:8], -v[7:8], v[31:32], v[29:30]
	v_div_fmas_f64 v[1:2], v[1:2], v[11:12], v[27:28]
	s_mov_b64 vcc, s[2:3]
	v_div_fmas_f64 v[7:8], v[7:8], v[13:14], v[31:32]
	v_div_fixup_f64 v[11:12], v[1:2], s[94:95], v[37:38]
	v_mov_b32_e32 v2, s58
	v_add_co_u32_e32 v1, vcc, s33, v25
	v_div_fixup_f64 v[13:14], v[7:8], s[94:95], v[5:6]
	v_addc_co_u32_e32 v2, vcc, v2, v26, vcc
	global_store_dwordx4 v[1:2], v[11:14], off
	s_or_b64 exec, exec, s[4:5]
	s_and_saveexec_b64 s[2:3], s[0:1]
	s_cbranch_execz .LBB185_3
.LBB185_155:                            ;   in Loop: Header=BB185_4 Depth=1
	v_div_scale_f64 v[1:2], s[0:1], s[94:95], s[94:95], v[39:40]
	v_bfi_b32 v10, s62, v10, v4
	v_div_scale_f64 v[3:4], s[0:1], s[94:95], s[94:95], v[9:10]
	v_div_scale_f64 v[15:16], s[0:1], v[9:10], s[94:95], v[9:10]
	v_rcp_f64_e32 v[5:6], v[1:2]
	v_rcp_f64_e32 v[7:8], v[3:4]
	v_fma_f64 v[11:12], -v[1:2], v[5:6], 1.0
	v_fma_f64 v[13:14], -v[3:4], v[7:8], 1.0
	v_fma_f64 v[5:6], v[5:6], v[11:12], v[5:6]
	v_div_scale_f64 v[11:12], vcc, v[39:40], s[94:95], v[39:40]
	v_fma_f64 v[7:8], v[7:8], v[13:14], v[7:8]
	v_fma_f64 v[13:14], -v[1:2], v[5:6], 1.0
	v_fma_f64 v[25:26], -v[3:4], v[7:8], 1.0
	v_fma_f64 v[5:6], v[5:6], v[13:14], v[5:6]
	v_fma_f64 v[7:8], v[7:8], v[25:26], v[7:8]
	v_mul_f64 v[13:14], v[11:12], v[5:6]
	v_mul_f64 v[25:26], v[15:16], v[7:8]
	v_fma_f64 v[1:2], -v[1:2], v[13:14], v[11:12]
	v_fma_f64 v[3:4], -v[3:4], v[25:26], v[15:16]
	v_div_fmas_f64 v[1:2], v[1:2], v[5:6], v[13:14]
	s_mov_b64 vcc, s[0:1]
	v_mov_b32_e32 v6, s58
	v_div_fmas_f64 v[3:4], v[3:4], v[7:8], v[25:26]
	v_add_co_u32_e32 v5, vcc, s33, v23
	v_addc_co_u32_e32 v6, vcc, v6, v24, vcc
	v_div_fixup_f64 v[1:2], v[1:2], s[94:95], v[39:40]
	v_div_fixup_f64 v[3:4], v[3:4], s[94:95], v[9:10]
	global_store_dwordx4 v[5:6], v[1:4], off
	s_branch .LBB185_3
.LBB185_156:
	v_readlane_b32 s2, v80, 2
	v_readlane_b32 s3, v80, 3
	s_cbranch_execz .LBB185_158
	s_branch .LBB185_297
.LBB185_157:
.LBB185_158:
	v_mov_b32_e32 v1, 0x10000
	v_mov_b32_e32 v2, 0
	v_cmp_lt_i64_e32 vcc, s[2:3], v[1:2]
	v_mov_b32_e32 v18, 0
	s_and_b64 s[0:1], vcc, exec
	s_cselect_b32 s9, s3, 0
	s_cselect_b32 s8, s2, 0x10000
	v_lshlrev_b32_e32 v1, 2, v0
	v_mov_b32_e32 v2, v18
	v_cmp_gt_i64_e32 vcc, s[8:9], v[1:2]
	s_and_saveexec_b64 s[0:1], vcc
	s_cbranch_execz .LBB185_297
; %bb.159:
	v_readlane_b32 s0, v80, 0
	v_readlane_b32 s1, v80, 1
	s_load_dword s0, s[0:1], 0xd3c
	v_mov_b32_e32 v58, s58
	s_mov_b32 s18, 0x55555555
	s_mov_b32 s20, 0xbf559e2b
	;; [unrolled: 1-line block ×30, first 2 shown]
	v_mov_b32_e32 v1, v18
	s_mov_b64 s[10:11], 0
	s_brev_b32 s38, -2
	s_waitcnt lgkmcnt(0)
	s_and_b32 s39, s0, 0xffff
	s_mov_b32 s19, 0x3fe55555
	s_mov_b32 s21, 0x3fc3ab76
	;; [unrolled: 1-line block ×30, first 2 shown]
	v_mov_b32_e32 v20, 0x6b47b09a
	v_mov_b32_e32 v21, 0x3fc38538
	;; [unrolled: 1-line block ×11, first 2 shown]
	s_movk_i32 s40, 0x204
	s_brev_b32 s89, 4
	s_mov_b32 s91, 0x400921fb
	s_branch .LBB185_162
.LBB185_160:                            ;   in Loop: Header=BB185_162 Depth=1
	s_or_b64 exec, exec, s[2:3]
	v_frexp_mant_f64_e32 v[2:3], v[14:15]
	s_mov_b32 s31, s19
	v_cmp_gt_f64_e32 vcc, s[18:19], v[2:3]
	v_cndmask_b32_e64 v4, 0, 1, vcc
	v_ldexp_f64 v[2:3], v[2:3], v4
	v_frexp_exp_i32_f64_e32 v4, v[14:15]
	v_add_f64 v[34:35], v[2:3], 1.0
	v_add_f64 v[40:41], v[2:3], -1.0
	v_subbrev_co_u32_e32 v4, vcc, 0, v4, vcc
	v_cmp_class_f64_e64 vcc, v[14:15], s40
	v_rcp_f64_e32 v[36:37], v[34:35]
	v_add_f64 v[42:43], v[34:35], -1.0
	v_add_f64 v[2:3], v[2:3], -v[42:43]
	v_fma_f64 v[38:39], -v[34:35], v[36:37], 1.0
	v_fma_f64 v[36:37], v[38:39], v[36:37], v[36:37]
	v_fma_f64 v[38:39], -v[34:35], v[36:37], 1.0
	v_fma_f64 v[36:37], v[38:39], v[36:37], v[36:37]
	v_mul_f64 v[38:39], v[40:41], v[36:37]
	v_mul_f64 v[44:45], v[34:35], v[38:39]
	v_fma_f64 v[34:35], v[38:39], v[34:35], -v[44:45]
	v_fma_f64 v[2:3], v[38:39], v[2:3], v[34:35]
	v_add_f64 v[34:35], v[44:45], v[2:3]
	v_add_f64 v[42:43], v[40:41], -v[34:35]
	v_add_f64 v[44:45], v[34:35], -v[44:45]
	;; [unrolled: 1-line block ×5, first 2 shown]
	v_add_f64 v[2:3], v[2:3], v[34:35]
	v_add_f64 v[2:3], v[42:43], v[2:3]
	v_mul_f64 v[2:3], v[36:37], v[2:3]
	v_add_f64 v[34:35], v[38:39], v[2:3]
	v_mul_f64 v[36:37], v[34:35], v[34:35]
	v_fma_f64 v[40:41], v[36:37], s[20:21], v[20:21]
	v_mul_f64 v[42:43], v[34:35], v[36:37]
	v_fma_f64 v[40:41], v[36:37], v[40:41], s[22:23]
	v_fma_f64 v[40:41], v[36:37], v[40:41], s[24:25]
	;; [unrolled: 1-line block ×5, first 2 shown]
	v_ldexp_f64 v[40:41], v[34:35], 1
	v_add_f64 v[34:35], v[34:35], -v[38:39]
	v_mul_f64 v[36:37], v[42:43], v[36:37]
	v_cvt_f64_i32_e32 v[42:43], v4
	v_add_f64 v[2:3], v[2:3], -v[34:35]
	v_mul_f64 v[44:45], v[42:43], s[34:35]
	v_add_f64 v[38:39], v[40:41], v[36:37]
	v_ldexp_f64 v[2:3], v[2:3], 1
	v_add_f64 v[34:35], v[38:39], -v[40:41]
	v_fma_f64 v[40:41], v[42:43], s[34:35], -v[44:45]
	v_add_f64 v[34:35], v[36:37], -v[34:35]
	v_fma_f64 v[36:37], v[42:43], s[36:37], v[40:41]
	v_add_f64 v[2:3], v[2:3], v[34:35]
	v_add_f64 v[34:35], v[44:45], v[36:37]
	;; [unrolled: 1-line block ×3, first 2 shown]
	v_add_f64 v[44:45], v[34:35], -v[44:45]
	v_add_f64 v[42:43], v[34:35], v[40:41]
	v_add_f64 v[38:39], v[40:41], -v[38:39]
	v_add_f64 v[36:37], v[36:37], -v[44:45]
	;; [unrolled: 1-line block ×6, first 2 shown]
	v_add_f64 v[40:41], v[36:37], v[2:3]
	v_add_f64 v[34:35], v[34:35], -v[48:49]
	v_add_f64 v[34:35], v[38:39], v[34:35]
	v_add_f64 v[38:39], v[40:41], -v[36:37]
	;; [unrolled: 2-line block ×3, first 2 shown]
	v_add_f64 v[2:3], v[2:3], -v[38:39]
	v_add_f64 v[44:45], v[42:43], v[34:35]
	v_add_f64 v[36:37], v[36:37], -v[40:41]
	v_add_f64 v[38:39], v[44:45], -v[42:43]
	v_add_f64 v[2:3], v[2:3], v[36:37]
	v_mov_b32_e32 v36, 0
	v_mov_b32_e32 v37, 0x7ff80000
	v_add_f64 v[34:35], v[34:35], -v[38:39]
	v_add_f64 v[2:3], v[2:3], v[34:35]
	v_add_f64 v[2:3], v[44:45], v[2:3]
	v_cndmask_b32_e32 v2, v2, v14, vcc
	v_cndmask_b32_e32 v3, v3, v15, vcc
	v_cmp_ngt_f64_e32 vcc, 0, v[14:15]
	v_cndmask_b32_e32 v3, v60, v3, vcc
	v_cmp_nge_f64_e32 vcc, 0, v[14:15]
	v_cndmask_b32_e32 v34, 0, v2, vcc
	v_cmp_neq_f64_e32 vcc, 0, v[14:15]
	v_cndmask_b32_e32 v35, v61, v3, vcc
.LBB185_161:                            ;   in Loop: Header=BB185_162 Depth=1
	s_or_b64 exec, exec, s[0:1]
	v_div_scale_f64 v[2:3], s[0:1], s[84:85], s[84:85], v[10:11]
	v_bfi_b32 v33, s38, v33, v17
	v_bfi_b32 v7, s38, v7, v13
	v_bfi_b32 v27, s38, v27, v9
	v_bfi_b32 v37, s38, v37, v5
	v_rcp_f64_e32 v[14:15], v[2:3]
	v_fma_f64 v[16:17], -v[2:3], v[14:15], 1.0
	v_fma_f64 v[14:15], v[14:15], v[16:17], v[14:15]
	v_fma_f64 v[16:17], -v[2:3], v[14:15], 1.0
	v_fma_f64 v[14:15], v[14:15], v[16:17], v[14:15]
	v_div_scale_f64 v[16:17], vcc, v[10:11], s[84:85], v[10:11]
	v_mul_f64 v[38:39], v[16:17], v[14:15]
	v_fma_f64 v[2:3], -v[2:3], v[38:39], v[16:17]
	s_nop 1
	v_div_fmas_f64 v[2:3], v[2:3], v[14:15], v[38:39]
	v_div_fixup_f64 v[14:15], v[2:3], s[84:85], v[10:11]
	v_div_scale_f64 v[2:3], s[0:1], s[84:85], s[84:85], v[32:33]
	v_rcp_f64_e32 v[10:11], v[2:3]
	v_fma_f64 v[16:17], -v[2:3], v[10:11], 1.0
	v_fma_f64 v[10:11], v[10:11], v[16:17], v[10:11]
	v_fma_f64 v[16:17], -v[2:3], v[10:11], 1.0
	v_fma_f64 v[10:11], v[10:11], v[16:17], v[10:11]
	v_div_scale_f64 v[16:17], vcc, v[32:33], s[84:85], v[32:33]
	v_mul_f64 v[38:39], v[16:17], v[10:11]
	v_fma_f64 v[2:3], -v[2:3], v[38:39], v[16:17]
	s_nop 1
	v_div_fmas_f64 v[2:3], v[2:3], v[10:11], v[38:39]
	v_div_fixup_f64 v[16:17], v[2:3], s[84:85], v[32:33]
	v_div_scale_f64 v[2:3], s[0:1], s[84:85], s[84:85], v[30:31]
	;; [unrolled: 12-line block ×6, first 2 shown]
	v_rcp_f64_e32 v[4:5], v[2:3]
	v_fma_f64 v[26:27], -v[2:3], v[4:5], 1.0
	v_fma_f64 v[4:5], v[4:5], v[26:27], v[4:5]
	v_fma_f64 v[26:27], -v[2:3], v[4:5], 1.0
	v_fma_f64 v[4:5], v[4:5], v[26:27], v[4:5]
	v_div_scale_f64 v[26:27], vcc, v[34:35], s[84:85], v[34:35]
	v_mul_f64 v[28:29], v[26:27], v[4:5]
	v_fma_f64 v[2:3], -v[2:3], v[28:29], v[26:27]
	s_nop 1
	v_div_fmas_f64 v[2:3], v[2:3], v[4:5], v[28:29]
	v_div_scale_f64 v[4:5], s[0:1], s[84:85], s[84:85], v[36:37]
	v_div_fixup_f64 v[2:3], v[2:3], s[84:85], v[34:35]
	v_rcp_f64_e32 v[26:27], v[4:5]
	v_fma_f64 v[28:29], -v[4:5], v[26:27], 1.0
	v_fma_f64 v[26:27], v[26:27], v[28:29], v[26:27]
	v_fma_f64 v[28:29], -v[4:5], v[26:27], 1.0
	v_fma_f64 v[26:27], v[26:27], v[28:29], v[26:27]
	v_div_scale_f64 v[28:29], vcc, v[36:37], s[84:85], v[36:37]
	v_mul_f64 v[30:31], v[28:29], v[26:27]
	v_fma_f64 v[4:5], -v[4:5], v[30:31], v[28:29]
	s_nop 1
	v_div_fmas_f64 v[4:5], v[4:5], v[26:27], v[30:31]
	v_add_co_u32_e32 v0, vcc, s39, v0
	v_addc_co_u32_e32 v1, vcc, 0, v1, vcc
	v_div_fixup_f64 v[4:5], v[4:5], s[84:85], v[36:37]
	global_store_dwordx4 v[24:25], v[6:9], off
	global_store_dwordx4 v[24:25], v[10:13], off offset:16
	global_store_dwordx4 v[24:25], v[14:17], off offset:32
	;; [unrolled: 1-line block ×3, first 2 shown]
	s_nop 0
	v_lshlrev_b64 v[2:3], 2, v[0:1]
	v_cmp_le_i64_e32 vcc, s[8:9], v[2:3]
	s_or_b64 s[10:11], vcc, s[10:11]
	s_andn2_b64 exec, exec, s[10:11]
	s_cbranch_execz .LBB185_297
.LBB185_162:                            ; =>This Loop Header: Depth=1
                                        ;     Child Loop BB185_173 Depth 2
                                        ;     Child Loop BB185_207 Depth 2
	;; [unrolled: 1-line block ×4, first 2 shown]
	v_lshlrev_b64 v[2:3], 6, v[0:1]
                                        ; implicit-def: $vgpr28_vgpr29
                                        ; implicit-def: $vgpr26_vgpr27
	v_add_co_u32_e32 v24, vcc, s33, v2
	v_addc_co_u32_e32 v25, vcc, v58, v3, vcc
	global_load_dwordx4 v[6:9], v[24:25], off
	global_load_dwordx4 v[10:13], v[24:25], off offset:16
	global_load_dwordx4 v[2:5], v[24:25], off offset:48
	;; [unrolled: 1-line block ×3, first 2 shown]
	s_waitcnt vmcnt(3)
	v_cmp_o_f64_e32 vcc, v[6:7], v[8:9]
	s_and_saveexec_b64 s[0:1], vcc
	s_xor_b64 s[92:93], exec, s[0:1]
	s_cbranch_execz .LBB185_190
; %bb.163:                              ;   in Loop: Header=BB185_162 Depth=1
	v_cmp_lt_f64_e64 s[0:1], |v[6:7]|, |v[8:9]|
	v_and_b32_e32 v19, 0x7fffffff, v7
	v_and_b32_e32 v30, 0x7fffffff, v9
	s_mov_b32 s2, 0x85ebc8a0
	s_mov_b32 s3, 0x7fd1ccf3
	v_mov_b32_e32 v31, v8
                                        ; implicit-def: $vgpr28_vgpr29
                                        ; implicit-def: $vgpr26_vgpr27
	v_cndmask_b32_e64 v33, v30, v19, s[0:1]
	v_cndmask_b32_e64 v32, v8, v6, s[0:1]
	v_cmp_nlt_f64_e32 vcc, s[2:3], v[32:33]
	s_and_saveexec_b64 s[2:3], vcc
	s_xor_b64 s[94:95], exec, s[2:3]
	s_cbranch_execz .LBB185_187
; %bb.164:                              ;   in Loop: Header=BB185_162 Depth=1
	v_cndmask_b32_e64 v35, v19, v30, s[0:1]
	v_cndmask_b32_e64 v34, v6, v31, s[0:1]
	v_cmp_neq_f64_e32 vcc, 1.0, v[34:35]
                                        ; implicit-def: $vgpr28_vgpr29
                                        ; implicit-def: $vgpr26_vgpr27
	s_and_saveexec_b64 s[2:3], vcc
	s_xor_b64 s[78:79], exec, s[2:3]
	s_cbranch_execz .LBB185_180
; %bb.165:                              ;   in Loop: Header=BB185_162 Depth=1
	v_max_f64 v[26:27], v[32:33], v[32:33]
	v_max_f64 v[28:29], v[34:35], v[34:35]
	s_mov_b32 s2, 0x4ad4b81f
	s_mov_b32 s3, 0x358dee7a
	v_min_f64 v[30:31], v[28:29], v[26:27]
	v_max_f64 v[26:27], v[28:29], v[26:27]
                                        ; implicit-def: $vgpr28_vgpr29
	v_cmp_ngt_f64_e32 vcc, s[2:3], v[30:31]
	s_mov_b32 s2, 0xc57e649a
	s_mov_b32 s3, 0x4a511b0e
	v_cmp_nlt_f64_e64 s[2:3], s[2:3], v[26:27]
                                        ; implicit-def: $vgpr26_vgpr27
	s_and_b64 s[2:3], s[2:3], vcc
	s_and_saveexec_b64 s[4:5], s[2:3]
	s_xor_b64 s[86:87], exec, s[4:5]
	s_cbranch_execz .LBB185_177
; %bb.166:                              ;   in Loop: Header=BB185_162 Depth=1
	v_cmp_le_f64_e32 vcc, 1.0, v[34:35]
                                        ; implicit-def: $vgpr28_vgpr29
                                        ; implicit-def: $vgpr26_vgpr27
	s_and_saveexec_b64 s[2:3], vcc
	s_xor_b64 s[14:15], exec, s[2:3]
	s_cbranch_execz .LBB185_168
; %bb.167:                              ;   in Loop: Header=BB185_162 Depth=1
	v_add_f64 v[26:27], v[34:35], -1.0
	v_add_f64 v[28:29], v[34:35], 1.0
	s_mov_b32 s31, s19
	s_mov_b32 s90, s76
	;; [unrolled: 1-line block ×4, first 2 shown]
	v_cmp_class_f64_e64 s[16:17], v[6:7], s40
	v_cmp_class_f64_e64 s[12:13], v[8:9], s40
	v_mul_f64 v[26:27], v[26:27], v[28:29]
	v_fma_f64 v[29:30], v[32:33], v[32:33], v[26:27]
	v_add_f64 v[26:27], v[29:30], 1.0
	v_cmp_nge_f64_e64 s[4:5], -1.0, v[29:30]
	v_cmp_neq_f64_e64 s[6:7], s[6:7], v[29:30]
	v_frexp_mant_f64_e32 v[33:34], v[26:27]
	v_frexp_exp_i32_f64_e32 v19, v[26:27]
	v_add_f64 v[31:32], v[26:27], -1.0
	v_cmp_gt_f64_e32 vcc, s[18:19], v[33:34]
	v_add_f64 v[35:36], v[31:32], -v[26:27]
	v_add_f64 v[31:32], v[29:30], -v[31:32]
	v_subbrev_co_u32_e32 v19, vcc, 0, v19, vcc
	v_sub_u32_e32 v28, 0, v19
	v_ldexp_f64 v[26:27], v[26:27], v28
	v_add_f64 v[33:34], v[35:36], 1.0
	v_add_f64 v[35:36], v[26:27], 1.0
	v_add_f64 v[31:32], v[31:32], v[33:34]
	v_add_f64 v[41:42], v[26:27], -1.0
	v_add_f64 v[33:34], v[35:36], -1.0
	v_ldexp_f64 v[31:32], v[31:32], v28
	v_add_f64 v[43:44], v[41:42], 1.0
	v_add_f64 v[33:34], v[26:27], -v[33:34]
	v_add_f64 v[26:27], v[26:27], -v[43:44]
	v_add_f64 v[37:38], v[31:32], v[33:34]
	v_add_f64 v[43:44], v[31:32], v[26:27]
	v_add_f64 v[33:34], v[35:36], v[37:38]
	v_rcp_f64_e32 v[39:40], v[33:34]
	v_add_f64 v[35:36], v[33:34], -v[35:36]
	v_add_f64 v[37:38], v[37:38], -v[35:36]
	v_fma_f64 v[45:46], -v[33:34], v[39:40], 1.0
	v_fma_f64 v[39:40], v[45:46], v[39:40], v[39:40]
	v_add_f64 v[45:46], v[41:42], v[43:44]
	v_fma_f64 v[26:27], -v[33:34], v[39:40], 1.0
	v_add_f64 v[41:42], v[45:46], -v[41:42]
	v_fma_f64 v[26:27], v[26:27], v[39:40], v[39:40]
	v_add_f64 v[41:42], v[43:44], -v[41:42]
	v_mul_f64 v[31:32], v[45:46], v[26:27]
	v_mul_f64 v[39:40], v[33:34], v[31:32]
	v_fma_f64 v[35:36], v[31:32], v[33:34], -v[39:40]
	v_fma_f64 v[47:48], v[31:32], v[37:38], v[35:36]
	v_add_f64 v[49:50], v[39:40], v[47:48]
	v_add_f64 v[35:36], v[45:46], -v[49:50]
	v_add_f64 v[39:40], v[49:50], -v[39:40]
	;; [unrolled: 1-line block ×5, first 2 shown]
	v_add_f64 v[41:42], v[41:42], v[43:44]
	v_max_f64 v[43:44], |v[6:7]|, |v[6:7]|
	v_ashrrev_i32_e32 v6, 31, v7
	v_add_f64 v[39:40], v[39:40], v[41:42]
	v_max_f64 v[41:42], |v[8:9]|, |v[8:9]|
	v_add_f64 v[45:46], v[35:36], v[39:40]
	v_max_f64 v[47:48], v[43:44], v[41:42]
	v_min_f64 v[41:42], v[43:44], v[41:42]
	v_mul_f64 v[43:44], v[26:27], v[45:46]
	v_add_f64 v[35:36], v[35:36], -v[45:46]
	v_div_scale_f64 v[49:50], s[2:3], v[47:48], v[47:48], v[41:42]
	s_mov_b32 s2, 0x69efb384
	s_mov_b32 s3, 0x3f4b2bb0
	v_mul_f64 v[51:52], v[33:34], v[43:44]
	v_add_f64 v[35:36], v[39:40], v[35:36]
	v_fma_f64 v[33:34], v[43:44], v[33:34], -v[51:52]
	v_rcp_f64_e32 v[53:54], v[49:50]
	v_fma_f64 v[33:34], v[43:44], v[37:38], v[33:34]
	v_add_f64 v[37:38], v[51:52], v[33:34]
	v_fma_f64 v[55:56], -v[49:50], v[53:54], 1.0
	v_add_f64 v[66:67], v[45:46], -v[37:38]
	v_add_f64 v[39:40], v[37:38], -v[51:52]
	v_fma_f64 v[53:54], v[53:54], v[55:56], v[53:54]
	v_div_scale_f64 v[55:56], vcc, v[41:42], v[47:48], v[41:42]
	v_add_f64 v[45:46], v[45:46], -v[66:67]
	v_add_f64 v[33:34], v[39:40], -v[33:34]
	v_fma_f64 v[68:69], -v[49:50], v[53:54], 1.0
	v_add_f64 v[39:40], v[31:32], v[43:44]
	v_add_f64 v[37:38], v[45:46], -v[37:38]
	v_fma_f64 v[45:46], v[53:54], v[68:69], v[53:54]
	v_add_f64 v[31:32], v[39:40], -v[31:32]
	v_add_f64 v[35:36], v[35:36], v[37:38]
	v_mul_f64 v[37:38], v[55:56], v[45:46]
	v_add_f64 v[31:32], v[43:44], -v[31:32]
	v_add_f64 v[33:34], v[33:34], v[35:36]
	v_fma_f64 v[35:36], -v[49:50], v[37:38], v[55:56]
	v_add_f64 v[33:34], v[66:67], v[33:34]
	v_div_fmas_f64 v[35:36], v[35:36], v[45:46], v[37:38]
	v_cmp_gt_i32_e32 vcc, 0, v7
	v_cndmask_b32_e32 v28, v64, v65, vcc
	v_mul_f64 v[26:27], v[26:27], v[33:34]
	v_add_f64 v[26:27], v[31:32], v[26:27]
	v_div_fixup_f64 v[31:32], v[35:36], v[47:48], v[41:42]
	v_add_f64 v[33:34], v[39:40], v[26:27]
	v_mul_f64 v[35:36], v[31:32], v[31:32]
	v_mul_f64 v[37:38], v[33:34], v[33:34]
	v_fma_f64 v[41:42], v[35:36], s[80:81], v[22:23]
	v_fma_f64 v[43:44], v[37:38], s[20:21], v[20:21]
	v_mul_f64 v[45:46], v[33:34], v[37:38]
	v_fma_f64 v[41:42], v[35:36], v[41:42], s[2:3]
	v_cmp_eq_f64_e64 s[2:3], 0, v[8:9]
	v_fma_f64 v[43:44], v[37:38], v[43:44], s[22:23]
	v_fma_f64 v[41:42], v[35:36], v[41:42], s[42:43]
	;; [unrolled: 1-line block ×9, first 2 shown]
	v_ldexp_f64 v[43:44], v[33:34], 1
	v_fma_f64 v[41:42], v[35:36], v[41:42], s[50:51]
	v_add_f64 v[33:34], v[33:34], -v[39:40]
	v_mul_f64 v[37:38], v[45:46], v[37:38]
	v_cvt_f64_i32_e32 v[45:46], v19
	v_fma_f64 v[41:42], v[35:36], v[41:42], s[52:53]
	v_add_f64 v[26:27], v[26:27], -v[33:34]
	v_cndmask_b32_e32 v19, v62, v63, vcc
	v_mul_f64 v[47:48], v[45:46], s[34:35]
	v_add_f64 v[39:40], v[43:44], v[37:38]
	v_fma_f64 v[41:42], v[35:36], v[41:42], s[54:55]
	v_ldexp_f64 v[26:27], v[26:27], 1
	v_add_f64 v[33:34], v[39:40], -v[43:44]
	v_fma_f64 v[43:44], v[45:46], s[34:35], -v[47:48]
	v_fma_f64 v[41:42], v[35:36], v[41:42], s[56:57]
	v_add_f64 v[33:34], v[37:38], -v[33:34]
	v_fma_f64 v[37:38], v[35:36], v[41:42], s[58:59]
	v_fma_f64 v[41:42], v[45:46], s[36:37], v[43:44]
	v_add_f64 v[26:27], v[26:27], v[33:34]
	v_fma_f64 v[33:34], v[35:36], v[37:38], s[60:61]
	v_add_f64 v[37:38], v[47:48], v[41:42]
	v_add_f64 v[43:44], v[39:40], v[26:27]
	v_fma_f64 v[33:34], v[35:36], v[33:34], s[62:63]
	v_add_f64 v[47:48], v[37:38], -v[47:48]
	v_add_f64 v[45:46], v[37:38], v[43:44]
	v_add_f64 v[39:40], v[43:44], -v[39:40]
	v_fma_f64 v[33:34], v[35:36], v[33:34], s[64:65]
	v_add_f64 v[41:42], v[41:42], -v[47:48]
	v_add_f64 v[49:50], v[45:46], -v[37:38]
	v_add_f64 v[26:27], v[26:27], -v[39:40]
	v_fma_f64 v[33:34], v[35:36], v[33:34], s[66:67]
	v_add_f64 v[51:52], v[45:46], -v[49:50]
	v_add_f64 v[39:40], v[43:44], -v[49:50]
	v_fma_f64 v[33:34], v[35:36], v[33:34], s[68:69]
	v_add_f64 v[43:44], v[41:42], v[26:27]
	v_add_f64 v[37:38], v[37:38], -v[51:52]
	v_fma_f64 v[33:34], v[35:36], v[33:34], s[70:71]
	v_add_f64 v[37:38], v[39:40], v[37:38]
	;; [unrolled: 3-line block ×3, first 2 shown]
	v_add_f64 v[43:44], v[43:44], -v[39:40]
	v_fma_f64 v[33:34], v[35:36], v[33:34], s[74:75]
	v_add_f64 v[26:27], v[26:27], -v[39:40]
	v_add_f64 v[47:48], v[45:46], v[37:38]
	v_mul_f64 v[33:34], v[35:36], v[33:34]
	v_add_f64 v[35:36], v[41:42], -v[43:44]
	v_add_f64 v[39:40], v[47:48], -v[45:46]
	v_fma_f64 v[31:32], v[31:32], v[33:34], v[31:32]
	v_add_f64 v[26:27], v[26:27], v[35:36]
	v_add_f64 v[33:34], v[37:38], -v[39:40]
	v_add_f64 v[35:36], -v[31:32], s[76:77]
	v_add_f64 v[26:27], v[26:27], v[33:34]
	v_cndmask_b32_e64 v32, v32, v36, s[0:1]
	v_cndmask_b32_e64 v31, v31, v35, s[0:1]
	v_add_f64 v[33:34], -v[31:32], s[90:91]
	v_and_b32_e32 v35, 0x54442d18, v6
	v_add_f64 v[26:27], v[47:48], v[26:27]
	v_cndmask_b32_e32 v31, v31, v33, vcc
	v_and_b32_e32 v33, 0x400921fb, v6
	v_cndmask_b32_e64 v31, v31, v35, s[2:3]
	v_mul_f64 v[6:7], v[26:27], 0.5
	v_cndmask_b32_e32 v27, v32, v34, vcc
	v_cndmask_b32_e64 v27, v27, v33, s[2:3]
	s_and_b64 s[2:3], s[4:5], s[6:7]
	v_bfi_b32 v26, s38, v28, v9
	s_and_b64 vcc, s[16:17], s[12:13]
	v_cndmask_b32_e32 v27, v27, v26, vcc
	v_cndmask_b32_e32 v26, v31, v19, vcc
	v_cndmask_b32_e64 v28, 0, v6, s[2:3]
	v_cmp_ngt_f64_e64 s[2:3], -1.0, v[29:30]
	v_cndmask_b32_e64 v7, v59, v7, s[6:7]
                                        ; implicit-def: $vgpr32_vgpr33
                                        ; implicit-def: $vgpr34_vgpr35
	v_cndmask_b32_e64 v6, v60, v7, s[2:3]
	v_cmp_neq_f64_e64 s[2:3], -1.0, v[29:30]
	v_cndmask_b32_e64 v29, v61, v6, s[2:3]
.LBB185_168:                            ;   in Loop: Header=BB185_162 Depth=1
	s_andn2_saveexec_b64 s[14:15], s[14:15]
	s_cbranch_execz .LBB185_176
; %bb.169:                              ;   in Loop: Header=BB185_162 Depth=1
	v_mul_f64 v[26:27], v[32:33], v[32:33]
	s_mov_b32 s2, 0x66666666
	s_mov_b32 s3, 0x3fe66666
                                        ; implicit-def: $vgpr28_vgpr29
	v_fma_f64 v[30:31], v[34:35], v[34:35], v[26:27]
                                        ; implicit-def: $vgpr26_vgpr27
	v_cmp_ge_f64_e32 vcc, s[2:3], v[30:31]
	s_and_saveexec_b64 s[2:3], vcc
	s_xor_b64 s[6:7], exec, s[2:3]
	s_cbranch_execz .LBB185_171
; %bb.170:                              ;   in Loop: Header=BB185_162 Depth=1
	v_frexp_mant_f64_e32 v[26:27], v[30:31]
	v_max_f64 v[36:37], |v[8:9]|, |v[8:9]|
	v_max_f64 v[38:39], |v[6:7]|, |v[6:7]|
	s_mov_b32 s31, s19
	s_mov_b32 s90, s76
	v_cmp_class_f64_e64 s[12:13], v[8:9], s40
	v_cmp_class_f64_e64 s[16:17], v[6:7], s40
	v_ashrrev_i32_e32 v6, 31, v7
	v_cmp_gt_f64_e64 s[2:3], s[18:19], v[26:27]
	v_cndmask_b32_e64 v19, 0, 1, s[2:3]
	v_ldexp_f64 v[26:27], v[26:27], v19
	v_frexp_exp_i32_f64_e32 v19, v[30:31]
	v_add_f64 v[28:29], v[26:27], 1.0
	v_add_f64 v[42:43], v[26:27], -1.0
	v_rcp_f64_e32 v[32:33], v[28:29]
	v_add_f64 v[46:47], v[28:29], -1.0
	v_add_f64 v[26:27], v[26:27], -v[46:47]
	v_fma_f64 v[34:35], -v[28:29], v[32:33], 1.0
	v_fma_f64 v[32:33], v[34:35], v[32:33], v[32:33]
	v_max_f64 v[34:35], v[38:39], v[36:37]
	v_min_f64 v[36:37], v[38:39], v[36:37]
	v_fma_f64 v[38:39], -v[28:29], v[32:33], 1.0
	v_div_scale_f64 v[40:41], s[4:5], v[34:35], v[34:35], v[36:37]
	s_mov_b32 s4, 0x69efb384
	s_mov_b32 s5, 0x3f4b2bb0
	v_fma_f64 v[32:33], v[38:39], v[32:33], v[32:33]
	v_mul_f64 v[38:39], v[42:43], v[32:33]
	v_rcp_f64_e32 v[44:45], v[40:41]
	v_mul_f64 v[48:49], v[28:29], v[38:39]
	v_fma_f64 v[28:29], v[38:39], v[28:29], -v[48:49]
	v_fma_f64 v[46:47], -v[40:41], v[44:45], 1.0
	v_fma_f64 v[26:27], v[38:39], v[26:27], v[28:29]
	v_fma_f64 v[28:29], v[44:45], v[46:47], v[44:45]
	v_div_scale_f64 v[46:47], vcc, v[36:37], v[34:35], v[36:37]
	v_add_f64 v[44:45], v[48:49], v[26:27]
	v_fma_f64 v[50:51], -v[40:41], v[28:29], 1.0
	v_add_f64 v[52:53], v[42:43], -v[44:45]
	v_add_f64 v[48:49], v[44:45], -v[48:49]
	v_fma_f64 v[28:29], v[28:29], v[50:51], v[28:29]
	v_add_f64 v[42:43], v[42:43], -v[52:53]
	v_add_f64 v[26:27], v[48:49], -v[26:27]
	v_mul_f64 v[50:51], v[46:47], v[28:29]
	v_add_f64 v[42:43], v[42:43], -v[44:45]
	v_fma_f64 v[40:41], -v[40:41], v[50:51], v[46:47]
	v_add_f64 v[26:27], v[26:27], v[42:43]
	v_div_fmas_f64 v[28:29], v[40:41], v[28:29], v[50:51]
	v_subbrev_co_u32_e64 v19, vcc, 0, v19, s[2:3]
	v_cmp_eq_f64_e64 s[2:3], 0, v[8:9]
	v_cmp_gt_i32_e32 vcc, 0, v7
	v_add_f64 v[26:27], v[52:53], v[26:27]
	v_mul_f64 v[26:27], v[32:33], v[26:27]
	v_div_fixup_f64 v[28:29], v[28:29], v[34:35], v[36:37]
	v_add_f64 v[32:33], v[38:39], v[26:27]
	v_mul_f64 v[34:35], v[28:29], v[28:29]
	v_mul_f64 v[36:37], v[32:33], v[32:33]
	v_fma_f64 v[40:41], v[34:35], s[80:81], v[22:23]
	v_fma_f64 v[42:43], v[36:37], s[20:21], v[20:21]
	v_mul_f64 v[44:45], v[32:33], v[36:37]
	v_fma_f64 v[40:41], v[34:35], v[40:41], s[4:5]
	v_cmp_neq_f64_e64 s[4:5], 0, v[30:31]
	v_fma_f64 v[42:43], v[36:37], v[42:43], s[22:23]
	v_fma_f64 v[40:41], v[34:35], v[40:41], s[42:43]
	;; [unrolled: 1-line block ×9, first 2 shown]
	v_ldexp_f64 v[42:43], v[32:33], 1
	v_fma_f64 v[40:41], v[34:35], v[40:41], s[50:51]
	v_add_f64 v[32:33], v[32:33], -v[38:39]
	v_mul_f64 v[36:37], v[44:45], v[36:37]
	v_cvt_f64_i32_e32 v[44:45], v19
	v_fma_f64 v[40:41], v[34:35], v[40:41], s[52:53]
	v_add_f64 v[26:27], v[26:27], -v[32:33]
	v_cndmask_b32_e32 v19, v62, v63, vcc
	v_mul_f64 v[46:47], v[44:45], s[34:35]
	v_add_f64 v[38:39], v[42:43], v[36:37]
	v_fma_f64 v[40:41], v[34:35], v[40:41], s[54:55]
	v_ldexp_f64 v[26:27], v[26:27], 1
	v_add_f64 v[32:33], v[38:39], -v[42:43]
	v_fma_f64 v[42:43], v[44:45], s[34:35], -v[46:47]
	v_fma_f64 v[40:41], v[34:35], v[40:41], s[56:57]
	v_add_f64 v[32:33], v[36:37], -v[32:33]
	v_fma_f64 v[36:37], v[34:35], v[40:41], s[58:59]
	v_fma_f64 v[40:41], v[44:45], s[36:37], v[42:43]
	v_add_f64 v[26:27], v[26:27], v[32:33]
	v_fma_f64 v[32:33], v[34:35], v[36:37], s[60:61]
	v_add_f64 v[36:37], v[46:47], v[40:41]
	v_add_f64 v[42:43], v[38:39], v[26:27]
	v_fma_f64 v[32:33], v[34:35], v[32:33], s[62:63]
	v_add_f64 v[46:47], v[36:37], -v[46:47]
	v_add_f64 v[44:45], v[36:37], v[42:43]
	v_add_f64 v[38:39], v[42:43], -v[38:39]
	v_fma_f64 v[32:33], v[34:35], v[32:33], s[64:65]
	v_add_f64 v[40:41], v[40:41], -v[46:47]
	v_add_f64 v[48:49], v[44:45], -v[36:37]
	;; [unrolled: 1-line block ×3, first 2 shown]
	v_fma_f64 v[32:33], v[34:35], v[32:33], s[66:67]
	v_add_f64 v[50:51], v[44:45], -v[48:49]
	v_add_f64 v[38:39], v[42:43], -v[48:49]
	v_fma_f64 v[32:33], v[34:35], v[32:33], s[68:69]
	v_add_f64 v[42:43], v[40:41], v[26:27]
	v_add_f64 v[36:37], v[36:37], -v[50:51]
	v_fma_f64 v[32:33], v[34:35], v[32:33], s[70:71]
	v_add_f64 v[36:37], v[38:39], v[36:37]
	;; [unrolled: 3-line block ×3, first 2 shown]
	v_add_f64 v[42:43], v[42:43], -v[38:39]
	v_fma_f64 v[32:33], v[34:35], v[32:33], s[74:75]
	v_add_f64 v[26:27], v[26:27], -v[38:39]
	v_add_f64 v[46:47], v[44:45], v[36:37]
	v_mul_f64 v[32:33], v[34:35], v[32:33]
	v_add_f64 v[34:35], v[40:41], -v[42:43]
	v_add_f64 v[38:39], v[46:47], -v[44:45]
	v_fma_f64 v[28:29], v[28:29], v[32:33], v[28:29]
	v_add_f64 v[26:27], v[26:27], v[34:35]
	v_add_f64 v[32:33], v[36:37], -v[38:39]
	v_add_f64 v[34:35], -v[28:29], s[76:77]
	v_add_f64 v[26:27], v[26:27], v[32:33]
	v_cndmask_b32_e64 v29, v29, v35, s[0:1]
	v_cndmask_b32_e64 v28, v28, v34, s[0:1]
	v_add_f64 v[32:33], -v[28:29], s[90:91]
	v_and_b32_e32 v34, 0x54442d18, v6
	v_and_b32_e32 v35, 0x400921fb, v6
	v_add_f64 v[26:27], v[46:47], v[26:27]
	v_cndmask_b32_e32 v28, v28, v32, vcc
	v_cndmask_b32_e32 v32, v64, v65, vcc
	v_cndmask_b32_e64 v30, v28, v34, s[2:3]
	v_mul_f64 v[6:7], v[26:27], 0.5
	v_cndmask_b32_e32 v27, v29, v33, vcc
	v_bfi_b32 v26, s38, v32, v9
	v_cndmask_b32_e64 v27, v27, v35, s[2:3]
	s_and_b64 vcc, s[16:17], s[12:13]
	v_cndmask_b32_e32 v27, v27, v26, vcc
	v_cndmask_b32_e32 v26, v30, v19, vcc
                                        ; implicit-def: $vgpr34_vgpr35
                                        ; implicit-def: $vgpr32_vgpr33
	v_cndmask_b32_e64 v29, v61, v7, s[4:5]
	v_cndmask_b32_e64 v28, 0, v6, s[4:5]
.LBB185_171:                            ;   in Loop: Header=BB185_162 Depth=1
	s_andn2_saveexec_b64 s[16:17], s[6:7]
	s_cbranch_execz .LBB185_175
; %bb.172:                              ;   in Loop: Header=BB185_162 Depth=1
	v_and_b32_e32 v19, 0x7ffffff8, v35
	v_and_b32_e32 v29, 0x7ffffff8, v33
	v_mov_b32_e32 v28, v18
	v_add_f64 v[26:27], v[34:35], -v[18:19]
	v_add_f64 v[30:31], v[32:33], -v[28:29]
	v_mov_b32_e32 v34, v18
	v_mov_b32_e32 v42, v18
	v_add_f64 v[38:39], v[18:19], v[18:19]
	v_add_f64 v[40:41], v[28:29], v[28:29]
	v_mul_f64 v[28:29], v[28:29], v[28:29]
	s_mov_b64 s[80:81], 0
	v_and_b32_e32 v35, -8, v27
	v_and_b32_e32 v43, -8, v31
	v_add_f64 v[48:49], v[26:27], -v[34:35]
	v_add_f64 v[50:51], v[30:31], -v[42:43]
	v_add_f64 v[52:53], v[34:35], v[34:35]
	v_add_f64 v[54:55], v[42:43], v[42:43]
	v_mul_f64 v[26:27], v[18:19], v[18:19]
	v_mul_f64 v[32:33], v[38:39], v[34:35]
	;; [unrolled: 1-line block ×11, first 2 shown]
.LBB185_173:                            ;   Parent Loop BB185_162 Depth=1
                                        ; =>  This Inner Loop Header: Depth=2
	v_cmp_nlt_f64_e32 vcc, v[26:27], v[28:29]
	v_cndmask_b32_e32 v51, v27, v29, vcc
	v_cndmask_b32_e32 v50, v26, v28, vcc
	v_cmp_nlt_f64_e64 s[2:3], v[50:51], v[32:33]
	v_cndmask_b32_e32 v27, v29, v27, vcc
	v_cndmask_b32_e32 v26, v28, v26, vcc
	v_cndmask_b32_e64 v53, v51, v33, s[2:3]
	v_cndmask_b32_e64 v52, v50, v32, s[2:3]
	v_cmp_nlt_f64_e64 s[4:5], v[52:53], v[30:31]
	v_cndmask_b32_e64 v29, v33, v51, s[2:3]
	v_cndmask_b32_e64 v28, v32, v50, s[2:3]
	s_and_b64 s[12:13], vcc, s[2:3]
	v_cndmask_b32_e64 v55, v53, v31, s[4:5]
	v_cndmask_b32_e64 v54, v52, v30, s[4:5]
	v_cmp_nlt_f64_e64 s[6:7], v[54:55], v[36:37]
	v_cndmask_b32_e64 v33, v31, v53, s[4:5]
	v_cndmask_b32_e64 v32, v30, v52, s[4:5]
	;; [unrolled: 1-line block ×4, first 2 shown]
	v_cmp_nlt_f64_e32 vcc, v[50:51], v[42:43]
	v_cndmask_b32_e64 v31, v37, v55, s[6:7]
	v_cndmask_b32_e64 v30, v36, v54, s[6:7]
	s_and_b64 s[6:7], s[4:5], s[6:7]
	v_cndmask_b32_e32 v53, v51, v43, vcc
	v_cndmask_b32_e32 v52, v50, v42, vcc
	v_cmp_nlt_f64_e64 s[2:3], v[52:53], v[46:47]
	v_cndmask_b32_e32 v37, v43, v51, vcc
	v_cndmask_b32_e32 v36, v42, v50, vcc
	v_cndmask_b32_e64 v51, v53, v47, s[2:3]
	v_cndmask_b32_e64 v50, v52, v46, s[2:3]
	v_cmp_nlt_f64_e64 s[4:5], v[50:51], v[44:45]
	v_cndmask_b32_e64 v43, v47, v53, s[2:3]
	v_cndmask_b32_e64 v42, v46, v52, s[2:3]
	s_and_b64 s[2:3], vcc, s[2:3]
	v_cndmask_b32_e64 v53, v51, v45, s[4:5]
	v_cndmask_b32_e64 v52, v50, v44, s[4:5]
	v_cmp_nlt_f64_e32 vcc, v[52:53], v[40:41]
	v_cndmask_b32_e64 v47, v45, v51, s[4:5]
	v_cndmask_b32_e64 v46, v44, v50, s[4:5]
	s_and_b64 s[4:5], s[2:3], s[4:5]
	v_cndmask_b32_e32 v51, v53, v41, vcc
	v_cndmask_b32_e32 v50, v52, v40, vcc
	v_cmp_nlt_f64_e64 s[2:3], v[50:51], v[38:39]
	v_cndmask_b32_e32 v45, v41, v53, vcc
	v_cndmask_b32_e32 v44, v40, v52, vcc
	s_and_b64 s[4:5], s[4:5], vcc
	v_cndmask_b32_e64 v53, v51, v39, s[2:3]
	v_cndmask_b32_e64 v52, v50, v38, s[2:3]
	v_cmp_nlt_f64_e32 vcc, v[52:53], v[34:35]
	v_cndmask_b32_e64 v41, v39, v51, s[2:3]
	v_cndmask_b32_e64 v40, v38, v50, s[2:3]
	s_and_b64 s[4:5], s[4:5], s[2:3]
	v_cndmask_b32_e32 v55, v53, v35, vcc
	v_cndmask_b32_e32 v54, v52, v34, vcc
	v_cmp_nlt_f64_e64 s[2:3], v[54:55], v[48:49]
	s_and_b64 s[4:5], s[4:5], vcc
	v_cndmask_b32_e32 v39, v35, v53, vcc
	v_cndmask_b32_e32 v38, v34, v52, vcc
	v_cndmask_b32_e64 v51, v55, v49, s[2:3]
	v_cndmask_b32_e64 v50, v54, v48, s[2:3]
	;; [unrolled: 1-line block ×4, first 2 shown]
	s_and_b64 s[2:3], s[4:5], s[2:3]
	s_and_b64 s[2:3], s[2:3], s[6:7]
	;; [unrolled: 1-line block ×3, first 2 shown]
	s_and_b64 s[2:3], exec, s[2:3]
	v_mov_b32_e32 v48, v50
	s_or_b64 s[80:81], s[2:3], s[80:81]
	v_mov_b32_e32 v49, v51
	s_andn2_b64 exec, exec, s[80:81]
	s_cbranch_execnz .LBB185_173
; %bb.174:                              ;   in Loop: Header=BB185_162 Depth=1
	s_or_b64 exec, exec, s[80:81]
	v_add_f64 v[26:27], v[26:27], -1.0
	s_mov_b32 s31, s19
	s_mov_b32 s90, s76
	;; [unrolled: 1-line block ×4, first 2 shown]
	v_cmp_class_f64_e64 s[80:81], v[6:7], s40
	v_cmp_class_f64_e64 s[12:13], v[8:9], s40
	v_add_f64 v[26:27], v[26:27], v[28:29]
	v_add_f64 v[26:27], v[26:27], v[32:33]
	;; [unrolled: 1-line block ×11, first 2 shown]
	v_add_f64 v[26:27], v[29:30], 1.0
	v_cmp_nge_f64_e64 s[4:5], -1.0, v[29:30]
	v_cmp_neq_f64_e64 s[6:7], s[6:7], v[29:30]
	v_frexp_mant_f64_e32 v[33:34], v[26:27]
	v_frexp_exp_i32_f64_e32 v19, v[26:27]
	v_add_f64 v[31:32], v[26:27], -1.0
	v_cmp_gt_f64_e32 vcc, s[18:19], v[33:34]
	v_add_f64 v[35:36], v[31:32], -v[26:27]
	v_add_f64 v[31:32], v[29:30], -v[31:32]
	v_subbrev_co_u32_e32 v19, vcc, 0, v19, vcc
	v_sub_u32_e32 v28, 0, v19
	v_ldexp_f64 v[26:27], v[26:27], v28
	v_add_f64 v[33:34], v[35:36], 1.0
	v_add_f64 v[35:36], v[26:27], 1.0
	v_add_f64 v[31:32], v[31:32], v[33:34]
	v_add_f64 v[41:42], v[26:27], -1.0
	v_add_f64 v[33:34], v[35:36], -1.0
	v_ldexp_f64 v[31:32], v[31:32], v28
	v_add_f64 v[43:44], v[41:42], 1.0
	v_add_f64 v[33:34], v[26:27], -v[33:34]
	v_add_f64 v[26:27], v[26:27], -v[43:44]
	v_add_f64 v[37:38], v[31:32], v[33:34]
	v_add_f64 v[43:44], v[31:32], v[26:27]
	;; [unrolled: 1-line block ×3, first 2 shown]
	v_rcp_f64_e32 v[39:40], v[33:34]
	v_add_f64 v[35:36], v[33:34], -v[35:36]
	v_add_f64 v[37:38], v[37:38], -v[35:36]
	v_fma_f64 v[45:46], -v[33:34], v[39:40], 1.0
	v_fma_f64 v[39:40], v[45:46], v[39:40], v[39:40]
	v_add_f64 v[45:46], v[41:42], v[43:44]
	v_fma_f64 v[26:27], -v[33:34], v[39:40], 1.0
	v_add_f64 v[41:42], v[45:46], -v[41:42]
	v_fma_f64 v[26:27], v[26:27], v[39:40], v[39:40]
	v_add_f64 v[41:42], v[43:44], -v[41:42]
	v_mul_f64 v[31:32], v[45:46], v[26:27]
	v_mul_f64 v[39:40], v[33:34], v[31:32]
	v_fma_f64 v[35:36], v[31:32], v[33:34], -v[39:40]
	v_fma_f64 v[47:48], v[31:32], v[37:38], v[35:36]
	v_add_f64 v[49:50], v[39:40], v[47:48]
	v_add_f64 v[35:36], v[45:46], -v[49:50]
	v_add_f64 v[39:40], v[49:50], -v[39:40]
	;; [unrolled: 1-line block ×5, first 2 shown]
	v_add_f64 v[41:42], v[41:42], v[43:44]
	v_max_f64 v[43:44], |v[6:7]|, |v[6:7]|
	v_ashrrev_i32_e32 v6, 31, v7
	v_add_f64 v[39:40], v[39:40], v[41:42]
	v_max_f64 v[41:42], |v[8:9]|, |v[8:9]|
	v_add_f64 v[45:46], v[35:36], v[39:40]
	v_max_f64 v[47:48], v[43:44], v[41:42]
	v_min_f64 v[41:42], v[43:44], v[41:42]
	v_mul_f64 v[43:44], v[26:27], v[45:46]
	v_add_f64 v[35:36], v[35:36], -v[45:46]
	v_div_scale_f64 v[49:50], s[2:3], v[47:48], v[47:48], v[41:42]
	s_mov_b32 s2, 0xb5e68a13
	s_mov_b32 s3, 0x3eeba404
	v_mul_f64 v[51:52], v[33:34], v[43:44]
	v_add_f64 v[35:36], v[39:40], v[35:36]
	v_fma_f64 v[33:34], v[43:44], v[33:34], -v[51:52]
	v_rcp_f64_e32 v[53:54], v[49:50]
	v_fma_f64 v[33:34], v[43:44], v[37:38], v[33:34]
	v_add_f64 v[37:38], v[51:52], v[33:34]
	v_fma_f64 v[55:56], -v[49:50], v[53:54], 1.0
	v_add_f64 v[66:67], v[45:46], -v[37:38]
	v_add_f64 v[39:40], v[37:38], -v[51:52]
	v_fma_f64 v[53:54], v[53:54], v[55:56], v[53:54]
	v_div_scale_f64 v[55:56], vcc, v[41:42], v[47:48], v[41:42]
	v_add_f64 v[45:46], v[45:46], -v[66:67]
	v_add_f64 v[33:34], v[39:40], -v[33:34]
	v_fma_f64 v[68:69], -v[49:50], v[53:54], 1.0
	v_add_f64 v[39:40], v[31:32], v[43:44]
	v_add_f64 v[37:38], v[45:46], -v[37:38]
	v_fma_f64 v[45:46], v[53:54], v[68:69], v[53:54]
	v_add_f64 v[31:32], v[39:40], -v[31:32]
	v_add_f64 v[35:36], v[35:36], v[37:38]
	v_mul_f64 v[37:38], v[55:56], v[45:46]
	v_add_f64 v[31:32], v[43:44], -v[31:32]
	v_add_f64 v[33:34], v[33:34], v[35:36]
	v_fma_f64 v[35:36], -v[49:50], v[37:38], v[55:56]
	v_add_f64 v[33:34], v[66:67], v[33:34]
	v_div_fmas_f64 v[35:36], v[35:36], v[45:46], v[37:38]
	v_cmp_gt_i32_e32 vcc, 0, v7
	v_cndmask_b32_e32 v28, v64, v65, vcc
	v_mul_f64 v[26:27], v[26:27], v[33:34]
	v_add_f64 v[26:27], v[31:32], v[26:27]
	v_div_fixup_f64 v[31:32], v[35:36], v[47:48], v[41:42]
	v_add_f64 v[33:34], v[39:40], v[26:27]
	v_mul_f64 v[35:36], v[31:32], v[31:32]
	v_mul_f64 v[37:38], v[33:34], v[33:34]
	v_fma_f64 v[41:42], v[35:36], s[2:3], v[22:23]
	s_mov_b32 s2, 0x69efb384
	s_mov_b32 s3, 0x3f4b2bb0
	v_fma_f64 v[43:44], v[37:38], s[20:21], v[20:21]
	v_mul_f64 v[45:46], v[33:34], v[37:38]
	v_fma_f64 v[41:42], v[35:36], v[41:42], s[2:3]
	v_cmp_eq_f64_e64 s[2:3], 0, v[8:9]
	v_fma_f64 v[43:44], v[37:38], v[43:44], s[22:23]
	v_fma_f64 v[41:42], v[35:36], v[41:42], s[42:43]
	;; [unrolled: 1-line block ×9, first 2 shown]
	v_ldexp_f64 v[43:44], v[33:34], 1
	v_fma_f64 v[41:42], v[35:36], v[41:42], s[50:51]
	v_add_f64 v[33:34], v[33:34], -v[39:40]
	v_mul_f64 v[37:38], v[45:46], v[37:38]
	v_cvt_f64_i32_e32 v[45:46], v19
	v_fma_f64 v[41:42], v[35:36], v[41:42], s[52:53]
	v_add_f64 v[26:27], v[26:27], -v[33:34]
	v_cndmask_b32_e32 v19, v62, v63, vcc
	v_mul_f64 v[47:48], v[45:46], s[34:35]
	v_add_f64 v[39:40], v[43:44], v[37:38]
	v_fma_f64 v[41:42], v[35:36], v[41:42], s[54:55]
	v_ldexp_f64 v[26:27], v[26:27], 1
	v_add_f64 v[33:34], v[39:40], -v[43:44]
	v_fma_f64 v[43:44], v[45:46], s[34:35], -v[47:48]
	v_fma_f64 v[41:42], v[35:36], v[41:42], s[56:57]
	v_add_f64 v[33:34], v[37:38], -v[33:34]
	v_fma_f64 v[37:38], v[35:36], v[41:42], s[58:59]
	v_fma_f64 v[41:42], v[45:46], s[36:37], v[43:44]
	v_add_f64 v[26:27], v[26:27], v[33:34]
	v_fma_f64 v[33:34], v[35:36], v[37:38], s[60:61]
	v_add_f64 v[37:38], v[47:48], v[41:42]
	v_add_f64 v[43:44], v[39:40], v[26:27]
	v_fma_f64 v[33:34], v[35:36], v[33:34], s[62:63]
	v_add_f64 v[47:48], v[37:38], -v[47:48]
	v_add_f64 v[45:46], v[37:38], v[43:44]
	v_add_f64 v[39:40], v[43:44], -v[39:40]
	v_fma_f64 v[33:34], v[35:36], v[33:34], s[64:65]
	v_add_f64 v[41:42], v[41:42], -v[47:48]
	v_add_f64 v[49:50], v[45:46], -v[37:38]
	;; [unrolled: 1-line block ×3, first 2 shown]
	v_fma_f64 v[33:34], v[35:36], v[33:34], s[66:67]
	v_add_f64 v[51:52], v[45:46], -v[49:50]
	v_add_f64 v[39:40], v[43:44], -v[49:50]
	v_fma_f64 v[33:34], v[35:36], v[33:34], s[68:69]
	v_add_f64 v[43:44], v[41:42], v[26:27]
	v_add_f64 v[37:38], v[37:38], -v[51:52]
	v_fma_f64 v[33:34], v[35:36], v[33:34], s[70:71]
	v_add_f64 v[37:38], v[39:40], v[37:38]
	;; [unrolled: 3-line block ×3, first 2 shown]
	v_add_f64 v[43:44], v[43:44], -v[39:40]
	v_fma_f64 v[33:34], v[35:36], v[33:34], s[74:75]
	v_add_f64 v[26:27], v[26:27], -v[39:40]
	v_add_f64 v[47:48], v[45:46], v[37:38]
	v_mul_f64 v[33:34], v[35:36], v[33:34]
	v_add_f64 v[35:36], v[41:42], -v[43:44]
	v_add_f64 v[39:40], v[47:48], -v[45:46]
	v_fma_f64 v[31:32], v[31:32], v[33:34], v[31:32]
	v_add_f64 v[26:27], v[26:27], v[35:36]
	v_add_f64 v[33:34], v[37:38], -v[39:40]
	v_add_f64 v[35:36], -v[31:32], s[76:77]
	v_add_f64 v[26:27], v[26:27], v[33:34]
	v_cndmask_b32_e64 v32, v32, v36, s[0:1]
	v_cndmask_b32_e64 v31, v31, v35, s[0:1]
	v_add_f64 v[33:34], -v[31:32], s[90:91]
	v_and_b32_e32 v35, 0x54442d18, v6
	v_add_f64 v[26:27], v[47:48], v[26:27]
	v_cndmask_b32_e32 v31, v31, v33, vcc
	v_and_b32_e32 v33, 0x400921fb, v6
	v_cndmask_b32_e64 v31, v31, v35, s[2:3]
	v_mul_f64 v[6:7], v[26:27], 0.5
	v_cndmask_b32_e32 v27, v32, v34, vcc
	v_cndmask_b32_e64 v27, v27, v33, s[2:3]
	s_and_b64 s[2:3], s[4:5], s[6:7]
	v_bfi_b32 v26, s38, v28, v9
	s_and_b64 vcc, s[80:81], s[12:13]
	s_mov_b32 s80, 0xb5e68a13
	s_mov_b32 s81, 0x3eeba404
	v_cndmask_b32_e64 v28, 0, v6, s[2:3]
	v_cmp_ngt_f64_e64 s[2:3], -1.0, v[29:30]
	v_cndmask_b32_e64 v7, v59, v7, s[6:7]
	v_cndmask_b32_e32 v27, v27, v26, vcc
	v_cndmask_b32_e32 v26, v31, v19, vcc
	v_cndmask_b32_e64 v6, v60, v7, s[2:3]
	v_cmp_neq_f64_e64 s[2:3], -1.0, v[29:30]
	v_cndmask_b32_e64 v29, v61, v6, s[2:3]
.LBB185_175:                            ;   in Loop: Header=BB185_162 Depth=1
	s_or_b64 exec, exec, s[16:17]
.LBB185_176:                            ;   in Loop: Header=BB185_162 Depth=1
	s_or_b64 exec, exec, s[14:15]
.LBB185_177:                            ;   in Loop: Header=BB185_162 Depth=1
	s_andn2_saveexec_b64 s[6:7], s[86:87]
	s_cbranch_execz .LBB185_179
; %bb.178:                              ;   in Loop: Header=BB185_162 Depth=1
	v_max_f64 v[26:27], |v[8:9]|, |v[8:9]|
	v_max_f64 v[31:32], |v[6:7]|, |v[6:7]|
	v_cmp_class_f64_e64 s[14:15], v[6:7], s40
	v_cmp_class_f64_e64 s[16:17], v[8:9], s40
	s_mov_b32 s31, s19
	s_mov_b32 s90, s76
	v_max_f64 v[33:34], v[31:32], v[26:27]
	v_min_f64 v[26:27], v[31:32], v[26:27]
	v_frexp_exp_i32_f64_e32 v19, v[33:34]
	v_sub_u32_e32 v30, 0, v19
	v_ldexp_f64 v[28:29], |v[8:9]|, v30
	v_ldexp_f64 v[35:36], |v[6:7]|, v30
	v_mul_f64 v[28:29], v[28:29], v[28:29]
	v_fma_f64 v[28:29], v[35:36], v[35:36], v[28:29]
	v_rsq_f64_e32 v[35:36], v[28:29]
	v_cmp_eq_f64_e32 vcc, 0, v[28:29]
	v_mul_f64 v[37:38], v[28:29], v[35:36]
	v_mul_f64 v[35:36], v[35:36], 0.5
	v_fma_f64 v[39:40], -v[35:36], v[37:38], 0.5
	v_fma_f64 v[37:38], v[37:38], v[39:40], v[37:38]
	v_fma_f64 v[35:36], v[35:36], v[39:40], v[35:36]
	v_fma_f64 v[39:40], -v[37:38], v[37:38], v[28:29]
	v_fma_f64 v[35:36], v[39:40], v[35:36], v[37:38]
	v_cndmask_b32_e32 v29, v36, v29, vcc
	v_cndmask_b32_e32 v28, v35, v28, vcc
	v_ldexp_f64 v[28:29], v[28:29], v19
	s_or_b64 vcc, s[14:15], s[16:17]
	v_cndmask_b32_e32 v30, v29, v59, vcc
	v_cndmask_b32_e64 v29, v28, 0, vcc
	v_frexp_mant_f64_e32 v[35:36], v[29:30]
	v_cmp_gt_f64_e64 s[2:3], s[18:19], v[35:36]
	v_cndmask_b32_e64 v6, 0, 1, s[2:3]
	v_ldexp_f64 v[35:36], v[35:36], v6
	v_frexp_exp_i32_f64_e32 v6, v[29:30]
	v_add_f64 v[37:38], v[35:36], 1.0
	v_add_f64 v[43:44], v[35:36], -1.0
	v_rcp_f64_e32 v[39:40], v[37:38]
	v_add_f64 v[47:48], v[37:38], -1.0
	v_add_f64 v[35:36], v[35:36], -v[47:48]
	v_fma_f64 v[41:42], -v[37:38], v[39:40], 1.0
	v_fma_f64 v[31:32], v[41:42], v[39:40], v[39:40]
	v_div_scale_f64 v[39:40], s[4:5], v[33:34], v[33:34], v[26:27]
	s_mov_b32 s4, 0x69efb384
	s_mov_b32 s5, 0x3f4b2bb0
	v_fma_f64 v[41:42], -v[37:38], v[31:32], 1.0
	v_fma_f64 v[31:32], v[41:42], v[31:32], v[31:32]
	v_rcp_f64_e32 v[41:42], v[39:40]
	v_mul_f64 v[45:46], v[43:44], v[31:32]
	v_mul_f64 v[49:50], v[37:38], v[45:46]
	v_fma_f64 v[51:52], -v[39:40], v[41:42], 1.0
	v_fma_f64 v[37:38], v[45:46], v[37:38], -v[49:50]
	v_fma_f64 v[41:42], v[41:42], v[51:52], v[41:42]
	v_fma_f64 v[35:36], v[45:46], v[35:36], v[37:38]
	v_div_scale_f64 v[37:38], vcc, v[26:27], v[33:34], v[26:27]
	v_fma_f64 v[47:48], -v[39:40], v[41:42], 1.0
	v_add_f64 v[51:52], v[49:50], v[35:36]
	v_fma_f64 v[41:42], v[41:42], v[47:48], v[41:42]
	v_add_f64 v[47:48], v[43:44], -v[51:52]
	v_add_f64 v[49:50], v[51:52], -v[49:50]
	v_mul_f64 v[53:54], v[37:38], v[41:42]
	v_add_f64 v[43:44], v[43:44], -v[47:48]
	v_add_f64 v[35:36], v[49:50], -v[35:36]
	v_fma_f64 v[37:38], -v[39:40], v[53:54], v[37:38]
	v_add_f64 v[39:40], v[43:44], -v[51:52]
	v_div_fmas_f64 v[37:38], v[37:38], v[41:42], v[53:54]
	v_subbrev_co_u32_e64 v6, vcc, 0, v6, s[2:3]
	v_cmp_eq_f64_e64 s[2:3], 0, v[8:9]
	v_cmp_gt_i32_e32 vcc, 0, v7
	v_add_f64 v[35:36], v[35:36], v[39:40]
	v_cndmask_b32_e32 v19, v62, v63, vcc
	v_add_f64 v[35:36], v[47:48], v[35:36]
	v_div_fixup_f64 v[26:27], v[37:38], v[33:34], v[26:27]
	v_mul_f64 v[31:32], v[31:32], v[35:36]
	v_mul_f64 v[33:34], v[26:27], v[26:27]
	v_add_f64 v[35:36], v[45:46], v[31:32]
	v_fma_f64 v[37:38], v[33:34], s[80:81], v[22:23]
	v_mul_f64 v[39:40], v[35:36], v[35:36]
	v_fma_f64 v[37:38], v[33:34], v[37:38], s[4:5]
	v_cmp_class_f64_e64 s[4:5], v[29:30], s40
	v_fma_f64 v[41:42], v[39:40], s[20:21], v[20:21]
	v_mul_f64 v[43:44], v[35:36], v[39:40]
	v_fma_f64 v[37:38], v[33:34], v[37:38], s[42:43]
	v_fma_f64 v[41:42], v[39:40], v[41:42], s[22:23]
	;; [unrolled: 1-line block ×10, first 2 shown]
	v_ldexp_f64 v[41:42], v[35:36], 1
	v_add_f64 v[35:36], v[35:36], -v[45:46]
	v_fma_f64 v[37:38], v[33:34], v[37:38], s[52:53]
	v_cvt_f64_i32_e32 v[45:46], v6
	v_ashrrev_i32_e32 v6, 31, v7
	v_and_b32_e32 v28, 0x54442d18, v6
	v_mul_f64 v[39:40], v[43:44], v[39:40]
	v_mul_f64 v[47:48], v[45:46], s[34:35]
	v_add_f64 v[31:32], v[31:32], -v[35:36]
	v_fma_f64 v[37:38], v[33:34], v[37:38], s[54:55]
	v_add_f64 v[43:44], v[41:42], v[39:40]
	v_ldexp_f64 v[31:32], v[31:32], 1
	v_fma_f64 v[37:38], v[33:34], v[37:38], s[56:57]
	v_add_f64 v[35:36], v[43:44], -v[41:42]
	v_fma_f64 v[41:42], v[45:46], s[34:35], -v[47:48]
	v_fma_f64 v[37:38], v[33:34], v[37:38], s[58:59]
	v_add_f64 v[35:36], v[39:40], -v[35:36]
	v_fma_f64 v[39:40], v[45:46], s[36:37], v[41:42]
	v_fma_f64 v[37:38], v[33:34], v[37:38], s[60:61]
	v_add_f64 v[31:32], v[31:32], v[35:36]
	v_fma_f64 v[35:36], v[33:34], v[37:38], s[62:63]
	v_add_f64 v[37:38], v[47:48], v[39:40]
	v_add_f64 v[41:42], v[43:44], v[31:32]
	v_fma_f64 v[35:36], v[33:34], v[35:36], s[64:65]
	v_add_f64 v[47:48], v[37:38], -v[47:48]
	v_add_f64 v[45:46], v[37:38], v[41:42]
	v_add_f64 v[43:44], v[41:42], -v[43:44]
	v_fma_f64 v[35:36], v[33:34], v[35:36], s[66:67]
	v_add_f64 v[39:40], v[39:40], -v[47:48]
	v_add_f64 v[49:50], v[45:46], -v[37:38]
	v_add_f64 v[31:32], v[31:32], -v[43:44]
	v_fma_f64 v[35:36], v[33:34], v[35:36], s[68:69]
	v_add_f64 v[51:52], v[45:46], -v[49:50]
	v_add_f64 v[41:42], v[41:42], -v[49:50]
	v_add_f64 v[43:44], v[39:40], v[31:32]
	v_fma_f64 v[35:36], v[33:34], v[35:36], s[70:71]
	v_add_f64 v[37:38], v[37:38], -v[51:52]
	v_fma_f64 v[35:36], v[33:34], v[35:36], s[72:73]
	v_add_f64 v[37:38], v[41:42], v[37:38]
	v_add_f64 v[41:42], v[43:44], -v[39:40]
	v_fma_f64 v[35:36], v[33:34], v[35:36], s[74:75]
	v_add_f64 v[37:38], v[43:44], v[37:38]
	v_add_f64 v[31:32], v[31:32], -v[41:42]
	v_mul_f64 v[33:34], v[33:34], v[35:36]
	v_add_f64 v[35:36], v[43:44], -v[41:42]
	v_add_f64 v[43:44], v[45:46], v[37:38]
	v_fma_f64 v[26:27], v[26:27], v[33:34], v[26:27]
	v_add_f64 v[33:34], v[39:40], -v[35:36]
	v_add_f64 v[35:36], v[43:44], -v[45:46]
	v_add_f64 v[39:40], -v[26:27], s[76:77]
	v_add_f64 v[31:32], v[31:32], v[33:34]
	v_add_f64 v[33:34], v[37:38], -v[35:36]
	v_cndmask_b32_e64 v27, v27, v40, s[0:1]
	v_cndmask_b32_e64 v26, v26, v39, s[0:1]
	v_add_f64 v[35:36], -v[26:27], s[90:91]
	v_add_f64 v[31:32], v[31:32], v[33:34]
	v_and_b32_e32 v34, 0x400921fb, v6
	v_cndmask_b32_e32 v33, v64, v65, vcc
	v_cndmask_b32_e32 v26, v26, v35, vcc
	;; [unrolled: 1-line block ×3, first 2 shown]
	v_cndmask_b32_e64 v26, v26, v28, s[2:3]
	v_add_f64 v[6:7], v[43:44], v[31:32]
	v_cndmask_b32_e64 v27, v27, v34, s[2:3]
	v_cmp_ngt_f64_e64 s[2:3], 0, v[29:30]
	v_bfi_b32 v31, s38, v33, v9
	s_and_b64 vcc, s[14:15], s[16:17]
	v_cndmask_b32_e32 v27, v27, v31, vcc
	v_cndmask_b32_e32 v26, v26, v19, vcc
	v_cndmask_b32_e64 v7, v7, v30, s[4:5]
	v_cndmask_b32_e64 v6, v6, v29, s[4:5]
	;; [unrolled: 1-line block ×3, first 2 shown]
	v_cmp_nge_f64_e64 s[2:3], 0, v[29:30]
	v_cndmask_b32_e64 v28, 0, v6, s[2:3]
	v_cmp_neq_f64_e64 s[2:3], 0, v[29:30]
	v_cndmask_b32_e64 v29, v61, v7, s[2:3]
.LBB185_179:                            ;   in Loop: Header=BB185_162 Depth=1
	s_or_b64 exec, exec, s[6:7]
                                        ; implicit-def: $vgpr32_vgpr33
.LBB185_180:                            ;   in Loop: Header=BB185_162 Depth=1
	s_andn2_saveexec_b64 s[6:7], s[78:79]
	s_cbranch_execz .LBB185_186
; %bb.181:                              ;   in Loop: Header=BB185_162 Depth=1
	s_mov_b32 s2, 0x6a3f9475
	s_mov_b32 s3, 0x20ca2fe7
	v_cmp_ngt_f64_e32 vcc, s[2:3], v[32:33]
                                        ; implicit-def: $vgpr28_vgpr29
                                        ; implicit-def: $vgpr26_vgpr27
	s_and_saveexec_b64 s[2:3], vcc
	s_xor_b64 s[14:15], exec, s[2:3]
	s_cbranch_execz .LBB185_183
; %bb.182:                              ;   in Loop: Header=BB185_162 Depth=1
	v_mul_f64 v[26:27], v[32:33], v[32:33]
	s_mov_b32 s31, s19
	s_mov_b32 s90, s76
	;; [unrolled: 1-line block ×3, first 2 shown]
	v_cmp_class_f64_e64 s[12:13], v[8:9], s40
	v_cmp_class_f64_e64 s[16:17], v[6:7], s40
	s_mov_b32 s5, 0x7ff00000
	v_add_f64 v[28:29], v[26:27], 1.0
	v_cmp_neq_f64_e64 s[4:5], s[4:5], v[26:27]
	v_frexp_mant_f64_e32 v[32:33], v[28:29]
	v_frexp_exp_i32_f64_e32 v19, v[28:29]
	v_add_f64 v[30:31], v[28:29], -1.0
	v_cmp_gt_f64_e32 vcc, s[18:19], v[32:33]
	v_add_f64 v[34:35], v[30:31], -v[28:29]
	v_add_f64 v[30:31], v[26:27], -v[30:31]
	v_subbrev_co_u32_e32 v19, vcc, 0, v19, vcc
	v_sub_u32_e32 v36, 0, v19
	v_ldexp_f64 v[28:29], v[28:29], v36
	v_add_f64 v[32:33], v[34:35], 1.0
	v_add_f64 v[34:35], v[28:29], 1.0
	v_add_f64 v[30:31], v[30:31], v[32:33]
	v_add_f64 v[40:41], v[28:29], -1.0
	v_add_f64 v[32:33], v[34:35], -1.0
	v_ldexp_f64 v[30:31], v[30:31], v36
	v_add_f64 v[42:43], v[40:41], 1.0
	v_add_f64 v[32:33], v[28:29], -v[32:33]
	v_add_f64 v[28:29], v[28:29], -v[42:43]
	v_add_f64 v[36:37], v[30:31], v[32:33]
	v_add_f64 v[42:43], v[30:31], v[28:29]
	;; [unrolled: 1-line block ×3, first 2 shown]
	v_rcp_f64_e32 v[38:39], v[32:33]
	v_add_f64 v[34:35], v[34:35], -v[32:33]
	v_add_f64 v[36:37], v[36:37], v[34:35]
	v_fma_f64 v[44:45], -v[32:33], v[38:39], 1.0
	v_fma_f64 v[38:39], v[44:45], v[38:39], v[38:39]
	v_add_f64 v[44:45], v[40:41], v[42:43]
	v_fma_f64 v[28:29], -v[32:33], v[38:39], 1.0
	v_add_f64 v[40:41], v[40:41], -v[44:45]
	v_fma_f64 v[28:29], v[28:29], v[38:39], v[38:39]
	v_add_f64 v[40:41], v[42:43], v[40:41]
	v_mul_f64 v[30:31], v[44:45], v[28:29]
	v_mul_f64 v[38:39], v[32:33], v[30:31]
	v_fma_f64 v[34:35], v[30:31], v[32:33], -v[38:39]
	v_fma_f64 v[46:47], v[30:31], v[36:37], v[34:35]
	v_add_f64 v[48:49], v[38:39], v[46:47]
	v_add_f64 v[34:35], v[44:45], -v[48:49]
	v_add_f64 v[38:39], v[48:49], -v[38:39]
	;; [unrolled: 1-line block ×5, first 2 shown]
	v_add_f64 v[40:41], v[40:41], v[42:43]
	v_max_f64 v[42:43], |v[6:7]|, |v[6:7]|
	v_ashrrev_i32_e32 v6, 31, v7
	v_add_f64 v[38:39], v[38:39], v[40:41]
	v_max_f64 v[40:41], |v[8:9]|, |v[8:9]|
	v_add_f64 v[44:45], v[34:35], v[38:39]
	v_max_f64 v[46:47], v[42:43], v[40:41]
	v_min_f64 v[40:41], v[42:43], v[40:41]
	v_mul_f64 v[42:43], v[28:29], v[44:45]
	v_add_f64 v[34:35], v[34:35], -v[44:45]
	v_div_scale_f64 v[48:49], s[2:3], v[46:47], v[46:47], v[40:41]
	s_mov_b32 s2, 0x69efb384
	s_mov_b32 s3, 0x3f4b2bb0
	v_mul_f64 v[50:51], v[32:33], v[42:43]
	v_add_f64 v[34:35], v[38:39], v[34:35]
	v_fma_f64 v[32:33], v[42:43], v[32:33], -v[50:51]
	v_rcp_f64_e32 v[52:53], v[48:49]
	v_fma_f64 v[32:33], v[42:43], v[36:37], v[32:33]
	v_add_f64 v[36:37], v[50:51], v[32:33]
	v_fma_f64 v[54:55], -v[48:49], v[52:53], 1.0
	v_add_f64 v[56:57], v[44:45], -v[36:37]
	v_add_f64 v[38:39], v[36:37], -v[50:51]
	v_fma_f64 v[52:53], v[52:53], v[54:55], v[52:53]
	v_div_scale_f64 v[54:55], vcc, v[40:41], v[46:47], v[40:41]
	v_add_f64 v[44:45], v[44:45], -v[56:57]
	v_add_f64 v[32:33], v[38:39], -v[32:33]
	v_fma_f64 v[66:67], -v[48:49], v[52:53], 1.0
	v_add_f64 v[38:39], v[30:31], v[42:43]
	v_add_f64 v[36:37], v[44:45], -v[36:37]
	v_fma_f64 v[44:45], v[52:53], v[66:67], v[52:53]
	v_add_f64 v[30:31], v[38:39], -v[30:31]
	v_add_f64 v[34:35], v[34:35], v[36:37]
	v_mul_f64 v[36:37], v[54:55], v[44:45]
	v_add_f64 v[30:31], v[42:43], -v[30:31]
	v_add_f64 v[32:33], v[32:33], v[34:35]
	v_fma_f64 v[34:35], -v[48:49], v[36:37], v[54:55]
	v_add_f64 v[32:33], v[56:57], v[32:33]
	v_div_fmas_f64 v[34:35], v[34:35], v[44:45], v[36:37]
	v_cmp_gt_i32_e32 vcc, 0, v7
	v_mul_f64 v[28:29], v[28:29], v[32:33]
	v_add_f64 v[28:29], v[30:31], v[28:29]
	v_div_fixup_f64 v[30:31], v[34:35], v[46:47], v[40:41]
	v_add_f64 v[32:33], v[38:39], v[28:29]
	v_mul_f64 v[34:35], v[30:31], v[30:31]
	v_mul_f64 v[36:37], v[32:33], v[32:33]
	v_fma_f64 v[40:41], v[34:35], s[80:81], v[22:23]
	v_fma_f64 v[42:43], v[36:37], s[20:21], v[20:21]
	v_mul_f64 v[44:45], v[32:33], v[36:37]
	v_fma_f64 v[40:41], v[34:35], v[40:41], s[2:3]
	v_cmp_eq_f64_e64 s[2:3], 0, v[8:9]
	v_fma_f64 v[42:43], v[36:37], v[42:43], s[22:23]
	v_fma_f64 v[40:41], v[34:35], v[40:41], s[42:43]
	v_fma_f64 v[42:43], v[36:37], v[42:43], s[24:25]
	v_fma_f64 v[40:41], v[34:35], v[40:41], s[44:45]
	v_fma_f64 v[42:43], v[36:37], v[42:43], s[26:27]
	v_fma_f64 v[40:41], v[34:35], v[40:41], s[46:47]
	v_fma_f64 v[42:43], v[36:37], v[42:43], s[28:29]
	v_fma_f64 v[40:41], v[34:35], v[40:41], s[48:49]
	v_fma_f64 v[36:37], v[36:37], v[42:43], s[30:31]
	v_ldexp_f64 v[42:43], v[32:33], 1
	v_fma_f64 v[40:41], v[34:35], v[40:41], s[50:51]
	v_add_f64 v[32:33], v[32:33], -v[38:39]
	v_mul_f64 v[36:37], v[44:45], v[36:37]
	v_cvt_f64_i32_e32 v[44:45], v19
	v_fma_f64 v[40:41], v[34:35], v[40:41], s[52:53]
	v_add_f64 v[28:29], v[28:29], -v[32:33]
	v_cndmask_b32_e32 v19, v62, v63, vcc
	v_mul_f64 v[46:47], v[44:45], s[34:35]
	v_add_f64 v[38:39], v[42:43], v[36:37]
	v_fma_f64 v[40:41], v[34:35], v[40:41], s[54:55]
	v_ldexp_f64 v[28:29], v[28:29], 1
	v_add_f64 v[32:33], v[38:39], -v[42:43]
	v_fma_f64 v[42:43], v[44:45], s[34:35], -v[46:47]
	v_fma_f64 v[40:41], v[34:35], v[40:41], s[56:57]
	v_add_f64 v[32:33], v[36:37], -v[32:33]
	v_fma_f64 v[36:37], v[34:35], v[40:41], s[58:59]
	v_fma_f64 v[40:41], v[44:45], s[36:37], v[42:43]
	v_add_f64 v[28:29], v[28:29], v[32:33]
	v_fma_f64 v[32:33], v[34:35], v[36:37], s[60:61]
	v_add_f64 v[36:37], v[46:47], v[40:41]
	v_add_f64 v[42:43], v[38:39], v[28:29]
	v_fma_f64 v[32:33], v[34:35], v[32:33], s[62:63]
	v_add_f64 v[46:47], v[36:37], -v[46:47]
	v_add_f64 v[44:45], v[36:37], v[42:43]
	v_add_f64 v[38:39], v[42:43], -v[38:39]
	v_fma_f64 v[32:33], v[34:35], v[32:33], s[64:65]
	v_add_f64 v[40:41], v[40:41], -v[46:47]
	v_add_f64 v[48:49], v[44:45], -v[36:37]
	;; [unrolled: 1-line block ×3, first 2 shown]
	v_fma_f64 v[32:33], v[34:35], v[32:33], s[66:67]
	v_add_f64 v[50:51], v[44:45], -v[48:49]
	v_add_f64 v[38:39], v[42:43], -v[48:49]
	v_fma_f64 v[32:33], v[34:35], v[32:33], s[68:69]
	v_add_f64 v[42:43], v[40:41], v[28:29]
	v_add_f64 v[36:37], v[36:37], -v[50:51]
	v_fma_f64 v[32:33], v[34:35], v[32:33], s[70:71]
	v_add_f64 v[36:37], v[38:39], v[36:37]
	;; [unrolled: 3-line block ×3, first 2 shown]
	v_add_f64 v[42:43], v[42:43], -v[38:39]
	v_fma_f64 v[32:33], v[34:35], v[32:33], s[74:75]
	v_add_f64 v[28:29], v[28:29], -v[38:39]
	v_add_f64 v[46:47], v[44:45], v[36:37]
	v_mul_f64 v[32:33], v[34:35], v[32:33]
	v_add_f64 v[34:35], v[40:41], -v[42:43]
	v_add_f64 v[38:39], v[46:47], -v[44:45]
	v_fma_f64 v[30:31], v[30:31], v[32:33], v[30:31]
	v_add_f64 v[28:29], v[28:29], v[34:35]
	v_add_f64 v[32:33], v[36:37], -v[38:39]
	v_add_f64 v[34:35], -v[30:31], s[76:77]
	v_add_f64 v[28:29], v[28:29], v[32:33]
	v_cndmask_b32_e64 v31, v31, v35, s[0:1]
	v_cndmask_b32_e64 v30, v30, v34, s[0:1]
	v_add_f64 v[32:33], -v[30:31], s[90:91]
	v_and_b32_e32 v34, 0x54442d18, v6
	v_and_b32_e32 v35, 0x400921fb, v6
	v_add_f64 v[28:29], v[46:47], v[28:29]
	v_cndmask_b32_e32 v30, v30, v32, vcc
	v_cndmask_b32_e32 v32, v64, v65, vcc
	;; [unrolled: 1-line block ×3, first 2 shown]
	v_bfi_b32 v26, s38, v32, v9
	v_mul_f64 v[6:7], v[28:29], 0.5
	v_cndmask_b32_e64 v30, v30, v34, s[2:3]
	v_cndmask_b32_e64 v27, v27, v35, s[2:3]
	s_and_b64 vcc, s[16:17], s[12:13]
	v_cndmask_b32_e32 v27, v27, v26, vcc
	v_cndmask_b32_e32 v26, v30, v19, vcc
                                        ; implicit-def: $vgpr32_vgpr33
	v_cndmask_b32_e64 v29, v59, v7, s[4:5]
	v_cndmask_b32_e64 v28, 0, v6, s[4:5]
.LBB185_183:                            ;   in Loop: Header=BB185_162 Depth=1
	s_andn2_saveexec_b64 s[4:5], s[14:15]
	s_cbranch_execz .LBB185_185
; %bb.184:                              ;   in Loop: Header=BB185_162 Depth=1
	v_max_f64 v[26:27], |v[8:9]|, |v[8:9]|
	v_max_f64 v[28:29], |v[6:7]|, |v[6:7]|
	s_mov_b32 s90, s76
	v_cmp_class_f64_e64 s[12:13], v[8:9], s40
	v_cmp_class_f64_e64 s[14:15], v[6:7], s40
	v_ashrrev_i32_e32 v19, 31, v7
	v_max_f64 v[30:31], v[28:29], v[26:27]
	v_min_f64 v[26:27], v[28:29], v[26:27]
	v_div_scale_f64 v[28:29], s[2:3], v[30:31], v[30:31], v[26:27]
	s_mov_b32 s2, 0x69efb384
	s_mov_b32 s3, 0x3f4b2bb0
	v_rcp_f64_e32 v[34:35], v[28:29]
	v_fma_f64 v[36:37], -v[28:29], v[34:35], 1.0
	v_fma_f64 v[34:35], v[34:35], v[36:37], v[34:35]
	v_div_scale_f64 v[36:37], vcc, v[26:27], v[30:31], v[26:27]
	v_fma_f64 v[38:39], -v[28:29], v[34:35], 1.0
	v_fma_f64 v[34:35], v[34:35], v[38:39], v[34:35]
	v_mul_f64 v[38:39], v[36:37], v[34:35]
	v_fma_f64 v[28:29], -v[28:29], v[38:39], v[36:37]
	v_and_b32_e32 v36, 0x54442d18, v19
	v_div_fmas_f64 v[28:29], v[28:29], v[34:35], v[38:39]
	v_mul_f64 v[34:35], v[32:33], 0.5
	v_cmp_gt_i32_e32 vcc, 0, v7
	v_cndmask_b32_e32 v6, v64, v65, vcc
	v_and_b32_e32 v7, 0x400921fb, v19
	v_bfi_b32 v6, s38, v6, v9
	v_div_fixup_f64 v[26:27], v[28:29], v[30:31], v[26:27]
	v_mul_f64 v[28:29], v[26:27], v[26:27]
	v_fma_f64 v[30:31], v[28:29], s[80:81], v[22:23]
	v_fma_f64 v[30:31], v[28:29], v[30:31], s[2:3]
	v_cmp_eq_f64_e64 s[2:3], 0, v[8:9]
	v_fma_f64 v[30:31], v[28:29], v[30:31], s[42:43]
	v_fma_f64 v[30:31], v[28:29], v[30:31], s[44:45]
	;; [unrolled: 1-line block ×17, first 2 shown]
	v_mul_f64 v[28:29], v[28:29], v[30:31]
	v_cndmask_b32_e32 v31, v62, v63, vcc
	v_fma_f64 v[26:27], v[26:27], v[28:29], v[26:27]
	v_add_f64 v[28:29], -v[26:27], s[76:77]
	v_cndmask_b32_e64 v27, v27, v29, s[0:1]
	v_cndmask_b32_e64 v26, v26, v28, s[0:1]
	v_add_f64 v[29:30], -v[26:27], s[90:91]
	v_cndmask_b32_e32 v26, v26, v29, vcc
	v_mul_f64 v[28:29], v[32:33], v[34:35]
	v_cndmask_b32_e32 v19, v27, v30, vcc
	v_cndmask_b32_e64 v26, v26, v36, s[2:3]
	v_cndmask_b32_e64 v7, v19, v7, s[2:3]
	s_and_b64 vcc, s[14:15], s[12:13]
	v_cndmask_b32_e32 v27, v7, v6, vcc
	v_cndmask_b32_e32 v26, v26, v31, vcc
.LBB185_185:                            ;   in Loop: Header=BB185_162 Depth=1
	s_or_b64 exec, exec, s[4:5]
.LBB185_186:                            ;   in Loop: Header=BB185_162 Depth=1
	s_or_b64 exec, exec, s[6:7]
.LBB185_187:                            ;   in Loop: Header=BB185_162 Depth=1
	s_andn2_saveexec_b64 s[4:5], s[94:95]
	s_cbranch_execz .LBB185_189
; %bb.188:                              ;   in Loop: Header=BB185_162 Depth=1
	v_div_scale_f64 v[26:27], s[2:3], s[82:83], s[82:83], v[6:7]
	v_div_scale_f64 v[28:29], s[2:3], s[82:83], s[82:83], v[8:9]
	;; [unrolled: 1-line block ×3, first 2 shown]
	s_mov_b32 s31, s19
	s_mov_b32 s90, s76
	v_cmp_class_f64_e64 s[12:13], v[6:7], s40
	v_rcp_f64_e32 v[30:31], v[26:27]
	v_rcp_f64_e32 v[32:33], v[28:29]
	v_fma_f64 v[34:35], -v[26:27], v[30:31], 1.0
	v_fma_f64 v[36:37], -v[28:29], v[32:33], 1.0
	v_fma_f64 v[30:31], v[30:31], v[34:35], v[30:31]
	v_div_scale_f64 v[34:35], vcc, v[6:7], s[82:83], v[6:7]
	v_fma_f64 v[32:33], v[32:33], v[36:37], v[32:33]
	v_fma_f64 v[36:37], -v[26:27], v[30:31], 1.0
	v_fma_f64 v[40:41], -v[28:29], v[32:33], 1.0
	v_fma_f64 v[30:31], v[30:31], v[36:37], v[30:31]
	v_fma_f64 v[32:33], v[32:33], v[40:41], v[32:33]
	v_mul_f64 v[36:37], v[34:35], v[30:31]
	v_mul_f64 v[40:41], v[38:39], v[32:33]
	v_fma_f64 v[26:27], -v[26:27], v[36:37], v[34:35]
	v_fma_f64 v[28:29], -v[28:29], v[40:41], v[38:39]
	v_div_fmas_f64 v[26:27], v[26:27], v[30:31], v[36:37]
	s_mov_b64 vcc, s[2:3]
	v_div_fmas_f64 v[28:29], v[28:29], v[32:33], v[40:41]
	v_max_f64 v[39:40], |v[6:7]|, |v[6:7]|
	v_div_fixup_f64 v[26:27], v[26:27], s[82:83], v[6:7]
	v_ashrrev_i32_e32 v6, 31, v7
	v_div_fixup_f64 v[28:29], v[28:29], s[82:83], v[8:9]
	v_cmp_class_f64_e64 s[2:3], v[26:27], s40
	v_max_f64 v[30:31], |v[26:27]|, |v[28:29]|
	v_cmp_class_f64_e64 s[6:7], v[28:29], s40
	v_frexp_exp_i32_f64_e32 v19, v[30:31]
	v_sub_u32_e32 v32, 0, v19
	v_ldexp_f64 v[30:31], |v[28:29]|, v32
	v_ldexp_f64 v[32:33], |v[26:27]|, v32
	v_mul_f64 v[30:31], v[30:31], v[30:31]
	v_fma_f64 v[30:31], v[32:33], v[32:33], v[30:31]
	v_rsq_f64_e32 v[32:33], v[30:31]
	v_cmp_eq_f64_e32 vcc, 0, v[30:31]
	v_mul_f64 v[34:35], v[30:31], v[32:33]
	v_mul_f64 v[32:33], v[32:33], 0.5
	v_fma_f64 v[36:37], -v[32:33], v[34:35], 0.5
	v_fma_f64 v[34:35], v[34:35], v[36:37], v[34:35]
	v_fma_f64 v[32:33], v[32:33], v[36:37], v[32:33]
	v_fma_f64 v[36:37], -v[34:35], v[34:35], v[30:31]
	v_fma_f64 v[32:33], v[36:37], v[32:33], v[34:35]
	v_max_f64 v[37:38], |v[8:9]|, |v[8:9]|
	v_cndmask_b32_e32 v31, v33, v31, vcc
	v_cndmask_b32_e32 v30, v32, v30, vcc
	v_ldexp_f64 v[30:31], v[30:31], v19
	v_cmp_o_f64_e32 vcc, v[26:27], v[28:29]
	v_cndmask_b32_e32 v19, 0, v30, vcc
	v_cndmask_b32_e32 v26, v60, v31, vcc
	s_or_b64 vcc, s[2:3], s[6:7]
	v_cndmask_b32_e32 v30, v26, v59, vcc
	v_cndmask_b32_e64 v29, v19, 0, vcc
	v_frexp_mant_f64_e32 v[26:27], v[29:30]
	v_cmp_gt_f64_e64 s[2:3], s[18:19], v[26:27]
	v_cndmask_b32_e64 v19, 0, 1, s[2:3]
	v_ldexp_f64 v[26:27], v[26:27], v19
	v_frexp_exp_i32_f64_e32 v19, v[29:30]
	v_add_f64 v[31:32], v[26:27], 1.0
	v_add_f64 v[43:44], v[26:27], -1.0
	v_rcp_f64_e32 v[33:34], v[31:32]
	v_add_f64 v[47:48], v[31:32], -1.0
	v_add_f64 v[26:27], v[26:27], -v[47:48]
	v_fma_f64 v[35:36], -v[31:32], v[33:34], 1.0
	v_fma_f64 v[33:34], v[35:36], v[33:34], v[33:34]
	v_max_f64 v[35:36], v[39:40], v[37:38]
	v_min_f64 v[37:38], v[39:40], v[37:38]
	v_fma_f64 v[39:40], -v[31:32], v[33:34], 1.0
	v_div_scale_f64 v[41:42], s[6:7], v[35:36], v[35:36], v[37:38]
	s_mov_b32 s6, 0x69efb384
	s_mov_b32 s7, 0x3f4b2bb0
	v_fma_f64 v[33:34], v[39:40], v[33:34], v[33:34]
	v_mul_f64 v[39:40], v[43:44], v[33:34]
	v_rcp_f64_e32 v[45:46], v[41:42]
	v_mul_f64 v[49:50], v[31:32], v[39:40]
	v_fma_f64 v[31:32], v[39:40], v[31:32], -v[49:50]
	v_fma_f64 v[47:48], -v[41:42], v[45:46], 1.0
	v_fma_f64 v[26:27], v[39:40], v[26:27], v[31:32]
	v_fma_f64 v[31:32], v[45:46], v[47:48], v[45:46]
	v_div_scale_f64 v[47:48], vcc, v[37:38], v[35:36], v[37:38]
	v_add_f64 v[45:46], v[49:50], v[26:27]
	v_fma_f64 v[51:52], -v[41:42], v[31:32], 1.0
	v_add_f64 v[53:54], v[43:44], -v[45:46]
	v_add_f64 v[49:50], v[45:46], -v[49:50]
	v_fma_f64 v[31:32], v[31:32], v[51:52], v[31:32]
	v_add_f64 v[43:44], v[43:44], -v[53:54]
	v_add_f64 v[26:27], v[49:50], -v[26:27]
	v_mul_f64 v[51:52], v[47:48], v[31:32]
	v_add_f64 v[43:44], v[43:44], -v[45:46]
	v_fma_f64 v[41:42], -v[41:42], v[51:52], v[47:48]
	v_add_f64 v[26:27], v[26:27], v[43:44]
	v_div_fmas_f64 v[31:32], v[41:42], v[31:32], v[51:52]
	v_subbrev_co_u32_e64 v19, vcc, 0, v19, s[2:3]
	v_cmp_gt_i32_e32 vcc, 0, v7
	v_cndmask_b32_e32 v28, v64, v65, vcc
	v_cmp_eq_f64_e64 s[2:3], 0, v[8:9]
	v_add_f64 v[26:27], v[53:54], v[26:27]
	v_mul_f64 v[26:27], v[33:34], v[26:27]
	v_div_fixup_f64 v[31:32], v[31:32], v[35:36], v[37:38]
	v_add_f64 v[33:34], v[39:40], v[26:27]
	v_mul_f64 v[35:36], v[31:32], v[31:32]
	v_mul_f64 v[37:38], v[33:34], v[33:34]
	v_fma_f64 v[41:42], v[35:36], s[80:81], v[22:23]
	v_fma_f64 v[43:44], v[37:38], s[20:21], v[20:21]
	v_mul_f64 v[45:46], v[33:34], v[37:38]
	v_fma_f64 v[41:42], v[35:36], v[41:42], s[6:7]
	v_cmp_class_f64_e64 s[6:7], v[8:9], s40
	v_fma_f64 v[43:44], v[37:38], v[43:44], s[22:23]
	v_fma_f64 v[41:42], v[35:36], v[41:42], s[42:43]
	;; [unrolled: 1-line block ×9, first 2 shown]
	v_ldexp_f64 v[43:44], v[33:34], 1
	v_fma_f64 v[41:42], v[35:36], v[41:42], s[50:51]
	v_add_f64 v[33:34], v[33:34], -v[39:40]
	v_mul_f64 v[37:38], v[45:46], v[37:38]
	v_cvt_f64_i32_e32 v[45:46], v19
	v_fma_f64 v[41:42], v[35:36], v[41:42], s[52:53]
	v_add_f64 v[26:27], v[26:27], -v[33:34]
	v_cndmask_b32_e32 v19, v62, v63, vcc
	v_mul_f64 v[47:48], v[45:46], s[34:35]
	v_add_f64 v[39:40], v[43:44], v[37:38]
	v_fma_f64 v[41:42], v[35:36], v[41:42], s[54:55]
	v_ldexp_f64 v[26:27], v[26:27], 1
	v_add_f64 v[33:34], v[39:40], -v[43:44]
	v_fma_f64 v[43:44], v[45:46], s[34:35], -v[47:48]
	v_fma_f64 v[41:42], v[35:36], v[41:42], s[56:57]
	v_add_f64 v[33:34], v[37:38], -v[33:34]
	v_fma_f64 v[37:38], v[35:36], v[41:42], s[58:59]
	v_fma_f64 v[41:42], v[45:46], s[36:37], v[43:44]
	v_add_f64 v[26:27], v[26:27], v[33:34]
	v_fma_f64 v[33:34], v[35:36], v[37:38], s[60:61]
	v_add_f64 v[37:38], v[47:48], v[41:42]
	v_add_f64 v[43:44], v[39:40], v[26:27]
	v_fma_f64 v[33:34], v[35:36], v[33:34], s[62:63]
	v_add_f64 v[47:48], v[37:38], -v[47:48]
	v_add_f64 v[45:46], v[37:38], v[43:44]
	v_add_f64 v[39:40], v[43:44], -v[39:40]
	v_fma_f64 v[33:34], v[35:36], v[33:34], s[64:65]
	v_add_f64 v[41:42], v[41:42], -v[47:48]
	v_add_f64 v[49:50], v[45:46], -v[37:38]
	;; [unrolled: 1-line block ×3, first 2 shown]
	v_fma_f64 v[33:34], v[35:36], v[33:34], s[66:67]
	v_add_f64 v[51:52], v[45:46], -v[49:50]
	v_add_f64 v[39:40], v[43:44], -v[49:50]
	v_fma_f64 v[33:34], v[35:36], v[33:34], s[68:69]
	v_add_f64 v[43:44], v[41:42], v[26:27]
	v_add_f64 v[37:38], v[37:38], -v[51:52]
	v_fma_f64 v[33:34], v[35:36], v[33:34], s[70:71]
	v_add_f64 v[37:38], v[39:40], v[37:38]
	;; [unrolled: 3-line block ×3, first 2 shown]
	v_add_f64 v[43:44], v[43:44], -v[39:40]
	v_fma_f64 v[33:34], v[35:36], v[33:34], s[74:75]
	v_add_f64 v[26:27], v[26:27], -v[39:40]
	v_add_f64 v[47:48], v[45:46], v[37:38]
	v_mul_f64 v[33:34], v[35:36], v[33:34]
	v_add_f64 v[35:36], v[41:42], -v[43:44]
	v_add_f64 v[39:40], v[47:48], -v[45:46]
	v_fma_f64 v[31:32], v[31:32], v[33:34], v[31:32]
	v_add_f64 v[26:27], v[26:27], v[35:36]
	v_add_f64 v[33:34], v[37:38], -v[39:40]
	v_add_f64 v[35:36], -v[31:32], s[76:77]
	v_add_f64 v[26:27], v[26:27], v[33:34]
	v_cndmask_b32_e64 v32, v32, v36, s[0:1]
	v_cndmask_b32_e64 v31, v31, v35, s[0:1]
	v_add_f64 v[33:34], -v[31:32], s[90:91]
	v_cmp_class_f64_e64 s[0:1], v[29:30], s40
	v_and_b32_e32 v35, 0x54442d18, v6
	v_add_f64 v[26:27], v[47:48], v[26:27]
	v_cndmask_b32_e32 v31, v31, v33, vcc
	v_and_b32_e32 v33, 0x400921fb, v6
	v_cndmask_b32_e64 v31, v31, v35, s[2:3]
	v_cndmask_b32_e64 v7, v27, v30, s[0:1]
	;; [unrolled: 1-line block ×3, first 2 shown]
	v_add_f64 v[6:7], v[6:7], 1.0
	v_cmp_ngt_f64_e64 s[0:1], 0, v[29:30]
	v_bfi_b32 v26, s38, v28, v9
	v_cndmask_b32_e32 v27, v32, v34, vcc
	v_cndmask_b32_e64 v27, v27, v33, s[2:3]
	s_and_b64 vcc, s[12:13], s[6:7]
	v_cndmask_b32_e32 v27, v27, v26, vcc
	v_cndmask_b32_e32 v26, v31, v19, vcc
	v_cndmask_b32_e64 v7, v60, v7, s[0:1]
	v_cmp_nge_f64_e64 s[0:1], 0, v[29:30]
	v_cndmask_b32_e64 v28, 0, v6, s[0:1]
	v_cmp_neq_f64_e64 s[0:1], 0, v[29:30]
	v_cndmask_b32_e64 v29, v61, v7, s[0:1]
.LBB185_189:                            ;   in Loop: Header=BB185_162 Depth=1
	s_or_b64 exec, exec, s[4:5]
.LBB185_190:                            ;   in Loop: Header=BB185_162 Depth=1
	s_andn2_saveexec_b64 s[0:1], s[92:93]
	s_cbranch_execz .LBB185_196
; %bb.191:                              ;   in Loop: Header=BB185_162 Depth=1
	v_cmp_nlt_f64_e64 s[2:3], |v[6:7]|, s[88:89]
	v_cmp_nlt_f64_e64 s[4:5], |v[8:9]|, s[88:89]
                                        ; implicit-def: $vgpr29_vgpr30
	s_or_b64 s[2:3], s[2:3], s[4:5]
	s_and_saveexec_b64 s[4:5], s[2:3]
	s_xor_b64 s[2:3], exec, s[4:5]
	s_cbranch_execz .LBB185_193
; %bb.192:                              ;   in Loop: Header=BB185_162 Depth=1
	v_mul_f64 v[26:27], v[8:9], v[8:9]
	v_fma_f64 v[29:30], v[6:7], v[6:7], v[26:27]
.LBB185_193:                            ;   in Loop: Header=BB185_162 Depth=1
	s_andn2_saveexec_b64 s[2:3], s[2:3]
	s_cbranch_execz .LBB185_195
; %bb.194:                              ;   in Loop: Header=BB185_162 Depth=1
	v_mul_f64 v[26:27], v[8:9], 4.0
	v_mul_f64 v[6:7], v[6:7], 4.0
	v_mul_f64 v[26:27], v[26:27], v[26:27]
	v_fma_f64 v[6:7], v[6:7], v[6:7], v[26:27]
	v_ldexp_f64 v[29:30], v[6:7], -4
.LBB185_195:                            ;   in Loop: Header=BB185_162 Depth=1
	s_or_b64 exec, exec, s[2:3]
	v_frexp_mant_f64_e32 v[6:7], v[29:30]
	s_mov_b32 s31, s19
	v_cmp_gt_f64_e32 vcc, s[18:19], v[6:7]
	v_cndmask_b32_e64 v8, 0, 1, vcc
	v_ldexp_f64 v[6:7], v[6:7], v8
	v_frexp_exp_i32_f64_e32 v8, v[29:30]
	v_add_f64 v[26:27], v[6:7], 1.0
	v_add_f64 v[35:36], v[6:7], -1.0
	v_subbrev_co_u32_e32 v8, vcc, 0, v8, vcc
	v_cmp_class_f64_e64 vcc, v[29:30], s40
	v_rcp_f64_e32 v[31:32], v[26:27]
	v_add_f64 v[37:38], v[26:27], -1.0
	v_add_f64 v[6:7], v[6:7], -v[37:38]
	v_fma_f64 v[33:34], -v[26:27], v[31:32], 1.0
	v_fma_f64 v[31:32], v[33:34], v[31:32], v[31:32]
	v_fma_f64 v[33:34], -v[26:27], v[31:32], 1.0
	v_fma_f64 v[31:32], v[33:34], v[31:32], v[31:32]
	v_mul_f64 v[33:34], v[35:36], v[31:32]
	v_mul_f64 v[39:40], v[26:27], v[33:34]
	v_fma_f64 v[26:27], v[33:34], v[26:27], -v[39:40]
	v_fma_f64 v[6:7], v[33:34], v[6:7], v[26:27]
	v_add_f64 v[26:27], v[39:40], v[6:7]
	v_add_f64 v[37:38], v[35:36], -v[26:27]
	v_add_f64 v[39:40], v[26:27], -v[39:40]
	;; [unrolled: 1-line block ×5, first 2 shown]
	v_add_f64 v[6:7], v[6:7], v[26:27]
	v_add_f64 v[6:7], v[37:38], v[6:7]
	v_mul_f64 v[6:7], v[31:32], v[6:7]
	v_add_f64 v[26:27], v[33:34], v[6:7]
	v_mul_f64 v[31:32], v[26:27], v[26:27]
	v_fma_f64 v[35:36], v[31:32], s[20:21], v[20:21]
	v_mul_f64 v[37:38], v[26:27], v[31:32]
	v_fma_f64 v[35:36], v[31:32], v[35:36], s[22:23]
	v_fma_f64 v[35:36], v[31:32], v[35:36], s[24:25]
	;; [unrolled: 1-line block ×5, first 2 shown]
	v_ldexp_f64 v[35:36], v[26:27], 1
	v_add_f64 v[26:27], v[26:27], -v[33:34]
	v_mul_f64 v[31:32], v[37:38], v[31:32]
	v_cvt_f64_i32_e32 v[37:38], v8
	v_add_f64 v[6:7], v[6:7], -v[26:27]
	v_mul_f64 v[39:40], v[37:38], s[34:35]
	v_add_f64 v[33:34], v[35:36], v[31:32]
	v_ldexp_f64 v[6:7], v[6:7], 1
	v_add_f64 v[26:27], v[33:34], -v[35:36]
	v_fma_f64 v[35:36], v[37:38], s[34:35], -v[39:40]
	v_add_f64 v[26:27], v[31:32], -v[26:27]
	v_fma_f64 v[31:32], v[37:38], s[36:37], v[35:36]
	v_add_f64 v[6:7], v[6:7], v[26:27]
	v_add_f64 v[26:27], v[39:40], v[31:32]
	;; [unrolled: 1-line block ×3, first 2 shown]
	v_add_f64 v[39:40], v[26:27], -v[39:40]
	v_add_f64 v[37:38], v[26:27], v[35:36]
	v_add_f64 v[33:34], v[35:36], -v[33:34]
	v_add_f64 v[31:32], v[31:32], -v[39:40]
	;; [unrolled: 1-line block ×6, first 2 shown]
	v_add_f64 v[35:36], v[31:32], v[6:7]
	v_add_f64 v[26:27], v[26:27], -v[43:44]
	v_add_f64 v[26:27], v[33:34], v[26:27]
	v_add_f64 v[33:34], v[35:36], -v[31:32]
	;; [unrolled: 2-line block ×3, first 2 shown]
	v_add_f64 v[6:7], v[6:7], -v[33:34]
	v_add_f64 v[39:40], v[37:38], v[26:27]
	v_add_f64 v[31:32], v[31:32], -v[35:36]
	v_add_f64 v[33:34], v[39:40], -v[37:38]
	v_add_f64 v[6:7], v[6:7], v[31:32]
	v_add_f64 v[26:27], v[26:27], -v[33:34]
	v_add_f64 v[6:7], v[6:7], v[26:27]
	v_mov_b32_e32 v26, 0
	v_mov_b32_e32 v27, 0x7ff80000
	v_add_f64 v[6:7], v[39:40], v[6:7]
	v_cndmask_b32_e32 v6, v6, v29, vcc
	v_cndmask_b32_e32 v7, v7, v30, vcc
	v_cmp_ngt_f64_e32 vcc, 0, v[29:30]
	v_cndmask_b32_e32 v7, v60, v7, vcc
	v_cmp_nge_f64_e32 vcc, 0, v[29:30]
	v_cndmask_b32_e32 v28, 0, v6, vcc
	v_cmp_neq_f64_e32 vcc, 0, v[29:30]
	v_cndmask_b32_e32 v29, v61, v7, vcc
.LBB185_196:                            ;   in Loop: Header=BB185_162 Depth=1
	s_or_b64 exec, exec, s[0:1]
	s_waitcnt vmcnt(2)
	v_cmp_o_f64_e32 vcc, v[10:11], v[12:13]
                                        ; implicit-def: $vgpr30_vgpr31
                                        ; implicit-def: $vgpr6_vgpr7
	s_and_saveexec_b64 s[0:1], vcc
	s_xor_b64 s[92:93], exec, s[0:1]
	s_cbranch_execz .LBB185_224
; %bb.197:                              ;   in Loop: Header=BB185_162 Depth=1
	v_cmp_lt_f64_e64 s[0:1], |v[10:11]|, |v[12:13]|
	v_and_b32_e32 v8, 0x7fffffff, v11
	v_and_b32_e32 v19, 0x7fffffff, v13
	s_mov_b32 s2, 0x85ebc8a0
	s_mov_b32 s3, 0x7fd1ccf3
	v_mov_b32_e32 v32, v12
                                        ; implicit-def: $vgpr30_vgpr31
                                        ; implicit-def: $vgpr6_vgpr7
	v_cndmask_b32_e64 v35, v19, v8, s[0:1]
	v_cndmask_b32_e64 v34, v12, v10, s[0:1]
	v_cmp_nlt_f64_e32 vcc, s[2:3], v[34:35]
	s_and_saveexec_b64 s[2:3], vcc
	s_xor_b64 s[94:95], exec, s[2:3]
	s_cbranch_execz .LBB185_221
; %bb.198:                              ;   in Loop: Header=BB185_162 Depth=1
	v_cndmask_b32_e64 v37, v8, v19, s[0:1]
	v_cndmask_b32_e64 v36, v10, v32, s[0:1]
	v_cmp_neq_f64_e32 vcc, 1.0, v[36:37]
                                        ; implicit-def: $vgpr30_vgpr31
                                        ; implicit-def: $vgpr6_vgpr7
	s_and_saveexec_b64 s[2:3], vcc
	s_xor_b64 s[78:79], exec, s[2:3]
	s_cbranch_execz .LBB185_214
; %bb.199:                              ;   in Loop: Header=BB185_162 Depth=1
	v_max_f64 v[6:7], v[34:35], v[34:35]
	v_max_f64 v[30:31], v[36:37], v[36:37]
	s_mov_b32 s2, 0x4ad4b81f
	s_mov_b32 s3, 0x358dee7a
	v_min_f64 v[32:33], v[30:31], v[6:7]
	v_max_f64 v[6:7], v[30:31], v[6:7]
                                        ; implicit-def: $vgpr30_vgpr31
	v_cmp_ngt_f64_e32 vcc, s[2:3], v[32:33]
	s_mov_b32 s2, 0xc57e649a
	s_mov_b32 s3, 0x4a511b0e
	v_cmp_nlt_f64_e64 s[2:3], s[2:3], v[6:7]
                                        ; implicit-def: $vgpr6_vgpr7
	s_and_b64 s[2:3], s[2:3], vcc
	s_and_saveexec_b64 s[4:5], s[2:3]
	s_xor_b64 s[86:87], exec, s[4:5]
	s_cbranch_execz .LBB185_211
; %bb.200:                              ;   in Loop: Header=BB185_162 Depth=1
	v_cmp_le_f64_e32 vcc, 1.0, v[36:37]
                                        ; implicit-def: $vgpr30_vgpr31
                                        ; implicit-def: $vgpr6_vgpr7
	s_and_saveexec_b64 s[2:3], vcc
	s_xor_b64 s[14:15], exec, s[2:3]
	s_cbranch_execz .LBB185_202
; %bb.201:                              ;   in Loop: Header=BB185_162 Depth=1
	v_add_f64 v[6:7], v[36:37], -1.0
	v_add_f64 v[30:31], v[36:37], 1.0
	s_mov_b32 s31, s19
	s_mov_b32 s90, s76
	;; [unrolled: 1-line block ×4, first 2 shown]
	v_cmp_class_f64_e64 s[16:17], v[10:11], s40
	v_cmp_class_f64_e64 s[12:13], v[12:13], s40
	v_mul_f64 v[6:7], v[6:7], v[30:31]
	v_fma_f64 v[31:32], v[34:35], v[34:35], v[6:7]
	v_add_f64 v[6:7], v[31:32], 1.0
	v_cmp_nge_f64_e64 s[4:5], -1.0, v[31:32]
	v_cmp_neq_f64_e64 s[6:7], s[6:7], v[31:32]
	v_frexp_mant_f64_e32 v[35:36], v[6:7]
	v_frexp_exp_i32_f64_e32 v8, v[6:7]
	v_add_f64 v[33:34], v[6:7], -1.0
	v_cmp_gt_f64_e32 vcc, s[18:19], v[35:36]
	v_add_f64 v[37:38], v[33:34], -v[6:7]
	v_add_f64 v[33:34], v[31:32], -v[33:34]
	v_subbrev_co_u32_e32 v8, vcc, 0, v8, vcc
	v_sub_u32_e32 v19, 0, v8
	v_ldexp_f64 v[6:7], v[6:7], v19
	v_add_f64 v[35:36], v[37:38], 1.0
	v_add_f64 v[37:38], v[6:7], 1.0
	v_add_f64 v[33:34], v[33:34], v[35:36]
	v_add_f64 v[43:44], v[6:7], -1.0
	v_add_f64 v[35:36], v[37:38], -1.0
	v_ldexp_f64 v[33:34], v[33:34], v19
	v_add_f64 v[45:46], v[43:44], 1.0
	v_add_f64 v[35:36], v[6:7], -v[35:36]
	v_add_f64 v[6:7], v[6:7], -v[45:46]
	v_add_f64 v[39:40], v[33:34], v[35:36]
	v_add_f64 v[45:46], v[33:34], v[6:7]
	;; [unrolled: 1-line block ×3, first 2 shown]
	v_rcp_f64_e32 v[41:42], v[35:36]
	v_add_f64 v[37:38], v[35:36], -v[37:38]
	v_add_f64 v[39:40], v[39:40], -v[37:38]
	v_fma_f64 v[47:48], -v[35:36], v[41:42], 1.0
	v_fma_f64 v[41:42], v[47:48], v[41:42], v[41:42]
	v_add_f64 v[47:48], v[43:44], v[45:46]
	v_fma_f64 v[6:7], -v[35:36], v[41:42], 1.0
	v_add_f64 v[43:44], v[47:48], -v[43:44]
	v_fma_f64 v[6:7], v[6:7], v[41:42], v[41:42]
	v_add_f64 v[43:44], v[45:46], -v[43:44]
	v_mul_f64 v[33:34], v[47:48], v[6:7]
	v_mul_f64 v[41:42], v[35:36], v[33:34]
	v_fma_f64 v[37:38], v[33:34], v[35:36], -v[41:42]
	v_fma_f64 v[49:50], v[33:34], v[39:40], v[37:38]
	v_add_f64 v[51:52], v[41:42], v[49:50]
	v_add_f64 v[37:38], v[47:48], -v[51:52]
	v_add_f64 v[41:42], v[51:52], -v[41:42]
	;; [unrolled: 1-line block ×5, first 2 shown]
	v_add_f64 v[43:44], v[43:44], v[45:46]
	v_max_f64 v[45:46], |v[10:11]|, |v[10:11]|
	v_ashrrev_i32_e32 v10, 31, v11
	v_and_b32_e32 v30, 0x54442d18, v10
	v_add_f64 v[41:42], v[41:42], v[43:44]
	v_max_f64 v[43:44], |v[12:13]|, |v[12:13]|
	v_add_f64 v[47:48], v[37:38], v[41:42]
	v_max_f64 v[49:50], v[45:46], v[43:44]
	v_min_f64 v[43:44], v[45:46], v[43:44]
	v_mul_f64 v[45:46], v[6:7], v[47:48]
	v_add_f64 v[37:38], v[37:38], -v[47:48]
	v_div_scale_f64 v[51:52], s[2:3], v[49:50], v[49:50], v[43:44]
	s_mov_b32 s2, 0x69efb384
	s_mov_b32 s3, 0x3f4b2bb0
	v_mul_f64 v[53:54], v[35:36], v[45:46]
	v_add_f64 v[37:38], v[41:42], v[37:38]
	v_fma_f64 v[35:36], v[45:46], v[35:36], -v[53:54]
	v_rcp_f64_e32 v[55:56], v[51:52]
	v_fma_f64 v[35:36], v[45:46], v[39:40], v[35:36]
	v_add_f64 v[39:40], v[53:54], v[35:36]
	v_fma_f64 v[66:67], -v[51:52], v[55:56], 1.0
	v_add_f64 v[68:69], v[47:48], -v[39:40]
	v_add_f64 v[41:42], v[39:40], -v[53:54]
	v_fma_f64 v[55:56], v[55:56], v[66:67], v[55:56]
	v_div_scale_f64 v[66:67], vcc, v[43:44], v[49:50], v[43:44]
	v_add_f64 v[47:48], v[47:48], -v[68:69]
	v_add_f64 v[35:36], v[41:42], -v[35:36]
	v_fma_f64 v[70:71], -v[51:52], v[55:56], 1.0
	v_add_f64 v[41:42], v[33:34], v[45:46]
	v_add_f64 v[39:40], v[47:48], -v[39:40]
	v_fma_f64 v[47:48], v[55:56], v[70:71], v[55:56]
	v_add_f64 v[33:34], v[41:42], -v[33:34]
	v_add_f64 v[37:38], v[37:38], v[39:40]
	v_mul_f64 v[39:40], v[66:67], v[47:48]
	v_add_f64 v[33:34], v[45:46], -v[33:34]
	v_add_f64 v[35:36], v[35:36], v[37:38]
	v_fma_f64 v[37:38], -v[51:52], v[39:40], v[66:67]
	v_add_f64 v[35:36], v[68:69], v[35:36]
	v_div_fmas_f64 v[37:38], v[37:38], v[47:48], v[39:40]
	v_cmp_gt_i32_e32 vcc, 0, v11
	v_cndmask_b32_e32 v19, v64, v65, vcc
	v_mul_f64 v[6:7], v[6:7], v[35:36]
	v_add_f64 v[6:7], v[33:34], v[6:7]
	v_div_fixup_f64 v[33:34], v[37:38], v[49:50], v[43:44]
	v_add_f64 v[35:36], v[41:42], v[6:7]
	v_mul_f64 v[37:38], v[33:34], v[33:34]
	v_mul_f64 v[39:40], v[35:36], v[35:36]
	v_fma_f64 v[43:44], v[37:38], s[80:81], v[22:23]
	v_fma_f64 v[45:46], v[39:40], s[20:21], v[20:21]
	v_mul_f64 v[47:48], v[35:36], v[39:40]
	v_fma_f64 v[43:44], v[37:38], v[43:44], s[2:3]
	v_cmp_eq_f64_e64 s[2:3], 0, v[12:13]
	v_fma_f64 v[45:46], v[39:40], v[45:46], s[22:23]
	v_fma_f64 v[43:44], v[37:38], v[43:44], s[42:43]
	;; [unrolled: 1-line block ×9, first 2 shown]
	v_ldexp_f64 v[45:46], v[35:36], 1
	v_fma_f64 v[43:44], v[37:38], v[43:44], s[50:51]
	v_add_f64 v[35:36], v[35:36], -v[41:42]
	v_mul_f64 v[39:40], v[47:48], v[39:40]
	v_cvt_f64_i32_e32 v[47:48], v8
	v_fma_f64 v[43:44], v[37:38], v[43:44], s[52:53]
	v_add_f64 v[6:7], v[6:7], -v[35:36]
	v_cndmask_b32_e32 v8, v62, v63, vcc
	v_mul_f64 v[49:50], v[47:48], s[34:35]
	v_add_f64 v[41:42], v[45:46], v[39:40]
	v_fma_f64 v[43:44], v[37:38], v[43:44], s[54:55]
	v_ldexp_f64 v[6:7], v[6:7], 1
	v_add_f64 v[35:36], v[41:42], -v[45:46]
	v_fma_f64 v[45:46], v[47:48], s[34:35], -v[49:50]
	v_fma_f64 v[43:44], v[37:38], v[43:44], s[56:57]
	v_add_f64 v[35:36], v[39:40], -v[35:36]
	v_fma_f64 v[39:40], v[37:38], v[43:44], s[58:59]
	v_fma_f64 v[43:44], v[47:48], s[36:37], v[45:46]
	v_add_f64 v[6:7], v[6:7], v[35:36]
	v_fma_f64 v[35:36], v[37:38], v[39:40], s[60:61]
	v_add_f64 v[39:40], v[49:50], v[43:44]
	v_add_f64 v[45:46], v[41:42], v[6:7]
	v_fma_f64 v[35:36], v[37:38], v[35:36], s[62:63]
	v_add_f64 v[49:50], v[39:40], -v[49:50]
	v_add_f64 v[47:48], v[39:40], v[45:46]
	v_add_f64 v[41:42], v[45:46], -v[41:42]
	v_fma_f64 v[35:36], v[37:38], v[35:36], s[64:65]
	v_add_f64 v[43:44], v[43:44], -v[49:50]
	v_add_f64 v[51:52], v[47:48], -v[39:40]
	;; [unrolled: 1-line block ×3, first 2 shown]
	v_fma_f64 v[35:36], v[37:38], v[35:36], s[66:67]
	v_add_f64 v[53:54], v[47:48], -v[51:52]
	v_add_f64 v[41:42], v[45:46], -v[51:52]
	v_fma_f64 v[35:36], v[37:38], v[35:36], s[68:69]
	v_add_f64 v[45:46], v[43:44], v[6:7]
	v_add_f64 v[39:40], v[39:40], -v[53:54]
	v_fma_f64 v[35:36], v[37:38], v[35:36], s[70:71]
	v_add_f64 v[39:40], v[41:42], v[39:40]
	;; [unrolled: 3-line block ×3, first 2 shown]
	v_add_f64 v[45:46], v[45:46], -v[41:42]
	v_fma_f64 v[35:36], v[37:38], v[35:36], s[74:75]
	v_add_f64 v[6:7], v[6:7], -v[41:42]
	v_add_f64 v[49:50], v[47:48], v[39:40]
	v_mul_f64 v[35:36], v[37:38], v[35:36]
	v_add_f64 v[37:38], v[43:44], -v[45:46]
	v_add_f64 v[41:42], v[49:50], -v[47:48]
	v_fma_f64 v[33:34], v[33:34], v[35:36], v[33:34]
	v_add_f64 v[6:7], v[6:7], v[37:38]
	v_add_f64 v[35:36], v[39:40], -v[41:42]
	v_add_f64 v[37:38], -v[33:34], s[76:77]
	v_add_f64 v[6:7], v[6:7], v[35:36]
	v_cndmask_b32_e64 v34, v34, v38, s[0:1]
	v_cndmask_b32_e64 v33, v33, v37, s[0:1]
	v_add_f64 v[35:36], -v[33:34], s[90:91]
	v_add_f64 v[6:7], v[49:50], v[6:7]
	v_cndmask_b32_e32 v33, v33, v35, vcc
	v_and_b32_e32 v35, 0x400921fb, v10
	v_mul_f64 v[10:11], v[6:7], 0.5
	v_cndmask_b32_e32 v7, v34, v36, vcc
	v_bfi_b32 v6, s38, v19, v13
	v_cndmask_b32_e64 v19, v33, v30, s[2:3]
	v_cndmask_b32_e64 v7, v7, v35, s[2:3]
	s_and_b64 s[2:3], s[4:5], s[6:7]
	s_and_b64 vcc, s[16:17], s[12:13]
	v_cndmask_b32_e32 v7, v7, v6, vcc
	v_cndmask_b32_e64 v30, 0, v10, s[2:3]
	v_cmp_ngt_f64_e64 s[2:3], -1.0, v[31:32]
	v_cndmask_b32_e64 v6, v59, v11, s[6:7]
                                        ; implicit-def: $vgpr34_vgpr35
                                        ; implicit-def: $vgpr36_vgpr37
	v_cndmask_b32_e64 v6, v60, v6, s[2:3]
	v_cmp_neq_f64_e64 s[2:3], -1.0, v[31:32]
	v_cndmask_b32_e64 v31, v61, v6, s[2:3]
	v_cndmask_b32_e32 v6, v19, v8, vcc
.LBB185_202:                            ;   in Loop: Header=BB185_162 Depth=1
	s_andn2_saveexec_b64 s[14:15], s[14:15]
	s_cbranch_execz .LBB185_210
; %bb.203:                              ;   in Loop: Header=BB185_162 Depth=1
	v_mul_f64 v[6:7], v[34:35], v[34:35]
	s_mov_b32 s2, 0x66666666
	s_mov_b32 s3, 0x3fe66666
                                        ; implicit-def: $vgpr30_vgpr31
	v_fma_f64 v[32:33], v[36:37], v[36:37], v[6:7]
                                        ; implicit-def: $vgpr6_vgpr7
	v_cmp_ge_f64_e32 vcc, s[2:3], v[32:33]
	s_and_saveexec_b64 s[2:3], vcc
	s_xor_b64 s[6:7], exec, s[2:3]
	s_cbranch_execz .LBB185_205
; %bb.204:                              ;   in Loop: Header=BB185_162 Depth=1
	v_frexp_mant_f64_e32 v[6:7], v[32:33]
	v_max_f64 v[38:39], |v[12:13]|, |v[12:13]|
	v_max_f64 v[40:41], |v[10:11]|, |v[10:11]|
	s_mov_b32 s31, s19
	s_mov_b32 s90, s76
	v_cmp_class_f64_e64 s[12:13], v[12:13], s40
	v_cmp_class_f64_e64 s[16:17], v[10:11], s40
	v_cmp_gt_f64_e64 s[2:3], s[18:19], v[6:7]
	v_cndmask_b32_e64 v8, 0, 1, s[2:3]
	v_ldexp_f64 v[6:7], v[6:7], v8
	v_frexp_exp_i32_f64_e32 v8, v[32:33]
	v_add_f64 v[30:31], v[6:7], 1.0
	v_add_f64 v[44:45], v[6:7], -1.0
	v_rcp_f64_e32 v[34:35], v[30:31]
	v_add_f64 v[48:49], v[30:31], -1.0
	v_add_f64 v[6:7], v[6:7], -v[48:49]
	v_fma_f64 v[36:37], -v[30:31], v[34:35], 1.0
	v_fma_f64 v[34:35], v[36:37], v[34:35], v[34:35]
	v_max_f64 v[36:37], v[40:41], v[38:39]
	v_min_f64 v[38:39], v[40:41], v[38:39]
	v_fma_f64 v[40:41], -v[30:31], v[34:35], 1.0
	v_div_scale_f64 v[42:43], s[4:5], v[36:37], v[36:37], v[38:39]
	s_mov_b32 s4, 0x69efb384
	s_mov_b32 s5, 0x3f4b2bb0
	v_fma_f64 v[34:35], v[40:41], v[34:35], v[34:35]
	v_mul_f64 v[40:41], v[44:45], v[34:35]
	v_rcp_f64_e32 v[46:47], v[42:43]
	v_mul_f64 v[50:51], v[30:31], v[40:41]
	v_fma_f64 v[30:31], v[40:41], v[30:31], -v[50:51]
	v_fma_f64 v[48:49], -v[42:43], v[46:47], 1.0
	v_fma_f64 v[6:7], v[40:41], v[6:7], v[30:31]
	v_fma_f64 v[30:31], v[46:47], v[48:49], v[46:47]
	v_div_scale_f64 v[48:49], vcc, v[38:39], v[36:37], v[38:39]
	v_add_f64 v[46:47], v[50:51], v[6:7]
	v_fma_f64 v[52:53], -v[42:43], v[30:31], 1.0
	v_add_f64 v[54:55], v[44:45], -v[46:47]
	v_add_f64 v[50:51], v[46:47], -v[50:51]
	v_fma_f64 v[30:31], v[30:31], v[52:53], v[30:31]
	v_add_f64 v[44:45], v[44:45], -v[54:55]
	v_add_f64 v[6:7], v[50:51], -v[6:7]
	v_mul_f64 v[52:53], v[48:49], v[30:31]
	v_add_f64 v[44:45], v[44:45], -v[46:47]
	v_fma_f64 v[42:43], -v[42:43], v[52:53], v[48:49]
	v_add_f64 v[6:7], v[6:7], v[44:45]
	v_div_fmas_f64 v[30:31], v[42:43], v[30:31], v[52:53]
	v_subbrev_co_u32_e64 v8, vcc, 0, v8, s[2:3]
	v_cmp_eq_f64_e64 s[2:3], 0, v[12:13]
	v_cmp_gt_i32_e32 vcc, 0, v11
	v_cndmask_b32_e32 v19, v62, v63, vcc
	v_add_f64 v[6:7], v[54:55], v[6:7]
	v_mul_f64 v[6:7], v[34:35], v[6:7]
	v_div_fixup_f64 v[30:31], v[30:31], v[36:37], v[38:39]
	v_add_f64 v[34:35], v[40:41], v[6:7]
	v_mul_f64 v[36:37], v[30:31], v[30:31]
	v_mul_f64 v[38:39], v[34:35], v[34:35]
	v_fma_f64 v[42:43], v[36:37], s[80:81], v[22:23]
	v_fma_f64 v[44:45], v[38:39], s[20:21], v[20:21]
	v_mul_f64 v[46:47], v[34:35], v[38:39]
	v_fma_f64 v[42:43], v[36:37], v[42:43], s[4:5]
	v_cmp_neq_f64_e64 s[4:5], 0, v[32:33]
	v_fma_f64 v[44:45], v[38:39], v[44:45], s[22:23]
	v_fma_f64 v[42:43], v[36:37], v[42:43], s[42:43]
	;; [unrolled: 1-line block ×9, first 2 shown]
	v_ldexp_f64 v[44:45], v[34:35], 1
	v_fma_f64 v[42:43], v[36:37], v[42:43], s[50:51]
	v_add_f64 v[34:35], v[34:35], -v[40:41]
	v_mul_f64 v[38:39], v[46:47], v[38:39]
	v_cvt_f64_i32_e32 v[46:47], v8
	v_fma_f64 v[42:43], v[36:37], v[42:43], s[52:53]
	v_add_f64 v[6:7], v[6:7], -v[34:35]
	v_ashrrev_i32_e32 v8, 31, v11
	v_mul_f64 v[48:49], v[46:47], s[34:35]
	v_add_f64 v[40:41], v[44:45], v[38:39]
	v_fma_f64 v[42:43], v[36:37], v[42:43], s[54:55]
	v_ldexp_f64 v[6:7], v[6:7], 1
	v_add_f64 v[34:35], v[40:41], -v[44:45]
	v_fma_f64 v[44:45], v[46:47], s[34:35], -v[48:49]
	v_fma_f64 v[42:43], v[36:37], v[42:43], s[56:57]
	v_add_f64 v[34:35], v[38:39], -v[34:35]
	v_fma_f64 v[38:39], v[36:37], v[42:43], s[58:59]
	v_fma_f64 v[42:43], v[46:47], s[36:37], v[44:45]
	v_add_f64 v[6:7], v[6:7], v[34:35]
	v_fma_f64 v[34:35], v[36:37], v[38:39], s[60:61]
	v_add_f64 v[38:39], v[48:49], v[42:43]
	v_add_f64 v[44:45], v[40:41], v[6:7]
	v_fma_f64 v[34:35], v[36:37], v[34:35], s[62:63]
	v_add_f64 v[48:49], v[38:39], -v[48:49]
	v_add_f64 v[46:47], v[38:39], v[44:45]
	v_add_f64 v[40:41], v[44:45], -v[40:41]
	v_fma_f64 v[34:35], v[36:37], v[34:35], s[64:65]
	v_add_f64 v[42:43], v[42:43], -v[48:49]
	v_add_f64 v[50:51], v[46:47], -v[38:39]
	;; [unrolled: 1-line block ×3, first 2 shown]
	v_fma_f64 v[34:35], v[36:37], v[34:35], s[66:67]
	v_add_f64 v[52:53], v[46:47], -v[50:51]
	v_add_f64 v[40:41], v[44:45], -v[50:51]
	v_fma_f64 v[34:35], v[36:37], v[34:35], s[68:69]
	v_add_f64 v[44:45], v[42:43], v[6:7]
	v_add_f64 v[38:39], v[38:39], -v[52:53]
	v_fma_f64 v[34:35], v[36:37], v[34:35], s[70:71]
	v_add_f64 v[38:39], v[40:41], v[38:39]
	;; [unrolled: 3-line block ×3, first 2 shown]
	v_add_f64 v[44:45], v[44:45], -v[40:41]
	v_fma_f64 v[34:35], v[36:37], v[34:35], s[74:75]
	v_add_f64 v[6:7], v[6:7], -v[40:41]
	v_add_f64 v[48:49], v[46:47], v[38:39]
	v_mul_f64 v[34:35], v[36:37], v[34:35]
	v_add_f64 v[36:37], v[42:43], -v[44:45]
	v_add_f64 v[40:41], v[48:49], -v[46:47]
	v_fma_f64 v[30:31], v[30:31], v[34:35], v[30:31]
	v_add_f64 v[6:7], v[6:7], v[36:37]
	v_add_f64 v[34:35], v[38:39], -v[40:41]
	v_add_f64 v[36:37], -v[30:31], s[76:77]
	v_add_f64 v[6:7], v[6:7], v[34:35]
	v_cndmask_b32_e64 v31, v31, v37, s[0:1]
	v_cndmask_b32_e64 v30, v30, v36, s[0:1]
	v_add_f64 v[34:35], -v[30:31], s[90:91]
	v_and_b32_e32 v36, 0x54442d18, v8
	v_and_b32_e32 v8, 0x400921fb, v8
	v_add_f64 v[6:7], v[48:49], v[6:7]
	v_cndmask_b32_e32 v30, v30, v34, vcc
	v_cndmask_b32_e32 v34, v64, v65, vcc
	v_cndmask_b32_e64 v32, v30, v36, s[2:3]
                                        ; implicit-def: $vgpr36_vgpr37
	v_mul_f64 v[10:11], v[6:7], 0.5
	v_cndmask_b32_e32 v7, v31, v35, vcc
	v_bfi_b32 v6, s38, v34, v13
	v_cndmask_b32_e64 v7, v7, v8, s[2:3]
	s_and_b64 vcc, s[16:17], s[12:13]
	v_cndmask_b32_e32 v7, v7, v6, vcc
	v_cndmask_b32_e32 v6, v32, v19, vcc
                                        ; implicit-def: $vgpr34_vgpr35
	v_cndmask_b32_e64 v31, v61, v11, s[4:5]
	v_cndmask_b32_e64 v30, 0, v10, s[4:5]
.LBB185_205:                            ;   in Loop: Header=BB185_162 Depth=1
	s_andn2_saveexec_b64 s[16:17], s[6:7]
	s_cbranch_execz .LBB185_209
; %bb.206:                              ;   in Loop: Header=BB185_162 Depth=1
	v_and_b32_e32 v19, 0x7ffffff8, v37
	v_and_b32_e32 v31, 0x7ffffff8, v35
	v_mov_b32_e32 v30, v18
	v_add_f64 v[6:7], v[36:37], -v[18:19]
	v_add_f64 v[32:33], v[34:35], -v[30:31]
	v_mov_b32_e32 v36, v18
	v_mov_b32_e32 v44, v18
	v_add_f64 v[40:41], v[18:19], v[18:19]
	v_add_f64 v[42:43], v[30:31], v[30:31]
	v_mul_f64 v[30:31], v[30:31], v[30:31]
	s_mov_b64 s[80:81], 0
	v_and_b32_e32 v37, -8, v7
	v_and_b32_e32 v45, -8, v33
	v_add_f64 v[50:51], v[6:7], -v[36:37]
	v_add_f64 v[52:53], v[32:33], -v[44:45]
	v_add_f64 v[54:55], v[36:37], v[36:37]
	v_add_f64 v[56:57], v[44:45], v[44:45]
	v_mul_f64 v[6:7], v[18:19], v[18:19]
	v_mul_f64 v[34:35], v[40:41], v[36:37]
	;; [unrolled: 1-line block ×11, first 2 shown]
.LBB185_207:                            ;   Parent Loop BB185_162 Depth=1
                                        ; =>  This Inner Loop Header: Depth=2
	v_cmp_nlt_f64_e32 vcc, v[6:7], v[30:31]
	v_cndmask_b32_e32 v53, v7, v31, vcc
	v_cndmask_b32_e32 v52, v6, v30, vcc
	v_cmp_nlt_f64_e64 s[2:3], v[52:53], v[34:35]
	v_cndmask_b32_e32 v7, v31, v7, vcc
	v_cndmask_b32_e32 v6, v30, v6, vcc
	v_cndmask_b32_e64 v55, v53, v35, s[2:3]
	v_cndmask_b32_e64 v54, v52, v34, s[2:3]
	v_cmp_nlt_f64_e64 s[4:5], v[54:55], v[32:33]
	v_cndmask_b32_e64 v31, v35, v53, s[2:3]
	v_cndmask_b32_e64 v30, v34, v52, s[2:3]
	s_and_b64 s[12:13], vcc, s[2:3]
	v_cndmask_b32_e64 v57, v55, v33, s[4:5]
	v_cndmask_b32_e64 v56, v54, v32, s[4:5]
	v_cmp_nlt_f64_e64 s[6:7], v[56:57], v[38:39]
	v_cndmask_b32_e64 v35, v33, v55, s[4:5]
	v_cndmask_b32_e64 v34, v32, v54, s[4:5]
	;; [unrolled: 1-line block ×4, first 2 shown]
	v_cmp_nlt_f64_e32 vcc, v[52:53], v[44:45]
	v_cndmask_b32_e64 v33, v39, v57, s[6:7]
	v_cndmask_b32_e64 v32, v38, v56, s[6:7]
	s_and_b64 s[6:7], s[4:5], s[6:7]
	v_cndmask_b32_e32 v55, v53, v45, vcc
	v_cndmask_b32_e32 v54, v52, v44, vcc
	v_cmp_nlt_f64_e64 s[2:3], v[54:55], v[48:49]
	v_cndmask_b32_e32 v39, v45, v53, vcc
	v_cndmask_b32_e32 v38, v44, v52, vcc
	v_cndmask_b32_e64 v53, v55, v49, s[2:3]
	v_cndmask_b32_e64 v52, v54, v48, s[2:3]
	v_cmp_nlt_f64_e64 s[4:5], v[52:53], v[46:47]
	v_cndmask_b32_e64 v45, v49, v55, s[2:3]
	v_cndmask_b32_e64 v44, v48, v54, s[2:3]
	s_and_b64 s[2:3], vcc, s[2:3]
	v_cndmask_b32_e64 v55, v53, v47, s[4:5]
	v_cndmask_b32_e64 v54, v52, v46, s[4:5]
	v_cmp_nlt_f64_e32 vcc, v[54:55], v[42:43]
	v_cndmask_b32_e64 v49, v47, v53, s[4:5]
	v_cndmask_b32_e64 v48, v46, v52, s[4:5]
	s_and_b64 s[4:5], s[2:3], s[4:5]
	v_cndmask_b32_e32 v53, v55, v43, vcc
	v_cndmask_b32_e32 v52, v54, v42, vcc
	v_cmp_nlt_f64_e64 s[2:3], v[52:53], v[40:41]
	v_cndmask_b32_e32 v47, v43, v55, vcc
	v_cndmask_b32_e32 v46, v42, v54, vcc
	s_and_b64 s[4:5], s[4:5], vcc
	v_cndmask_b32_e64 v55, v53, v41, s[2:3]
	v_cndmask_b32_e64 v54, v52, v40, s[2:3]
	v_cmp_nlt_f64_e32 vcc, v[54:55], v[36:37]
	v_cndmask_b32_e64 v43, v41, v53, s[2:3]
	v_cndmask_b32_e64 v42, v40, v52, s[2:3]
	s_and_b64 s[4:5], s[4:5], s[2:3]
	v_cndmask_b32_e32 v57, v55, v37, vcc
	v_cndmask_b32_e32 v56, v54, v36, vcc
	v_cmp_nlt_f64_e64 s[2:3], v[56:57], v[50:51]
	s_and_b64 s[4:5], s[4:5], vcc
	v_cndmask_b32_e32 v41, v37, v55, vcc
	v_cndmask_b32_e32 v40, v36, v54, vcc
	v_cndmask_b32_e64 v53, v57, v51, s[2:3]
	v_cndmask_b32_e64 v52, v56, v50, s[2:3]
	;; [unrolled: 1-line block ×4, first 2 shown]
	s_and_b64 s[2:3], s[4:5], s[2:3]
	s_and_b64 s[2:3], s[2:3], s[6:7]
	;; [unrolled: 1-line block ×3, first 2 shown]
	s_and_b64 s[2:3], exec, s[2:3]
	v_mov_b32_e32 v50, v52
	s_or_b64 s[80:81], s[2:3], s[80:81]
	v_mov_b32_e32 v51, v53
	s_andn2_b64 exec, exec, s[80:81]
	s_cbranch_execnz .LBB185_207
; %bb.208:                              ;   in Loop: Header=BB185_162 Depth=1
	s_or_b64 exec, exec, s[80:81]
	v_add_f64 v[6:7], v[6:7], -1.0
	s_mov_b32 s31, s19
	s_mov_b32 s90, s76
	;; [unrolled: 1-line block ×4, first 2 shown]
	v_cmp_class_f64_e64 s[80:81], v[10:11], s40
	v_cmp_class_f64_e64 s[12:13], v[12:13], s40
	v_add_f64 v[6:7], v[6:7], v[30:31]
	v_add_f64 v[6:7], v[6:7], v[34:35]
	;; [unrolled: 1-line block ×11, first 2 shown]
	v_add_f64 v[6:7], v[31:32], 1.0
	v_cmp_nge_f64_e64 s[4:5], -1.0, v[31:32]
	v_cmp_neq_f64_e64 s[6:7], s[6:7], v[31:32]
	v_frexp_mant_f64_e32 v[35:36], v[6:7]
	v_frexp_exp_i32_f64_e32 v8, v[6:7]
	v_add_f64 v[33:34], v[6:7], -1.0
	v_cmp_gt_f64_e32 vcc, s[18:19], v[35:36]
	v_add_f64 v[37:38], v[33:34], -v[6:7]
	v_add_f64 v[33:34], v[31:32], -v[33:34]
	v_subbrev_co_u32_e32 v8, vcc, 0, v8, vcc
	v_sub_u32_e32 v19, 0, v8
	v_ldexp_f64 v[6:7], v[6:7], v19
	v_add_f64 v[35:36], v[37:38], 1.0
	v_add_f64 v[37:38], v[6:7], 1.0
	v_add_f64 v[33:34], v[33:34], v[35:36]
	v_add_f64 v[43:44], v[6:7], -1.0
	v_add_f64 v[35:36], v[37:38], -1.0
	v_ldexp_f64 v[33:34], v[33:34], v19
	v_add_f64 v[45:46], v[43:44], 1.0
	v_add_f64 v[35:36], v[6:7], -v[35:36]
	v_add_f64 v[6:7], v[6:7], -v[45:46]
	v_add_f64 v[39:40], v[33:34], v[35:36]
	v_add_f64 v[45:46], v[33:34], v[6:7]
	;; [unrolled: 1-line block ×3, first 2 shown]
	v_rcp_f64_e32 v[41:42], v[35:36]
	v_add_f64 v[37:38], v[35:36], -v[37:38]
	v_add_f64 v[39:40], v[39:40], -v[37:38]
	v_fma_f64 v[47:48], -v[35:36], v[41:42], 1.0
	v_fma_f64 v[41:42], v[47:48], v[41:42], v[41:42]
	v_add_f64 v[47:48], v[43:44], v[45:46]
	v_fma_f64 v[6:7], -v[35:36], v[41:42], 1.0
	v_add_f64 v[43:44], v[47:48], -v[43:44]
	v_fma_f64 v[6:7], v[6:7], v[41:42], v[41:42]
	v_add_f64 v[43:44], v[45:46], -v[43:44]
	v_mul_f64 v[33:34], v[47:48], v[6:7]
	v_mul_f64 v[41:42], v[35:36], v[33:34]
	v_fma_f64 v[37:38], v[33:34], v[35:36], -v[41:42]
	v_fma_f64 v[49:50], v[33:34], v[39:40], v[37:38]
	v_add_f64 v[51:52], v[41:42], v[49:50]
	v_add_f64 v[37:38], v[47:48], -v[51:52]
	v_add_f64 v[41:42], v[51:52], -v[41:42]
	;; [unrolled: 1-line block ×5, first 2 shown]
	v_add_f64 v[43:44], v[43:44], v[45:46]
	v_max_f64 v[45:46], |v[10:11]|, |v[10:11]|
	v_ashrrev_i32_e32 v10, 31, v11
	v_and_b32_e32 v30, 0x54442d18, v10
	v_add_f64 v[41:42], v[41:42], v[43:44]
	v_max_f64 v[43:44], |v[12:13]|, |v[12:13]|
	v_add_f64 v[47:48], v[37:38], v[41:42]
	v_max_f64 v[49:50], v[45:46], v[43:44]
	v_min_f64 v[43:44], v[45:46], v[43:44]
	v_mul_f64 v[45:46], v[6:7], v[47:48]
	v_add_f64 v[37:38], v[37:38], -v[47:48]
	v_div_scale_f64 v[51:52], s[2:3], v[49:50], v[49:50], v[43:44]
	s_mov_b32 s2, 0xb5e68a13
	s_mov_b32 s3, 0x3eeba404
	v_mul_f64 v[53:54], v[35:36], v[45:46]
	v_add_f64 v[37:38], v[41:42], v[37:38]
	v_fma_f64 v[35:36], v[45:46], v[35:36], -v[53:54]
	v_rcp_f64_e32 v[55:56], v[51:52]
	v_fma_f64 v[35:36], v[45:46], v[39:40], v[35:36]
	v_add_f64 v[39:40], v[53:54], v[35:36]
	v_fma_f64 v[66:67], -v[51:52], v[55:56], 1.0
	v_add_f64 v[68:69], v[47:48], -v[39:40]
	v_add_f64 v[41:42], v[39:40], -v[53:54]
	v_fma_f64 v[55:56], v[55:56], v[66:67], v[55:56]
	v_div_scale_f64 v[66:67], vcc, v[43:44], v[49:50], v[43:44]
	v_add_f64 v[47:48], v[47:48], -v[68:69]
	v_add_f64 v[35:36], v[41:42], -v[35:36]
	v_fma_f64 v[70:71], -v[51:52], v[55:56], 1.0
	v_add_f64 v[41:42], v[33:34], v[45:46]
	v_add_f64 v[39:40], v[47:48], -v[39:40]
	v_fma_f64 v[47:48], v[55:56], v[70:71], v[55:56]
	v_add_f64 v[33:34], v[41:42], -v[33:34]
	v_add_f64 v[37:38], v[37:38], v[39:40]
	v_mul_f64 v[39:40], v[66:67], v[47:48]
	v_add_f64 v[33:34], v[45:46], -v[33:34]
	v_add_f64 v[35:36], v[35:36], v[37:38]
	v_fma_f64 v[37:38], -v[51:52], v[39:40], v[66:67]
	v_add_f64 v[35:36], v[68:69], v[35:36]
	v_div_fmas_f64 v[37:38], v[37:38], v[47:48], v[39:40]
	v_cmp_gt_i32_e32 vcc, 0, v11
	v_cndmask_b32_e32 v19, v64, v65, vcc
	v_mul_f64 v[6:7], v[6:7], v[35:36]
	v_add_f64 v[6:7], v[33:34], v[6:7]
	v_div_fixup_f64 v[33:34], v[37:38], v[49:50], v[43:44]
	v_add_f64 v[35:36], v[41:42], v[6:7]
	v_mul_f64 v[37:38], v[33:34], v[33:34]
	v_mul_f64 v[39:40], v[35:36], v[35:36]
	v_fma_f64 v[43:44], v[37:38], s[2:3], v[22:23]
	s_mov_b32 s2, 0x69efb384
	s_mov_b32 s3, 0x3f4b2bb0
	v_fma_f64 v[45:46], v[39:40], s[20:21], v[20:21]
	v_mul_f64 v[47:48], v[35:36], v[39:40]
	v_fma_f64 v[43:44], v[37:38], v[43:44], s[2:3]
	v_cmp_eq_f64_e64 s[2:3], 0, v[12:13]
	v_fma_f64 v[45:46], v[39:40], v[45:46], s[22:23]
	v_fma_f64 v[43:44], v[37:38], v[43:44], s[42:43]
	;; [unrolled: 1-line block ×9, first 2 shown]
	v_ldexp_f64 v[45:46], v[35:36], 1
	v_fma_f64 v[43:44], v[37:38], v[43:44], s[50:51]
	v_add_f64 v[35:36], v[35:36], -v[41:42]
	v_mul_f64 v[39:40], v[47:48], v[39:40]
	v_cvt_f64_i32_e32 v[47:48], v8
	v_fma_f64 v[43:44], v[37:38], v[43:44], s[52:53]
	v_add_f64 v[6:7], v[6:7], -v[35:36]
	v_cndmask_b32_e32 v8, v62, v63, vcc
	v_mul_f64 v[49:50], v[47:48], s[34:35]
	v_add_f64 v[41:42], v[45:46], v[39:40]
	v_fma_f64 v[43:44], v[37:38], v[43:44], s[54:55]
	v_ldexp_f64 v[6:7], v[6:7], 1
	v_add_f64 v[35:36], v[41:42], -v[45:46]
	v_fma_f64 v[45:46], v[47:48], s[34:35], -v[49:50]
	v_fma_f64 v[43:44], v[37:38], v[43:44], s[56:57]
	v_add_f64 v[35:36], v[39:40], -v[35:36]
	v_fma_f64 v[39:40], v[37:38], v[43:44], s[58:59]
	v_fma_f64 v[43:44], v[47:48], s[36:37], v[45:46]
	v_add_f64 v[6:7], v[6:7], v[35:36]
	v_fma_f64 v[35:36], v[37:38], v[39:40], s[60:61]
	v_add_f64 v[39:40], v[49:50], v[43:44]
	v_add_f64 v[45:46], v[41:42], v[6:7]
	v_fma_f64 v[35:36], v[37:38], v[35:36], s[62:63]
	v_add_f64 v[49:50], v[39:40], -v[49:50]
	v_add_f64 v[47:48], v[39:40], v[45:46]
	v_add_f64 v[41:42], v[45:46], -v[41:42]
	v_fma_f64 v[35:36], v[37:38], v[35:36], s[64:65]
	v_add_f64 v[43:44], v[43:44], -v[49:50]
	v_add_f64 v[51:52], v[47:48], -v[39:40]
	;; [unrolled: 1-line block ×3, first 2 shown]
	v_fma_f64 v[35:36], v[37:38], v[35:36], s[66:67]
	v_add_f64 v[53:54], v[47:48], -v[51:52]
	v_add_f64 v[41:42], v[45:46], -v[51:52]
	v_fma_f64 v[35:36], v[37:38], v[35:36], s[68:69]
	v_add_f64 v[45:46], v[43:44], v[6:7]
	v_add_f64 v[39:40], v[39:40], -v[53:54]
	v_fma_f64 v[35:36], v[37:38], v[35:36], s[70:71]
	v_add_f64 v[39:40], v[41:42], v[39:40]
	;; [unrolled: 3-line block ×3, first 2 shown]
	v_add_f64 v[45:46], v[45:46], -v[41:42]
	v_fma_f64 v[35:36], v[37:38], v[35:36], s[74:75]
	v_add_f64 v[6:7], v[6:7], -v[41:42]
	v_add_f64 v[49:50], v[47:48], v[39:40]
	v_mul_f64 v[35:36], v[37:38], v[35:36]
	v_add_f64 v[37:38], v[43:44], -v[45:46]
	v_add_f64 v[41:42], v[49:50], -v[47:48]
	v_fma_f64 v[33:34], v[33:34], v[35:36], v[33:34]
	v_add_f64 v[6:7], v[6:7], v[37:38]
	v_add_f64 v[35:36], v[39:40], -v[41:42]
	v_add_f64 v[37:38], -v[33:34], s[76:77]
	v_add_f64 v[6:7], v[6:7], v[35:36]
	v_cndmask_b32_e64 v34, v34, v38, s[0:1]
	v_cndmask_b32_e64 v33, v33, v37, s[0:1]
	v_add_f64 v[35:36], -v[33:34], s[90:91]
	v_add_f64 v[6:7], v[49:50], v[6:7]
	v_cndmask_b32_e32 v33, v33, v35, vcc
	v_and_b32_e32 v35, 0x400921fb, v10
	v_mul_f64 v[10:11], v[6:7], 0.5
	v_cndmask_b32_e32 v7, v34, v36, vcc
	v_bfi_b32 v6, s38, v19, v13
	v_cndmask_b32_e64 v19, v33, v30, s[2:3]
	v_cndmask_b32_e64 v7, v7, v35, s[2:3]
	s_and_b64 s[2:3], s[4:5], s[6:7]
	s_and_b64 vcc, s[80:81], s[12:13]
	v_cndmask_b32_e32 v7, v7, v6, vcc
	v_cndmask_b32_e64 v30, 0, v10, s[2:3]
	v_cmp_ngt_f64_e64 s[2:3], -1.0, v[31:32]
	v_cndmask_b32_e64 v6, v59, v11, s[6:7]
	s_mov_b32 s80, 0xb5e68a13
	s_mov_b32 s81, 0x3eeba404
	v_cndmask_b32_e64 v6, v60, v6, s[2:3]
	v_cmp_neq_f64_e64 s[2:3], -1.0, v[31:32]
	v_cndmask_b32_e64 v31, v61, v6, s[2:3]
	v_cndmask_b32_e32 v6, v19, v8, vcc
.LBB185_209:                            ;   in Loop: Header=BB185_162 Depth=1
	s_or_b64 exec, exec, s[16:17]
.LBB185_210:                            ;   in Loop: Header=BB185_162 Depth=1
	s_or_b64 exec, exec, s[14:15]
.LBB185_211:                            ;   in Loop: Header=BB185_162 Depth=1
	s_andn2_saveexec_b64 s[6:7], s[86:87]
	s_cbranch_execz .LBB185_213
; %bb.212:                              ;   in Loop: Header=BB185_162 Depth=1
	v_max_f64 v[6:7], |v[12:13]|, |v[12:13]|
	v_max_f64 v[33:34], |v[10:11]|, |v[10:11]|
	v_cmp_class_f64_e64 s[14:15], v[10:11], s40
	v_cmp_class_f64_e64 s[16:17], v[12:13], s40
	s_mov_b32 s31, s19
	s_mov_b32 s90, s76
	v_max_f64 v[35:36], v[33:34], v[6:7]
	v_min_f64 v[6:7], v[33:34], v[6:7]
	v_frexp_exp_i32_f64_e32 v8, v[35:36]
	v_sub_u32_e32 v19, 0, v8
	v_ldexp_f64 v[30:31], |v[12:13]|, v19
	v_ldexp_f64 v[37:38], |v[10:11]|, v19
	v_mul_f64 v[30:31], v[30:31], v[30:31]
	v_fma_f64 v[30:31], v[37:38], v[37:38], v[30:31]
	v_rsq_f64_e32 v[37:38], v[30:31]
	v_cmp_eq_f64_e32 vcc, 0, v[30:31]
	v_mul_f64 v[39:40], v[30:31], v[37:38]
	v_mul_f64 v[37:38], v[37:38], 0.5
	v_fma_f64 v[41:42], -v[37:38], v[39:40], 0.5
	v_fma_f64 v[39:40], v[39:40], v[41:42], v[39:40]
	v_fma_f64 v[37:38], v[37:38], v[41:42], v[37:38]
	v_fma_f64 v[41:42], -v[39:40], v[39:40], v[30:31]
	v_fma_f64 v[37:38], v[41:42], v[37:38], v[39:40]
	v_cndmask_b32_e32 v31, v38, v31, vcc
	v_cndmask_b32_e32 v30, v37, v30, vcc
	v_ldexp_f64 v[30:31], v[30:31], v8
	s_or_b64 vcc, s[14:15], s[16:17]
	v_cndmask_b32_e32 v32, v31, v59, vcc
	v_cndmask_b32_e64 v31, v30, 0, vcc
	v_frexp_mant_f64_e32 v[37:38], v[31:32]
	v_cmp_gt_f64_e64 s[2:3], s[18:19], v[37:38]
	v_cndmask_b32_e64 v8, 0, 1, s[2:3]
	v_ldexp_f64 v[37:38], v[37:38], v8
	v_frexp_exp_i32_f64_e32 v8, v[31:32]
	v_add_f64 v[39:40], v[37:38], 1.0
	v_add_f64 v[45:46], v[37:38], -1.0
	v_rcp_f64_e32 v[41:42], v[39:40]
	v_add_f64 v[49:50], v[39:40], -1.0
	v_add_f64 v[37:38], v[37:38], -v[49:50]
	v_fma_f64 v[43:44], -v[39:40], v[41:42], 1.0
	v_fma_f64 v[33:34], v[43:44], v[41:42], v[41:42]
	v_div_scale_f64 v[41:42], s[4:5], v[35:36], v[35:36], v[6:7]
	s_mov_b32 s4, 0x69efb384
	s_mov_b32 s5, 0x3f4b2bb0
	v_fma_f64 v[43:44], -v[39:40], v[33:34], 1.0
	v_fma_f64 v[33:34], v[43:44], v[33:34], v[33:34]
	v_rcp_f64_e32 v[43:44], v[41:42]
	v_mul_f64 v[47:48], v[45:46], v[33:34]
	v_mul_f64 v[51:52], v[39:40], v[47:48]
	v_fma_f64 v[53:54], -v[41:42], v[43:44], 1.0
	v_fma_f64 v[39:40], v[47:48], v[39:40], -v[51:52]
	v_fma_f64 v[43:44], v[43:44], v[53:54], v[43:44]
	v_fma_f64 v[37:38], v[47:48], v[37:38], v[39:40]
	v_div_scale_f64 v[39:40], vcc, v[6:7], v[35:36], v[6:7]
	v_fma_f64 v[49:50], -v[41:42], v[43:44], 1.0
	v_add_f64 v[53:54], v[51:52], v[37:38]
	v_fma_f64 v[43:44], v[43:44], v[49:50], v[43:44]
	v_add_f64 v[49:50], v[45:46], -v[53:54]
	v_add_f64 v[51:52], v[53:54], -v[51:52]
	v_mul_f64 v[55:56], v[39:40], v[43:44]
	v_add_f64 v[45:46], v[45:46], -v[49:50]
	v_add_f64 v[37:38], v[51:52], -v[37:38]
	v_fma_f64 v[39:40], -v[41:42], v[55:56], v[39:40]
	v_add_f64 v[41:42], v[45:46], -v[53:54]
	v_div_fmas_f64 v[39:40], v[39:40], v[43:44], v[55:56]
	v_subbrev_co_u32_e64 v8, vcc, 0, v8, s[2:3]
	v_cmp_eq_f64_e64 s[2:3], 0, v[12:13]
	v_cmp_gt_i32_e32 vcc, 0, v11
	v_add_f64 v[37:38], v[37:38], v[41:42]
	v_cndmask_b32_e32 v19, v62, v63, vcc
	v_add_f64 v[37:38], v[49:50], v[37:38]
	v_div_fixup_f64 v[6:7], v[39:40], v[35:36], v[6:7]
	v_mul_f64 v[33:34], v[33:34], v[37:38]
	v_mul_f64 v[35:36], v[6:7], v[6:7]
	v_add_f64 v[37:38], v[47:48], v[33:34]
	v_fma_f64 v[39:40], v[35:36], s[80:81], v[22:23]
	v_mul_f64 v[41:42], v[37:38], v[37:38]
	v_fma_f64 v[39:40], v[35:36], v[39:40], s[4:5]
	v_cmp_class_f64_e64 s[4:5], v[31:32], s40
	v_fma_f64 v[43:44], v[41:42], s[20:21], v[20:21]
	v_mul_f64 v[45:46], v[37:38], v[41:42]
	v_fma_f64 v[39:40], v[35:36], v[39:40], s[42:43]
	v_fma_f64 v[43:44], v[41:42], v[43:44], s[22:23]
	;; [unrolled: 1-line block ×10, first 2 shown]
	v_ldexp_f64 v[43:44], v[37:38], 1
	v_add_f64 v[37:38], v[37:38], -v[47:48]
	v_fma_f64 v[39:40], v[35:36], v[39:40], s[52:53]
	v_cvt_f64_i32_e32 v[47:48], v8
	v_ashrrev_i32_e32 v8, 31, v11
	v_and_b32_e32 v30, 0x54442d18, v8
	v_and_b32_e32 v8, 0x400921fb, v8
	v_mul_f64 v[41:42], v[45:46], v[41:42]
	v_mul_f64 v[49:50], v[47:48], s[34:35]
	v_add_f64 v[33:34], v[33:34], -v[37:38]
	v_fma_f64 v[39:40], v[35:36], v[39:40], s[54:55]
	v_add_f64 v[45:46], v[43:44], v[41:42]
	v_ldexp_f64 v[33:34], v[33:34], 1
	v_fma_f64 v[39:40], v[35:36], v[39:40], s[56:57]
	v_add_f64 v[37:38], v[45:46], -v[43:44]
	v_fma_f64 v[43:44], v[47:48], s[34:35], -v[49:50]
	v_fma_f64 v[39:40], v[35:36], v[39:40], s[58:59]
	v_add_f64 v[37:38], v[41:42], -v[37:38]
	v_fma_f64 v[41:42], v[47:48], s[36:37], v[43:44]
	v_fma_f64 v[39:40], v[35:36], v[39:40], s[60:61]
	v_add_f64 v[33:34], v[33:34], v[37:38]
	v_fma_f64 v[37:38], v[35:36], v[39:40], s[62:63]
	v_add_f64 v[39:40], v[49:50], v[41:42]
	v_add_f64 v[43:44], v[45:46], v[33:34]
	v_fma_f64 v[37:38], v[35:36], v[37:38], s[64:65]
	v_add_f64 v[49:50], v[39:40], -v[49:50]
	v_add_f64 v[47:48], v[39:40], v[43:44]
	v_add_f64 v[45:46], v[43:44], -v[45:46]
	v_fma_f64 v[37:38], v[35:36], v[37:38], s[66:67]
	v_add_f64 v[41:42], v[41:42], -v[49:50]
	v_add_f64 v[51:52], v[47:48], -v[39:40]
	;; [unrolled: 1-line block ×3, first 2 shown]
	v_fma_f64 v[37:38], v[35:36], v[37:38], s[68:69]
	v_add_f64 v[53:54], v[47:48], -v[51:52]
	v_add_f64 v[43:44], v[43:44], -v[51:52]
	v_add_f64 v[45:46], v[41:42], v[33:34]
	v_fma_f64 v[37:38], v[35:36], v[37:38], s[70:71]
	v_add_f64 v[39:40], v[39:40], -v[53:54]
	v_fma_f64 v[37:38], v[35:36], v[37:38], s[72:73]
	v_add_f64 v[39:40], v[43:44], v[39:40]
	v_add_f64 v[43:44], v[45:46], -v[41:42]
	v_fma_f64 v[37:38], v[35:36], v[37:38], s[74:75]
	v_add_f64 v[39:40], v[45:46], v[39:40]
	v_add_f64 v[33:34], v[33:34], -v[43:44]
	v_mul_f64 v[35:36], v[35:36], v[37:38]
	v_add_f64 v[37:38], v[45:46], -v[43:44]
	v_add_f64 v[45:46], v[47:48], v[39:40]
	v_fma_f64 v[6:7], v[6:7], v[35:36], v[6:7]
	v_add_f64 v[35:36], v[41:42], -v[37:38]
	v_add_f64 v[37:38], v[45:46], -v[47:48]
	v_add_f64 v[41:42], -v[6:7], s[76:77]
	v_add_f64 v[33:34], v[33:34], v[35:36]
	v_add_f64 v[35:36], v[39:40], -v[37:38]
	v_cndmask_b32_e64 v7, v7, v42, s[0:1]
	v_cndmask_b32_e64 v6, v6, v41, s[0:1]
	v_add_f64 v[37:38], -v[6:7], s[90:91]
	v_add_f64 v[33:34], v[33:34], v[35:36]
	v_cndmask_b32_e32 v35, v64, v65, vcc
	v_cndmask_b32_e32 v6, v6, v37, vcc
	;; [unrolled: 1-line block ×3, first 2 shown]
	v_cndmask_b32_e64 v6, v6, v30, s[2:3]
	v_add_f64 v[10:11], v[45:46], v[33:34]
	v_cndmask_b32_e64 v7, v7, v8, s[2:3]
	v_cmp_ngt_f64_e64 s[2:3], 0, v[31:32]
	v_bfi_b32 v33, s38, v35, v13
	s_and_b64 vcc, s[14:15], s[16:17]
	v_cndmask_b32_e32 v7, v7, v33, vcc
	v_cndmask_b32_e32 v6, v6, v19, vcc
	v_cndmask_b32_e64 v8, v10, v31, s[4:5]
	v_cndmask_b32_e64 v10, v11, v32, s[4:5]
	;; [unrolled: 1-line block ×3, first 2 shown]
	v_cmp_nge_f64_e64 s[2:3], 0, v[31:32]
	v_cndmask_b32_e64 v30, 0, v8, s[2:3]
	v_cmp_neq_f64_e64 s[2:3], 0, v[31:32]
	v_cndmask_b32_e64 v31, v61, v10, s[2:3]
.LBB185_213:                            ;   in Loop: Header=BB185_162 Depth=1
	s_or_b64 exec, exec, s[6:7]
                                        ; implicit-def: $vgpr34_vgpr35
.LBB185_214:                            ;   in Loop: Header=BB185_162 Depth=1
	s_andn2_saveexec_b64 s[6:7], s[78:79]
	s_cbranch_execz .LBB185_220
; %bb.215:                              ;   in Loop: Header=BB185_162 Depth=1
	s_mov_b32 s2, 0x6a3f9475
	s_mov_b32 s3, 0x20ca2fe7
	v_cmp_ngt_f64_e32 vcc, s[2:3], v[34:35]
                                        ; implicit-def: $vgpr30_vgpr31
                                        ; implicit-def: $vgpr6_vgpr7
	s_and_saveexec_b64 s[2:3], vcc
	s_xor_b64 s[14:15], exec, s[2:3]
	s_cbranch_execz .LBB185_217
; %bb.216:                              ;   in Loop: Header=BB185_162 Depth=1
	v_mul_f64 v[6:7], v[34:35], v[34:35]
	s_mov_b32 s31, s19
	s_mov_b32 s90, s76
	;; [unrolled: 1-line block ×3, first 2 shown]
	v_cmp_class_f64_e64 s[12:13], v[12:13], s40
	v_cmp_class_f64_e64 s[16:17], v[10:11], s40
	s_mov_b32 s5, 0x7ff00000
	v_add_f64 v[30:31], v[6:7], 1.0
	v_cmp_neq_f64_e64 s[4:5], s[4:5], v[6:7]
	v_frexp_mant_f64_e32 v[34:35], v[30:31]
	v_frexp_exp_i32_f64_e32 v8, v[30:31]
	v_add_f64 v[32:33], v[30:31], -1.0
	v_cmp_gt_f64_e32 vcc, s[18:19], v[34:35]
	v_add_f64 v[36:37], v[32:33], -v[30:31]
	v_add_f64 v[32:33], v[6:7], -v[32:33]
	v_subbrev_co_u32_e32 v8, vcc, 0, v8, vcc
	v_sub_u32_e32 v19, 0, v8
	v_ldexp_f64 v[30:31], v[30:31], v19
	v_add_f64 v[34:35], v[36:37], 1.0
	v_add_f64 v[36:37], v[30:31], 1.0
	v_add_f64 v[32:33], v[32:33], v[34:35]
	v_add_f64 v[42:43], v[30:31], -1.0
	v_add_f64 v[34:35], v[36:37], -1.0
	v_ldexp_f64 v[32:33], v[32:33], v19
	v_add_f64 v[44:45], v[42:43], 1.0
	v_add_f64 v[34:35], v[30:31], -v[34:35]
	v_add_f64 v[30:31], v[30:31], -v[44:45]
	v_add_f64 v[38:39], v[32:33], v[34:35]
	v_add_f64 v[44:45], v[32:33], v[30:31]
	;; [unrolled: 1-line block ×3, first 2 shown]
	v_rcp_f64_e32 v[40:41], v[34:35]
	v_add_f64 v[36:37], v[36:37], -v[34:35]
	v_add_f64 v[38:39], v[38:39], v[36:37]
	v_fma_f64 v[46:47], -v[34:35], v[40:41], 1.0
	v_fma_f64 v[40:41], v[46:47], v[40:41], v[40:41]
	v_add_f64 v[46:47], v[42:43], v[44:45]
	v_fma_f64 v[30:31], -v[34:35], v[40:41], 1.0
	v_add_f64 v[42:43], v[42:43], -v[46:47]
	v_fma_f64 v[30:31], v[30:31], v[40:41], v[40:41]
	v_add_f64 v[42:43], v[44:45], v[42:43]
	v_mul_f64 v[32:33], v[46:47], v[30:31]
	v_mul_f64 v[40:41], v[34:35], v[32:33]
	v_fma_f64 v[36:37], v[32:33], v[34:35], -v[40:41]
	v_fma_f64 v[48:49], v[32:33], v[38:39], v[36:37]
	v_add_f64 v[50:51], v[40:41], v[48:49]
	v_add_f64 v[36:37], v[46:47], -v[50:51]
	v_add_f64 v[40:41], v[50:51], -v[40:41]
	;; [unrolled: 1-line block ×5, first 2 shown]
	v_add_f64 v[42:43], v[42:43], v[44:45]
	v_max_f64 v[44:45], |v[10:11]|, |v[10:11]|
	v_ashrrev_i32_e32 v10, 31, v11
	v_and_b32_e32 v19, 0x54442d18, v10
	v_add_f64 v[40:41], v[40:41], v[42:43]
	v_max_f64 v[42:43], |v[12:13]|, |v[12:13]|
	v_add_f64 v[46:47], v[36:37], v[40:41]
	v_max_f64 v[48:49], v[44:45], v[42:43]
	v_min_f64 v[42:43], v[44:45], v[42:43]
	v_mul_f64 v[44:45], v[30:31], v[46:47]
	v_add_f64 v[36:37], v[36:37], -v[46:47]
	v_div_scale_f64 v[50:51], s[2:3], v[48:49], v[48:49], v[42:43]
	s_mov_b32 s2, 0x69efb384
	s_mov_b32 s3, 0x3f4b2bb0
	v_mul_f64 v[52:53], v[34:35], v[44:45]
	v_add_f64 v[36:37], v[40:41], v[36:37]
	v_fma_f64 v[34:35], v[44:45], v[34:35], -v[52:53]
	v_rcp_f64_e32 v[54:55], v[50:51]
	v_fma_f64 v[34:35], v[44:45], v[38:39], v[34:35]
	v_add_f64 v[38:39], v[52:53], v[34:35]
	v_fma_f64 v[56:57], -v[50:51], v[54:55], 1.0
	v_add_f64 v[66:67], v[46:47], -v[38:39]
	v_add_f64 v[40:41], v[38:39], -v[52:53]
	v_fma_f64 v[54:55], v[54:55], v[56:57], v[54:55]
	v_div_scale_f64 v[56:57], vcc, v[42:43], v[48:49], v[42:43]
	v_add_f64 v[46:47], v[46:47], -v[66:67]
	v_add_f64 v[34:35], v[40:41], -v[34:35]
	v_fma_f64 v[68:69], -v[50:51], v[54:55], 1.0
	v_add_f64 v[40:41], v[32:33], v[44:45]
	v_add_f64 v[38:39], v[46:47], -v[38:39]
	v_fma_f64 v[46:47], v[54:55], v[68:69], v[54:55]
	v_add_f64 v[32:33], v[40:41], -v[32:33]
	v_add_f64 v[36:37], v[36:37], v[38:39]
	v_mul_f64 v[38:39], v[56:57], v[46:47]
	v_add_f64 v[32:33], v[44:45], -v[32:33]
	v_add_f64 v[34:35], v[34:35], v[36:37]
	v_fma_f64 v[36:37], -v[50:51], v[38:39], v[56:57]
	v_add_f64 v[34:35], v[66:67], v[34:35]
	v_div_fmas_f64 v[36:37], v[36:37], v[46:47], v[38:39]
	v_cmp_gt_i32_e32 vcc, 0, v11
	v_mul_f64 v[30:31], v[30:31], v[34:35]
	v_add_f64 v[30:31], v[32:33], v[30:31]
	v_div_fixup_f64 v[32:33], v[36:37], v[48:49], v[42:43]
	v_add_f64 v[34:35], v[40:41], v[30:31]
	v_mul_f64 v[36:37], v[32:33], v[32:33]
	v_mul_f64 v[38:39], v[34:35], v[34:35]
	v_fma_f64 v[42:43], v[36:37], s[80:81], v[22:23]
	v_fma_f64 v[44:45], v[38:39], s[20:21], v[20:21]
	v_mul_f64 v[46:47], v[34:35], v[38:39]
	v_fma_f64 v[42:43], v[36:37], v[42:43], s[2:3]
	v_cmp_eq_f64_e64 s[2:3], 0, v[12:13]
	v_fma_f64 v[44:45], v[38:39], v[44:45], s[22:23]
	v_fma_f64 v[42:43], v[36:37], v[42:43], s[42:43]
	;; [unrolled: 1-line block ×9, first 2 shown]
	v_ldexp_f64 v[44:45], v[34:35], 1
	v_fma_f64 v[42:43], v[36:37], v[42:43], s[50:51]
	v_add_f64 v[34:35], v[34:35], -v[40:41]
	v_mul_f64 v[38:39], v[46:47], v[38:39]
	v_cvt_f64_i32_e32 v[46:47], v8
	v_fma_f64 v[42:43], v[36:37], v[42:43], s[52:53]
	v_add_f64 v[30:31], v[30:31], -v[34:35]
	v_cndmask_b32_e32 v8, v62, v63, vcc
	v_mul_f64 v[48:49], v[46:47], s[34:35]
	v_add_f64 v[40:41], v[44:45], v[38:39]
	v_fma_f64 v[42:43], v[36:37], v[42:43], s[54:55]
	v_ldexp_f64 v[30:31], v[30:31], 1
	v_add_f64 v[34:35], v[40:41], -v[44:45]
	v_fma_f64 v[44:45], v[46:47], s[34:35], -v[48:49]
	v_fma_f64 v[42:43], v[36:37], v[42:43], s[56:57]
	v_add_f64 v[34:35], v[38:39], -v[34:35]
	v_fma_f64 v[38:39], v[36:37], v[42:43], s[58:59]
	v_fma_f64 v[42:43], v[46:47], s[36:37], v[44:45]
	v_add_f64 v[30:31], v[30:31], v[34:35]
	v_fma_f64 v[34:35], v[36:37], v[38:39], s[60:61]
	v_add_f64 v[38:39], v[48:49], v[42:43]
	v_add_f64 v[44:45], v[40:41], v[30:31]
	v_fma_f64 v[34:35], v[36:37], v[34:35], s[62:63]
	v_add_f64 v[48:49], v[38:39], -v[48:49]
	v_add_f64 v[46:47], v[38:39], v[44:45]
	v_add_f64 v[40:41], v[44:45], -v[40:41]
	v_fma_f64 v[34:35], v[36:37], v[34:35], s[64:65]
	v_add_f64 v[42:43], v[42:43], -v[48:49]
	v_add_f64 v[50:51], v[46:47], -v[38:39]
	;; [unrolled: 1-line block ×3, first 2 shown]
	v_fma_f64 v[34:35], v[36:37], v[34:35], s[66:67]
	v_add_f64 v[52:53], v[46:47], -v[50:51]
	v_add_f64 v[40:41], v[44:45], -v[50:51]
	v_fma_f64 v[34:35], v[36:37], v[34:35], s[68:69]
	v_add_f64 v[44:45], v[42:43], v[30:31]
	v_add_f64 v[38:39], v[38:39], -v[52:53]
	v_fma_f64 v[34:35], v[36:37], v[34:35], s[70:71]
	v_add_f64 v[38:39], v[40:41], v[38:39]
	;; [unrolled: 3-line block ×3, first 2 shown]
	v_add_f64 v[44:45], v[44:45], -v[40:41]
	v_fma_f64 v[34:35], v[36:37], v[34:35], s[74:75]
	v_add_f64 v[30:31], v[30:31], -v[40:41]
	v_add_f64 v[48:49], v[46:47], v[38:39]
	v_mul_f64 v[34:35], v[36:37], v[34:35]
	v_add_f64 v[36:37], v[42:43], -v[44:45]
	v_add_f64 v[40:41], v[48:49], -v[46:47]
	v_fma_f64 v[32:33], v[32:33], v[34:35], v[32:33]
	v_add_f64 v[30:31], v[30:31], v[36:37]
	v_add_f64 v[34:35], v[38:39], -v[40:41]
	v_add_f64 v[36:37], -v[32:33], s[76:77]
	v_add_f64 v[30:31], v[30:31], v[34:35]
	v_cndmask_b32_e64 v33, v33, v37, s[0:1]
	v_cndmask_b32_e64 v32, v32, v36, s[0:1]
	v_add_f64 v[34:35], -v[32:33], s[90:91]
	v_and_b32_e32 v36, 0x400921fb, v10
	v_add_f64 v[30:31], v[48:49], v[30:31]
	v_cndmask_b32_e32 v32, v32, v34, vcc
	v_cndmask_b32_e32 v34, v64, v65, vcc
	;; [unrolled: 1-line block ×3, first 2 shown]
	v_bfi_b32 v6, s38, v34, v13
	v_mul_f64 v[10:11], v[30:31], 0.5
	v_cndmask_b32_e64 v19, v32, v19, s[2:3]
	v_cndmask_b32_e64 v7, v7, v36, s[2:3]
	s_and_b64 vcc, s[16:17], s[12:13]
	v_cndmask_b32_e32 v7, v7, v6, vcc
	v_cndmask_b32_e32 v6, v19, v8, vcc
                                        ; implicit-def: $vgpr34_vgpr35
	v_cndmask_b32_e64 v31, v59, v11, s[4:5]
	v_cndmask_b32_e64 v30, 0, v10, s[4:5]
.LBB185_217:                            ;   in Loop: Header=BB185_162 Depth=1
	s_andn2_saveexec_b64 s[4:5], s[14:15]
	s_cbranch_execz .LBB185_219
; %bb.218:                              ;   in Loop: Header=BB185_162 Depth=1
	v_max_f64 v[6:7], |v[12:13]|, |v[12:13]|
	v_max_f64 v[30:31], |v[10:11]|, |v[10:11]|
	s_mov_b32 s90, s76
	v_cmp_class_f64_e64 s[12:13], v[12:13], s40
	v_cmp_class_f64_e64 s[14:15], v[10:11], s40
	v_ashrrev_i32_e32 v8, 31, v11
	v_max_f64 v[32:33], v[30:31], v[6:7]
	v_min_f64 v[6:7], v[30:31], v[6:7]
	v_div_scale_f64 v[30:31], s[2:3], v[32:33], v[32:33], v[6:7]
	s_mov_b32 s2, 0x69efb384
	s_mov_b32 s3, 0x3f4b2bb0
	v_rcp_f64_e32 v[36:37], v[30:31]
	v_fma_f64 v[38:39], -v[30:31], v[36:37], 1.0
	v_fma_f64 v[36:37], v[36:37], v[38:39], v[36:37]
	v_div_scale_f64 v[38:39], vcc, v[6:7], v[32:33], v[6:7]
	v_fma_f64 v[40:41], -v[30:31], v[36:37], 1.0
	v_fma_f64 v[36:37], v[36:37], v[40:41], v[36:37]
	v_mul_f64 v[40:41], v[38:39], v[36:37]
	v_fma_f64 v[30:31], -v[30:31], v[40:41], v[38:39]
	v_div_fmas_f64 v[30:31], v[30:31], v[36:37], v[40:41]
	v_mul_f64 v[36:37], v[34:35], 0.5
	v_cmp_gt_i32_e32 vcc, 0, v11
	v_cndmask_b32_e32 v10, v64, v65, vcc
	v_cndmask_b32_e32 v19, v62, v63, vcc
	v_bfi_b32 v10, s38, v10, v13
	v_div_fixup_f64 v[6:7], v[30:31], v[32:33], v[6:7]
	v_mul_f64 v[30:31], v[6:7], v[6:7]
	v_fma_f64 v[32:33], v[30:31], s[80:81], v[22:23]
	v_fma_f64 v[32:33], v[30:31], v[32:33], s[2:3]
	v_cmp_eq_f64_e64 s[2:3], 0, v[12:13]
	v_fma_f64 v[32:33], v[30:31], v[32:33], s[42:43]
	v_fma_f64 v[32:33], v[30:31], v[32:33], s[44:45]
	;; [unrolled: 1-line block ×17, first 2 shown]
	v_mul_f64 v[30:31], v[30:31], v[32:33]
	v_and_b32_e32 v33, 0x54442d18, v8
	v_and_b32_e32 v8, 0x400921fb, v8
	v_fma_f64 v[6:7], v[6:7], v[30:31], v[6:7]
	v_add_f64 v[30:31], -v[6:7], s[76:77]
	v_cndmask_b32_e64 v7, v7, v31, s[0:1]
	v_cndmask_b32_e64 v6, v6, v30, s[0:1]
	v_add_f64 v[31:32], -v[6:7], s[90:91]
	v_cndmask_b32_e32 v6, v6, v31, vcc
	v_mul_f64 v[30:31], v[34:35], v[36:37]
	v_cndmask_b32_e32 v7, v7, v32, vcc
	v_cndmask_b32_e64 v6, v6, v33, s[2:3]
	v_cndmask_b32_e64 v7, v7, v8, s[2:3]
	s_and_b64 vcc, s[14:15], s[12:13]
	v_cndmask_b32_e32 v7, v7, v10, vcc
	v_cndmask_b32_e32 v6, v6, v19, vcc
.LBB185_219:                            ;   in Loop: Header=BB185_162 Depth=1
	s_or_b64 exec, exec, s[4:5]
.LBB185_220:                            ;   in Loop: Header=BB185_162 Depth=1
	s_or_b64 exec, exec, s[6:7]
.LBB185_221:                            ;   in Loop: Header=BB185_162 Depth=1
	s_andn2_saveexec_b64 s[4:5], s[94:95]
	s_cbranch_execz .LBB185_223
; %bb.222:                              ;   in Loop: Header=BB185_162 Depth=1
	v_div_scale_f64 v[6:7], s[2:3], s[82:83], s[82:83], v[10:11]
	v_div_scale_f64 v[30:31], s[2:3], s[82:83], s[82:83], v[12:13]
	;; [unrolled: 1-line block ×3, first 2 shown]
	s_mov_b32 s31, s19
	s_mov_b32 s90, s76
	v_cmp_class_f64_e64 s[12:13], v[10:11], s40
	v_rcp_f64_e32 v[32:33], v[6:7]
	v_rcp_f64_e32 v[34:35], v[30:31]
	v_fma_f64 v[36:37], -v[6:7], v[32:33], 1.0
	v_fma_f64 v[38:39], -v[30:31], v[34:35], 1.0
	v_fma_f64 v[32:33], v[32:33], v[36:37], v[32:33]
	v_div_scale_f64 v[36:37], vcc, v[10:11], s[82:83], v[10:11]
	v_fma_f64 v[34:35], v[34:35], v[38:39], v[34:35]
	v_fma_f64 v[38:39], -v[6:7], v[32:33], 1.0
	v_fma_f64 v[42:43], -v[30:31], v[34:35], 1.0
	v_fma_f64 v[32:33], v[32:33], v[38:39], v[32:33]
	v_fma_f64 v[34:35], v[34:35], v[42:43], v[34:35]
	v_mul_f64 v[38:39], v[36:37], v[32:33]
	v_mul_f64 v[42:43], v[40:41], v[34:35]
	v_fma_f64 v[6:7], -v[6:7], v[38:39], v[36:37]
	v_fma_f64 v[30:31], -v[30:31], v[42:43], v[40:41]
	v_div_fmas_f64 v[6:7], v[6:7], v[32:33], v[38:39]
	s_mov_b64 vcc, s[2:3]
	v_div_fmas_f64 v[30:31], v[30:31], v[34:35], v[42:43]
	v_max_f64 v[41:42], |v[10:11]|, |v[10:11]|
	v_div_fixup_f64 v[6:7], v[6:7], s[82:83], v[10:11]
	v_ashrrev_i32_e32 v10, 31, v11
	v_div_fixup_f64 v[30:31], v[30:31], s[82:83], v[12:13]
	v_cmp_class_f64_e64 s[2:3], v[6:7], s40
	v_max_f64 v[32:33], |v[6:7]|, |v[30:31]|
	v_cmp_class_f64_e64 s[6:7], v[30:31], s40
	v_frexp_exp_i32_f64_e32 v8, v[32:33]
	v_sub_u32_e32 v19, 0, v8
	v_ldexp_f64 v[32:33], |v[30:31]|, v19
	v_ldexp_f64 v[34:35], |v[6:7]|, v19
	v_mul_f64 v[32:33], v[32:33], v[32:33]
	v_fma_f64 v[32:33], v[34:35], v[34:35], v[32:33]
	v_rsq_f64_e32 v[34:35], v[32:33]
	v_cmp_eq_f64_e32 vcc, 0, v[32:33]
	v_mul_f64 v[36:37], v[32:33], v[34:35]
	v_mul_f64 v[34:35], v[34:35], 0.5
	v_fma_f64 v[38:39], -v[34:35], v[36:37], 0.5
	v_fma_f64 v[36:37], v[36:37], v[38:39], v[36:37]
	v_fma_f64 v[34:35], v[34:35], v[38:39], v[34:35]
	v_fma_f64 v[38:39], -v[36:37], v[36:37], v[32:33]
	v_fma_f64 v[34:35], v[38:39], v[34:35], v[36:37]
	v_max_f64 v[39:40], |v[12:13]|, |v[12:13]|
	v_cndmask_b32_e32 v33, v35, v33, vcc
	v_cndmask_b32_e32 v32, v34, v32, vcc
	v_ldexp_f64 v[32:33], v[32:33], v8
	v_cmp_o_f64_e32 vcc, v[6:7], v[30:31]
	v_and_b32_e32 v30, 0x54442d18, v10
	v_cndmask_b32_e32 v6, 0, v32, vcc
	v_cndmask_b32_e32 v7, v60, v33, vcc
	s_or_b64 vcc, s[2:3], s[6:7]
	v_cndmask_b32_e32 v32, v7, v59, vcc
	v_cndmask_b32_e64 v31, v6, 0, vcc
	v_frexp_mant_f64_e32 v[6:7], v[31:32]
	v_cmp_gt_f64_e64 s[2:3], s[18:19], v[6:7]
	v_cndmask_b32_e64 v8, 0, 1, s[2:3]
	v_ldexp_f64 v[6:7], v[6:7], v8
	v_frexp_exp_i32_f64_e32 v8, v[31:32]
	v_add_f64 v[33:34], v[6:7], 1.0
	v_add_f64 v[45:46], v[6:7], -1.0
	v_rcp_f64_e32 v[35:36], v[33:34]
	v_add_f64 v[49:50], v[33:34], -1.0
	v_add_f64 v[6:7], v[6:7], -v[49:50]
	v_fma_f64 v[37:38], -v[33:34], v[35:36], 1.0
	v_fma_f64 v[35:36], v[37:38], v[35:36], v[35:36]
	v_max_f64 v[37:38], v[41:42], v[39:40]
	v_min_f64 v[39:40], v[41:42], v[39:40]
	v_fma_f64 v[41:42], -v[33:34], v[35:36], 1.0
	v_div_scale_f64 v[43:44], s[6:7], v[37:38], v[37:38], v[39:40]
	s_mov_b32 s6, 0x69efb384
	s_mov_b32 s7, 0x3f4b2bb0
	v_fma_f64 v[35:36], v[41:42], v[35:36], v[35:36]
	v_mul_f64 v[41:42], v[45:46], v[35:36]
	v_rcp_f64_e32 v[47:48], v[43:44]
	v_mul_f64 v[51:52], v[33:34], v[41:42]
	v_fma_f64 v[33:34], v[41:42], v[33:34], -v[51:52]
	v_fma_f64 v[49:50], -v[43:44], v[47:48], 1.0
	v_fma_f64 v[6:7], v[41:42], v[6:7], v[33:34]
	v_fma_f64 v[33:34], v[47:48], v[49:50], v[47:48]
	v_div_scale_f64 v[49:50], vcc, v[39:40], v[37:38], v[39:40]
	v_add_f64 v[47:48], v[51:52], v[6:7]
	v_fma_f64 v[53:54], -v[43:44], v[33:34], 1.0
	v_add_f64 v[55:56], v[45:46], -v[47:48]
	v_add_f64 v[51:52], v[47:48], -v[51:52]
	v_fma_f64 v[33:34], v[33:34], v[53:54], v[33:34]
	v_add_f64 v[45:46], v[45:46], -v[55:56]
	v_add_f64 v[6:7], v[51:52], -v[6:7]
	v_mul_f64 v[53:54], v[49:50], v[33:34]
	v_add_f64 v[45:46], v[45:46], -v[47:48]
	v_fma_f64 v[43:44], -v[43:44], v[53:54], v[49:50]
	v_add_f64 v[6:7], v[6:7], v[45:46]
	v_div_fmas_f64 v[33:34], v[43:44], v[33:34], v[53:54]
	v_subbrev_co_u32_e64 v8, vcc, 0, v8, s[2:3]
	v_cmp_gt_i32_e32 vcc, 0, v11
	v_cmp_eq_f64_e64 s[2:3], 0, v[12:13]
	v_cndmask_b32_e32 v19, v64, v65, vcc
	v_add_f64 v[6:7], v[55:56], v[6:7]
	v_mul_f64 v[6:7], v[35:36], v[6:7]
	v_div_fixup_f64 v[33:34], v[33:34], v[37:38], v[39:40]
	v_add_f64 v[35:36], v[41:42], v[6:7]
	v_mul_f64 v[37:38], v[33:34], v[33:34]
	v_mul_f64 v[39:40], v[35:36], v[35:36]
	v_fma_f64 v[43:44], v[37:38], s[80:81], v[22:23]
	v_fma_f64 v[45:46], v[39:40], s[20:21], v[20:21]
	v_mul_f64 v[47:48], v[35:36], v[39:40]
	v_fma_f64 v[43:44], v[37:38], v[43:44], s[6:7]
	v_cmp_class_f64_e64 s[6:7], v[12:13], s40
	v_fma_f64 v[45:46], v[39:40], v[45:46], s[22:23]
	v_fma_f64 v[43:44], v[37:38], v[43:44], s[42:43]
	;; [unrolled: 1-line block ×9, first 2 shown]
	v_ldexp_f64 v[45:46], v[35:36], 1
	v_fma_f64 v[43:44], v[37:38], v[43:44], s[50:51]
	v_add_f64 v[35:36], v[35:36], -v[41:42]
	v_mul_f64 v[39:40], v[47:48], v[39:40]
	v_cvt_f64_i32_e32 v[47:48], v8
	v_fma_f64 v[43:44], v[37:38], v[43:44], s[52:53]
	v_add_f64 v[6:7], v[6:7], -v[35:36]
	v_cndmask_b32_e32 v8, v62, v63, vcc
	v_mul_f64 v[49:50], v[47:48], s[34:35]
	v_add_f64 v[41:42], v[45:46], v[39:40]
	v_fma_f64 v[43:44], v[37:38], v[43:44], s[54:55]
	v_ldexp_f64 v[6:7], v[6:7], 1
	v_add_f64 v[35:36], v[41:42], -v[45:46]
	v_fma_f64 v[45:46], v[47:48], s[34:35], -v[49:50]
	v_fma_f64 v[43:44], v[37:38], v[43:44], s[56:57]
	v_add_f64 v[35:36], v[39:40], -v[35:36]
	v_fma_f64 v[39:40], v[37:38], v[43:44], s[58:59]
	v_fma_f64 v[43:44], v[47:48], s[36:37], v[45:46]
	v_add_f64 v[6:7], v[6:7], v[35:36]
	v_fma_f64 v[35:36], v[37:38], v[39:40], s[60:61]
	v_add_f64 v[39:40], v[49:50], v[43:44]
	v_add_f64 v[45:46], v[41:42], v[6:7]
	v_fma_f64 v[35:36], v[37:38], v[35:36], s[62:63]
	v_add_f64 v[49:50], v[39:40], -v[49:50]
	v_add_f64 v[47:48], v[39:40], v[45:46]
	v_add_f64 v[41:42], v[45:46], -v[41:42]
	v_fma_f64 v[35:36], v[37:38], v[35:36], s[64:65]
	v_add_f64 v[43:44], v[43:44], -v[49:50]
	v_add_f64 v[51:52], v[47:48], -v[39:40]
	;; [unrolled: 1-line block ×3, first 2 shown]
	v_fma_f64 v[35:36], v[37:38], v[35:36], s[66:67]
	v_add_f64 v[53:54], v[47:48], -v[51:52]
	v_add_f64 v[41:42], v[45:46], -v[51:52]
	v_fma_f64 v[35:36], v[37:38], v[35:36], s[68:69]
	v_add_f64 v[45:46], v[43:44], v[6:7]
	v_add_f64 v[39:40], v[39:40], -v[53:54]
	v_fma_f64 v[35:36], v[37:38], v[35:36], s[70:71]
	v_add_f64 v[39:40], v[41:42], v[39:40]
	;; [unrolled: 3-line block ×3, first 2 shown]
	v_add_f64 v[45:46], v[45:46], -v[41:42]
	v_fma_f64 v[35:36], v[37:38], v[35:36], s[74:75]
	v_add_f64 v[6:7], v[6:7], -v[41:42]
	v_add_f64 v[49:50], v[47:48], v[39:40]
	v_mul_f64 v[35:36], v[37:38], v[35:36]
	v_add_f64 v[37:38], v[43:44], -v[45:46]
	v_add_f64 v[41:42], v[49:50], -v[47:48]
	v_fma_f64 v[33:34], v[33:34], v[35:36], v[33:34]
	v_add_f64 v[6:7], v[6:7], v[37:38]
	v_add_f64 v[35:36], v[39:40], -v[41:42]
	v_add_f64 v[37:38], -v[33:34], s[76:77]
	v_add_f64 v[6:7], v[6:7], v[35:36]
	v_cndmask_b32_e64 v34, v34, v38, s[0:1]
	v_cndmask_b32_e64 v33, v33, v37, s[0:1]
	v_cmp_class_f64_e64 s[0:1], v[31:32], s40
	v_add_f64 v[35:36], -v[33:34], s[90:91]
	v_add_f64 v[6:7], v[49:50], v[6:7]
	v_cndmask_b32_e32 v33, v33, v35, vcc
	v_and_b32_e32 v35, 0x400921fb, v10
	v_cndmask_b32_e64 v7, v7, v32, s[0:1]
	v_cndmask_b32_e64 v6, v6, v31, s[0:1]
	v_add_f64 v[10:11], v[6:7], 1.0
	v_cmp_ngt_f64_e64 s[0:1], 0, v[31:32]
	v_cndmask_b32_e32 v7, v34, v36, vcc
	v_bfi_b32 v6, s38, v19, v13
	v_cndmask_b32_e64 v7, v7, v35, s[2:3]
	s_and_b64 vcc, s[12:13], s[6:7]
	v_cndmask_b32_e32 v7, v7, v6, vcc
	v_cndmask_b32_e64 v19, v33, v30, s[2:3]
	v_cndmask_b32_e64 v6, v60, v11, s[0:1]
	v_cmp_nge_f64_e64 s[0:1], 0, v[31:32]
	v_cndmask_b32_e64 v30, 0, v10, s[0:1]
	v_cmp_neq_f64_e64 s[0:1], 0, v[31:32]
	v_cndmask_b32_e64 v31, v61, v6, s[0:1]
	v_cndmask_b32_e32 v6, v19, v8, vcc
.LBB185_223:                            ;   in Loop: Header=BB185_162 Depth=1
	s_or_b64 exec, exec, s[4:5]
.LBB185_224:                            ;   in Loop: Header=BB185_162 Depth=1
	s_andn2_saveexec_b64 s[0:1], s[92:93]
	s_cbranch_execz .LBB185_230
; %bb.225:                              ;   in Loop: Header=BB185_162 Depth=1
	v_cmp_nlt_f64_e64 s[2:3], |v[10:11]|, s[88:89]
	v_cmp_nlt_f64_e64 s[4:5], |v[12:13]|, s[88:89]
                                        ; implicit-def: $vgpr31_vgpr32
	s_or_b64 s[2:3], s[2:3], s[4:5]
	s_and_saveexec_b64 s[4:5], s[2:3]
	s_xor_b64 s[2:3], exec, s[4:5]
	s_cbranch_execz .LBB185_227
; %bb.226:                              ;   in Loop: Header=BB185_162 Depth=1
	v_mul_f64 v[6:7], v[12:13], v[12:13]
	v_fma_f64 v[31:32], v[10:11], v[10:11], v[6:7]
.LBB185_227:                            ;   in Loop: Header=BB185_162 Depth=1
	s_andn2_saveexec_b64 s[2:3], s[2:3]
	s_cbranch_execz .LBB185_229
; %bb.228:                              ;   in Loop: Header=BB185_162 Depth=1
	v_mul_f64 v[6:7], v[12:13], 4.0
	v_mul_f64 v[10:11], v[10:11], 4.0
	v_mul_f64 v[6:7], v[6:7], v[6:7]
	v_fma_f64 v[6:7], v[10:11], v[10:11], v[6:7]
	v_ldexp_f64 v[31:32], v[6:7], -4
.LBB185_229:                            ;   in Loop: Header=BB185_162 Depth=1
	s_or_b64 exec, exec, s[2:3]
	v_frexp_mant_f64_e32 v[6:7], v[31:32]
	s_mov_b32 s31, s19
	v_cmp_gt_f64_e32 vcc, s[18:19], v[6:7]
	v_cndmask_b32_e64 v8, 0, 1, vcc
	v_ldexp_f64 v[6:7], v[6:7], v8
	v_frexp_exp_i32_f64_e32 v8, v[31:32]
	v_add_f64 v[10:11], v[6:7], 1.0
	v_add_f64 v[37:38], v[6:7], -1.0
	v_subbrev_co_u32_e32 v8, vcc, 0, v8, vcc
	v_cmp_class_f64_e64 vcc, v[31:32], s40
	v_rcp_f64_e32 v[33:34], v[10:11]
	v_add_f64 v[39:40], v[10:11], -1.0
	v_add_f64 v[6:7], v[6:7], -v[39:40]
	v_fma_f64 v[35:36], -v[10:11], v[33:34], 1.0
	v_fma_f64 v[33:34], v[35:36], v[33:34], v[33:34]
	v_fma_f64 v[35:36], -v[10:11], v[33:34], 1.0
	v_fma_f64 v[33:34], v[35:36], v[33:34], v[33:34]
	v_mul_f64 v[35:36], v[37:38], v[33:34]
	v_mul_f64 v[41:42], v[10:11], v[35:36]
	v_fma_f64 v[10:11], v[35:36], v[10:11], -v[41:42]
	v_fma_f64 v[6:7], v[35:36], v[6:7], v[10:11]
	v_add_f64 v[10:11], v[41:42], v[6:7]
	v_add_f64 v[39:40], v[37:38], -v[10:11]
	v_add_f64 v[41:42], v[10:11], -v[41:42]
	;; [unrolled: 1-line block ×5, first 2 shown]
	v_add_f64 v[6:7], v[6:7], v[10:11]
	v_add_f64 v[6:7], v[39:40], v[6:7]
	v_mul_f64 v[6:7], v[33:34], v[6:7]
	v_add_f64 v[10:11], v[35:36], v[6:7]
	v_mul_f64 v[33:34], v[10:11], v[10:11]
	v_fma_f64 v[37:38], v[33:34], s[20:21], v[20:21]
	v_mul_f64 v[39:40], v[10:11], v[33:34]
	v_fma_f64 v[37:38], v[33:34], v[37:38], s[22:23]
	v_fma_f64 v[37:38], v[33:34], v[37:38], s[24:25]
	;; [unrolled: 1-line block ×5, first 2 shown]
	v_ldexp_f64 v[37:38], v[10:11], 1
	v_add_f64 v[10:11], v[10:11], -v[35:36]
	v_mul_f64 v[33:34], v[39:40], v[33:34]
	v_cvt_f64_i32_e32 v[39:40], v8
	v_add_f64 v[6:7], v[6:7], -v[10:11]
	v_mul_f64 v[41:42], v[39:40], s[34:35]
	v_add_f64 v[35:36], v[37:38], v[33:34]
	v_ldexp_f64 v[6:7], v[6:7], 1
	v_add_f64 v[10:11], v[35:36], -v[37:38]
	v_fma_f64 v[37:38], v[39:40], s[34:35], -v[41:42]
	v_add_f64 v[10:11], v[33:34], -v[10:11]
	v_fma_f64 v[33:34], v[39:40], s[36:37], v[37:38]
	v_add_f64 v[6:7], v[6:7], v[10:11]
	v_add_f64 v[10:11], v[41:42], v[33:34]
	;; [unrolled: 1-line block ×3, first 2 shown]
	v_add_f64 v[41:42], v[10:11], -v[41:42]
	v_add_f64 v[39:40], v[10:11], v[37:38]
	v_add_f64 v[35:36], v[37:38], -v[35:36]
	v_add_f64 v[33:34], v[33:34], -v[41:42]
	v_add_f64 v[43:44], v[39:40], -v[10:11]
	v_add_f64 v[6:7], v[6:7], -v[35:36]
	v_add_f64 v[45:46], v[39:40], -v[43:44]
	v_add_f64 v[35:36], v[37:38], -v[43:44]
	v_add_f64 v[37:38], v[33:34], v[6:7]
	v_add_f64 v[10:11], v[10:11], -v[45:46]
	v_add_f64 v[10:11], v[35:36], v[10:11]
	v_add_f64 v[35:36], v[37:38], -v[33:34]
	;; [unrolled: 2-line block ×3, first 2 shown]
	v_add_f64 v[6:7], v[6:7], -v[35:36]
	v_add_f64 v[41:42], v[39:40], v[10:11]
	v_add_f64 v[33:34], v[33:34], -v[37:38]
	v_add_f64 v[35:36], v[41:42], -v[39:40]
	v_add_f64 v[6:7], v[6:7], v[33:34]
	v_add_f64 v[10:11], v[10:11], -v[35:36]
	v_add_f64 v[6:7], v[6:7], v[10:11]
	v_add_f64 v[10:11], v[41:42], v[6:7]
	v_mov_b32_e32 v6, 0
	v_mov_b32_e32 v7, 0x7ff80000
	v_cndmask_b32_e32 v8, v10, v31, vcc
	v_cndmask_b32_e32 v10, v11, v32, vcc
	v_cmp_ngt_f64_e32 vcc, 0, v[31:32]
	v_cndmask_b32_e32 v10, v60, v10, vcc
	v_cmp_nge_f64_e32 vcc, 0, v[31:32]
	v_cndmask_b32_e32 v30, 0, v8, vcc
	v_cmp_neq_f64_e32 vcc, 0, v[31:32]
	v_cndmask_b32_e32 v31, v61, v10, vcc
.LBB185_230:                            ;   in Loop: Header=BB185_162 Depth=1
	s_or_b64 exec, exec, s[0:1]
	s_waitcnt vmcnt(0)
	v_cmp_o_f64_e32 vcc, v[14:15], v[16:17]
                                        ; implicit-def: $vgpr10_vgpr11
                                        ; implicit-def: $vgpr32_vgpr33
	s_and_saveexec_b64 s[0:1], vcc
	s_xor_b64 s[92:93], exec, s[0:1]
	s_cbranch_execz .LBB185_258
; %bb.231:                              ;   in Loop: Header=BB185_162 Depth=1
	v_cmp_lt_f64_e64 s[0:1], |v[14:15]|, |v[16:17]|
	v_and_b32_e32 v8, 0x7fffffff, v15
	v_and_b32_e32 v12, 0x7fffffff, v17
	s_mov_b32 s2, 0x85ebc8a0
	s_mov_b32 s3, 0x7fd1ccf3
	v_mov_b32_e32 v19, v16
                                        ; implicit-def: $vgpr10_vgpr11
                                        ; implicit-def: $vgpr32_vgpr33
	v_cndmask_b32_e64 v37, v12, v8, s[0:1]
	v_cndmask_b32_e64 v36, v16, v14, s[0:1]
	v_cmp_nlt_f64_e32 vcc, s[2:3], v[36:37]
	s_and_saveexec_b64 s[2:3], vcc
	s_xor_b64 s[94:95], exec, s[2:3]
	s_cbranch_execz .LBB185_255
; %bb.232:                              ;   in Loop: Header=BB185_162 Depth=1
	v_cndmask_b32_e64 v39, v8, v12, s[0:1]
	v_cndmask_b32_e64 v38, v14, v19, s[0:1]
	v_cmp_neq_f64_e32 vcc, 1.0, v[38:39]
                                        ; implicit-def: $vgpr10_vgpr11
                                        ; implicit-def: $vgpr32_vgpr33
	s_and_saveexec_b64 s[2:3], vcc
	s_xor_b64 s[78:79], exec, s[2:3]
	s_cbranch_execz .LBB185_248
; %bb.233:                              ;   in Loop: Header=BB185_162 Depth=1
	v_max_f64 v[10:11], v[36:37], v[36:37]
	v_max_f64 v[32:33], v[38:39], v[38:39]
	s_mov_b32 s2, 0x4ad4b81f
	s_mov_b32 s3, 0x358dee7a
	v_min_f64 v[34:35], v[32:33], v[10:11]
	v_max_f64 v[10:11], v[32:33], v[10:11]
                                        ; implicit-def: $vgpr32_vgpr33
	v_cmp_ngt_f64_e32 vcc, s[2:3], v[34:35]
	s_mov_b32 s2, 0xc57e649a
	s_mov_b32 s3, 0x4a511b0e
	v_cmp_nlt_f64_e64 s[2:3], s[2:3], v[10:11]
                                        ; implicit-def: $vgpr10_vgpr11
	s_and_b64 s[2:3], s[2:3], vcc
	s_and_saveexec_b64 s[4:5], s[2:3]
	s_xor_b64 s[86:87], exec, s[4:5]
	s_cbranch_execz .LBB185_245
; %bb.234:                              ;   in Loop: Header=BB185_162 Depth=1
	v_cmp_le_f64_e32 vcc, 1.0, v[38:39]
                                        ; implicit-def: $vgpr10_vgpr11
                                        ; implicit-def: $vgpr32_vgpr33
	s_and_saveexec_b64 s[2:3], vcc
	s_xor_b64 s[14:15], exec, s[2:3]
	s_cbranch_execz .LBB185_236
; %bb.235:                              ;   in Loop: Header=BB185_162 Depth=1
	v_add_f64 v[10:11], v[38:39], -1.0
	v_add_f64 v[32:33], v[38:39], 1.0
	s_mov_b32 s31, s19
	s_mov_b32 s90, s76
	;; [unrolled: 1-line block ×4, first 2 shown]
	v_cmp_class_f64_e64 s[12:13], v[16:17], s40
	v_cmp_class_f64_e64 s[16:17], v[14:15], s40
	v_mul_f64 v[10:11], v[10:11], v[32:33]
	v_fma_f64 v[11:12], v[36:37], v[36:37], v[10:11]
	v_add_f64 v[32:33], v[11:12], 1.0
	v_cmp_nge_f64_e64 s[4:5], -1.0, v[11:12]
	v_cmp_neq_f64_e64 s[6:7], s[6:7], v[11:12]
	v_frexp_mant_f64_e32 v[36:37], v[32:33]
	v_frexp_exp_i32_f64_e32 v8, v[32:33]
	v_add_f64 v[34:35], v[32:33], -1.0
	v_cmp_gt_f64_e32 vcc, s[18:19], v[36:37]
	v_add_f64 v[38:39], v[34:35], -v[32:33]
	v_add_f64 v[34:35], v[11:12], -v[34:35]
	v_subbrev_co_u32_e32 v8, vcc, 0, v8, vcc
	v_sub_u32_e32 v10, 0, v8
	v_ldexp_f64 v[32:33], v[32:33], v10
	v_add_f64 v[36:37], v[38:39], 1.0
	v_add_f64 v[38:39], v[32:33], 1.0
	v_add_f64 v[34:35], v[34:35], v[36:37]
	v_add_f64 v[44:45], v[32:33], -1.0
	v_add_f64 v[36:37], v[38:39], -1.0
	v_ldexp_f64 v[34:35], v[34:35], v10
	v_add_f64 v[46:47], v[44:45], 1.0
	v_ashrrev_i32_e32 v10, 31, v15
	v_add_f64 v[36:37], v[32:33], -v[36:37]
	v_add_f64 v[32:33], v[32:33], -v[46:47]
	v_add_f64 v[40:41], v[34:35], v[36:37]
	v_add_f64 v[46:47], v[34:35], v[32:33]
	;; [unrolled: 1-line block ×3, first 2 shown]
	v_rcp_f64_e32 v[42:43], v[36:37]
	v_add_f64 v[38:39], v[36:37], -v[38:39]
	v_add_f64 v[40:41], v[40:41], -v[38:39]
	v_fma_f64 v[48:49], -v[36:37], v[42:43], 1.0
	v_fma_f64 v[42:43], v[48:49], v[42:43], v[42:43]
	v_add_f64 v[48:49], v[44:45], v[46:47]
	v_fma_f64 v[32:33], -v[36:37], v[42:43], 1.0
	v_add_f64 v[44:45], v[48:49], -v[44:45]
	v_fma_f64 v[32:33], v[32:33], v[42:43], v[42:43]
	v_add_f64 v[44:45], v[46:47], -v[44:45]
	v_mul_f64 v[34:35], v[48:49], v[32:33]
	v_mul_f64 v[42:43], v[36:37], v[34:35]
	v_fma_f64 v[38:39], v[34:35], v[36:37], -v[42:43]
	v_fma_f64 v[50:51], v[34:35], v[40:41], v[38:39]
	v_add_f64 v[52:53], v[42:43], v[50:51]
	v_add_f64 v[38:39], v[48:49], -v[52:53]
	v_add_f64 v[42:43], v[52:53], -v[42:43]
	;; [unrolled: 1-line block ×5, first 2 shown]
	v_add_f64 v[44:45], v[44:45], v[46:47]
	v_max_f64 v[46:47], |v[14:15]|, |v[14:15]|
	v_add_f64 v[42:43], v[42:43], v[44:45]
	v_max_f64 v[44:45], |v[16:17]|, |v[16:17]|
	v_add_f64 v[48:49], v[38:39], v[42:43]
	v_max_f64 v[50:51], v[46:47], v[44:45]
	v_min_f64 v[44:45], v[46:47], v[44:45]
	v_mul_f64 v[46:47], v[32:33], v[48:49]
	v_add_f64 v[38:39], v[38:39], -v[48:49]
	v_div_scale_f64 v[52:53], s[2:3], v[50:51], v[50:51], v[44:45]
	s_mov_b32 s2, 0x69efb384
	s_mov_b32 s3, 0x3f4b2bb0
	v_mul_f64 v[54:55], v[36:37], v[46:47]
	v_add_f64 v[38:39], v[42:43], v[38:39]
	v_fma_f64 v[36:37], v[46:47], v[36:37], -v[54:55]
	v_rcp_f64_e32 v[56:57], v[52:53]
	v_fma_f64 v[36:37], v[46:47], v[40:41], v[36:37]
	v_add_f64 v[40:41], v[54:55], v[36:37]
	v_fma_f64 v[66:67], -v[52:53], v[56:57], 1.0
	v_add_f64 v[68:69], v[48:49], -v[40:41]
	v_add_f64 v[42:43], v[40:41], -v[54:55]
	v_fma_f64 v[56:57], v[56:57], v[66:67], v[56:57]
	v_div_scale_f64 v[66:67], vcc, v[44:45], v[50:51], v[44:45]
	v_add_f64 v[48:49], v[48:49], -v[68:69]
	v_add_f64 v[36:37], v[42:43], -v[36:37]
	v_fma_f64 v[70:71], -v[52:53], v[56:57], 1.0
	v_add_f64 v[42:43], v[34:35], v[46:47]
	v_add_f64 v[40:41], v[48:49], -v[40:41]
	v_fma_f64 v[48:49], v[56:57], v[70:71], v[56:57]
	v_add_f64 v[34:35], v[42:43], -v[34:35]
	v_add_f64 v[38:39], v[38:39], v[40:41]
	v_mul_f64 v[40:41], v[66:67], v[48:49]
	v_add_f64 v[34:35], v[46:47], -v[34:35]
	v_add_f64 v[36:37], v[36:37], v[38:39]
	v_fma_f64 v[38:39], -v[52:53], v[40:41], v[66:67]
	v_add_f64 v[36:37], v[68:69], v[36:37]
	v_div_fmas_f64 v[38:39], v[38:39], v[48:49], v[40:41]
	v_cmp_gt_i32_e32 vcc, 0, v15
	v_cndmask_b32_e32 v19, v64, v65, vcc
	v_bfi_b32 v19, s38, v19, v17
	v_mul_f64 v[32:33], v[32:33], v[36:37]
	v_add_f64 v[32:33], v[34:35], v[32:33]
	v_div_fixup_f64 v[34:35], v[38:39], v[50:51], v[44:45]
	v_add_f64 v[36:37], v[42:43], v[32:33]
	v_mul_f64 v[38:39], v[34:35], v[34:35]
	v_mul_f64 v[40:41], v[36:37], v[36:37]
	v_fma_f64 v[44:45], v[38:39], s[80:81], v[22:23]
	v_fma_f64 v[46:47], v[40:41], s[20:21], v[20:21]
	v_mul_f64 v[48:49], v[36:37], v[40:41]
	v_fma_f64 v[44:45], v[38:39], v[44:45], s[2:3]
	v_cmp_eq_f64_e64 s[2:3], 0, v[16:17]
	v_fma_f64 v[46:47], v[40:41], v[46:47], s[22:23]
	v_fma_f64 v[44:45], v[38:39], v[44:45], s[42:43]
	;; [unrolled: 1-line block ×9, first 2 shown]
	v_ldexp_f64 v[46:47], v[36:37], 1
	v_fma_f64 v[44:45], v[38:39], v[44:45], s[50:51]
	v_add_f64 v[36:37], v[36:37], -v[42:43]
	v_mul_f64 v[40:41], v[48:49], v[40:41]
	v_cvt_f64_i32_e32 v[48:49], v8
	v_fma_f64 v[44:45], v[38:39], v[44:45], s[52:53]
	v_add_f64 v[32:33], v[32:33], -v[36:37]
	v_cndmask_b32_e32 v8, v62, v63, vcc
	v_mul_f64 v[50:51], v[48:49], s[34:35]
	v_add_f64 v[42:43], v[46:47], v[40:41]
	v_fma_f64 v[44:45], v[38:39], v[44:45], s[54:55]
	v_ldexp_f64 v[32:33], v[32:33], 1
	v_add_f64 v[36:37], v[42:43], -v[46:47]
	v_fma_f64 v[46:47], v[48:49], s[34:35], -v[50:51]
	v_fma_f64 v[44:45], v[38:39], v[44:45], s[56:57]
	v_add_f64 v[36:37], v[40:41], -v[36:37]
	v_fma_f64 v[40:41], v[38:39], v[44:45], s[58:59]
	v_fma_f64 v[44:45], v[48:49], s[36:37], v[46:47]
	v_add_f64 v[32:33], v[32:33], v[36:37]
	v_fma_f64 v[36:37], v[38:39], v[40:41], s[60:61]
	v_add_f64 v[40:41], v[50:51], v[44:45]
	v_add_f64 v[46:47], v[42:43], v[32:33]
	v_fma_f64 v[36:37], v[38:39], v[36:37], s[62:63]
	v_add_f64 v[50:51], v[40:41], -v[50:51]
	v_add_f64 v[48:49], v[40:41], v[46:47]
	v_add_f64 v[42:43], v[46:47], -v[42:43]
	v_fma_f64 v[36:37], v[38:39], v[36:37], s[64:65]
	v_add_f64 v[44:45], v[44:45], -v[50:51]
	v_add_f64 v[52:53], v[48:49], -v[40:41]
	;; [unrolled: 1-line block ×3, first 2 shown]
	v_fma_f64 v[36:37], v[38:39], v[36:37], s[66:67]
	v_add_f64 v[54:55], v[48:49], -v[52:53]
	v_add_f64 v[42:43], v[46:47], -v[52:53]
	v_fma_f64 v[36:37], v[38:39], v[36:37], s[68:69]
	v_add_f64 v[46:47], v[44:45], v[32:33]
	v_add_f64 v[40:41], v[40:41], -v[54:55]
	v_fma_f64 v[36:37], v[38:39], v[36:37], s[70:71]
	v_add_f64 v[40:41], v[42:43], v[40:41]
	;; [unrolled: 3-line block ×3, first 2 shown]
	v_add_f64 v[46:47], v[46:47], -v[42:43]
	v_fma_f64 v[36:37], v[38:39], v[36:37], s[74:75]
	v_add_f64 v[32:33], v[32:33], -v[42:43]
	v_add_f64 v[50:51], v[48:49], v[40:41]
	v_mul_f64 v[36:37], v[38:39], v[36:37]
	v_add_f64 v[38:39], v[44:45], -v[46:47]
	v_add_f64 v[42:43], v[50:51], -v[48:49]
	v_fma_f64 v[34:35], v[34:35], v[36:37], v[34:35]
	v_add_f64 v[32:33], v[32:33], v[38:39]
	v_add_f64 v[36:37], v[40:41], -v[42:43]
	v_add_f64 v[38:39], -v[34:35], s[76:77]
	v_add_f64 v[32:33], v[32:33], v[36:37]
	v_cndmask_b32_e64 v35, v35, v39, s[0:1]
	v_cndmask_b32_e64 v34, v34, v38, s[0:1]
	v_add_f64 v[36:37], -v[34:35], s[90:91]
	v_and_b32_e32 v38, 0x54442d18, v10
	v_and_b32_e32 v10, 0x400921fb, v10
	v_add_f64 v[32:33], v[50:51], v[32:33]
	v_cndmask_b32_e32 v34, v34, v36, vcc
	v_cndmask_b32_e64 v34, v34, v38, s[2:3]
                                        ; implicit-def: $vgpr38_vgpr39
	v_mul_f64 v[14:15], v[32:33], 0.5
	v_cndmask_b32_e32 v32, v35, v37, vcc
	v_cndmask_b32_e64 v10, v32, v10, s[2:3]
	s_and_b64 vcc, s[16:17], s[12:13]
	s_and_b64 s[2:3], s[4:5], s[6:7]
	v_cndmask_b32_e32 v33, v10, v19, vcc
	v_cndmask_b32_e32 v32, v34, v8, vcc
                                        ; implicit-def: $vgpr36_vgpr37
	v_cndmask_b32_e64 v10, 0, v14, s[2:3]
	v_cmp_ngt_f64_e64 s[2:3], -1.0, v[11:12]
	v_cndmask_b32_e64 v15, v59, v15, s[6:7]
	v_cndmask_b32_e64 v14, v60, v15, s[2:3]
	v_cmp_neq_f64_e64 s[2:3], -1.0, v[11:12]
	v_cndmask_b32_e64 v11, v61, v14, s[2:3]
.LBB185_236:                            ;   in Loop: Header=BB185_162 Depth=1
	s_andn2_saveexec_b64 s[14:15], s[14:15]
	s_cbranch_execz .LBB185_244
; %bb.237:                              ;   in Loop: Header=BB185_162 Depth=1
	v_mul_f64 v[10:11], v[36:37], v[36:37]
	s_mov_b32 s2, 0x66666666
	s_mov_b32 s3, 0x3fe66666
                                        ; implicit-def: $vgpr32_vgpr33
	v_fma_f64 v[34:35], v[38:39], v[38:39], v[10:11]
                                        ; implicit-def: $vgpr10_vgpr11
	v_cmp_ge_f64_e32 vcc, s[2:3], v[34:35]
	s_and_saveexec_b64 s[2:3], vcc
	s_xor_b64 s[6:7], exec, s[2:3]
	s_cbranch_execz .LBB185_239
; %bb.238:                              ;   in Loop: Header=BB185_162 Depth=1
	v_frexp_mant_f64_e32 v[10:11], v[34:35]
	v_max_f64 v[40:41], |v[16:17]|, |v[16:17]|
	v_max_f64 v[42:43], |v[14:15]|, |v[14:15]|
	s_mov_b32 s31, s19
	s_mov_b32 s90, s76
	v_cmp_class_f64_e64 s[12:13], v[16:17], s40
	v_cmp_class_f64_e64 s[16:17], v[14:15], s40
	v_ashrrev_i32_e32 v12, 31, v15
	v_cmp_gt_f64_e64 s[2:3], s[18:19], v[10:11]
	v_and_b32_e32 v14, 0x54442d18, v12
	v_and_b32_e32 v12, 0x400921fb, v12
	v_cndmask_b32_e64 v8, 0, 1, s[2:3]
	v_ldexp_f64 v[10:11], v[10:11], v8
	v_frexp_exp_i32_f64_e32 v8, v[34:35]
	v_add_f64 v[32:33], v[10:11], 1.0
	v_add_f64 v[46:47], v[10:11], -1.0
	v_rcp_f64_e32 v[36:37], v[32:33]
	v_add_f64 v[50:51], v[32:33], -1.0
	v_add_f64 v[10:11], v[10:11], -v[50:51]
	v_fma_f64 v[38:39], -v[32:33], v[36:37], 1.0
	v_fma_f64 v[36:37], v[38:39], v[36:37], v[36:37]
	v_max_f64 v[38:39], v[42:43], v[40:41]
	v_min_f64 v[40:41], v[42:43], v[40:41]
	v_fma_f64 v[42:43], -v[32:33], v[36:37], 1.0
	v_div_scale_f64 v[44:45], s[4:5], v[38:39], v[38:39], v[40:41]
	s_mov_b32 s4, 0x69efb384
	s_mov_b32 s5, 0x3f4b2bb0
	v_fma_f64 v[36:37], v[42:43], v[36:37], v[36:37]
	v_mul_f64 v[42:43], v[46:47], v[36:37]
	v_rcp_f64_e32 v[48:49], v[44:45]
	v_mul_f64 v[52:53], v[32:33], v[42:43]
	v_fma_f64 v[32:33], v[42:43], v[32:33], -v[52:53]
	v_fma_f64 v[50:51], -v[44:45], v[48:49], 1.0
	v_fma_f64 v[10:11], v[42:43], v[10:11], v[32:33]
	v_fma_f64 v[32:33], v[48:49], v[50:51], v[48:49]
	v_div_scale_f64 v[50:51], vcc, v[40:41], v[38:39], v[40:41]
	v_add_f64 v[48:49], v[52:53], v[10:11]
	v_fma_f64 v[54:55], -v[44:45], v[32:33], 1.0
	v_add_f64 v[56:57], v[46:47], -v[48:49]
	v_add_f64 v[52:53], v[48:49], -v[52:53]
	v_fma_f64 v[32:33], v[32:33], v[54:55], v[32:33]
	v_add_f64 v[46:47], v[46:47], -v[56:57]
	v_add_f64 v[10:11], v[52:53], -v[10:11]
	v_mul_f64 v[54:55], v[50:51], v[32:33]
	v_add_f64 v[46:47], v[46:47], -v[48:49]
	v_fma_f64 v[44:45], -v[44:45], v[54:55], v[50:51]
	v_add_f64 v[10:11], v[10:11], v[46:47]
	v_div_fmas_f64 v[32:33], v[44:45], v[32:33], v[54:55]
	v_subbrev_co_u32_e64 v8, vcc, 0, v8, s[2:3]
	v_cmp_eq_f64_e64 s[2:3], 0, v[16:17]
	v_cmp_gt_i32_e32 vcc, 0, v15
	v_cndmask_b32_e32 v19, v64, v65, vcc
	v_add_f64 v[10:11], v[56:57], v[10:11]
	v_bfi_b32 v19, s38, v19, v17
	v_mul_f64 v[10:11], v[36:37], v[10:11]
	v_div_fixup_f64 v[32:33], v[32:33], v[38:39], v[40:41]
	v_add_f64 v[36:37], v[42:43], v[10:11]
	v_mul_f64 v[38:39], v[32:33], v[32:33]
	v_mul_f64 v[40:41], v[36:37], v[36:37]
	v_fma_f64 v[44:45], v[38:39], s[80:81], v[22:23]
	v_fma_f64 v[46:47], v[40:41], s[20:21], v[20:21]
	v_mul_f64 v[48:49], v[36:37], v[40:41]
	v_fma_f64 v[44:45], v[38:39], v[44:45], s[4:5]
	v_cmp_neq_f64_e64 s[4:5], 0, v[34:35]
	v_fma_f64 v[46:47], v[40:41], v[46:47], s[22:23]
	v_fma_f64 v[44:45], v[38:39], v[44:45], s[42:43]
	;; [unrolled: 1-line block ×9, first 2 shown]
	v_ldexp_f64 v[46:47], v[36:37], 1
	v_fma_f64 v[44:45], v[38:39], v[44:45], s[50:51]
	v_add_f64 v[36:37], v[36:37], -v[42:43]
	v_mul_f64 v[40:41], v[48:49], v[40:41]
	v_cvt_f64_i32_e32 v[48:49], v8
	v_fma_f64 v[44:45], v[38:39], v[44:45], s[52:53]
	v_add_f64 v[10:11], v[10:11], -v[36:37]
	v_cndmask_b32_e32 v8, v62, v63, vcc
	v_mul_f64 v[50:51], v[48:49], s[34:35]
	v_add_f64 v[42:43], v[46:47], v[40:41]
	v_fma_f64 v[44:45], v[38:39], v[44:45], s[54:55]
	v_ldexp_f64 v[10:11], v[10:11], 1
	v_add_f64 v[36:37], v[42:43], -v[46:47]
	v_fma_f64 v[46:47], v[48:49], s[34:35], -v[50:51]
	v_fma_f64 v[44:45], v[38:39], v[44:45], s[56:57]
	v_add_f64 v[36:37], v[40:41], -v[36:37]
	v_fma_f64 v[40:41], v[38:39], v[44:45], s[58:59]
	v_fma_f64 v[44:45], v[48:49], s[36:37], v[46:47]
	v_add_f64 v[10:11], v[10:11], v[36:37]
	v_fma_f64 v[36:37], v[38:39], v[40:41], s[60:61]
	v_add_f64 v[40:41], v[50:51], v[44:45]
	v_add_f64 v[46:47], v[42:43], v[10:11]
	v_fma_f64 v[36:37], v[38:39], v[36:37], s[62:63]
	v_add_f64 v[50:51], v[40:41], -v[50:51]
	v_add_f64 v[48:49], v[40:41], v[46:47]
	v_add_f64 v[42:43], v[46:47], -v[42:43]
	v_fma_f64 v[36:37], v[38:39], v[36:37], s[64:65]
	v_add_f64 v[44:45], v[44:45], -v[50:51]
	v_add_f64 v[52:53], v[48:49], -v[40:41]
	v_add_f64 v[10:11], v[10:11], -v[42:43]
	v_fma_f64 v[36:37], v[38:39], v[36:37], s[66:67]
	v_add_f64 v[54:55], v[48:49], -v[52:53]
	v_add_f64 v[42:43], v[46:47], -v[52:53]
	v_fma_f64 v[36:37], v[38:39], v[36:37], s[68:69]
	v_add_f64 v[46:47], v[44:45], v[10:11]
	v_add_f64 v[40:41], v[40:41], -v[54:55]
	v_fma_f64 v[36:37], v[38:39], v[36:37], s[70:71]
	v_add_f64 v[40:41], v[42:43], v[40:41]
	;; [unrolled: 3-line block ×3, first 2 shown]
	v_add_f64 v[46:47], v[46:47], -v[42:43]
	v_fma_f64 v[36:37], v[38:39], v[36:37], s[74:75]
	v_add_f64 v[10:11], v[10:11], -v[42:43]
	v_add_f64 v[50:51], v[48:49], v[40:41]
	v_mul_f64 v[36:37], v[38:39], v[36:37]
	v_add_f64 v[38:39], v[44:45], -v[46:47]
	v_add_f64 v[42:43], v[50:51], -v[48:49]
	v_fma_f64 v[32:33], v[32:33], v[36:37], v[32:33]
	v_add_f64 v[10:11], v[10:11], v[38:39]
	v_add_f64 v[36:37], v[40:41], -v[42:43]
	v_add_f64 v[38:39], -v[32:33], s[76:77]
	v_add_f64 v[10:11], v[10:11], v[36:37]
	v_cndmask_b32_e64 v33, v33, v39, s[0:1]
	v_cndmask_b32_e64 v32, v32, v38, s[0:1]
	v_add_f64 v[36:37], -v[32:33], s[90:91]
                                        ; implicit-def: $vgpr38_vgpr39
	v_add_f64 v[10:11], v[50:51], v[10:11]
	v_cndmask_b32_e32 v15, v32, v36, vcc
	v_cndmask_b32_e32 v32, v33, v37, vcc
	v_cndmask_b32_e64 v14, v15, v14, s[2:3]
	v_cndmask_b32_e64 v12, v32, v12, s[2:3]
	v_mul_f64 v[10:11], v[10:11], 0.5
	s_and_b64 vcc, s[16:17], s[12:13]
	v_cndmask_b32_e32 v33, v12, v19, vcc
	v_cndmask_b32_e32 v32, v14, v8, vcc
                                        ; implicit-def: $vgpr36_vgpr37
	v_cndmask_b32_e64 v11, v61, v11, s[4:5]
	v_cndmask_b32_e64 v10, 0, v10, s[4:5]
.LBB185_239:                            ;   in Loop: Header=BB185_162 Depth=1
	s_andn2_saveexec_b64 s[16:17], s[6:7]
	s_cbranch_execz .LBB185_243
; %bb.240:                              ;   in Loop: Header=BB185_162 Depth=1
	v_and_b32_e32 v19, 0x7ffffff8, v39
	v_and_b32_e32 v33, 0x7ffffff8, v37
	v_mov_b32_e32 v32, v18
	v_add_f64 v[10:11], v[38:39], -v[18:19]
	v_add_f64 v[34:35], v[36:37], -v[32:33]
	v_mov_b32_e32 v38, v18
	v_mov_b32_e32 v46, v18
	v_add_f64 v[42:43], v[18:19], v[18:19]
	v_add_f64 v[44:45], v[32:33], v[32:33]
	v_mul_f64 v[32:33], v[32:33], v[32:33]
	s_mov_b64 s[80:81], 0
	v_and_b32_e32 v39, -8, v11
	v_and_b32_e32 v47, -8, v35
	v_add_f64 v[52:53], v[10:11], -v[38:39]
	v_add_f64 v[54:55], v[34:35], -v[46:47]
	v_add_f64 v[56:57], v[38:39], v[38:39]
	v_add_f64 v[66:67], v[46:47], v[46:47]
	v_mul_f64 v[10:11], v[18:19], v[18:19]
	v_mul_f64 v[36:37], v[42:43], v[38:39]
	;; [unrolled: 1-line block ×11, first 2 shown]
.LBB185_241:                            ;   Parent Loop BB185_162 Depth=1
                                        ; =>  This Inner Loop Header: Depth=2
	v_cmp_nlt_f64_e32 vcc, v[10:11], v[32:33]
	v_cndmask_b32_e32 v55, v11, v33, vcc
	v_cndmask_b32_e32 v54, v10, v32, vcc
	v_cmp_nlt_f64_e64 s[2:3], v[54:55], v[36:37]
	v_cndmask_b32_e32 v11, v33, v11, vcc
	v_cndmask_b32_e32 v10, v32, v10, vcc
	v_cndmask_b32_e64 v57, v55, v37, s[2:3]
	v_cndmask_b32_e64 v56, v54, v36, s[2:3]
	v_cmp_nlt_f64_e64 s[4:5], v[56:57], v[34:35]
	v_cndmask_b32_e64 v33, v37, v55, s[2:3]
	v_cndmask_b32_e64 v32, v36, v54, s[2:3]
	s_and_b64 s[12:13], vcc, s[2:3]
	v_cndmask_b32_e64 v67, v57, v35, s[4:5]
	v_cndmask_b32_e64 v66, v56, v34, s[4:5]
	v_cmp_nlt_f64_e64 s[6:7], v[66:67], v[40:41]
	v_cndmask_b32_e64 v37, v35, v57, s[4:5]
	v_cndmask_b32_e64 v36, v34, v56, s[4:5]
	;; [unrolled: 1-line block ×4, first 2 shown]
	v_cmp_nlt_f64_e32 vcc, v[54:55], v[46:47]
	v_cndmask_b32_e64 v35, v41, v67, s[6:7]
	v_cndmask_b32_e64 v34, v40, v66, s[6:7]
	s_and_b64 s[6:7], s[4:5], s[6:7]
	v_cndmask_b32_e32 v57, v55, v47, vcc
	v_cndmask_b32_e32 v56, v54, v46, vcc
	v_cmp_nlt_f64_e64 s[2:3], v[56:57], v[50:51]
	v_cndmask_b32_e32 v41, v47, v55, vcc
	v_cndmask_b32_e32 v40, v46, v54, vcc
	v_cndmask_b32_e64 v55, v57, v51, s[2:3]
	v_cndmask_b32_e64 v54, v56, v50, s[2:3]
	v_cmp_nlt_f64_e64 s[4:5], v[54:55], v[48:49]
	v_cndmask_b32_e64 v47, v51, v57, s[2:3]
	v_cndmask_b32_e64 v46, v50, v56, s[2:3]
	s_and_b64 s[2:3], vcc, s[2:3]
	v_cndmask_b32_e64 v57, v55, v49, s[4:5]
	v_cndmask_b32_e64 v56, v54, v48, s[4:5]
	v_cmp_nlt_f64_e32 vcc, v[56:57], v[44:45]
	v_cndmask_b32_e64 v51, v49, v55, s[4:5]
	v_cndmask_b32_e64 v50, v48, v54, s[4:5]
	s_and_b64 s[4:5], s[2:3], s[4:5]
	v_cndmask_b32_e32 v55, v57, v45, vcc
	v_cndmask_b32_e32 v54, v56, v44, vcc
	v_cmp_nlt_f64_e64 s[2:3], v[54:55], v[42:43]
	v_cndmask_b32_e32 v49, v45, v57, vcc
	v_cndmask_b32_e32 v48, v44, v56, vcc
	s_and_b64 s[4:5], s[4:5], vcc
	v_cndmask_b32_e64 v57, v55, v43, s[2:3]
	v_cndmask_b32_e64 v56, v54, v42, s[2:3]
	v_cmp_nlt_f64_e32 vcc, v[56:57], v[38:39]
	v_cndmask_b32_e64 v45, v43, v55, s[2:3]
	v_cndmask_b32_e64 v44, v42, v54, s[2:3]
	s_and_b64 s[4:5], s[4:5], s[2:3]
	v_cndmask_b32_e32 v67, v57, v39, vcc
	v_cndmask_b32_e32 v66, v56, v38, vcc
	v_cmp_nlt_f64_e64 s[2:3], v[66:67], v[52:53]
	s_and_b64 s[4:5], s[4:5], vcc
	v_cndmask_b32_e32 v43, v39, v57, vcc
	v_cndmask_b32_e32 v42, v38, v56, vcc
	v_cndmask_b32_e64 v55, v67, v53, s[2:3]
	v_cndmask_b32_e64 v54, v66, v52, s[2:3]
	;; [unrolled: 1-line block ×4, first 2 shown]
	s_and_b64 s[2:3], s[4:5], s[2:3]
	s_and_b64 s[2:3], s[2:3], s[6:7]
	;; [unrolled: 1-line block ×3, first 2 shown]
	s_and_b64 s[2:3], exec, s[2:3]
	v_mov_b32_e32 v52, v54
	s_or_b64 s[80:81], s[2:3], s[80:81]
	v_mov_b32_e32 v53, v55
	s_andn2_b64 exec, exec, s[80:81]
	s_cbranch_execnz .LBB185_241
; %bb.242:                              ;   in Loop: Header=BB185_162 Depth=1
	s_or_b64 exec, exec, s[80:81]
	v_add_f64 v[10:11], v[10:11], -1.0
	s_mov_b32 s31, s19
	s_mov_b32 s90, s76
	;; [unrolled: 1-line block ×4, first 2 shown]
	v_cmp_class_f64_e64 s[12:13], v[16:17], s40
	v_cmp_class_f64_e64 s[80:81], v[14:15], s40
	v_add_f64 v[10:11], v[10:11], v[32:33]
	v_add_f64 v[10:11], v[10:11], v[36:37]
	;; [unrolled: 1-line block ×11, first 2 shown]
	v_add_f64 v[32:33], v[11:12], 1.0
	v_cmp_nge_f64_e64 s[4:5], -1.0, v[11:12]
	v_cmp_neq_f64_e64 s[6:7], s[6:7], v[11:12]
	v_frexp_mant_f64_e32 v[36:37], v[32:33]
	v_frexp_exp_i32_f64_e32 v8, v[32:33]
	v_add_f64 v[34:35], v[32:33], -1.0
	v_cmp_gt_f64_e32 vcc, s[18:19], v[36:37]
	v_add_f64 v[38:39], v[34:35], -v[32:33]
	v_add_f64 v[34:35], v[11:12], -v[34:35]
	v_subbrev_co_u32_e32 v8, vcc, 0, v8, vcc
	v_sub_u32_e32 v10, 0, v8
	v_ldexp_f64 v[32:33], v[32:33], v10
	v_add_f64 v[36:37], v[38:39], 1.0
	v_add_f64 v[38:39], v[32:33], 1.0
	v_add_f64 v[34:35], v[34:35], v[36:37]
	v_add_f64 v[44:45], v[32:33], -1.0
	v_add_f64 v[36:37], v[38:39], -1.0
	v_ldexp_f64 v[34:35], v[34:35], v10
	v_add_f64 v[46:47], v[44:45], 1.0
	v_ashrrev_i32_e32 v10, 31, v15
	v_add_f64 v[36:37], v[32:33], -v[36:37]
	v_add_f64 v[32:33], v[32:33], -v[46:47]
	v_add_f64 v[40:41], v[34:35], v[36:37]
	v_add_f64 v[46:47], v[34:35], v[32:33]
	;; [unrolled: 1-line block ×3, first 2 shown]
	v_rcp_f64_e32 v[42:43], v[36:37]
	v_add_f64 v[38:39], v[36:37], -v[38:39]
	v_add_f64 v[40:41], v[40:41], -v[38:39]
	v_fma_f64 v[48:49], -v[36:37], v[42:43], 1.0
	v_fma_f64 v[42:43], v[48:49], v[42:43], v[42:43]
	v_add_f64 v[48:49], v[44:45], v[46:47]
	v_fma_f64 v[32:33], -v[36:37], v[42:43], 1.0
	v_add_f64 v[44:45], v[48:49], -v[44:45]
	v_fma_f64 v[32:33], v[32:33], v[42:43], v[42:43]
	v_add_f64 v[44:45], v[46:47], -v[44:45]
	v_mul_f64 v[34:35], v[48:49], v[32:33]
	v_mul_f64 v[42:43], v[36:37], v[34:35]
	v_fma_f64 v[38:39], v[34:35], v[36:37], -v[42:43]
	v_fma_f64 v[50:51], v[34:35], v[40:41], v[38:39]
	v_add_f64 v[52:53], v[42:43], v[50:51]
	v_add_f64 v[38:39], v[48:49], -v[52:53]
	v_add_f64 v[42:43], v[52:53], -v[42:43]
	;; [unrolled: 1-line block ×5, first 2 shown]
	v_add_f64 v[44:45], v[44:45], v[46:47]
	v_max_f64 v[46:47], |v[14:15]|, |v[14:15]|
	v_add_f64 v[42:43], v[42:43], v[44:45]
	v_max_f64 v[44:45], |v[16:17]|, |v[16:17]|
	v_add_f64 v[48:49], v[38:39], v[42:43]
	v_max_f64 v[50:51], v[46:47], v[44:45]
	v_min_f64 v[44:45], v[46:47], v[44:45]
	v_mul_f64 v[46:47], v[32:33], v[48:49]
	v_add_f64 v[38:39], v[38:39], -v[48:49]
	v_div_scale_f64 v[52:53], s[2:3], v[50:51], v[50:51], v[44:45]
	s_mov_b32 s2, 0xb5e68a13
	s_mov_b32 s3, 0x3eeba404
	v_mul_f64 v[54:55], v[36:37], v[46:47]
	v_add_f64 v[38:39], v[42:43], v[38:39]
	v_fma_f64 v[36:37], v[46:47], v[36:37], -v[54:55]
	v_rcp_f64_e32 v[56:57], v[52:53]
	v_fma_f64 v[36:37], v[46:47], v[40:41], v[36:37]
	v_add_f64 v[40:41], v[54:55], v[36:37]
	v_fma_f64 v[66:67], -v[52:53], v[56:57], 1.0
	v_add_f64 v[68:69], v[48:49], -v[40:41]
	v_add_f64 v[42:43], v[40:41], -v[54:55]
	v_fma_f64 v[56:57], v[56:57], v[66:67], v[56:57]
	v_div_scale_f64 v[66:67], vcc, v[44:45], v[50:51], v[44:45]
	v_add_f64 v[48:49], v[48:49], -v[68:69]
	v_add_f64 v[36:37], v[42:43], -v[36:37]
	v_fma_f64 v[70:71], -v[52:53], v[56:57], 1.0
	v_add_f64 v[42:43], v[34:35], v[46:47]
	v_add_f64 v[40:41], v[48:49], -v[40:41]
	v_fma_f64 v[48:49], v[56:57], v[70:71], v[56:57]
	v_add_f64 v[34:35], v[42:43], -v[34:35]
	v_add_f64 v[38:39], v[38:39], v[40:41]
	v_mul_f64 v[40:41], v[66:67], v[48:49]
	v_add_f64 v[34:35], v[46:47], -v[34:35]
	v_add_f64 v[36:37], v[36:37], v[38:39]
	v_fma_f64 v[38:39], -v[52:53], v[40:41], v[66:67]
	v_add_f64 v[36:37], v[68:69], v[36:37]
	v_div_fmas_f64 v[38:39], v[38:39], v[48:49], v[40:41]
	v_cmp_gt_i32_e32 vcc, 0, v15
	v_cndmask_b32_e32 v19, v64, v65, vcc
	v_bfi_b32 v19, s38, v19, v17
	v_mul_f64 v[32:33], v[32:33], v[36:37]
	v_add_f64 v[32:33], v[34:35], v[32:33]
	v_div_fixup_f64 v[34:35], v[38:39], v[50:51], v[44:45]
	v_add_f64 v[36:37], v[42:43], v[32:33]
	v_mul_f64 v[38:39], v[34:35], v[34:35]
	v_mul_f64 v[40:41], v[36:37], v[36:37]
	v_fma_f64 v[44:45], v[38:39], s[2:3], v[22:23]
	s_mov_b32 s2, 0x69efb384
	s_mov_b32 s3, 0x3f4b2bb0
	v_fma_f64 v[46:47], v[40:41], s[20:21], v[20:21]
	v_mul_f64 v[48:49], v[36:37], v[40:41]
	v_fma_f64 v[44:45], v[38:39], v[44:45], s[2:3]
	v_cmp_eq_f64_e64 s[2:3], 0, v[16:17]
	v_fma_f64 v[46:47], v[40:41], v[46:47], s[22:23]
	v_fma_f64 v[44:45], v[38:39], v[44:45], s[42:43]
	;; [unrolled: 1-line block ×9, first 2 shown]
	v_ldexp_f64 v[46:47], v[36:37], 1
	v_fma_f64 v[44:45], v[38:39], v[44:45], s[50:51]
	v_add_f64 v[36:37], v[36:37], -v[42:43]
	v_mul_f64 v[40:41], v[48:49], v[40:41]
	v_cvt_f64_i32_e32 v[48:49], v8
	v_fma_f64 v[44:45], v[38:39], v[44:45], s[52:53]
	v_add_f64 v[32:33], v[32:33], -v[36:37]
	v_cndmask_b32_e32 v8, v62, v63, vcc
	v_mul_f64 v[50:51], v[48:49], s[34:35]
	v_add_f64 v[42:43], v[46:47], v[40:41]
	v_fma_f64 v[44:45], v[38:39], v[44:45], s[54:55]
	v_ldexp_f64 v[32:33], v[32:33], 1
	v_add_f64 v[36:37], v[42:43], -v[46:47]
	v_fma_f64 v[46:47], v[48:49], s[34:35], -v[50:51]
	v_fma_f64 v[44:45], v[38:39], v[44:45], s[56:57]
	v_add_f64 v[36:37], v[40:41], -v[36:37]
	v_fma_f64 v[40:41], v[38:39], v[44:45], s[58:59]
	v_fma_f64 v[44:45], v[48:49], s[36:37], v[46:47]
	v_add_f64 v[32:33], v[32:33], v[36:37]
	v_fma_f64 v[36:37], v[38:39], v[40:41], s[60:61]
	v_add_f64 v[40:41], v[50:51], v[44:45]
	v_add_f64 v[46:47], v[42:43], v[32:33]
	v_fma_f64 v[36:37], v[38:39], v[36:37], s[62:63]
	v_add_f64 v[50:51], v[40:41], -v[50:51]
	v_add_f64 v[48:49], v[40:41], v[46:47]
	v_add_f64 v[42:43], v[46:47], -v[42:43]
	v_fma_f64 v[36:37], v[38:39], v[36:37], s[64:65]
	v_add_f64 v[44:45], v[44:45], -v[50:51]
	v_add_f64 v[52:53], v[48:49], -v[40:41]
	;; [unrolled: 1-line block ×3, first 2 shown]
	v_fma_f64 v[36:37], v[38:39], v[36:37], s[66:67]
	v_add_f64 v[54:55], v[48:49], -v[52:53]
	v_add_f64 v[42:43], v[46:47], -v[52:53]
	v_fma_f64 v[36:37], v[38:39], v[36:37], s[68:69]
	v_add_f64 v[46:47], v[44:45], v[32:33]
	v_add_f64 v[40:41], v[40:41], -v[54:55]
	v_fma_f64 v[36:37], v[38:39], v[36:37], s[70:71]
	v_add_f64 v[40:41], v[42:43], v[40:41]
	;; [unrolled: 3-line block ×3, first 2 shown]
	v_add_f64 v[46:47], v[46:47], -v[42:43]
	v_fma_f64 v[36:37], v[38:39], v[36:37], s[74:75]
	v_add_f64 v[32:33], v[32:33], -v[42:43]
	v_add_f64 v[50:51], v[48:49], v[40:41]
	v_mul_f64 v[36:37], v[38:39], v[36:37]
	v_add_f64 v[38:39], v[44:45], -v[46:47]
	v_add_f64 v[42:43], v[50:51], -v[48:49]
	v_fma_f64 v[34:35], v[34:35], v[36:37], v[34:35]
	v_add_f64 v[32:33], v[32:33], v[38:39]
	v_add_f64 v[36:37], v[40:41], -v[42:43]
	v_add_f64 v[38:39], -v[34:35], s[76:77]
	v_add_f64 v[32:33], v[32:33], v[36:37]
	v_cndmask_b32_e64 v35, v35, v39, s[0:1]
	v_cndmask_b32_e64 v34, v34, v38, s[0:1]
	v_add_f64 v[36:37], -v[34:35], s[90:91]
	v_and_b32_e32 v38, 0x54442d18, v10
	v_and_b32_e32 v10, 0x400921fb, v10
	v_add_f64 v[32:33], v[50:51], v[32:33]
	v_cndmask_b32_e32 v34, v34, v36, vcc
	v_cndmask_b32_e64 v34, v34, v38, s[2:3]
	v_mul_f64 v[14:15], v[32:33], 0.5
	v_cndmask_b32_e32 v32, v35, v37, vcc
	v_cndmask_b32_e64 v10, v32, v10, s[2:3]
	s_and_b64 vcc, s[80:81], s[12:13]
	s_and_b64 s[2:3], s[4:5], s[6:7]
	v_cndmask_b32_e32 v33, v10, v19, vcc
	s_mov_b32 s80, 0xb5e68a13
	s_mov_b32 s81, 0x3eeba404
	v_cndmask_b32_e64 v10, 0, v14, s[2:3]
	v_cmp_ngt_f64_e64 s[2:3], -1.0, v[11:12]
	v_cndmask_b32_e64 v15, v59, v15, s[6:7]
	v_cndmask_b32_e32 v32, v34, v8, vcc
	v_cndmask_b32_e64 v14, v60, v15, s[2:3]
	v_cmp_neq_f64_e64 s[2:3], -1.0, v[11:12]
	v_cndmask_b32_e64 v11, v61, v14, s[2:3]
.LBB185_243:                            ;   in Loop: Header=BB185_162 Depth=1
	s_or_b64 exec, exec, s[16:17]
.LBB185_244:                            ;   in Loop: Header=BB185_162 Depth=1
	s_or_b64 exec, exec, s[14:15]
.LBB185_245:                            ;   in Loop: Header=BB185_162 Depth=1
	s_andn2_saveexec_b64 s[6:7], s[86:87]
	s_cbranch_execz .LBB185_247
; %bb.246:                              ;   in Loop: Header=BB185_162 Depth=1
	v_max_f64 v[32:33], |v[16:17]|, |v[16:17]|
	v_max_f64 v[34:35], |v[14:15]|, |v[14:15]|
	v_cmp_class_f64_e64 s[14:15], v[14:15], s40
	v_cmp_class_f64_e64 s[16:17], v[16:17], s40
	s_mov_b32 s31, s19
	s_mov_b32 s90, s76
	v_max_f64 v[36:37], v[34:35], v[32:33]
	v_min_f64 v[32:33], v[34:35], v[32:33]
	v_frexp_exp_i32_f64_e32 v8, v[36:37]
	v_sub_u32_e32 v12, 0, v8
	v_ldexp_f64 v[10:11], |v[16:17]|, v12
	v_ldexp_f64 v[38:39], |v[14:15]|, v12
	v_mul_f64 v[10:11], v[10:11], v[10:11]
	v_fma_f64 v[10:11], v[38:39], v[38:39], v[10:11]
	v_rsq_f64_e32 v[38:39], v[10:11]
	v_cmp_eq_f64_e32 vcc, 0, v[10:11]
	v_mul_f64 v[40:41], v[10:11], v[38:39]
	v_mul_f64 v[38:39], v[38:39], 0.5
	v_fma_f64 v[42:43], -v[38:39], v[40:41], 0.5
	v_fma_f64 v[40:41], v[40:41], v[42:43], v[40:41]
	v_fma_f64 v[38:39], v[38:39], v[42:43], v[38:39]
	v_fma_f64 v[42:43], -v[40:41], v[40:41], v[10:11]
	v_fma_f64 v[38:39], v[42:43], v[38:39], v[40:41]
	v_cndmask_b32_e32 v11, v39, v11, vcc
	v_cndmask_b32_e32 v10, v38, v10, vcc
	v_ldexp_f64 v[10:11], v[10:11], v8
	s_or_b64 vcc, s[14:15], s[16:17]
	v_cndmask_b32_e32 v12, v11, v59, vcc
	v_cndmask_b32_e64 v11, v10, 0, vcc
	v_frexp_mant_f64_e32 v[38:39], v[11:12]
	v_cmp_gt_f64_e64 s[2:3], s[18:19], v[38:39]
	v_cndmask_b32_e64 v8, 0, 1, s[2:3]
	v_ldexp_f64 v[38:39], v[38:39], v8
	v_frexp_exp_i32_f64_e32 v8, v[11:12]
	v_add_f64 v[40:41], v[38:39], 1.0
	v_add_f64 v[46:47], v[38:39], -1.0
	v_rcp_f64_e32 v[42:43], v[40:41]
	v_add_f64 v[50:51], v[40:41], -1.0
	v_add_f64 v[38:39], v[38:39], -v[50:51]
	v_fma_f64 v[44:45], -v[40:41], v[42:43], 1.0
	v_fma_f64 v[34:35], v[44:45], v[42:43], v[42:43]
	v_div_scale_f64 v[42:43], s[4:5], v[36:37], v[36:37], v[32:33]
	s_mov_b32 s4, 0x69efb384
	s_mov_b32 s5, 0x3f4b2bb0
	v_fma_f64 v[44:45], -v[40:41], v[34:35], 1.0
	v_fma_f64 v[34:35], v[44:45], v[34:35], v[34:35]
	v_rcp_f64_e32 v[44:45], v[42:43]
	v_mul_f64 v[48:49], v[46:47], v[34:35]
	v_mul_f64 v[52:53], v[40:41], v[48:49]
	v_fma_f64 v[54:55], -v[42:43], v[44:45], 1.0
	v_fma_f64 v[40:41], v[48:49], v[40:41], -v[52:53]
	v_fma_f64 v[44:45], v[44:45], v[54:55], v[44:45]
	v_fma_f64 v[38:39], v[48:49], v[38:39], v[40:41]
	v_div_scale_f64 v[40:41], vcc, v[32:33], v[36:37], v[32:33]
	v_fma_f64 v[50:51], -v[42:43], v[44:45], 1.0
	v_add_f64 v[54:55], v[52:53], v[38:39]
	v_fma_f64 v[44:45], v[44:45], v[50:51], v[44:45]
	v_add_f64 v[50:51], v[46:47], -v[54:55]
	v_add_f64 v[52:53], v[54:55], -v[52:53]
	v_mul_f64 v[56:57], v[40:41], v[44:45]
	v_add_f64 v[46:47], v[46:47], -v[50:51]
	v_add_f64 v[38:39], v[52:53], -v[38:39]
	v_fma_f64 v[40:41], -v[42:43], v[56:57], v[40:41]
	v_add_f64 v[42:43], v[46:47], -v[54:55]
	v_div_fmas_f64 v[40:41], v[40:41], v[44:45], v[56:57]
	v_subbrev_co_u32_e64 v8, vcc, 0, v8, s[2:3]
	v_cmp_eq_f64_e64 s[2:3], 0, v[16:17]
	v_cmp_gt_i32_e32 vcc, 0, v15
	v_add_f64 v[38:39], v[38:39], v[42:43]
	v_cndmask_b32_e32 v19, v62, v63, vcc
	v_add_f64 v[38:39], v[50:51], v[38:39]
	v_div_fixup_f64 v[32:33], v[40:41], v[36:37], v[32:33]
	v_mul_f64 v[34:35], v[34:35], v[38:39]
	v_mul_f64 v[36:37], v[32:33], v[32:33]
	v_add_f64 v[38:39], v[48:49], v[34:35]
	v_fma_f64 v[40:41], v[36:37], s[80:81], v[22:23]
	v_mul_f64 v[42:43], v[38:39], v[38:39]
	v_fma_f64 v[40:41], v[36:37], v[40:41], s[4:5]
	v_cmp_class_f64_e64 s[4:5], v[11:12], s40
	v_fma_f64 v[44:45], v[42:43], s[20:21], v[20:21]
	v_mul_f64 v[46:47], v[38:39], v[42:43]
	v_fma_f64 v[40:41], v[36:37], v[40:41], s[42:43]
	v_fma_f64 v[44:45], v[42:43], v[44:45], s[22:23]
	;; [unrolled: 1-line block ×10, first 2 shown]
	v_ldexp_f64 v[44:45], v[38:39], 1
	v_add_f64 v[38:39], v[38:39], -v[48:49]
	v_fma_f64 v[40:41], v[36:37], v[40:41], s[52:53]
	v_cvt_f64_i32_e32 v[48:49], v8
	v_ashrrev_i32_e32 v8, 31, v15
	v_and_b32_e32 v10, 0x54442d18, v8
	v_and_b32_e32 v8, 0x400921fb, v8
	v_mul_f64 v[42:43], v[46:47], v[42:43]
	v_mul_f64 v[50:51], v[48:49], s[34:35]
	v_add_f64 v[34:35], v[34:35], -v[38:39]
	v_fma_f64 v[40:41], v[36:37], v[40:41], s[54:55]
	v_add_f64 v[46:47], v[44:45], v[42:43]
	v_ldexp_f64 v[34:35], v[34:35], 1
	v_fma_f64 v[40:41], v[36:37], v[40:41], s[56:57]
	v_add_f64 v[38:39], v[46:47], -v[44:45]
	v_fma_f64 v[44:45], v[48:49], s[34:35], -v[50:51]
	v_fma_f64 v[40:41], v[36:37], v[40:41], s[58:59]
	v_add_f64 v[38:39], v[42:43], -v[38:39]
	v_fma_f64 v[42:43], v[48:49], s[36:37], v[44:45]
	v_fma_f64 v[40:41], v[36:37], v[40:41], s[60:61]
	v_add_f64 v[34:35], v[34:35], v[38:39]
	v_fma_f64 v[38:39], v[36:37], v[40:41], s[62:63]
	v_add_f64 v[40:41], v[50:51], v[42:43]
	v_add_f64 v[44:45], v[46:47], v[34:35]
	v_fma_f64 v[38:39], v[36:37], v[38:39], s[64:65]
	v_add_f64 v[50:51], v[40:41], -v[50:51]
	v_add_f64 v[48:49], v[40:41], v[44:45]
	v_add_f64 v[46:47], v[44:45], -v[46:47]
	v_fma_f64 v[38:39], v[36:37], v[38:39], s[66:67]
	v_add_f64 v[42:43], v[42:43], -v[50:51]
	v_add_f64 v[52:53], v[48:49], -v[40:41]
	;; [unrolled: 1-line block ×3, first 2 shown]
	v_fma_f64 v[38:39], v[36:37], v[38:39], s[68:69]
	v_add_f64 v[54:55], v[48:49], -v[52:53]
	v_add_f64 v[44:45], v[44:45], -v[52:53]
	v_add_f64 v[46:47], v[42:43], v[34:35]
	v_fma_f64 v[38:39], v[36:37], v[38:39], s[70:71]
	v_add_f64 v[40:41], v[40:41], -v[54:55]
	v_fma_f64 v[38:39], v[36:37], v[38:39], s[72:73]
	v_add_f64 v[40:41], v[44:45], v[40:41]
	v_add_f64 v[44:45], v[46:47], -v[42:43]
	v_fma_f64 v[38:39], v[36:37], v[38:39], s[74:75]
	v_add_f64 v[40:41], v[46:47], v[40:41]
	v_add_f64 v[34:35], v[34:35], -v[44:45]
	v_mul_f64 v[36:37], v[36:37], v[38:39]
	v_add_f64 v[38:39], v[46:47], -v[44:45]
	v_add_f64 v[46:47], v[48:49], v[40:41]
	v_fma_f64 v[32:33], v[32:33], v[36:37], v[32:33]
	v_add_f64 v[36:37], v[42:43], -v[38:39]
	v_add_f64 v[38:39], v[46:47], -v[48:49]
	v_add_f64 v[42:43], -v[32:33], s[76:77]
	v_add_f64 v[34:35], v[34:35], v[36:37]
	v_add_f64 v[36:37], v[40:41], -v[38:39]
	v_cndmask_b32_e64 v33, v33, v43, s[0:1]
	v_cndmask_b32_e64 v32, v32, v42, s[0:1]
	v_add_f64 v[38:39], -v[32:33], s[90:91]
	v_add_f64 v[34:35], v[34:35], v[36:37]
	v_cndmask_b32_e32 v36, v64, v65, vcc
	v_cndmask_b32_e32 v32, v32, v38, vcc
	;; [unrolled: 1-line block ×3, first 2 shown]
	v_cndmask_b32_e64 v32, v32, v10, s[2:3]
	v_add_f64 v[14:15], v[46:47], v[34:35]
	v_cndmask_b32_e64 v8, v33, v8, s[2:3]
	v_cmp_ngt_f64_e64 s[2:3], 0, v[11:12]
	v_bfi_b32 v34, s38, v36, v17
	s_and_b64 vcc, s[14:15], s[16:17]
	v_cndmask_b32_e32 v33, v8, v34, vcc
	v_cndmask_b32_e32 v32, v32, v19, vcc
	v_cndmask_b32_e64 v10, v15, v12, s[4:5]
	v_cndmask_b32_e64 v8, v14, v11, s[4:5]
	;; [unrolled: 1-line block ×3, first 2 shown]
	v_cmp_nge_f64_e64 s[2:3], 0, v[11:12]
	v_cndmask_b32_e64 v10, 0, v8, s[2:3]
	v_cmp_neq_f64_e64 s[2:3], 0, v[11:12]
	v_cndmask_b32_e64 v11, v61, v14, s[2:3]
.LBB185_247:                            ;   in Loop: Header=BB185_162 Depth=1
	s_or_b64 exec, exec, s[6:7]
                                        ; implicit-def: $vgpr36_vgpr37
.LBB185_248:                            ;   in Loop: Header=BB185_162 Depth=1
	s_andn2_saveexec_b64 s[6:7], s[78:79]
	s_cbranch_execz .LBB185_254
; %bb.249:                              ;   in Loop: Header=BB185_162 Depth=1
	s_mov_b32 s2, 0x6a3f9475
	s_mov_b32 s3, 0x20ca2fe7
	v_cmp_ngt_f64_e32 vcc, s[2:3], v[36:37]
                                        ; implicit-def: $vgpr10_vgpr11
                                        ; implicit-def: $vgpr32_vgpr33
	s_and_saveexec_b64 s[2:3], vcc
	s_xor_b64 s[14:15], exec, s[2:3]
	s_cbranch_execz .LBB185_251
; %bb.250:                              ;   in Loop: Header=BB185_162 Depth=1
	v_mul_f64 v[10:11], v[36:37], v[36:37]
	s_mov_b32 s31, s19
	s_mov_b32 s90, s76
	;; [unrolled: 1-line block ×3, first 2 shown]
	v_cmp_class_f64_e64 s[12:13], v[16:17], s40
	v_cmp_class_f64_e64 s[16:17], v[14:15], s40
	s_mov_b32 s5, 0x7ff00000
	v_add_f64 v[32:33], v[10:11], 1.0
	v_cmp_neq_f64_e64 s[4:5], s[4:5], v[10:11]
	v_frexp_mant_f64_e32 v[36:37], v[32:33]
	v_frexp_exp_i32_f64_e32 v8, v[32:33]
	v_add_f64 v[34:35], v[32:33], -1.0
	v_cmp_gt_f64_e32 vcc, s[18:19], v[36:37]
	v_add_f64 v[38:39], v[34:35], -v[32:33]
	v_add_f64 v[34:35], v[10:11], -v[34:35]
	v_subbrev_co_u32_e32 v8, vcc, 0, v8, vcc
	v_sub_u32_e32 v12, 0, v8
	v_ldexp_f64 v[32:33], v[32:33], v12
	v_add_f64 v[36:37], v[38:39], 1.0
	v_add_f64 v[38:39], v[32:33], 1.0
	v_add_f64 v[34:35], v[34:35], v[36:37]
	v_add_f64 v[44:45], v[32:33], -1.0
	v_add_f64 v[36:37], v[38:39], -1.0
	v_ldexp_f64 v[34:35], v[34:35], v12
	v_add_f64 v[46:47], v[44:45], 1.0
	v_ashrrev_i32_e32 v12, 31, v15
	v_and_b32_e32 v19, 0x54442d18, v12
	v_and_b32_e32 v12, 0x400921fb, v12
	v_add_f64 v[36:37], v[32:33], -v[36:37]
	v_add_f64 v[32:33], v[32:33], -v[46:47]
	v_add_f64 v[40:41], v[34:35], v[36:37]
	v_add_f64 v[46:47], v[34:35], v[32:33]
	;; [unrolled: 1-line block ×3, first 2 shown]
	v_rcp_f64_e32 v[42:43], v[36:37]
	v_add_f64 v[38:39], v[38:39], -v[36:37]
	v_add_f64 v[40:41], v[40:41], v[38:39]
	v_fma_f64 v[48:49], -v[36:37], v[42:43], 1.0
	v_fma_f64 v[42:43], v[48:49], v[42:43], v[42:43]
	v_add_f64 v[48:49], v[44:45], v[46:47]
	v_fma_f64 v[32:33], -v[36:37], v[42:43], 1.0
	v_add_f64 v[44:45], v[44:45], -v[48:49]
	v_fma_f64 v[32:33], v[32:33], v[42:43], v[42:43]
	v_add_f64 v[44:45], v[46:47], v[44:45]
	v_mul_f64 v[34:35], v[48:49], v[32:33]
	v_mul_f64 v[42:43], v[36:37], v[34:35]
	v_fma_f64 v[38:39], v[34:35], v[36:37], -v[42:43]
	v_fma_f64 v[50:51], v[34:35], v[40:41], v[38:39]
	v_add_f64 v[52:53], v[42:43], v[50:51]
	v_add_f64 v[38:39], v[48:49], -v[52:53]
	v_add_f64 v[42:43], v[52:53], -v[42:43]
	;; [unrolled: 1-line block ×5, first 2 shown]
	v_add_f64 v[44:45], v[44:45], v[46:47]
	v_max_f64 v[46:47], |v[14:15]|, |v[14:15]|
	v_add_f64 v[42:43], v[42:43], v[44:45]
	v_max_f64 v[44:45], |v[16:17]|, |v[16:17]|
	v_add_f64 v[48:49], v[38:39], v[42:43]
	v_max_f64 v[50:51], v[46:47], v[44:45]
	v_min_f64 v[44:45], v[46:47], v[44:45]
	v_mul_f64 v[46:47], v[32:33], v[48:49]
	v_add_f64 v[38:39], v[38:39], -v[48:49]
	v_div_scale_f64 v[52:53], s[2:3], v[50:51], v[50:51], v[44:45]
	s_mov_b32 s2, 0x69efb384
	s_mov_b32 s3, 0x3f4b2bb0
	v_mul_f64 v[54:55], v[36:37], v[46:47]
	v_add_f64 v[38:39], v[42:43], v[38:39]
	v_fma_f64 v[36:37], v[46:47], v[36:37], -v[54:55]
	v_rcp_f64_e32 v[56:57], v[52:53]
	v_fma_f64 v[36:37], v[46:47], v[40:41], v[36:37]
	v_add_f64 v[40:41], v[54:55], v[36:37]
	v_fma_f64 v[66:67], -v[52:53], v[56:57], 1.0
	v_add_f64 v[68:69], v[48:49], -v[40:41]
	v_add_f64 v[42:43], v[40:41], -v[54:55]
	v_fma_f64 v[56:57], v[56:57], v[66:67], v[56:57]
	v_div_scale_f64 v[66:67], vcc, v[44:45], v[50:51], v[44:45]
	v_add_f64 v[48:49], v[48:49], -v[68:69]
	v_add_f64 v[36:37], v[42:43], -v[36:37]
	v_fma_f64 v[70:71], -v[52:53], v[56:57], 1.0
	v_add_f64 v[42:43], v[34:35], v[46:47]
	v_add_f64 v[40:41], v[48:49], -v[40:41]
	v_fma_f64 v[48:49], v[56:57], v[70:71], v[56:57]
	v_add_f64 v[34:35], v[42:43], -v[34:35]
	v_add_f64 v[38:39], v[38:39], v[40:41]
	v_mul_f64 v[40:41], v[66:67], v[48:49]
	v_add_f64 v[34:35], v[46:47], -v[34:35]
	v_add_f64 v[36:37], v[36:37], v[38:39]
	v_fma_f64 v[38:39], -v[52:53], v[40:41], v[66:67]
	v_add_f64 v[36:37], v[68:69], v[36:37]
	v_div_fmas_f64 v[38:39], v[38:39], v[48:49], v[40:41]
	v_cmp_gt_i32_e32 vcc, 0, v15
	v_mul_f64 v[32:33], v[32:33], v[36:37]
	v_add_f64 v[32:33], v[34:35], v[32:33]
	v_div_fixup_f64 v[34:35], v[38:39], v[50:51], v[44:45]
	v_add_f64 v[36:37], v[42:43], v[32:33]
	v_mul_f64 v[38:39], v[34:35], v[34:35]
	v_mul_f64 v[40:41], v[36:37], v[36:37]
	v_fma_f64 v[44:45], v[38:39], s[80:81], v[22:23]
	v_fma_f64 v[46:47], v[40:41], s[20:21], v[20:21]
	v_mul_f64 v[48:49], v[36:37], v[40:41]
	v_fma_f64 v[44:45], v[38:39], v[44:45], s[2:3]
	v_cmp_eq_f64_e64 s[2:3], 0, v[16:17]
	v_fma_f64 v[46:47], v[40:41], v[46:47], s[22:23]
	v_fma_f64 v[44:45], v[38:39], v[44:45], s[42:43]
	;; [unrolled: 1-line block ×9, first 2 shown]
	v_ldexp_f64 v[46:47], v[36:37], 1
	v_fma_f64 v[44:45], v[38:39], v[44:45], s[50:51]
	v_add_f64 v[36:37], v[36:37], -v[42:43]
	v_mul_f64 v[40:41], v[48:49], v[40:41]
	v_cvt_f64_i32_e32 v[48:49], v8
	v_fma_f64 v[44:45], v[38:39], v[44:45], s[52:53]
	v_add_f64 v[32:33], v[32:33], -v[36:37]
	v_cndmask_b32_e32 v8, v62, v63, vcc
	v_mul_f64 v[50:51], v[48:49], s[34:35]
	v_add_f64 v[42:43], v[46:47], v[40:41]
	v_fma_f64 v[44:45], v[38:39], v[44:45], s[54:55]
	v_ldexp_f64 v[32:33], v[32:33], 1
	v_add_f64 v[36:37], v[42:43], -v[46:47]
	v_fma_f64 v[46:47], v[48:49], s[34:35], -v[50:51]
	v_fma_f64 v[44:45], v[38:39], v[44:45], s[56:57]
	v_add_f64 v[36:37], v[40:41], -v[36:37]
	v_fma_f64 v[40:41], v[38:39], v[44:45], s[58:59]
	v_fma_f64 v[44:45], v[48:49], s[36:37], v[46:47]
	v_add_f64 v[32:33], v[32:33], v[36:37]
	v_fma_f64 v[36:37], v[38:39], v[40:41], s[60:61]
	v_add_f64 v[40:41], v[50:51], v[44:45]
	v_add_f64 v[46:47], v[42:43], v[32:33]
	v_fma_f64 v[36:37], v[38:39], v[36:37], s[62:63]
	v_add_f64 v[50:51], v[40:41], -v[50:51]
	v_add_f64 v[48:49], v[40:41], v[46:47]
	v_add_f64 v[42:43], v[46:47], -v[42:43]
	v_fma_f64 v[36:37], v[38:39], v[36:37], s[64:65]
	v_add_f64 v[44:45], v[44:45], -v[50:51]
	v_add_f64 v[52:53], v[48:49], -v[40:41]
	;; [unrolled: 1-line block ×3, first 2 shown]
	v_fma_f64 v[36:37], v[38:39], v[36:37], s[66:67]
	v_add_f64 v[54:55], v[48:49], -v[52:53]
	v_add_f64 v[42:43], v[46:47], -v[52:53]
	v_fma_f64 v[36:37], v[38:39], v[36:37], s[68:69]
	v_add_f64 v[46:47], v[44:45], v[32:33]
	v_add_f64 v[40:41], v[40:41], -v[54:55]
	v_fma_f64 v[36:37], v[38:39], v[36:37], s[70:71]
	v_add_f64 v[40:41], v[42:43], v[40:41]
	v_add_f64 v[42:43], v[46:47], -v[44:45]
	v_fma_f64 v[36:37], v[38:39], v[36:37], s[72:73]
	v_add_f64 v[40:41], v[46:47], v[40:41]
	v_add_f64 v[46:47], v[46:47], -v[42:43]
	v_fma_f64 v[36:37], v[38:39], v[36:37], s[74:75]
	v_add_f64 v[32:33], v[32:33], -v[42:43]
	v_add_f64 v[50:51], v[48:49], v[40:41]
	v_mul_f64 v[36:37], v[38:39], v[36:37]
	v_add_f64 v[38:39], v[44:45], -v[46:47]
	v_add_f64 v[42:43], v[50:51], -v[48:49]
	v_fma_f64 v[34:35], v[34:35], v[36:37], v[34:35]
	v_add_f64 v[32:33], v[32:33], v[38:39]
	v_add_f64 v[36:37], v[40:41], -v[42:43]
	v_add_f64 v[38:39], -v[34:35], s[76:77]
	v_add_f64 v[32:33], v[32:33], v[36:37]
	v_cndmask_b32_e64 v35, v35, v39, s[0:1]
	v_cndmask_b32_e64 v34, v34, v38, s[0:1]
	v_add_f64 v[36:37], -v[34:35], s[90:91]
	v_add_f64 v[32:33], v[50:51], v[32:33]
	v_cndmask_b32_e32 v34, v34, v36, vcc
	v_cndmask_b32_e32 v36, v64, v65, vcc
	;; [unrolled: 1-line block ×3, first 2 shown]
	v_bfi_b32 v10, s38, v36, v17
	v_mul_f64 v[14:15], v[32:33], 0.5
	v_cndmask_b32_e64 v19, v34, v19, s[2:3]
	v_cndmask_b32_e64 v11, v11, v12, s[2:3]
	s_and_b64 vcc, s[16:17], s[12:13]
	v_cndmask_b32_e32 v33, v11, v10, vcc
	v_cndmask_b32_e32 v32, v19, v8, vcc
                                        ; implicit-def: $vgpr36_vgpr37
	v_cndmask_b32_e64 v11, v59, v15, s[4:5]
	v_cndmask_b32_e64 v10, 0, v14, s[4:5]
.LBB185_251:                            ;   in Loop: Header=BB185_162 Depth=1
	s_andn2_saveexec_b64 s[4:5], s[14:15]
	s_cbranch_execz .LBB185_253
; %bb.252:                              ;   in Loop: Header=BB185_162 Depth=1
	v_max_f64 v[10:11], |v[16:17]|, |v[16:17]|
	v_max_f64 v[32:33], |v[14:15]|, |v[14:15]|
	s_mov_b32 s90, s76
	v_cmp_class_f64_e64 s[12:13], v[16:17], s40
	v_cmp_class_f64_e64 s[14:15], v[14:15], s40
	v_ashrrev_i32_e32 v8, 31, v15
	v_max_f64 v[34:35], v[32:33], v[10:11]
	v_min_f64 v[10:11], v[32:33], v[10:11]
	v_div_scale_f64 v[32:33], s[2:3], v[34:35], v[34:35], v[10:11]
	s_mov_b32 s2, 0x69efb384
	s_mov_b32 s3, 0x3f4b2bb0
	v_rcp_f64_e32 v[38:39], v[32:33]
	v_fma_f64 v[40:41], -v[32:33], v[38:39], 1.0
	v_fma_f64 v[38:39], v[38:39], v[40:41], v[38:39]
	v_div_scale_f64 v[40:41], vcc, v[10:11], v[34:35], v[10:11]
	v_fma_f64 v[42:43], -v[32:33], v[38:39], 1.0
	v_fma_f64 v[38:39], v[38:39], v[42:43], v[38:39]
	v_mul_f64 v[42:43], v[40:41], v[38:39]
	v_fma_f64 v[32:33], -v[32:33], v[42:43], v[40:41]
	v_div_fmas_f64 v[32:33], v[32:33], v[38:39], v[42:43]
	v_cmp_gt_i32_e32 vcc, 0, v15
	v_and_b32_e32 v38, 0x54442d18, v8
	v_cndmask_b32_e32 v14, v64, v65, vcc
	v_and_b32_e32 v8, 0x400921fb, v8
	v_cndmask_b32_e32 v19, v62, v63, vcc
	v_bfi_b32 v14, s38, v14, v17
	v_div_fixup_f64 v[10:11], v[32:33], v[34:35], v[10:11]
	v_mul_f64 v[32:33], v[10:11], v[10:11]
	v_fma_f64 v[34:35], v[32:33], s[80:81], v[22:23]
	v_fma_f64 v[34:35], v[32:33], v[34:35], s[2:3]
	v_cmp_eq_f64_e64 s[2:3], 0, v[16:17]
	v_fma_f64 v[34:35], v[32:33], v[34:35], s[42:43]
	v_fma_f64 v[34:35], v[32:33], v[34:35], s[44:45]
	;; [unrolled: 1-line block ×17, first 2 shown]
	v_mul_f64 v[32:33], v[32:33], v[34:35]
	v_mul_f64 v[34:35], v[36:37], 0.5
	v_fma_f64 v[10:11], v[10:11], v[32:33], v[10:11]
	v_add_f64 v[32:33], -v[10:11], s[76:77]
	v_cndmask_b32_e64 v12, v11, v33, s[0:1]
	v_cndmask_b32_e64 v11, v10, v32, s[0:1]
	v_add_f64 v[32:33], -v[11:12], s[90:91]
	v_cndmask_b32_e32 v32, v11, v32, vcc
	v_mul_f64 v[10:11], v[36:37], v[34:35]
	v_cndmask_b32_e32 v12, v12, v33, vcc
	v_cndmask_b32_e64 v15, v32, v38, s[2:3]
	v_cndmask_b32_e64 v8, v12, v8, s[2:3]
	s_and_b64 vcc, s[14:15], s[12:13]
	v_cndmask_b32_e32 v33, v8, v14, vcc
	v_cndmask_b32_e32 v32, v15, v19, vcc
.LBB185_253:                            ;   in Loop: Header=BB185_162 Depth=1
	s_or_b64 exec, exec, s[4:5]
.LBB185_254:                            ;   in Loop: Header=BB185_162 Depth=1
	s_or_b64 exec, exec, s[6:7]
.LBB185_255:                            ;   in Loop: Header=BB185_162 Depth=1
	s_andn2_saveexec_b64 s[6:7], s[94:95]
	s_cbranch_execz .LBB185_257
; %bb.256:                              ;   in Loop: Header=BB185_162 Depth=1
	v_div_scale_f64 v[10:11], s[2:3], s[82:83], s[82:83], v[14:15]
	s_mov_b32 s31, s19
	s_mov_b32 s90, s76
	v_rcp_f64_e32 v[32:33], v[10:11]
	v_fma_f64 v[34:35], -v[10:11], v[32:33], 1.0
	v_fma_f64 v[32:33], v[32:33], v[34:35], v[32:33]
	v_fma_f64 v[34:35], -v[10:11], v[32:33], 1.0
	v_fma_f64 v[32:33], v[32:33], v[34:35], v[32:33]
	v_div_scale_f64 v[34:35], vcc, v[14:15], s[82:83], v[14:15]
	v_mul_f64 v[36:37], v[34:35], v[32:33]
	v_fma_f64 v[10:11], -v[10:11], v[36:37], v[34:35]
	s_nop 1
	v_div_fmas_f64 v[10:11], v[10:11], v[32:33], v[36:37]
	v_div_scale_f64 v[32:33], s[2:3], s[82:83], s[82:83], v[16:17]
	v_div_fixup_f64 v[10:11], v[10:11], s[82:83], v[14:15]
	v_rcp_f64_e32 v[34:35], v[32:33]
	v_cmp_class_f64_e64 s[2:3], v[10:11], s40
	v_fma_f64 v[36:37], -v[32:33], v[34:35], 1.0
	v_fma_f64 v[34:35], v[34:35], v[36:37], v[34:35]
	v_fma_f64 v[36:37], -v[32:33], v[34:35], 1.0
	v_fma_f64 v[34:35], v[34:35], v[36:37], v[34:35]
	v_div_scale_f64 v[36:37], vcc, v[16:17], s[82:83], v[16:17]
	v_mul_f64 v[38:39], v[36:37], v[34:35]
	v_fma_f64 v[32:33], -v[32:33], v[38:39], v[36:37]
	s_nop 1
	v_div_fmas_f64 v[32:33], v[32:33], v[34:35], v[38:39]
	v_div_fixup_f64 v[32:33], v[32:33], s[82:83], v[16:17]
	v_max_f64 v[34:35], |v[10:11]|, |v[32:33]|
	v_cmp_class_f64_e64 s[4:5], v[32:33], s40
	v_frexp_exp_i32_f64_e32 v8, v[34:35]
	v_sub_u32_e32 v12, 0, v8
	v_ldexp_f64 v[36:37], |v[32:33]|, v12
	v_ldexp_f64 v[34:35], |v[10:11]|, v12
	v_mul_f64 v[36:37], v[36:37], v[36:37]
	v_fma_f64 v[34:35], v[34:35], v[34:35], v[36:37]
	v_rsq_f64_e32 v[36:37], v[34:35]
	v_cmp_eq_f64_e32 vcc, 0, v[34:35]
	v_mul_f64 v[38:39], v[34:35], v[36:37]
	v_mul_f64 v[36:37], v[36:37], 0.5
	v_fma_f64 v[40:41], -v[36:37], v[38:39], 0.5
	v_fma_f64 v[38:39], v[38:39], v[40:41], v[38:39]
	v_fma_f64 v[36:37], v[36:37], v[40:41], v[36:37]
	v_fma_f64 v[40:41], -v[38:39], v[38:39], v[34:35]
	v_fma_f64 v[36:37], v[40:41], v[36:37], v[38:39]
	v_cndmask_b32_e32 v35, v37, v35, vcc
	v_cndmask_b32_e32 v34, v36, v34, vcc
	v_ldexp_f64 v[34:35], v[34:35], v8
	v_cmp_o_f64_e32 vcc, v[10:11], v[32:33]
	v_cndmask_b32_e32 v8, 0, v34, vcc
	v_cndmask_b32_e32 v12, v60, v35, vcc
	s_or_b64 vcc, s[2:3], s[4:5]
	v_cndmask_b32_e32 v12, v12, v59, vcc
	v_cndmask_b32_e64 v11, v8, 0, vcc
	v_frexp_mant_f64_e32 v[32:33], v[11:12]
	v_frexp_exp_i32_f64_e32 v8, v[11:12]
	v_cmp_class_f64_e64 s[4:5], v[14:15], s40
	v_cmp_gt_f64_e32 vcc, s[18:19], v[32:33]
	v_cndmask_b32_e64 v10, 0, 1, vcc
	v_ldexp_f64 v[32:33], v[32:33], v10
	v_subbrev_co_u32_e32 v8, vcc, 0, v8, vcc
	v_cmp_class_f64_e64 vcc, v[11:12], s40
	v_add_f64 v[36:37], v[32:33], 1.0
	v_add_f64 v[34:35], v[32:33], -1.0
	v_add_f64 v[38:39], v[36:37], -1.0
	v_add_f64 v[32:33], v[32:33], -v[38:39]
	v_rcp_f64_e32 v[38:39], v[36:37]
	v_fma_f64 v[40:41], -v[36:37], v[38:39], 1.0
	v_fma_f64 v[38:39], v[40:41], v[38:39], v[38:39]
	v_fma_f64 v[40:41], -v[36:37], v[38:39], 1.0
	v_fma_f64 v[38:39], v[40:41], v[38:39], v[38:39]
	v_mul_f64 v[40:41], v[34:35], v[38:39]
	v_mul_f64 v[42:43], v[36:37], v[40:41]
	v_fma_f64 v[36:37], v[40:41], v[36:37], -v[42:43]
	v_fma_f64 v[32:33], v[40:41], v[32:33], v[36:37]
	v_add_f64 v[36:37], v[42:43], v[32:33]
	v_add_f64 v[44:45], v[34:35], -v[36:37]
	v_add_f64 v[42:43], v[36:37], -v[42:43]
	;; [unrolled: 1-line block ×5, first 2 shown]
	v_add_f64 v[32:33], v[32:33], v[34:35]
	v_add_f64 v[32:33], v[44:45], v[32:33]
	v_mul_f64 v[32:33], v[38:39], v[32:33]
	v_add_f64 v[34:35], v[40:41], v[32:33]
	v_add_f64 v[36:37], v[34:35], -v[40:41]
	v_ldexp_f64 v[40:41], v[34:35], 1
	v_add_f64 v[32:33], v[32:33], -v[36:37]
	v_mul_f64 v[36:37], v[34:35], v[34:35]
	v_ldexp_f64 v[32:33], v[32:33], 1
	v_fma_f64 v[38:39], v[36:37], s[20:21], v[20:21]
	v_mul_f64 v[34:35], v[34:35], v[36:37]
	v_fma_f64 v[38:39], v[36:37], v[38:39], s[22:23]
	v_fma_f64 v[38:39], v[36:37], v[38:39], s[24:25]
	;; [unrolled: 1-line block ×5, first 2 shown]
	v_mul_f64 v[34:35], v[34:35], v[38:39]
	v_add_f64 v[36:37], v[40:41], v[34:35]
	v_add_f64 v[38:39], v[36:37], -v[40:41]
	v_add_f64 v[34:35], v[34:35], -v[38:39]
	v_add_f64 v[32:33], v[32:33], v[34:35]
	v_add_f64 v[34:35], v[36:37], v[32:33]
	v_add_f64 v[36:37], v[34:35], -v[36:37]
	v_add_f64 v[32:33], v[32:33], -v[36:37]
	v_cvt_f64_i32_e32 v[36:37], v8
	v_mul_f64 v[38:39], v[36:37], s[34:35]
	v_fma_f64 v[40:41], v[36:37], s[34:35], -v[38:39]
	v_fma_f64 v[36:37], v[36:37], s[36:37], v[40:41]
	v_add_f64 v[40:41], v[38:39], v[36:37]
	v_add_f64 v[38:39], v[40:41], -v[38:39]
	v_add_f64 v[36:37], v[36:37], -v[38:39]
	v_add_f64 v[38:39], v[40:41], v[34:35]
	v_add_f64 v[42:43], v[38:39], -v[40:41]
	v_add_f64 v[44:45], v[38:39], -v[42:43]
	;; [unrolled: 1-line block ×4, first 2 shown]
	v_add_f64 v[34:35], v[34:35], v[40:41]
	v_add_f64 v[40:41], v[36:37], v[32:33]
	v_add_f64 v[42:43], v[40:41], -v[36:37]
	v_add_f64 v[34:35], v[40:41], v[34:35]
	v_add_f64 v[44:45], v[40:41], -v[42:43]
	v_add_f64 v[32:33], v[32:33], -v[42:43]
	;; [unrolled: 1-line block ×3, first 2 shown]
	v_add_f64 v[32:33], v[32:33], v[36:37]
	v_add_f64 v[36:37], v[38:39], v[34:35]
	v_add_f64 v[38:39], v[36:37], -v[38:39]
	v_add_f64 v[34:35], v[34:35], -v[38:39]
	v_add_f64 v[32:33], v[32:33], v[34:35]
	v_max_f64 v[34:35], |v[14:15]|, |v[14:15]|
	v_ashrrev_i32_e32 v14, 31, v15
	v_and_b32_e32 v19, 0x400921fb, v14
	v_add_f64 v[32:33], v[36:37], v[32:33]
	v_cndmask_b32_e32 v33, v33, v12, vcc
	v_cndmask_b32_e32 v32, v32, v11, vcc
	v_add_f64 v[32:33], v[32:33], 1.0
	v_cmp_ngt_f64_e32 vcc, 0, v[11:12]
	v_cndmask_b32_e32 v8, v60, v33, vcc
	v_cmp_nge_f64_e32 vcc, 0, v[11:12]
	v_cndmask_b32_e32 v10, 0, v32, vcc
	v_max_f64 v[32:33], |v[16:17]|, |v[16:17]|
	v_cmp_neq_f64_e32 vcc, 0, v[11:12]
	v_max_f64 v[36:37], v[34:35], v[32:33]
	v_min_f64 v[32:33], v[34:35], v[32:33]
	v_cndmask_b32_e32 v11, v61, v8, vcc
	v_div_scale_f64 v[34:35], s[2:3], v[36:37], v[36:37], v[32:33]
	s_mov_b32 s2, 0x69efb384
	s_mov_b32 s3, 0x3f4b2bb0
	v_rcp_f64_e32 v[38:39], v[34:35]
	v_fma_f64 v[40:41], -v[34:35], v[38:39], 1.0
	v_fma_f64 v[38:39], v[38:39], v[40:41], v[38:39]
	v_fma_f64 v[40:41], -v[34:35], v[38:39], 1.0
	v_fma_f64 v[38:39], v[38:39], v[40:41], v[38:39]
	v_div_scale_f64 v[40:41], vcc, v[32:33], v[36:37], v[32:33]
	v_mul_f64 v[42:43], v[40:41], v[38:39]
	v_fma_f64 v[34:35], -v[34:35], v[42:43], v[40:41]
	s_nop 1
	v_div_fmas_f64 v[34:35], v[34:35], v[38:39], v[42:43]
	v_div_fixup_f64 v[32:33], v[34:35], v[36:37], v[32:33]
	v_mul_f64 v[34:35], v[32:33], v[32:33]
	v_fma_f64 v[36:37], v[34:35], s[80:81], v[22:23]
	v_fma_f64 v[36:37], v[34:35], v[36:37], s[2:3]
	v_cmp_class_f64_e64 s[2:3], v[16:17], s40
	v_fma_f64 v[36:37], v[34:35], v[36:37], s[42:43]
	s_and_b64 vcc, s[4:5], s[2:3]
	v_cmp_gt_i32_e64 s[2:3], 0, v15
	v_cmp_eq_f64_e64 s[4:5], 0, v[16:17]
	v_cndmask_b32_e64 v12, v64, v65, s[2:3]
	v_cndmask_b32_e64 v8, v62, v63, s[2:3]
	v_bfi_b32 v12, s38, v12, v17
	v_fma_f64 v[36:37], v[34:35], v[36:37], s[44:45]
	v_fma_f64 v[36:37], v[34:35], v[36:37], s[46:47]
	;; [unrolled: 1-line block ×16, first 2 shown]
	v_mul_f64 v[34:35], v[34:35], v[36:37]
	v_fma_f64 v[32:33], v[32:33], v[34:35], v[32:33]
	v_and_b32_e32 v34, 0x54442d18, v14
	v_add_f64 v[14:15], -v[32:33], s[76:77]
	v_cndmask_b32_e64 v15, v33, v15, s[0:1]
	v_cndmask_b32_e64 v14, v32, v14, s[0:1]
	v_add_f64 v[32:33], -v[14:15], s[90:91]
	v_cndmask_b32_e64 v15, v15, v33, s[2:3]
	v_cndmask_b32_e64 v14, v14, v32, s[2:3]
	;; [unrolled: 1-line block ×4, first 2 shown]
	v_cndmask_b32_e32 v33, v15, v12, vcc
	v_cndmask_b32_e32 v32, v14, v8, vcc
.LBB185_257:                            ;   in Loop: Header=BB185_162 Depth=1
	s_or_b64 exec, exec, s[6:7]
.LBB185_258:                            ;   in Loop: Header=BB185_162 Depth=1
	s_andn2_saveexec_b64 s[0:1], s[92:93]
	s_cbranch_execz .LBB185_264
; %bb.259:                              ;   in Loop: Header=BB185_162 Depth=1
	v_cmp_nlt_f64_e64 s[2:3], |v[14:15]|, s[88:89]
	v_cmp_nlt_f64_e64 s[4:5], |v[16:17]|, s[88:89]
                                        ; implicit-def: $vgpr11_vgpr12
	s_or_b64 s[2:3], s[2:3], s[4:5]
	s_and_saveexec_b64 s[4:5], s[2:3]
	s_xor_b64 s[2:3], exec, s[4:5]
	s_cbranch_execz .LBB185_261
; %bb.260:                              ;   in Loop: Header=BB185_162 Depth=1
	v_mul_f64 v[10:11], v[16:17], v[16:17]
	v_fma_f64 v[11:12], v[14:15], v[14:15], v[10:11]
.LBB185_261:                            ;   in Loop: Header=BB185_162 Depth=1
	s_andn2_saveexec_b64 s[2:3], s[2:3]
	s_cbranch_execz .LBB185_263
; %bb.262:                              ;   in Loop: Header=BB185_162 Depth=1
	v_mul_f64 v[10:11], v[16:17], 4.0
	v_mul_f64 v[14:15], v[14:15], 4.0
	v_mul_f64 v[10:11], v[10:11], v[10:11]
	v_fma_f64 v[10:11], v[14:15], v[14:15], v[10:11]
	v_ldexp_f64 v[11:12], v[10:11], -4
.LBB185_263:                            ;   in Loop: Header=BB185_162 Depth=1
	s_or_b64 exec, exec, s[2:3]
	v_frexp_mant_f64_e32 v[14:15], v[11:12]
	s_mov_b32 s31, s19
	v_cmp_gt_f64_e32 vcc, s[18:19], v[14:15]
	v_cndmask_b32_e64 v8, 0, 1, vcc
	v_ldexp_f64 v[14:15], v[14:15], v8
	v_frexp_exp_i32_f64_e32 v8, v[11:12]
	v_add_f64 v[32:33], v[14:15], 1.0
	v_add_f64 v[38:39], v[14:15], -1.0
	v_subbrev_co_u32_e32 v8, vcc, 0, v8, vcc
	v_cmp_class_f64_e64 vcc, v[11:12], s40
	v_rcp_f64_e32 v[34:35], v[32:33]
	v_add_f64 v[40:41], v[32:33], -1.0
	v_add_f64 v[14:15], v[14:15], -v[40:41]
	v_fma_f64 v[36:37], -v[32:33], v[34:35], 1.0
	v_fma_f64 v[34:35], v[36:37], v[34:35], v[34:35]
	v_fma_f64 v[36:37], -v[32:33], v[34:35], 1.0
	v_fma_f64 v[34:35], v[36:37], v[34:35], v[34:35]
	v_mul_f64 v[36:37], v[38:39], v[34:35]
	v_mul_f64 v[42:43], v[32:33], v[36:37]
	v_fma_f64 v[32:33], v[36:37], v[32:33], -v[42:43]
	v_fma_f64 v[14:15], v[36:37], v[14:15], v[32:33]
	v_add_f64 v[32:33], v[42:43], v[14:15]
	v_add_f64 v[40:41], v[38:39], -v[32:33]
	v_add_f64 v[42:43], v[32:33], -v[42:43]
	;; [unrolled: 1-line block ×5, first 2 shown]
	v_add_f64 v[14:15], v[14:15], v[32:33]
	v_add_f64 v[14:15], v[40:41], v[14:15]
	v_mul_f64 v[14:15], v[34:35], v[14:15]
	v_add_f64 v[32:33], v[36:37], v[14:15]
	v_mul_f64 v[34:35], v[32:33], v[32:33]
	v_fma_f64 v[38:39], v[34:35], s[20:21], v[20:21]
	v_mul_f64 v[40:41], v[32:33], v[34:35]
	v_fma_f64 v[38:39], v[34:35], v[38:39], s[22:23]
	v_fma_f64 v[38:39], v[34:35], v[38:39], s[24:25]
	;; [unrolled: 1-line block ×5, first 2 shown]
	v_ldexp_f64 v[38:39], v[32:33], 1
	v_add_f64 v[32:33], v[32:33], -v[36:37]
	v_mul_f64 v[34:35], v[40:41], v[34:35]
	v_cvt_f64_i32_e32 v[40:41], v8
	v_add_f64 v[14:15], v[14:15], -v[32:33]
	v_mul_f64 v[42:43], v[40:41], s[34:35]
	v_add_f64 v[36:37], v[38:39], v[34:35]
	v_ldexp_f64 v[14:15], v[14:15], 1
	v_add_f64 v[32:33], v[36:37], -v[38:39]
	v_fma_f64 v[38:39], v[40:41], s[34:35], -v[42:43]
	v_add_f64 v[32:33], v[34:35], -v[32:33]
	v_fma_f64 v[34:35], v[40:41], s[36:37], v[38:39]
	v_add_f64 v[14:15], v[14:15], v[32:33]
	v_add_f64 v[32:33], v[42:43], v[34:35]
	;; [unrolled: 1-line block ×3, first 2 shown]
	v_add_f64 v[42:43], v[32:33], -v[42:43]
	v_add_f64 v[40:41], v[32:33], v[38:39]
	v_add_f64 v[36:37], v[38:39], -v[36:37]
	v_add_f64 v[34:35], v[34:35], -v[42:43]
	v_add_f64 v[44:45], v[40:41], -v[32:33]
	v_add_f64 v[14:15], v[14:15], -v[36:37]
	v_add_f64 v[46:47], v[40:41], -v[44:45]
	v_add_f64 v[36:37], v[38:39], -v[44:45]
	v_add_f64 v[38:39], v[34:35], v[14:15]
	v_add_f64 v[32:33], v[32:33], -v[46:47]
	v_add_f64 v[32:33], v[36:37], v[32:33]
	v_add_f64 v[36:37], v[38:39], -v[34:35]
	;; [unrolled: 2-line block ×3, first 2 shown]
	v_add_f64 v[14:15], v[14:15], -v[36:37]
	v_add_f64 v[42:43], v[40:41], v[32:33]
	v_add_f64 v[34:35], v[34:35], -v[38:39]
	v_add_f64 v[36:37], v[42:43], -v[40:41]
	v_add_f64 v[14:15], v[14:15], v[34:35]
	v_add_f64 v[32:33], v[32:33], -v[36:37]
	v_add_f64 v[14:15], v[14:15], v[32:33]
	v_mov_b32_e32 v32, 0
	v_mov_b32_e32 v33, 0x7ff80000
	v_add_f64 v[14:15], v[42:43], v[14:15]
	v_cndmask_b32_e32 v8, v14, v11, vcc
	v_cndmask_b32_e32 v10, v15, v12, vcc
	v_cmp_ngt_f64_e32 vcc, 0, v[11:12]
	v_cndmask_b32_e32 v14, v60, v10, vcc
	v_cmp_nge_f64_e32 vcc, 0, v[11:12]
	v_cndmask_b32_e32 v10, 0, v8, vcc
	v_cmp_neq_f64_e32 vcc, 0, v[11:12]
	v_cndmask_b32_e32 v11, v61, v14, vcc
.LBB185_264:                            ;   in Loop: Header=BB185_162 Depth=1
	s_or_b64 exec, exec, s[0:1]
	v_cmp_o_f64_e32 vcc, v[2:3], v[4:5]
                                        ; implicit-def: $vgpr34_vgpr35
                                        ; implicit-def: $vgpr36_vgpr37
	s_and_saveexec_b64 s[0:1], vcc
	s_xor_b64 s[92:93], exec, s[0:1]
	s_cbranch_execz .LBB185_292
; %bb.265:                              ;   in Loop: Header=BB185_162 Depth=1
	v_cmp_lt_f64_e64 s[0:1], |v[2:3]|, |v[4:5]|
	v_and_b32_e32 v8, 0x7fffffff, v3
	v_and_b32_e32 v12, 0x7fffffff, v5
	s_mov_b32 s2, 0x85ebc8a0
	s_mov_b32 s3, 0x7fd1ccf3
	v_mov_b32_e32 v14, v4
                                        ; implicit-def: $vgpr34_vgpr35
                                        ; implicit-def: $vgpr36_vgpr37
	v_cndmask_b32_e64 v39, v12, v8, s[0:1]
	v_cndmask_b32_e64 v38, v4, v2, s[0:1]
	v_cmp_nlt_f64_e32 vcc, s[2:3], v[38:39]
	s_and_saveexec_b64 s[2:3], vcc
	s_xor_b64 s[94:95], exec, s[2:3]
	s_cbranch_execz .LBB185_289
; %bb.266:                              ;   in Loop: Header=BB185_162 Depth=1
	v_cndmask_b32_e64 v41, v8, v12, s[0:1]
	v_cndmask_b32_e64 v40, v2, v14, s[0:1]
	v_cmp_neq_f64_e32 vcc, 1.0, v[40:41]
                                        ; implicit-def: $vgpr34_vgpr35
                                        ; implicit-def: $vgpr36_vgpr37
	s_and_saveexec_b64 s[2:3], vcc
	s_xor_b64 s[78:79], exec, s[2:3]
	s_cbranch_execz .LBB185_282
; %bb.267:                              ;   in Loop: Header=BB185_162 Depth=1
	v_max_f64 v[14:15], v[38:39], v[38:39]
	v_max_f64 v[34:35], v[40:41], v[40:41]
	s_mov_b32 s2, 0x4ad4b81f
	s_mov_b32 s3, 0x358dee7a
	v_min_f64 v[36:37], v[34:35], v[14:15]
	v_max_f64 v[14:15], v[34:35], v[14:15]
                                        ; implicit-def: $vgpr34_vgpr35
	v_cmp_ngt_f64_e32 vcc, s[2:3], v[36:37]
	s_mov_b32 s2, 0xc57e649a
	s_mov_b32 s3, 0x4a511b0e
	v_cmp_nlt_f64_e64 s[2:3], s[2:3], v[14:15]
                                        ; implicit-def: $vgpr36_vgpr37
	s_and_b64 s[2:3], s[2:3], vcc
	s_and_saveexec_b64 s[4:5], s[2:3]
	s_xor_b64 s[86:87], exec, s[4:5]
	s_cbranch_execz .LBB185_279
; %bb.268:                              ;   in Loop: Header=BB185_162 Depth=1
	v_cmp_le_f64_e32 vcc, 1.0, v[40:41]
                                        ; implicit-def: $vgpr34_vgpr35
                                        ; implicit-def: $vgpr36_vgpr37
	s_and_saveexec_b64 s[2:3], vcc
	s_xor_b64 s[14:15], exec, s[2:3]
	s_cbranch_execz .LBB185_270
; %bb.269:                              ;   in Loop: Header=BB185_162 Depth=1
	v_add_f64 v[14:15], v[40:41], -1.0
	v_add_f64 v[34:35], v[40:41], 1.0
	s_mov_b32 s31, s19
	s_mov_b32 s90, s76
	s_mov_b32 s6, 0
	s_mov_b32 s7, 0x7ff00000
	v_cmp_class_f64_e64 s[16:17], v[2:3], s40
	v_cmp_class_f64_e64 s[12:13], v[4:5], s40
	v_mul_f64 v[14:15], v[14:15], v[34:35]
	v_fma_f64 v[14:15], v[38:39], v[38:39], v[14:15]
	v_add_f64 v[34:35], v[14:15], 1.0
	v_cmp_nge_f64_e64 s[4:5], -1.0, v[14:15]
	v_cmp_neq_f64_e64 s[6:7], s[6:7], v[14:15]
	v_frexp_mant_f64_e32 v[38:39], v[34:35]
	v_frexp_exp_i32_f64_e32 v8, v[34:35]
	v_add_f64 v[36:37], v[34:35], -1.0
	v_cmp_gt_f64_e32 vcc, s[18:19], v[38:39]
	v_add_f64 v[40:41], v[36:37], -v[34:35]
	v_add_f64 v[36:37], v[14:15], -v[36:37]
	v_subbrev_co_u32_e32 v8, vcc, 0, v8, vcc
	v_sub_u32_e32 v12, 0, v8
	v_ldexp_f64 v[34:35], v[34:35], v12
	v_add_f64 v[38:39], v[40:41], 1.0
	v_add_f64 v[40:41], v[34:35], 1.0
	v_add_f64 v[36:37], v[36:37], v[38:39]
	v_add_f64 v[46:47], v[34:35], -1.0
	v_add_f64 v[38:39], v[40:41], -1.0
	v_ldexp_f64 v[36:37], v[36:37], v12
	v_add_f64 v[48:49], v[46:47], 1.0
	v_add_f64 v[38:39], v[34:35], -v[38:39]
	v_add_f64 v[34:35], v[34:35], -v[48:49]
	v_add_f64 v[42:43], v[36:37], v[38:39]
	v_add_f64 v[48:49], v[36:37], v[34:35]
	;; [unrolled: 1-line block ×3, first 2 shown]
	v_rcp_f64_e32 v[44:45], v[38:39]
	v_add_f64 v[40:41], v[38:39], -v[40:41]
	v_add_f64 v[42:43], v[42:43], -v[40:41]
	v_fma_f64 v[50:51], -v[38:39], v[44:45], 1.0
	v_fma_f64 v[44:45], v[50:51], v[44:45], v[44:45]
	v_add_f64 v[50:51], v[46:47], v[48:49]
	v_fma_f64 v[34:35], -v[38:39], v[44:45], 1.0
	v_add_f64 v[46:47], v[50:51], -v[46:47]
	v_fma_f64 v[34:35], v[34:35], v[44:45], v[44:45]
	v_add_f64 v[46:47], v[48:49], -v[46:47]
	v_mul_f64 v[36:37], v[50:51], v[34:35]
	v_mul_f64 v[44:45], v[38:39], v[36:37]
	v_fma_f64 v[40:41], v[36:37], v[38:39], -v[44:45]
	v_fma_f64 v[52:53], v[36:37], v[42:43], v[40:41]
	v_add_f64 v[54:55], v[44:45], v[52:53]
	v_add_f64 v[40:41], v[50:51], -v[54:55]
	v_add_f64 v[44:45], v[54:55], -v[44:45]
	;; [unrolled: 1-line block ×5, first 2 shown]
	v_add_f64 v[46:47], v[46:47], v[48:49]
	v_max_f64 v[48:49], |v[2:3]|, |v[2:3]|
	v_ashrrev_i32_e32 v2, 31, v3
	v_and_b32_e32 v16, 0x54442d18, v2
	v_add_f64 v[44:45], v[44:45], v[46:47]
	v_max_f64 v[46:47], |v[4:5]|, |v[4:5]|
	v_add_f64 v[50:51], v[40:41], v[44:45]
	v_max_f64 v[52:53], v[48:49], v[46:47]
	v_min_f64 v[46:47], v[48:49], v[46:47]
	v_mul_f64 v[48:49], v[34:35], v[50:51]
	v_add_f64 v[40:41], v[40:41], -v[50:51]
	v_div_scale_f64 v[54:55], s[2:3], v[52:53], v[52:53], v[46:47]
	s_mov_b32 s2, 0x69efb384
	s_mov_b32 s3, 0x3f4b2bb0
	v_mul_f64 v[56:57], v[38:39], v[48:49]
	v_add_f64 v[40:41], v[44:45], v[40:41]
	v_fma_f64 v[38:39], v[48:49], v[38:39], -v[56:57]
	v_rcp_f64_e32 v[66:67], v[54:55]
	v_fma_f64 v[38:39], v[48:49], v[42:43], v[38:39]
	v_add_f64 v[42:43], v[56:57], v[38:39]
	v_fma_f64 v[68:69], -v[54:55], v[66:67], 1.0
	v_add_f64 v[70:71], v[50:51], -v[42:43]
	v_add_f64 v[44:45], v[42:43], -v[56:57]
	v_fma_f64 v[66:67], v[66:67], v[68:69], v[66:67]
	v_div_scale_f64 v[68:69], vcc, v[46:47], v[52:53], v[46:47]
	v_add_f64 v[50:51], v[50:51], -v[70:71]
	v_add_f64 v[38:39], v[44:45], -v[38:39]
	v_fma_f64 v[72:73], -v[54:55], v[66:67], 1.0
	v_add_f64 v[44:45], v[36:37], v[48:49]
	v_add_f64 v[42:43], v[50:51], -v[42:43]
	v_fma_f64 v[50:51], v[66:67], v[72:73], v[66:67]
	v_add_f64 v[36:37], v[44:45], -v[36:37]
	v_add_f64 v[40:41], v[40:41], v[42:43]
	v_mul_f64 v[42:43], v[68:69], v[50:51]
	v_add_f64 v[36:37], v[48:49], -v[36:37]
	v_add_f64 v[38:39], v[38:39], v[40:41]
	v_fma_f64 v[40:41], -v[54:55], v[42:43], v[68:69]
	v_add_f64 v[38:39], v[70:71], v[38:39]
	v_div_fmas_f64 v[40:41], v[40:41], v[50:51], v[42:43]
	v_cmp_gt_i32_e32 vcc, 0, v3
	v_cndmask_b32_e32 v12, v64, v65, vcc
	v_bfi_b32 v12, s38, v12, v5
	v_mul_f64 v[34:35], v[34:35], v[38:39]
	v_add_f64 v[34:35], v[36:37], v[34:35]
	v_div_fixup_f64 v[36:37], v[40:41], v[52:53], v[46:47]
	v_add_f64 v[38:39], v[44:45], v[34:35]
	v_mul_f64 v[40:41], v[36:37], v[36:37]
	v_mul_f64 v[42:43], v[38:39], v[38:39]
	v_fma_f64 v[46:47], v[40:41], s[80:81], v[22:23]
	v_fma_f64 v[48:49], v[42:43], s[20:21], v[20:21]
	v_mul_f64 v[50:51], v[38:39], v[42:43]
	v_fma_f64 v[46:47], v[40:41], v[46:47], s[2:3]
	v_cmp_eq_f64_e64 s[2:3], 0, v[4:5]
	v_fma_f64 v[48:49], v[42:43], v[48:49], s[22:23]
	v_fma_f64 v[46:47], v[40:41], v[46:47], s[42:43]
	;; [unrolled: 1-line block ×9, first 2 shown]
	v_ldexp_f64 v[48:49], v[38:39], 1
	v_fma_f64 v[46:47], v[40:41], v[46:47], s[50:51]
	v_add_f64 v[38:39], v[38:39], -v[44:45]
	v_mul_f64 v[42:43], v[50:51], v[42:43]
	v_cvt_f64_i32_e32 v[50:51], v8
	v_fma_f64 v[46:47], v[40:41], v[46:47], s[52:53]
	v_add_f64 v[34:35], v[34:35], -v[38:39]
	v_cndmask_b32_e32 v8, v62, v63, vcc
	v_mul_f64 v[52:53], v[50:51], s[34:35]
	v_add_f64 v[44:45], v[48:49], v[42:43]
	v_fma_f64 v[46:47], v[40:41], v[46:47], s[54:55]
	v_ldexp_f64 v[34:35], v[34:35], 1
	v_add_f64 v[38:39], v[44:45], -v[48:49]
	v_fma_f64 v[48:49], v[50:51], s[34:35], -v[52:53]
	v_fma_f64 v[46:47], v[40:41], v[46:47], s[56:57]
	v_add_f64 v[38:39], v[42:43], -v[38:39]
	v_fma_f64 v[42:43], v[40:41], v[46:47], s[58:59]
	v_fma_f64 v[46:47], v[50:51], s[36:37], v[48:49]
	v_add_f64 v[34:35], v[34:35], v[38:39]
	v_fma_f64 v[38:39], v[40:41], v[42:43], s[60:61]
	v_add_f64 v[42:43], v[52:53], v[46:47]
	v_add_f64 v[48:49], v[44:45], v[34:35]
	v_fma_f64 v[38:39], v[40:41], v[38:39], s[62:63]
	v_add_f64 v[52:53], v[42:43], -v[52:53]
	v_add_f64 v[50:51], v[42:43], v[48:49]
	v_add_f64 v[44:45], v[48:49], -v[44:45]
	v_fma_f64 v[38:39], v[40:41], v[38:39], s[64:65]
	v_add_f64 v[46:47], v[46:47], -v[52:53]
	v_add_f64 v[54:55], v[50:51], -v[42:43]
	;; [unrolled: 1-line block ×3, first 2 shown]
	v_fma_f64 v[38:39], v[40:41], v[38:39], s[66:67]
	v_add_f64 v[56:57], v[50:51], -v[54:55]
	v_add_f64 v[44:45], v[48:49], -v[54:55]
	v_fma_f64 v[38:39], v[40:41], v[38:39], s[68:69]
	v_add_f64 v[48:49], v[46:47], v[34:35]
	v_add_f64 v[42:43], v[42:43], -v[56:57]
	v_fma_f64 v[38:39], v[40:41], v[38:39], s[70:71]
	v_add_f64 v[42:43], v[44:45], v[42:43]
	;; [unrolled: 3-line block ×3, first 2 shown]
	v_add_f64 v[48:49], v[48:49], -v[44:45]
	v_fma_f64 v[38:39], v[40:41], v[38:39], s[74:75]
	v_add_f64 v[34:35], v[34:35], -v[44:45]
	v_add_f64 v[52:53], v[50:51], v[42:43]
	v_mul_f64 v[38:39], v[40:41], v[38:39]
	v_add_f64 v[40:41], v[46:47], -v[48:49]
	v_add_f64 v[44:45], v[52:53], -v[50:51]
	v_fma_f64 v[36:37], v[36:37], v[38:39], v[36:37]
	v_add_f64 v[34:35], v[34:35], v[40:41]
	v_add_f64 v[38:39], v[42:43], -v[44:45]
	v_add_f64 v[40:41], -v[36:37], s[76:77]
	v_add_f64 v[34:35], v[34:35], v[38:39]
	v_cndmask_b32_e64 v37, v37, v41, s[0:1]
	v_cndmask_b32_e64 v36, v36, v40, s[0:1]
	v_add_f64 v[38:39], -v[36:37], s[90:91]
                                        ; implicit-def: $vgpr40_vgpr41
	v_add_f64 v[34:35], v[52:53], v[34:35]
	v_cndmask_b32_e32 v19, v36, v38, vcc
	v_and_b32_e32 v36, 0x400921fb, v2
	v_cndmask_b32_e64 v16, v19, v16, s[2:3]
	v_mul_f64 v[2:3], v[34:35], 0.5
	v_cndmask_b32_e32 v34, v37, v39, vcc
	v_cndmask_b32_e64 v19, v34, v36, s[2:3]
	s_and_b64 s[2:3], s[4:5], s[6:7]
	s_and_b64 vcc, s[16:17], s[12:13]
	v_cndmask_b32_e32 v37, v19, v12, vcc
	v_cndmask_b32_e32 v36, v16, v8, vcc
                                        ; implicit-def: $vgpr38_vgpr39
	v_cndmask_b32_e64 v34, 0, v2, s[2:3]
	v_cmp_ngt_f64_e64 s[2:3], -1.0, v[14:15]
	v_cndmask_b32_e64 v3, v59, v3, s[6:7]
	v_cndmask_b32_e64 v2, v60, v3, s[2:3]
	v_cmp_neq_f64_e64 s[2:3], -1.0, v[14:15]
	v_cndmask_b32_e64 v35, v61, v2, s[2:3]
.LBB185_270:                            ;   in Loop: Header=BB185_162 Depth=1
	s_andn2_saveexec_b64 s[14:15], s[14:15]
	s_cbranch_execz .LBB185_278
; %bb.271:                              ;   in Loop: Header=BB185_162 Depth=1
	v_mul_f64 v[14:15], v[38:39], v[38:39]
	s_mov_b32 s2, 0x66666666
	s_mov_b32 s3, 0x3fe66666
                                        ; implicit-def: $vgpr34_vgpr35
                                        ; implicit-def: $vgpr36_vgpr37
	v_fma_f64 v[14:15], v[40:41], v[40:41], v[14:15]
	v_cmp_ge_f64_e32 vcc, s[2:3], v[14:15]
	s_and_saveexec_b64 s[2:3], vcc
	s_xor_b64 s[6:7], exec, s[2:3]
	s_cbranch_execz .LBB185_273
; %bb.272:                              ;   in Loop: Header=BB185_162 Depth=1
	v_frexp_mant_f64_e32 v[34:35], v[14:15]
	v_max_f64 v[42:43], |v[4:5]|, |v[4:5]|
	v_max_f64 v[44:45], |v[2:3]|, |v[2:3]|
	s_mov_b32 s31, s19
	s_mov_b32 s90, s76
	v_cmp_class_f64_e64 s[12:13], v[4:5], s40
	v_cmp_class_f64_e64 s[16:17], v[2:3], s40
	v_ashrrev_i32_e32 v2, 31, v3
	v_cmp_gt_f64_e64 s[2:3], s[18:19], v[34:35]
	v_and_b32_e32 v12, 0x54442d18, v2
	v_cndmask_b32_e64 v8, 0, 1, s[2:3]
	v_ldexp_f64 v[34:35], v[34:35], v8
	v_frexp_exp_i32_f64_e32 v8, v[14:15]
	v_add_f64 v[36:37], v[34:35], 1.0
	v_add_f64 v[48:49], v[34:35], -1.0
	v_rcp_f64_e32 v[38:39], v[36:37]
	v_add_f64 v[52:53], v[36:37], -1.0
	v_add_f64 v[34:35], v[34:35], -v[52:53]
	v_fma_f64 v[40:41], -v[36:37], v[38:39], 1.0
	v_fma_f64 v[38:39], v[40:41], v[38:39], v[38:39]
	v_max_f64 v[40:41], v[44:45], v[42:43]
	v_min_f64 v[42:43], v[44:45], v[42:43]
	v_fma_f64 v[44:45], -v[36:37], v[38:39], 1.0
	v_div_scale_f64 v[46:47], s[4:5], v[40:41], v[40:41], v[42:43]
	s_mov_b32 s4, 0x69efb384
	s_mov_b32 s5, 0x3f4b2bb0
	v_fma_f64 v[38:39], v[44:45], v[38:39], v[38:39]
	v_mul_f64 v[44:45], v[48:49], v[38:39]
	v_rcp_f64_e32 v[50:51], v[46:47]
	v_mul_f64 v[54:55], v[36:37], v[44:45]
	v_fma_f64 v[36:37], v[44:45], v[36:37], -v[54:55]
	v_fma_f64 v[52:53], -v[46:47], v[50:51], 1.0
	v_fma_f64 v[34:35], v[44:45], v[34:35], v[36:37]
	v_fma_f64 v[36:37], v[50:51], v[52:53], v[50:51]
	v_div_scale_f64 v[52:53], vcc, v[42:43], v[40:41], v[42:43]
	v_add_f64 v[50:51], v[54:55], v[34:35]
	v_fma_f64 v[56:57], -v[46:47], v[36:37], 1.0
	v_add_f64 v[66:67], v[48:49], -v[50:51]
	v_add_f64 v[54:55], v[50:51], -v[54:55]
	v_fma_f64 v[36:37], v[36:37], v[56:57], v[36:37]
	v_add_f64 v[48:49], v[48:49], -v[66:67]
	v_add_f64 v[34:35], v[54:55], -v[34:35]
	v_mul_f64 v[56:57], v[52:53], v[36:37]
	v_add_f64 v[48:49], v[48:49], -v[50:51]
	v_fma_f64 v[46:47], -v[46:47], v[56:57], v[52:53]
	v_add_f64 v[34:35], v[34:35], v[48:49]
	v_div_fmas_f64 v[36:37], v[46:47], v[36:37], v[56:57]
	v_subbrev_co_u32_e64 v8, vcc, 0, v8, s[2:3]
	v_cmp_gt_i32_e32 vcc, 0, v3
	v_cmp_eq_f64_e64 s[2:3], 0, v[4:5]
	v_cndmask_b32_e32 v19, v64, v65, vcc
	v_add_f64 v[34:35], v[66:67], v[34:35]
	v_mul_f64 v[34:35], v[38:39], v[34:35]
	v_div_fixup_f64 v[36:37], v[36:37], v[40:41], v[42:43]
	v_add_f64 v[38:39], v[44:45], v[34:35]
	v_mul_f64 v[40:41], v[36:37], v[36:37]
	v_mul_f64 v[42:43], v[38:39], v[38:39]
	v_fma_f64 v[46:47], v[40:41], s[80:81], v[22:23]
	v_fma_f64 v[48:49], v[42:43], s[20:21], v[20:21]
	v_mul_f64 v[50:51], v[38:39], v[42:43]
	v_fma_f64 v[46:47], v[40:41], v[46:47], s[4:5]
	v_cmp_neq_f64_e64 s[4:5], 0, v[14:15]
	v_bfi_b32 v14, s38, v19, v5
	v_fma_f64 v[48:49], v[42:43], v[48:49], s[22:23]
	v_fma_f64 v[46:47], v[40:41], v[46:47], s[42:43]
	;; [unrolled: 1-line block ×9, first 2 shown]
	v_ldexp_f64 v[48:49], v[38:39], 1
	v_fma_f64 v[46:47], v[40:41], v[46:47], s[50:51]
	v_add_f64 v[38:39], v[38:39], -v[44:45]
	v_mul_f64 v[42:43], v[50:51], v[42:43]
	v_cvt_f64_i32_e32 v[50:51], v8
	v_fma_f64 v[46:47], v[40:41], v[46:47], s[52:53]
	v_add_f64 v[34:35], v[34:35], -v[38:39]
	v_cndmask_b32_e32 v8, v62, v63, vcc
	v_mul_f64 v[52:53], v[50:51], s[34:35]
	v_add_f64 v[44:45], v[48:49], v[42:43]
	v_fma_f64 v[46:47], v[40:41], v[46:47], s[54:55]
	v_ldexp_f64 v[34:35], v[34:35], 1
	v_add_f64 v[38:39], v[44:45], -v[48:49]
	v_fma_f64 v[48:49], v[50:51], s[34:35], -v[52:53]
	v_fma_f64 v[46:47], v[40:41], v[46:47], s[56:57]
	v_add_f64 v[38:39], v[42:43], -v[38:39]
	v_fma_f64 v[42:43], v[40:41], v[46:47], s[58:59]
	v_fma_f64 v[46:47], v[50:51], s[36:37], v[48:49]
	v_add_f64 v[34:35], v[34:35], v[38:39]
	v_fma_f64 v[38:39], v[40:41], v[42:43], s[60:61]
	v_add_f64 v[42:43], v[52:53], v[46:47]
	v_add_f64 v[48:49], v[44:45], v[34:35]
	v_fma_f64 v[38:39], v[40:41], v[38:39], s[62:63]
	v_add_f64 v[52:53], v[42:43], -v[52:53]
	v_add_f64 v[50:51], v[42:43], v[48:49]
	v_add_f64 v[44:45], v[48:49], -v[44:45]
	v_fma_f64 v[38:39], v[40:41], v[38:39], s[64:65]
	v_add_f64 v[46:47], v[46:47], -v[52:53]
	v_add_f64 v[54:55], v[50:51], -v[42:43]
	;; [unrolled: 1-line block ×3, first 2 shown]
	v_fma_f64 v[38:39], v[40:41], v[38:39], s[66:67]
	v_add_f64 v[56:57], v[50:51], -v[54:55]
	v_add_f64 v[44:45], v[48:49], -v[54:55]
	v_fma_f64 v[38:39], v[40:41], v[38:39], s[68:69]
	v_add_f64 v[48:49], v[46:47], v[34:35]
	v_add_f64 v[42:43], v[42:43], -v[56:57]
	v_fma_f64 v[38:39], v[40:41], v[38:39], s[70:71]
	v_add_f64 v[42:43], v[44:45], v[42:43]
	;; [unrolled: 3-line block ×3, first 2 shown]
	v_add_f64 v[48:49], v[48:49], -v[44:45]
	v_fma_f64 v[38:39], v[40:41], v[38:39], s[74:75]
	v_add_f64 v[34:35], v[34:35], -v[44:45]
	v_add_f64 v[52:53], v[50:51], v[42:43]
	v_mul_f64 v[38:39], v[40:41], v[38:39]
	v_add_f64 v[40:41], v[46:47], -v[48:49]
	v_add_f64 v[44:45], v[52:53], -v[50:51]
	v_fma_f64 v[36:37], v[36:37], v[38:39], v[36:37]
	v_add_f64 v[34:35], v[34:35], v[40:41]
	v_add_f64 v[38:39], v[42:43], -v[44:45]
	v_add_f64 v[40:41], -v[36:37], s[76:77]
	v_add_f64 v[34:35], v[34:35], v[38:39]
	v_cndmask_b32_e64 v37, v37, v41, s[0:1]
	v_cndmask_b32_e64 v36, v36, v40, s[0:1]
	v_add_f64 v[38:39], -v[36:37], s[90:91]
                                        ; implicit-def: $vgpr40_vgpr41
	v_add_f64 v[34:35], v[52:53], v[34:35]
	v_cndmask_b32_e32 v16, v36, v38, vcc
	v_and_b32_e32 v36, 0x400921fb, v2
	v_cndmask_b32_e32 v15, v37, v39, vcc
	v_cndmask_b32_e64 v12, v16, v12, s[2:3]
	v_mul_f64 v[2:3], v[34:35], 0.5
	v_cndmask_b32_e64 v15, v15, v36, s[2:3]
	s_and_b64 vcc, s[16:17], s[12:13]
	v_cndmask_b32_e32 v37, v15, v14, vcc
	v_cndmask_b32_e32 v36, v12, v8, vcc
                                        ; implicit-def: $vgpr38_vgpr39
	v_cndmask_b32_e64 v35, v61, v3, s[4:5]
	v_cndmask_b32_e64 v34, 0, v2, s[4:5]
.LBB185_273:                            ;   in Loop: Header=BB185_162 Depth=1
	s_andn2_saveexec_b64 s[16:17], s[6:7]
	s_cbranch_execz .LBB185_277
; %bb.274:                              ;   in Loop: Header=BB185_162 Depth=1
	v_and_b32_e32 v19, 0x7ffffff8, v41
	v_and_b32_e32 v35, 0x7ffffff8, v39
	v_mov_b32_e32 v34, v18
	v_add_f64 v[14:15], v[40:41], -v[18:19]
	v_add_f64 v[36:37], v[38:39], -v[34:35]
	v_mov_b32_e32 v40, v18
	v_mov_b32_e32 v48, v18
	v_add_f64 v[44:45], v[18:19], v[18:19]
	v_add_f64 v[46:47], v[34:35], v[34:35]
	v_mul_f64 v[34:35], v[34:35], v[34:35]
	s_mov_b64 s[80:81], 0
	v_and_b32_e32 v41, -8, v15
	v_and_b32_e32 v49, -8, v37
	v_add_f64 v[54:55], v[14:15], -v[40:41]
	v_add_f64 v[56:57], v[36:37], -v[48:49]
	v_add_f64 v[66:67], v[40:41], v[40:41]
	v_add_f64 v[68:69], v[48:49], v[48:49]
	v_mul_f64 v[14:15], v[18:19], v[18:19]
	v_mul_f64 v[38:39], v[44:45], v[40:41]
	;; [unrolled: 1-line block ×11, first 2 shown]
.LBB185_275:                            ;   Parent Loop BB185_162 Depth=1
                                        ; =>  This Inner Loop Header: Depth=2
	v_cmp_nlt_f64_e32 vcc, v[14:15], v[34:35]
	v_cndmask_b32_e32 v57, v15, v35, vcc
	v_cndmask_b32_e32 v56, v14, v34, vcc
	v_cmp_nlt_f64_e64 s[2:3], v[56:57], v[38:39]
	v_cndmask_b32_e32 v15, v35, v15, vcc
	v_cndmask_b32_e32 v14, v34, v14, vcc
	v_cndmask_b32_e64 v67, v57, v39, s[2:3]
	v_cndmask_b32_e64 v66, v56, v38, s[2:3]
	v_cmp_nlt_f64_e64 s[4:5], v[66:67], v[36:37]
	v_cndmask_b32_e64 v35, v39, v57, s[2:3]
	v_cndmask_b32_e64 v34, v38, v56, s[2:3]
	s_and_b64 s[12:13], vcc, s[2:3]
	v_cndmask_b32_e64 v69, v67, v37, s[4:5]
	v_cndmask_b32_e64 v68, v66, v36, s[4:5]
	v_cmp_nlt_f64_e64 s[6:7], v[68:69], v[42:43]
	v_cndmask_b32_e64 v39, v37, v67, s[4:5]
	v_cndmask_b32_e64 v38, v36, v66, s[4:5]
	;; [unrolled: 1-line block ×4, first 2 shown]
	v_cmp_nlt_f64_e32 vcc, v[56:57], v[48:49]
	v_cndmask_b32_e64 v37, v43, v69, s[6:7]
	v_cndmask_b32_e64 v36, v42, v68, s[6:7]
	s_and_b64 s[6:7], s[4:5], s[6:7]
	v_cndmask_b32_e32 v67, v57, v49, vcc
	v_cndmask_b32_e32 v66, v56, v48, vcc
	v_cmp_nlt_f64_e64 s[2:3], v[66:67], v[52:53]
	v_cndmask_b32_e32 v43, v49, v57, vcc
	v_cndmask_b32_e32 v42, v48, v56, vcc
	v_cndmask_b32_e64 v57, v67, v53, s[2:3]
	v_cndmask_b32_e64 v56, v66, v52, s[2:3]
	v_cmp_nlt_f64_e64 s[4:5], v[56:57], v[50:51]
	v_cndmask_b32_e64 v49, v53, v67, s[2:3]
	v_cndmask_b32_e64 v48, v52, v66, s[2:3]
	s_and_b64 s[2:3], vcc, s[2:3]
	v_cndmask_b32_e64 v67, v57, v51, s[4:5]
	v_cndmask_b32_e64 v66, v56, v50, s[4:5]
	v_cmp_nlt_f64_e32 vcc, v[66:67], v[46:47]
	v_cndmask_b32_e64 v53, v51, v57, s[4:5]
	v_cndmask_b32_e64 v52, v50, v56, s[4:5]
	s_and_b64 s[4:5], s[2:3], s[4:5]
	v_cndmask_b32_e32 v57, v67, v47, vcc
	v_cndmask_b32_e32 v56, v66, v46, vcc
	v_cmp_nlt_f64_e64 s[2:3], v[56:57], v[44:45]
	v_cndmask_b32_e32 v51, v47, v67, vcc
	v_cndmask_b32_e32 v50, v46, v66, vcc
	s_and_b64 s[4:5], s[4:5], vcc
	v_cndmask_b32_e64 v67, v57, v45, s[2:3]
	v_cndmask_b32_e64 v66, v56, v44, s[2:3]
	v_cmp_nlt_f64_e32 vcc, v[66:67], v[40:41]
	v_cndmask_b32_e64 v47, v45, v57, s[2:3]
	v_cndmask_b32_e64 v46, v44, v56, s[2:3]
	s_and_b64 s[4:5], s[4:5], s[2:3]
	v_cndmask_b32_e32 v69, v67, v41, vcc
	v_cndmask_b32_e32 v68, v66, v40, vcc
	v_cmp_nlt_f64_e64 s[2:3], v[68:69], v[54:55]
	s_and_b64 s[4:5], s[4:5], vcc
	v_cndmask_b32_e32 v45, v41, v67, vcc
	v_cndmask_b32_e32 v44, v40, v66, vcc
	v_cndmask_b32_e64 v57, v69, v55, s[2:3]
	v_cndmask_b32_e64 v56, v68, v54, s[2:3]
	;; [unrolled: 1-line block ×4, first 2 shown]
	s_and_b64 s[2:3], s[4:5], s[2:3]
	s_and_b64 s[2:3], s[2:3], s[6:7]
	;; [unrolled: 1-line block ×3, first 2 shown]
	s_and_b64 s[2:3], exec, s[2:3]
	v_mov_b32_e32 v54, v56
	s_or_b64 s[80:81], s[2:3], s[80:81]
	v_mov_b32_e32 v55, v57
	s_andn2_b64 exec, exec, s[80:81]
	s_cbranch_execnz .LBB185_275
; %bb.276:                              ;   in Loop: Header=BB185_162 Depth=1
	s_or_b64 exec, exec, s[80:81]
	v_add_f64 v[14:15], v[14:15], -1.0
	s_mov_b32 s31, s19
	s_mov_b32 s90, s76
	;; [unrolled: 1-line block ×4, first 2 shown]
	v_cmp_class_f64_e64 s[80:81], v[2:3], s40
	v_cmp_class_f64_e64 s[12:13], v[4:5], s40
	v_add_f64 v[14:15], v[14:15], v[34:35]
	v_add_f64 v[14:15], v[14:15], v[38:39]
	;; [unrolled: 1-line block ×11, first 2 shown]
	v_add_f64 v[34:35], v[14:15], 1.0
	v_cmp_nge_f64_e64 s[4:5], -1.0, v[14:15]
	v_cmp_neq_f64_e64 s[6:7], s[6:7], v[14:15]
	v_frexp_mant_f64_e32 v[38:39], v[34:35]
	v_frexp_exp_i32_f64_e32 v8, v[34:35]
	v_add_f64 v[36:37], v[34:35], -1.0
	v_cmp_gt_f64_e32 vcc, s[18:19], v[38:39]
	v_add_f64 v[40:41], v[36:37], -v[34:35]
	v_add_f64 v[36:37], v[14:15], -v[36:37]
	v_subbrev_co_u32_e32 v8, vcc, 0, v8, vcc
	v_sub_u32_e32 v12, 0, v8
	v_ldexp_f64 v[34:35], v[34:35], v12
	v_add_f64 v[38:39], v[40:41], 1.0
	v_add_f64 v[40:41], v[34:35], 1.0
	v_add_f64 v[36:37], v[36:37], v[38:39]
	v_add_f64 v[46:47], v[34:35], -1.0
	v_add_f64 v[38:39], v[40:41], -1.0
	v_ldexp_f64 v[36:37], v[36:37], v12
	v_add_f64 v[48:49], v[46:47], 1.0
	v_add_f64 v[38:39], v[34:35], -v[38:39]
	v_add_f64 v[34:35], v[34:35], -v[48:49]
	v_add_f64 v[42:43], v[36:37], v[38:39]
	v_add_f64 v[48:49], v[36:37], v[34:35]
	;; [unrolled: 1-line block ×3, first 2 shown]
	v_rcp_f64_e32 v[44:45], v[38:39]
	v_add_f64 v[40:41], v[38:39], -v[40:41]
	v_add_f64 v[42:43], v[42:43], -v[40:41]
	v_fma_f64 v[50:51], -v[38:39], v[44:45], 1.0
	v_fma_f64 v[44:45], v[50:51], v[44:45], v[44:45]
	v_add_f64 v[50:51], v[46:47], v[48:49]
	v_fma_f64 v[34:35], -v[38:39], v[44:45], 1.0
	v_add_f64 v[46:47], v[50:51], -v[46:47]
	v_fma_f64 v[34:35], v[34:35], v[44:45], v[44:45]
	v_add_f64 v[46:47], v[48:49], -v[46:47]
	v_mul_f64 v[36:37], v[50:51], v[34:35]
	v_mul_f64 v[44:45], v[38:39], v[36:37]
	v_fma_f64 v[40:41], v[36:37], v[38:39], -v[44:45]
	v_fma_f64 v[52:53], v[36:37], v[42:43], v[40:41]
	v_add_f64 v[54:55], v[44:45], v[52:53]
	v_add_f64 v[40:41], v[50:51], -v[54:55]
	v_add_f64 v[44:45], v[54:55], -v[44:45]
	;; [unrolled: 1-line block ×5, first 2 shown]
	v_add_f64 v[46:47], v[46:47], v[48:49]
	v_max_f64 v[48:49], |v[2:3]|, |v[2:3]|
	v_ashrrev_i32_e32 v2, 31, v3
	v_and_b32_e32 v16, 0x54442d18, v2
	v_add_f64 v[44:45], v[44:45], v[46:47]
	v_max_f64 v[46:47], |v[4:5]|, |v[4:5]|
	v_add_f64 v[50:51], v[40:41], v[44:45]
	v_max_f64 v[52:53], v[48:49], v[46:47]
	v_min_f64 v[46:47], v[48:49], v[46:47]
	v_mul_f64 v[48:49], v[34:35], v[50:51]
	v_add_f64 v[40:41], v[40:41], -v[50:51]
	v_div_scale_f64 v[54:55], s[2:3], v[52:53], v[52:53], v[46:47]
	s_mov_b32 s2, 0xb5e68a13
	s_mov_b32 s3, 0x3eeba404
	v_mul_f64 v[56:57], v[38:39], v[48:49]
	v_add_f64 v[40:41], v[44:45], v[40:41]
	v_fma_f64 v[38:39], v[48:49], v[38:39], -v[56:57]
	v_rcp_f64_e32 v[66:67], v[54:55]
	v_fma_f64 v[38:39], v[48:49], v[42:43], v[38:39]
	v_add_f64 v[42:43], v[56:57], v[38:39]
	v_fma_f64 v[68:69], -v[54:55], v[66:67], 1.0
	v_add_f64 v[70:71], v[50:51], -v[42:43]
	v_add_f64 v[44:45], v[42:43], -v[56:57]
	v_fma_f64 v[66:67], v[66:67], v[68:69], v[66:67]
	v_div_scale_f64 v[68:69], vcc, v[46:47], v[52:53], v[46:47]
	v_add_f64 v[50:51], v[50:51], -v[70:71]
	v_add_f64 v[38:39], v[44:45], -v[38:39]
	v_fma_f64 v[72:73], -v[54:55], v[66:67], 1.0
	v_add_f64 v[44:45], v[36:37], v[48:49]
	v_add_f64 v[42:43], v[50:51], -v[42:43]
	v_fma_f64 v[50:51], v[66:67], v[72:73], v[66:67]
	v_add_f64 v[36:37], v[44:45], -v[36:37]
	v_add_f64 v[40:41], v[40:41], v[42:43]
	v_mul_f64 v[42:43], v[68:69], v[50:51]
	v_add_f64 v[36:37], v[48:49], -v[36:37]
	v_add_f64 v[38:39], v[38:39], v[40:41]
	v_fma_f64 v[40:41], -v[54:55], v[42:43], v[68:69]
	v_add_f64 v[38:39], v[70:71], v[38:39]
	v_div_fmas_f64 v[40:41], v[40:41], v[50:51], v[42:43]
	v_cmp_gt_i32_e32 vcc, 0, v3
	v_cndmask_b32_e32 v12, v64, v65, vcc
	v_bfi_b32 v12, s38, v12, v5
	v_mul_f64 v[34:35], v[34:35], v[38:39]
	v_add_f64 v[34:35], v[36:37], v[34:35]
	v_div_fixup_f64 v[36:37], v[40:41], v[52:53], v[46:47]
	v_add_f64 v[38:39], v[44:45], v[34:35]
	v_mul_f64 v[40:41], v[36:37], v[36:37]
	v_mul_f64 v[42:43], v[38:39], v[38:39]
	v_fma_f64 v[46:47], v[40:41], s[2:3], v[22:23]
	s_mov_b32 s2, 0x69efb384
	s_mov_b32 s3, 0x3f4b2bb0
	v_fma_f64 v[48:49], v[42:43], s[20:21], v[20:21]
	v_mul_f64 v[50:51], v[38:39], v[42:43]
	v_fma_f64 v[46:47], v[40:41], v[46:47], s[2:3]
	v_cmp_eq_f64_e64 s[2:3], 0, v[4:5]
	v_fma_f64 v[48:49], v[42:43], v[48:49], s[22:23]
	v_fma_f64 v[46:47], v[40:41], v[46:47], s[42:43]
	;; [unrolled: 1-line block ×9, first 2 shown]
	v_ldexp_f64 v[48:49], v[38:39], 1
	v_fma_f64 v[46:47], v[40:41], v[46:47], s[50:51]
	v_add_f64 v[38:39], v[38:39], -v[44:45]
	v_mul_f64 v[42:43], v[50:51], v[42:43]
	v_cvt_f64_i32_e32 v[50:51], v8
	v_fma_f64 v[46:47], v[40:41], v[46:47], s[52:53]
	v_add_f64 v[34:35], v[34:35], -v[38:39]
	v_cndmask_b32_e32 v8, v62, v63, vcc
	v_mul_f64 v[52:53], v[50:51], s[34:35]
	v_add_f64 v[44:45], v[48:49], v[42:43]
	v_fma_f64 v[46:47], v[40:41], v[46:47], s[54:55]
	v_ldexp_f64 v[34:35], v[34:35], 1
	v_add_f64 v[38:39], v[44:45], -v[48:49]
	v_fma_f64 v[48:49], v[50:51], s[34:35], -v[52:53]
	v_fma_f64 v[46:47], v[40:41], v[46:47], s[56:57]
	v_add_f64 v[38:39], v[42:43], -v[38:39]
	v_fma_f64 v[42:43], v[40:41], v[46:47], s[58:59]
	v_fma_f64 v[46:47], v[50:51], s[36:37], v[48:49]
	v_add_f64 v[34:35], v[34:35], v[38:39]
	v_fma_f64 v[38:39], v[40:41], v[42:43], s[60:61]
	v_add_f64 v[42:43], v[52:53], v[46:47]
	v_add_f64 v[48:49], v[44:45], v[34:35]
	v_fma_f64 v[38:39], v[40:41], v[38:39], s[62:63]
	v_add_f64 v[52:53], v[42:43], -v[52:53]
	v_add_f64 v[50:51], v[42:43], v[48:49]
	v_add_f64 v[44:45], v[48:49], -v[44:45]
	v_fma_f64 v[38:39], v[40:41], v[38:39], s[64:65]
	v_add_f64 v[46:47], v[46:47], -v[52:53]
	v_add_f64 v[54:55], v[50:51], -v[42:43]
	;; [unrolled: 1-line block ×3, first 2 shown]
	v_fma_f64 v[38:39], v[40:41], v[38:39], s[66:67]
	v_add_f64 v[56:57], v[50:51], -v[54:55]
	v_add_f64 v[44:45], v[48:49], -v[54:55]
	v_fma_f64 v[38:39], v[40:41], v[38:39], s[68:69]
	v_add_f64 v[48:49], v[46:47], v[34:35]
	v_add_f64 v[42:43], v[42:43], -v[56:57]
	v_fma_f64 v[38:39], v[40:41], v[38:39], s[70:71]
	v_add_f64 v[42:43], v[44:45], v[42:43]
	;; [unrolled: 3-line block ×3, first 2 shown]
	v_add_f64 v[48:49], v[48:49], -v[44:45]
	v_fma_f64 v[38:39], v[40:41], v[38:39], s[74:75]
	v_add_f64 v[34:35], v[34:35], -v[44:45]
	v_add_f64 v[52:53], v[50:51], v[42:43]
	v_mul_f64 v[38:39], v[40:41], v[38:39]
	v_add_f64 v[40:41], v[46:47], -v[48:49]
	v_add_f64 v[44:45], v[52:53], -v[50:51]
	v_fma_f64 v[36:37], v[36:37], v[38:39], v[36:37]
	v_add_f64 v[34:35], v[34:35], v[40:41]
	v_add_f64 v[38:39], v[42:43], -v[44:45]
	v_add_f64 v[40:41], -v[36:37], s[76:77]
	v_add_f64 v[34:35], v[34:35], v[38:39]
	v_cndmask_b32_e64 v37, v37, v41, s[0:1]
	v_cndmask_b32_e64 v36, v36, v40, s[0:1]
	v_add_f64 v[38:39], -v[36:37], s[90:91]
	v_add_f64 v[34:35], v[52:53], v[34:35]
	v_cndmask_b32_e32 v19, v36, v38, vcc
	v_and_b32_e32 v36, 0x400921fb, v2
	v_cndmask_b32_e64 v16, v19, v16, s[2:3]
	v_mul_f64 v[2:3], v[34:35], 0.5
	v_cndmask_b32_e32 v34, v37, v39, vcc
	v_cndmask_b32_e64 v19, v34, v36, s[2:3]
	s_and_b64 s[2:3], s[4:5], s[6:7]
	s_and_b64 vcc, s[80:81], s[12:13]
	s_mov_b32 s80, 0xb5e68a13
	s_mov_b32 s81, 0x3eeba404
	v_cndmask_b32_e32 v37, v19, v12, vcc
	v_cndmask_b32_e64 v34, 0, v2, s[2:3]
	v_cmp_ngt_f64_e64 s[2:3], -1.0, v[14:15]
	v_cndmask_b32_e64 v3, v59, v3, s[6:7]
	v_cndmask_b32_e32 v36, v16, v8, vcc
	v_cndmask_b32_e64 v2, v60, v3, s[2:3]
	v_cmp_neq_f64_e64 s[2:3], -1.0, v[14:15]
	v_cndmask_b32_e64 v35, v61, v2, s[2:3]
.LBB185_277:                            ;   in Loop: Header=BB185_162 Depth=1
	s_or_b64 exec, exec, s[16:17]
.LBB185_278:                            ;   in Loop: Header=BB185_162 Depth=1
	s_or_b64 exec, exec, s[14:15]
.LBB185_279:                            ;   in Loop: Header=BB185_162 Depth=1
	s_andn2_saveexec_b64 s[6:7], s[86:87]
	s_cbranch_execz .LBB185_281
; %bb.280:                              ;   in Loop: Header=BB185_162 Depth=1
	v_max_f64 v[36:37], |v[4:5]|, |v[4:5]|
	v_max_f64 v[38:39], |v[2:3]|, |v[2:3]|
	v_cmp_class_f64_e64 s[14:15], v[2:3], s40
	v_cmp_class_f64_e64 s[16:17], v[4:5], s40
	s_mov_b32 s31, s19
	s_mov_b32 s90, s76
	v_max_f64 v[34:35], v[38:39], v[36:37]
	v_min_f64 v[36:37], v[38:39], v[36:37]
	v_frexp_exp_i32_f64_e32 v8, v[34:35]
	v_sub_u32_e32 v12, 0, v8
	v_ldexp_f64 v[14:15], |v[4:5]|, v12
	v_ldexp_f64 v[40:41], |v[2:3]|, v12
	v_mul_f64 v[14:15], v[14:15], v[14:15]
	v_fma_f64 v[14:15], v[40:41], v[40:41], v[14:15]
	v_rsq_f64_e32 v[40:41], v[14:15]
	v_cmp_eq_f64_e32 vcc, 0, v[14:15]
	v_mul_f64 v[42:43], v[14:15], v[40:41]
	v_mul_f64 v[40:41], v[40:41], 0.5
	v_fma_f64 v[44:45], -v[40:41], v[42:43], 0.5
	v_fma_f64 v[42:43], v[42:43], v[44:45], v[42:43]
	v_fma_f64 v[40:41], v[40:41], v[44:45], v[40:41]
	v_fma_f64 v[44:45], -v[42:43], v[42:43], v[14:15]
	v_fma_f64 v[40:41], v[44:45], v[40:41], v[42:43]
	v_cndmask_b32_e32 v15, v41, v15, vcc
	v_cndmask_b32_e32 v14, v40, v14, vcc
	v_ldexp_f64 v[14:15], v[14:15], v8
	s_or_b64 vcc, s[14:15], s[16:17]
	v_cndmask_b32_e32 v15, v15, v59, vcc
	v_cndmask_b32_e64 v14, v14, 0, vcc
	v_frexp_mant_f64_e32 v[40:41], v[14:15]
	v_cmp_gt_f64_e64 s[2:3], s[18:19], v[40:41]
	v_cndmask_b32_e64 v2, 0, 1, s[2:3]
	v_ldexp_f64 v[40:41], v[40:41], v2
	v_frexp_exp_i32_f64_e32 v2, v[14:15]
	v_add_f64 v[42:43], v[40:41], 1.0
	v_add_f64 v[48:49], v[40:41], -1.0
	v_rcp_f64_e32 v[44:45], v[42:43]
	v_add_f64 v[52:53], v[42:43], -1.0
	v_add_f64 v[40:41], v[40:41], -v[52:53]
	v_fma_f64 v[46:47], -v[42:43], v[44:45], 1.0
	v_fma_f64 v[38:39], v[46:47], v[44:45], v[44:45]
	v_div_scale_f64 v[44:45], s[4:5], v[34:35], v[34:35], v[36:37]
	s_mov_b32 s4, 0x69efb384
	s_mov_b32 s5, 0x3f4b2bb0
	v_fma_f64 v[46:47], -v[42:43], v[38:39], 1.0
	v_fma_f64 v[38:39], v[46:47], v[38:39], v[38:39]
	v_rcp_f64_e32 v[46:47], v[44:45]
	v_mul_f64 v[50:51], v[48:49], v[38:39]
	v_mul_f64 v[54:55], v[42:43], v[50:51]
	v_fma_f64 v[56:57], -v[44:45], v[46:47], 1.0
	v_fma_f64 v[42:43], v[50:51], v[42:43], -v[54:55]
	v_fma_f64 v[46:47], v[46:47], v[56:57], v[46:47]
	v_fma_f64 v[40:41], v[50:51], v[40:41], v[42:43]
	v_div_scale_f64 v[42:43], vcc, v[36:37], v[34:35], v[36:37]
	v_fma_f64 v[52:53], -v[44:45], v[46:47], 1.0
	v_add_f64 v[56:57], v[54:55], v[40:41]
	v_fma_f64 v[46:47], v[46:47], v[52:53], v[46:47]
	v_add_f64 v[52:53], v[48:49], -v[56:57]
	v_add_f64 v[54:55], v[56:57], -v[54:55]
	v_mul_f64 v[66:67], v[42:43], v[46:47]
	v_add_f64 v[48:49], v[48:49], -v[52:53]
	v_add_f64 v[40:41], v[54:55], -v[40:41]
	v_fma_f64 v[42:43], -v[44:45], v[66:67], v[42:43]
	v_add_f64 v[44:45], v[48:49], -v[56:57]
	v_div_fmas_f64 v[42:43], v[42:43], v[46:47], v[66:67]
	v_subbrev_co_u32_e64 v2, vcc, 0, v2, s[2:3]
	v_cmp_eq_f64_e64 s[2:3], 0, v[4:5]
	v_cmp_gt_i32_e32 vcc, 0, v3
	v_add_f64 v[40:41], v[40:41], v[44:45]
	v_cndmask_b32_e32 v19, v64, v65, vcc
	v_cndmask_b32_e32 v8, v62, v63, vcc
	v_bfi_b32 v19, s38, v19, v5
	v_add_f64 v[40:41], v[52:53], v[40:41]
	v_div_fixup_f64 v[34:35], v[42:43], v[34:35], v[36:37]
	v_mul_f64 v[36:37], v[38:39], v[40:41]
	v_mul_f64 v[38:39], v[34:35], v[34:35]
	v_add_f64 v[40:41], v[50:51], v[36:37]
	v_fma_f64 v[42:43], v[38:39], s[80:81], v[22:23]
	v_mul_f64 v[44:45], v[40:41], v[40:41]
	v_fma_f64 v[42:43], v[38:39], v[42:43], s[4:5]
	v_cmp_class_f64_e64 s[4:5], v[14:15], s40
	v_fma_f64 v[46:47], v[44:45], s[20:21], v[20:21]
	v_mul_f64 v[48:49], v[40:41], v[44:45]
	v_fma_f64 v[42:43], v[38:39], v[42:43], s[42:43]
	v_fma_f64 v[46:47], v[44:45], v[46:47], s[22:23]
	;; [unrolled: 1-line block ×10, first 2 shown]
	v_ldexp_f64 v[46:47], v[40:41], 1
	v_add_f64 v[40:41], v[40:41], -v[50:51]
	v_fma_f64 v[42:43], v[38:39], v[42:43], s[52:53]
	v_cvt_f64_i32_e32 v[50:51], v2
	v_ashrrev_i32_e32 v2, 31, v3
	v_and_b32_e32 v12, 0x54442d18, v2
	v_mul_f64 v[44:45], v[48:49], v[44:45]
	v_mul_f64 v[52:53], v[50:51], s[34:35]
	v_add_f64 v[36:37], v[36:37], -v[40:41]
	v_fma_f64 v[42:43], v[38:39], v[42:43], s[54:55]
	v_add_f64 v[48:49], v[46:47], v[44:45]
	v_ldexp_f64 v[36:37], v[36:37], 1
	v_fma_f64 v[42:43], v[38:39], v[42:43], s[56:57]
	v_add_f64 v[40:41], v[48:49], -v[46:47]
	v_fma_f64 v[46:47], v[50:51], s[34:35], -v[52:53]
	v_fma_f64 v[42:43], v[38:39], v[42:43], s[58:59]
	v_add_f64 v[40:41], v[44:45], -v[40:41]
	v_fma_f64 v[44:45], v[50:51], s[36:37], v[46:47]
	v_fma_f64 v[42:43], v[38:39], v[42:43], s[60:61]
	v_add_f64 v[36:37], v[36:37], v[40:41]
	v_fma_f64 v[40:41], v[38:39], v[42:43], s[62:63]
	v_add_f64 v[42:43], v[52:53], v[44:45]
	v_add_f64 v[46:47], v[48:49], v[36:37]
	v_fma_f64 v[40:41], v[38:39], v[40:41], s[64:65]
	v_add_f64 v[52:53], v[42:43], -v[52:53]
	v_add_f64 v[50:51], v[42:43], v[46:47]
	v_add_f64 v[48:49], v[46:47], -v[48:49]
	v_fma_f64 v[40:41], v[38:39], v[40:41], s[66:67]
	v_add_f64 v[44:45], v[44:45], -v[52:53]
	v_add_f64 v[54:55], v[50:51], -v[42:43]
	;; [unrolled: 1-line block ×3, first 2 shown]
	v_fma_f64 v[40:41], v[38:39], v[40:41], s[68:69]
	v_add_f64 v[56:57], v[50:51], -v[54:55]
	v_add_f64 v[46:47], v[46:47], -v[54:55]
	v_add_f64 v[48:49], v[44:45], v[36:37]
	v_fma_f64 v[40:41], v[38:39], v[40:41], s[70:71]
	v_add_f64 v[42:43], v[42:43], -v[56:57]
	v_fma_f64 v[40:41], v[38:39], v[40:41], s[72:73]
	v_add_f64 v[42:43], v[46:47], v[42:43]
	v_add_f64 v[46:47], v[48:49], -v[44:45]
	v_fma_f64 v[40:41], v[38:39], v[40:41], s[74:75]
	v_add_f64 v[42:43], v[48:49], v[42:43]
	v_add_f64 v[36:37], v[36:37], -v[46:47]
	v_mul_f64 v[38:39], v[38:39], v[40:41]
	v_add_f64 v[40:41], v[48:49], -v[46:47]
	v_add_f64 v[48:49], v[50:51], v[42:43]
	v_fma_f64 v[34:35], v[34:35], v[38:39], v[34:35]
	v_add_f64 v[38:39], v[44:45], -v[40:41]
	v_add_f64 v[40:41], v[48:49], -v[50:51]
	v_add_f64 v[44:45], -v[34:35], s[76:77]
	v_add_f64 v[36:37], v[36:37], v[38:39]
	v_add_f64 v[38:39], v[42:43], -v[40:41]
	v_cndmask_b32_e64 v35, v35, v45, s[0:1]
	v_cndmask_b32_e64 v34, v34, v44, s[0:1]
	v_add_f64 v[40:41], -v[34:35], s[90:91]
	v_add_f64 v[36:37], v[36:37], v[38:39]
	v_cndmask_b32_e32 v16, v34, v40, vcc
	v_and_b32_e32 v34, 0x400921fb, v2
	v_cndmask_b32_e32 v35, v35, v41, vcc
	v_add_f64 v[2:3], v[48:49], v[36:37]
	v_cndmask_b32_e64 v12, v16, v12, s[2:3]
	v_cndmask_b32_e64 v16, v35, v34, s[2:3]
	v_cmp_ngt_f64_e64 s[2:3], 0, v[14:15]
	s_and_b64 vcc, s[14:15], s[16:17]
	v_cndmask_b32_e32 v37, v16, v19, vcc
	v_cndmask_b32_e32 v36, v12, v8, vcc
	v_cndmask_b32_e64 v3, v3, v15, s[4:5]
	v_cndmask_b32_e64 v2, v2, v14, s[4:5]
	v_cndmask_b32_e64 v3, v60, v3, s[2:3]
	v_cmp_nge_f64_e64 s[2:3], 0, v[14:15]
	v_cndmask_b32_e64 v34, 0, v2, s[2:3]
	v_cmp_neq_f64_e64 s[2:3], 0, v[14:15]
	v_cndmask_b32_e64 v35, v61, v3, s[2:3]
.LBB185_281:                            ;   in Loop: Header=BB185_162 Depth=1
	s_or_b64 exec, exec, s[6:7]
                                        ; implicit-def: $vgpr38_vgpr39
.LBB185_282:                            ;   in Loop: Header=BB185_162 Depth=1
	s_andn2_saveexec_b64 s[6:7], s[78:79]
	s_cbranch_execz .LBB185_288
; %bb.283:                              ;   in Loop: Header=BB185_162 Depth=1
	s_mov_b32 s2, 0x6a3f9475
	s_mov_b32 s3, 0x20ca2fe7
	v_cmp_ngt_f64_e32 vcc, s[2:3], v[38:39]
                                        ; implicit-def: $vgpr34_vgpr35
                                        ; implicit-def: $vgpr36_vgpr37
	s_and_saveexec_b64 s[2:3], vcc
	s_xor_b64 s[14:15], exec, s[2:3]
	s_cbranch_execz .LBB185_285
; %bb.284:                              ;   in Loop: Header=BB185_162 Depth=1
	v_mul_f64 v[14:15], v[38:39], v[38:39]
	s_mov_b32 s31, s19
	s_mov_b32 s90, s76
	;; [unrolled: 1-line block ×3, first 2 shown]
	v_cmp_class_f64_e64 s[12:13], v[4:5], s40
	v_cmp_class_f64_e64 s[16:17], v[2:3], s40
	s_mov_b32 s5, 0x7ff00000
	v_add_f64 v[34:35], v[14:15], 1.0
	v_cmp_neq_f64_e64 s[4:5], s[4:5], v[14:15]
	v_frexp_mant_f64_e32 v[38:39], v[34:35]
	v_frexp_exp_i32_f64_e32 v8, v[34:35]
	v_add_f64 v[36:37], v[34:35], -1.0
	v_cmp_gt_f64_e32 vcc, s[18:19], v[38:39]
	v_add_f64 v[40:41], v[36:37], -v[34:35]
	v_add_f64 v[36:37], v[14:15], -v[36:37]
	v_subbrev_co_u32_e32 v8, vcc, 0, v8, vcc
	v_sub_u32_e32 v12, 0, v8
	v_ldexp_f64 v[34:35], v[34:35], v12
	v_add_f64 v[38:39], v[40:41], 1.0
	v_add_f64 v[40:41], v[34:35], 1.0
	v_add_f64 v[36:37], v[36:37], v[38:39]
	v_add_f64 v[46:47], v[34:35], -1.0
	v_add_f64 v[38:39], v[40:41], -1.0
	v_ldexp_f64 v[36:37], v[36:37], v12
	v_add_f64 v[48:49], v[46:47], 1.0
	v_add_f64 v[38:39], v[34:35], -v[38:39]
	v_add_f64 v[34:35], v[34:35], -v[48:49]
	v_add_f64 v[42:43], v[36:37], v[38:39]
	v_add_f64 v[48:49], v[36:37], v[34:35]
	;; [unrolled: 1-line block ×3, first 2 shown]
	v_rcp_f64_e32 v[44:45], v[38:39]
	v_add_f64 v[40:41], v[40:41], -v[38:39]
	v_add_f64 v[42:43], v[42:43], v[40:41]
	v_fma_f64 v[50:51], -v[38:39], v[44:45], 1.0
	v_fma_f64 v[44:45], v[50:51], v[44:45], v[44:45]
	v_add_f64 v[50:51], v[46:47], v[48:49]
	v_fma_f64 v[34:35], -v[38:39], v[44:45], 1.0
	v_add_f64 v[46:47], v[46:47], -v[50:51]
	v_fma_f64 v[34:35], v[34:35], v[44:45], v[44:45]
	v_add_f64 v[46:47], v[48:49], v[46:47]
	v_mul_f64 v[36:37], v[50:51], v[34:35]
	v_mul_f64 v[44:45], v[38:39], v[36:37]
	v_fma_f64 v[40:41], v[36:37], v[38:39], -v[44:45]
	v_fma_f64 v[52:53], v[36:37], v[42:43], v[40:41]
	v_add_f64 v[54:55], v[44:45], v[52:53]
	v_add_f64 v[40:41], v[50:51], -v[54:55]
	v_add_f64 v[44:45], v[54:55], -v[44:45]
	v_add_f64 v[50:51], v[50:51], -v[40:41]
	v_add_f64 v[44:45], v[44:45], -v[52:53]
	v_add_f64 v[48:49], v[50:51], -v[54:55]
	v_add_f64 v[46:47], v[46:47], v[48:49]
	v_max_f64 v[48:49], |v[2:3]|, |v[2:3]|
	v_ashrrev_i32_e32 v2, 31, v3
	v_and_b32_e32 v12, 0x54442d18, v2
	v_add_f64 v[44:45], v[44:45], v[46:47]
	v_max_f64 v[46:47], |v[4:5]|, |v[4:5]|
	v_add_f64 v[50:51], v[40:41], v[44:45]
	v_max_f64 v[52:53], v[48:49], v[46:47]
	v_min_f64 v[46:47], v[48:49], v[46:47]
	v_mul_f64 v[48:49], v[34:35], v[50:51]
	v_add_f64 v[40:41], v[40:41], -v[50:51]
	v_div_scale_f64 v[54:55], s[2:3], v[52:53], v[52:53], v[46:47]
	s_mov_b32 s2, 0x69efb384
	s_mov_b32 s3, 0x3f4b2bb0
	v_mul_f64 v[56:57], v[38:39], v[48:49]
	v_add_f64 v[40:41], v[44:45], v[40:41]
	v_fma_f64 v[38:39], v[48:49], v[38:39], -v[56:57]
	v_rcp_f64_e32 v[66:67], v[54:55]
	v_fma_f64 v[38:39], v[48:49], v[42:43], v[38:39]
	v_add_f64 v[42:43], v[56:57], v[38:39]
	v_fma_f64 v[68:69], -v[54:55], v[66:67], 1.0
	v_add_f64 v[70:71], v[50:51], -v[42:43]
	v_add_f64 v[44:45], v[42:43], -v[56:57]
	v_fma_f64 v[66:67], v[66:67], v[68:69], v[66:67]
	v_div_scale_f64 v[68:69], vcc, v[46:47], v[52:53], v[46:47]
	v_add_f64 v[50:51], v[50:51], -v[70:71]
	v_add_f64 v[38:39], v[44:45], -v[38:39]
	v_fma_f64 v[72:73], -v[54:55], v[66:67], 1.0
	v_add_f64 v[44:45], v[36:37], v[48:49]
	v_add_f64 v[42:43], v[50:51], -v[42:43]
	v_fma_f64 v[50:51], v[66:67], v[72:73], v[66:67]
	v_add_f64 v[36:37], v[44:45], -v[36:37]
	v_add_f64 v[40:41], v[40:41], v[42:43]
	v_mul_f64 v[42:43], v[68:69], v[50:51]
	v_add_f64 v[36:37], v[48:49], -v[36:37]
	v_add_f64 v[38:39], v[38:39], v[40:41]
	v_fma_f64 v[40:41], -v[54:55], v[42:43], v[68:69]
	v_add_f64 v[38:39], v[70:71], v[38:39]
	v_div_fmas_f64 v[40:41], v[40:41], v[50:51], v[42:43]
	v_cmp_gt_i32_e32 vcc, 0, v3
	v_cndmask_b32_e32 v19, v64, v65, vcc
	v_bfi_b32 v14, s38, v19, v5
	v_mul_f64 v[34:35], v[34:35], v[38:39]
	v_add_f64 v[34:35], v[36:37], v[34:35]
	v_div_fixup_f64 v[36:37], v[40:41], v[52:53], v[46:47]
	v_add_f64 v[38:39], v[44:45], v[34:35]
	v_mul_f64 v[40:41], v[36:37], v[36:37]
	v_mul_f64 v[42:43], v[38:39], v[38:39]
	v_fma_f64 v[46:47], v[40:41], s[80:81], v[22:23]
	v_fma_f64 v[48:49], v[42:43], s[20:21], v[20:21]
	v_mul_f64 v[50:51], v[38:39], v[42:43]
	v_fma_f64 v[46:47], v[40:41], v[46:47], s[2:3]
	v_cmp_eq_f64_e64 s[2:3], 0, v[4:5]
	v_fma_f64 v[48:49], v[42:43], v[48:49], s[22:23]
	v_fma_f64 v[46:47], v[40:41], v[46:47], s[42:43]
	;; [unrolled: 1-line block ×9, first 2 shown]
	v_ldexp_f64 v[48:49], v[38:39], 1
	v_fma_f64 v[46:47], v[40:41], v[46:47], s[50:51]
	v_add_f64 v[38:39], v[38:39], -v[44:45]
	v_mul_f64 v[42:43], v[50:51], v[42:43]
	v_cvt_f64_i32_e32 v[50:51], v8
	v_fma_f64 v[46:47], v[40:41], v[46:47], s[52:53]
	v_add_f64 v[34:35], v[34:35], -v[38:39]
	v_cndmask_b32_e32 v8, v62, v63, vcc
	v_mul_f64 v[52:53], v[50:51], s[34:35]
	v_add_f64 v[44:45], v[48:49], v[42:43]
	v_fma_f64 v[46:47], v[40:41], v[46:47], s[54:55]
	v_ldexp_f64 v[34:35], v[34:35], 1
	v_add_f64 v[38:39], v[44:45], -v[48:49]
	v_fma_f64 v[48:49], v[50:51], s[34:35], -v[52:53]
	v_fma_f64 v[46:47], v[40:41], v[46:47], s[56:57]
	v_add_f64 v[38:39], v[42:43], -v[38:39]
	v_fma_f64 v[42:43], v[40:41], v[46:47], s[58:59]
	v_fma_f64 v[46:47], v[50:51], s[36:37], v[48:49]
	v_add_f64 v[34:35], v[34:35], v[38:39]
	v_fma_f64 v[38:39], v[40:41], v[42:43], s[60:61]
	v_add_f64 v[42:43], v[52:53], v[46:47]
	v_add_f64 v[48:49], v[44:45], v[34:35]
	v_fma_f64 v[38:39], v[40:41], v[38:39], s[62:63]
	v_add_f64 v[52:53], v[42:43], -v[52:53]
	v_add_f64 v[50:51], v[42:43], v[48:49]
	v_add_f64 v[44:45], v[48:49], -v[44:45]
	v_fma_f64 v[38:39], v[40:41], v[38:39], s[64:65]
	v_add_f64 v[46:47], v[46:47], -v[52:53]
	v_add_f64 v[54:55], v[50:51], -v[42:43]
	;; [unrolled: 1-line block ×3, first 2 shown]
	v_fma_f64 v[38:39], v[40:41], v[38:39], s[66:67]
	v_add_f64 v[56:57], v[50:51], -v[54:55]
	v_add_f64 v[44:45], v[48:49], -v[54:55]
	v_fma_f64 v[38:39], v[40:41], v[38:39], s[68:69]
	v_add_f64 v[48:49], v[46:47], v[34:35]
	v_add_f64 v[42:43], v[42:43], -v[56:57]
	v_fma_f64 v[38:39], v[40:41], v[38:39], s[70:71]
	v_add_f64 v[42:43], v[44:45], v[42:43]
	;; [unrolled: 3-line block ×3, first 2 shown]
	v_add_f64 v[48:49], v[48:49], -v[44:45]
	v_fma_f64 v[38:39], v[40:41], v[38:39], s[74:75]
	v_add_f64 v[34:35], v[34:35], -v[44:45]
	v_add_f64 v[52:53], v[50:51], v[42:43]
	v_mul_f64 v[38:39], v[40:41], v[38:39]
	v_add_f64 v[40:41], v[46:47], -v[48:49]
	v_add_f64 v[44:45], v[52:53], -v[50:51]
	v_fma_f64 v[36:37], v[36:37], v[38:39], v[36:37]
	v_add_f64 v[34:35], v[34:35], v[40:41]
	v_add_f64 v[38:39], v[42:43], -v[44:45]
	v_add_f64 v[40:41], -v[36:37], s[76:77]
	v_add_f64 v[34:35], v[34:35], v[38:39]
	v_cndmask_b32_e64 v37, v37, v41, s[0:1]
	v_cndmask_b32_e64 v36, v36, v40, s[0:1]
	v_add_f64 v[38:39], -v[36:37], s[90:91]
	v_add_f64 v[34:35], v[52:53], v[34:35]
	v_cndmask_b32_e32 v16, v36, v38, vcc
	v_and_b32_e32 v36, 0x400921fb, v2
	v_cndmask_b32_e32 v15, v37, v39, vcc
	v_cndmask_b32_e64 v12, v16, v12, s[2:3]
	v_mul_f64 v[2:3], v[34:35], 0.5
	v_cndmask_b32_e64 v15, v15, v36, s[2:3]
	s_and_b64 vcc, s[16:17], s[12:13]
	v_cndmask_b32_e32 v37, v15, v14, vcc
	v_cndmask_b32_e32 v36, v12, v8, vcc
                                        ; implicit-def: $vgpr38_vgpr39
	v_cndmask_b32_e64 v35, v59, v3, s[4:5]
	v_cndmask_b32_e64 v34, 0, v2, s[4:5]
.LBB185_285:                            ;   in Loop: Header=BB185_162 Depth=1
	s_andn2_saveexec_b64 s[4:5], s[14:15]
	s_cbranch_execz .LBB185_287
; %bb.286:                              ;   in Loop: Header=BB185_162 Depth=1
	v_max_f64 v[14:15], |v[4:5]|, |v[4:5]|
	v_max_f64 v[34:35], |v[2:3]|, |v[2:3]|
	s_mov_b32 s90, s76
	v_cmp_class_f64_e64 s[12:13], v[4:5], s40
	v_cmp_class_f64_e64 s[14:15], v[2:3], s40
	v_ashrrev_i32_e32 v8, 31, v3
	v_and_b32_e32 v16, 0x54442d18, v8
	v_max_f64 v[36:37], v[34:35], v[14:15]
	v_min_f64 v[14:15], v[34:35], v[14:15]
	v_div_scale_f64 v[34:35], s[2:3], v[36:37], v[36:37], v[14:15]
	s_mov_b32 s2, 0x69efb384
	s_mov_b32 s3, 0x3f4b2bb0
	v_rcp_f64_e32 v[40:41], v[34:35]
	v_fma_f64 v[42:43], -v[34:35], v[40:41], 1.0
	v_fma_f64 v[40:41], v[40:41], v[42:43], v[40:41]
	v_div_scale_f64 v[42:43], vcc, v[14:15], v[36:37], v[14:15]
	v_fma_f64 v[44:45], -v[34:35], v[40:41], 1.0
	v_fma_f64 v[40:41], v[40:41], v[44:45], v[40:41]
	v_mul_f64 v[44:45], v[42:43], v[40:41]
	v_fma_f64 v[34:35], -v[34:35], v[44:45], v[42:43]
	v_div_fmas_f64 v[34:35], v[34:35], v[40:41], v[44:45]
	v_mul_f64 v[40:41], v[38:39], 0.5
	v_cmp_gt_i32_e32 vcc, 0, v3
	v_cndmask_b32_e32 v2, v64, v65, vcc
	v_and_b32_e32 v3, 0x400921fb, v8
	v_cndmask_b32_e32 v12, v62, v63, vcc
	v_bfi_b32 v2, s38, v2, v5
	v_div_fixup_f64 v[14:15], v[34:35], v[36:37], v[14:15]
	v_mul_f64 v[34:35], v[14:15], v[14:15]
	v_fma_f64 v[36:37], v[34:35], s[80:81], v[22:23]
	v_fma_f64 v[36:37], v[34:35], v[36:37], s[2:3]
	v_cmp_eq_f64_e64 s[2:3], 0, v[4:5]
	v_fma_f64 v[36:37], v[34:35], v[36:37], s[42:43]
	v_fma_f64 v[36:37], v[34:35], v[36:37], s[44:45]
	v_fma_f64 v[36:37], v[34:35], v[36:37], s[46:47]
	v_fma_f64 v[36:37], v[34:35], v[36:37], s[48:49]
	v_fma_f64 v[36:37], v[34:35], v[36:37], s[50:51]
	v_fma_f64 v[36:37], v[34:35], v[36:37], s[52:53]
	v_fma_f64 v[36:37], v[34:35], v[36:37], s[54:55]
	v_fma_f64 v[36:37], v[34:35], v[36:37], s[56:57]
	v_fma_f64 v[36:37], v[34:35], v[36:37], s[58:59]
	v_fma_f64 v[36:37], v[34:35], v[36:37], s[60:61]
	v_fma_f64 v[36:37], v[34:35], v[36:37], s[62:63]
	v_fma_f64 v[36:37], v[34:35], v[36:37], s[64:65]
	v_fma_f64 v[36:37], v[34:35], v[36:37], s[66:67]
	v_fma_f64 v[36:37], v[34:35], v[36:37], s[68:69]
	v_fma_f64 v[36:37], v[34:35], v[36:37], s[70:71]
	v_fma_f64 v[36:37], v[34:35], v[36:37], s[72:73]
	v_fma_f64 v[36:37], v[34:35], v[36:37], s[74:75]
	v_mul_f64 v[34:35], v[34:35], v[36:37]
	v_fma_f64 v[14:15], v[14:15], v[34:35], v[14:15]
	v_add_f64 v[34:35], -v[14:15], s[76:77]
	v_cndmask_b32_e64 v15, v15, v35, s[0:1]
	v_cndmask_b32_e64 v14, v14, v34, s[0:1]
	v_add_f64 v[35:36], -v[14:15], s[90:91]
	v_cndmask_b32_e32 v14, v14, v35, vcc
	v_mul_f64 v[34:35], v[38:39], v[40:41]
	v_cndmask_b32_e32 v8, v15, v36, vcc
	v_cndmask_b32_e64 v14, v14, v16, s[2:3]
	v_cndmask_b32_e64 v3, v8, v3, s[2:3]
	s_and_b64 vcc, s[14:15], s[12:13]
	v_cndmask_b32_e32 v37, v3, v2, vcc
	v_cndmask_b32_e32 v36, v14, v12, vcc
.LBB185_287:                            ;   in Loop: Header=BB185_162 Depth=1
	s_or_b64 exec, exec, s[4:5]
.LBB185_288:                            ;   in Loop: Header=BB185_162 Depth=1
	s_or_b64 exec, exec, s[6:7]
.LBB185_289:                            ;   in Loop: Header=BB185_162 Depth=1
	s_andn2_saveexec_b64 s[6:7], s[94:95]
	s_cbranch_execz .LBB185_291
; %bb.290:                              ;   in Loop: Header=BB185_162 Depth=1
	v_div_scale_f64 v[14:15], s[2:3], s[82:83], s[82:83], v[2:3]
	s_mov_b32 s31, s19
	s_mov_b32 s90, s76
	v_rcp_f64_e32 v[34:35], v[14:15]
	v_fma_f64 v[36:37], -v[14:15], v[34:35], 1.0
	v_fma_f64 v[34:35], v[34:35], v[36:37], v[34:35]
	v_fma_f64 v[36:37], -v[14:15], v[34:35], 1.0
	v_fma_f64 v[34:35], v[34:35], v[36:37], v[34:35]
	v_div_scale_f64 v[36:37], vcc, v[2:3], s[82:83], v[2:3]
	v_mul_f64 v[38:39], v[36:37], v[34:35]
	v_fma_f64 v[14:15], -v[14:15], v[38:39], v[36:37]
	s_nop 1
	v_div_fmas_f64 v[14:15], v[14:15], v[34:35], v[38:39]
	v_div_scale_f64 v[34:35], s[2:3], s[82:83], s[82:83], v[4:5]
	v_div_fixup_f64 v[14:15], v[14:15], s[82:83], v[2:3]
	v_rcp_f64_e32 v[36:37], v[34:35]
	v_cmp_class_f64_e64 s[2:3], v[14:15], s40
	v_fma_f64 v[38:39], -v[34:35], v[36:37], 1.0
	v_fma_f64 v[36:37], v[36:37], v[38:39], v[36:37]
	v_fma_f64 v[38:39], -v[34:35], v[36:37], 1.0
	v_fma_f64 v[36:37], v[36:37], v[38:39], v[36:37]
	v_div_scale_f64 v[38:39], vcc, v[4:5], s[82:83], v[4:5]
	v_mul_f64 v[40:41], v[38:39], v[36:37]
	v_fma_f64 v[34:35], -v[34:35], v[40:41], v[38:39]
	s_nop 1
	v_div_fmas_f64 v[34:35], v[34:35], v[36:37], v[40:41]
	v_div_fixup_f64 v[34:35], v[34:35], s[82:83], v[4:5]
	v_max_f64 v[36:37], |v[14:15]|, |v[34:35]|
	v_cmp_class_f64_e64 s[4:5], v[34:35], s40
	v_frexp_exp_i32_f64_e32 v8, v[36:37]
	v_sub_u32_e32 v12, 0, v8
	v_ldexp_f64 v[38:39], |v[34:35]|, v12
	v_ldexp_f64 v[36:37], |v[14:15]|, v12
	v_mul_f64 v[38:39], v[38:39], v[38:39]
	v_fma_f64 v[36:37], v[36:37], v[36:37], v[38:39]
	v_rsq_f64_e32 v[38:39], v[36:37]
	v_cmp_eq_f64_e32 vcc, 0, v[36:37]
	v_mul_f64 v[40:41], v[36:37], v[38:39]
	v_mul_f64 v[38:39], v[38:39], 0.5
	v_fma_f64 v[42:43], -v[38:39], v[40:41], 0.5
	v_fma_f64 v[40:41], v[40:41], v[42:43], v[40:41]
	v_fma_f64 v[38:39], v[38:39], v[42:43], v[38:39]
	v_fma_f64 v[42:43], -v[40:41], v[40:41], v[36:37]
	v_fma_f64 v[38:39], v[42:43], v[38:39], v[40:41]
	v_cndmask_b32_e32 v37, v39, v37, vcc
	v_cndmask_b32_e32 v36, v38, v36, vcc
	v_ldexp_f64 v[36:37], v[36:37], v8
	v_cmp_o_f64_e32 vcc, v[14:15], v[34:35]
	v_cndmask_b32_e32 v8, 0, v36, vcc
	v_cndmask_b32_e32 v12, v60, v37, vcc
	s_or_b64 vcc, s[2:3], s[4:5]
	v_cndmask_b32_e32 v15, v12, v59, vcc
	v_cndmask_b32_e64 v14, v8, 0, vcc
	v_frexp_mant_f64_e32 v[34:35], v[14:15]
	v_frexp_exp_i32_f64_e32 v8, v[14:15]
	v_cmp_class_f64_e64 s[4:5], v[2:3], s40
	v_cmp_gt_f64_e32 vcc, s[18:19], v[34:35]
	v_cndmask_b32_e64 v12, 0, 1, vcc
	v_ldexp_f64 v[34:35], v[34:35], v12
	v_subbrev_co_u32_e32 v8, vcc, 0, v8, vcc
	v_cmp_class_f64_e64 vcc, v[14:15], s40
	v_add_f64 v[38:39], v[34:35], 1.0
	v_add_f64 v[36:37], v[34:35], -1.0
	v_add_f64 v[40:41], v[38:39], -1.0
	v_add_f64 v[34:35], v[34:35], -v[40:41]
	v_rcp_f64_e32 v[40:41], v[38:39]
	v_fma_f64 v[42:43], -v[38:39], v[40:41], 1.0
	v_fma_f64 v[40:41], v[42:43], v[40:41], v[40:41]
	v_fma_f64 v[42:43], -v[38:39], v[40:41], 1.0
	v_fma_f64 v[40:41], v[42:43], v[40:41], v[40:41]
	v_mul_f64 v[42:43], v[36:37], v[40:41]
	v_mul_f64 v[44:45], v[38:39], v[42:43]
	v_fma_f64 v[38:39], v[42:43], v[38:39], -v[44:45]
	v_fma_f64 v[34:35], v[42:43], v[34:35], v[38:39]
	v_add_f64 v[38:39], v[44:45], v[34:35]
	v_add_f64 v[46:47], v[36:37], -v[38:39]
	v_add_f64 v[44:45], v[38:39], -v[44:45]
	;; [unrolled: 1-line block ×5, first 2 shown]
	v_add_f64 v[34:35], v[34:35], v[36:37]
	v_add_f64 v[34:35], v[46:47], v[34:35]
	v_mul_f64 v[34:35], v[40:41], v[34:35]
	v_add_f64 v[36:37], v[42:43], v[34:35]
	v_add_f64 v[38:39], v[36:37], -v[42:43]
	v_ldexp_f64 v[42:43], v[36:37], 1
	v_add_f64 v[34:35], v[34:35], -v[38:39]
	v_mul_f64 v[38:39], v[36:37], v[36:37]
	v_ldexp_f64 v[34:35], v[34:35], 1
	v_fma_f64 v[40:41], v[38:39], s[20:21], v[20:21]
	v_mul_f64 v[36:37], v[36:37], v[38:39]
	v_fma_f64 v[40:41], v[38:39], v[40:41], s[22:23]
	v_fma_f64 v[40:41], v[38:39], v[40:41], s[24:25]
	;; [unrolled: 1-line block ×5, first 2 shown]
	v_mul_f64 v[36:37], v[36:37], v[40:41]
	v_add_f64 v[38:39], v[42:43], v[36:37]
	v_add_f64 v[40:41], v[38:39], -v[42:43]
	v_add_f64 v[36:37], v[36:37], -v[40:41]
	v_add_f64 v[34:35], v[34:35], v[36:37]
	v_add_f64 v[36:37], v[38:39], v[34:35]
	v_add_f64 v[38:39], v[36:37], -v[38:39]
	v_add_f64 v[34:35], v[34:35], -v[38:39]
	v_cvt_f64_i32_e32 v[38:39], v8
	v_mul_f64 v[40:41], v[38:39], s[34:35]
	v_fma_f64 v[42:43], v[38:39], s[34:35], -v[40:41]
	v_fma_f64 v[38:39], v[38:39], s[36:37], v[42:43]
	v_add_f64 v[42:43], v[40:41], v[38:39]
	v_add_f64 v[40:41], v[42:43], -v[40:41]
	v_add_f64 v[38:39], v[38:39], -v[40:41]
	v_add_f64 v[40:41], v[42:43], v[36:37]
	v_add_f64 v[44:45], v[40:41], -v[42:43]
	v_add_f64 v[46:47], v[40:41], -v[44:45]
	;; [unrolled: 1-line block ×4, first 2 shown]
	v_add_f64 v[36:37], v[36:37], v[42:43]
	v_add_f64 v[42:43], v[38:39], v[34:35]
	v_add_f64 v[44:45], v[42:43], -v[38:39]
	v_add_f64 v[36:37], v[42:43], v[36:37]
	v_add_f64 v[46:47], v[42:43], -v[44:45]
	v_add_f64 v[34:35], v[34:35], -v[44:45]
	;; [unrolled: 1-line block ×3, first 2 shown]
	v_add_f64 v[34:35], v[34:35], v[38:39]
	v_add_f64 v[38:39], v[40:41], v[36:37]
	v_add_f64 v[40:41], v[38:39], -v[40:41]
	v_add_f64 v[36:37], v[36:37], -v[40:41]
	v_add_f64 v[34:35], v[34:35], v[36:37]
	v_max_f64 v[36:37], |v[2:3]|, |v[2:3]|
	v_add_f64 v[34:35], v[38:39], v[34:35]
	v_cndmask_b32_e32 v35, v35, v15, vcc
	v_cndmask_b32_e32 v34, v34, v14, vcc
	v_add_f64 v[34:35], v[34:35], 1.0
	v_cmp_ngt_f64_e32 vcc, 0, v[14:15]
	v_cndmask_b32_e32 v8, v60, v35, vcc
	v_cmp_nge_f64_e32 vcc, 0, v[14:15]
	v_cndmask_b32_e32 v34, 0, v34, vcc
	v_cmp_neq_f64_e32 vcc, 0, v[14:15]
	v_max_f64 v[14:15], |v[4:5]|, |v[4:5]|
	v_cndmask_b32_e32 v35, v61, v8, vcc
	v_max_f64 v[38:39], v[36:37], v[14:15]
	v_min_f64 v[14:15], v[36:37], v[14:15]
	v_div_scale_f64 v[36:37], s[2:3], v[38:39], v[38:39], v[14:15]
	s_mov_b32 s2, 0x69efb384
	s_mov_b32 s3, 0x3f4b2bb0
	v_rcp_f64_e32 v[40:41], v[36:37]
	v_fma_f64 v[42:43], -v[36:37], v[40:41], 1.0
	v_fma_f64 v[40:41], v[40:41], v[42:43], v[40:41]
	v_fma_f64 v[42:43], -v[36:37], v[40:41], 1.0
	v_fma_f64 v[40:41], v[40:41], v[42:43], v[40:41]
	v_div_scale_f64 v[42:43], vcc, v[14:15], v[38:39], v[14:15]
	v_mul_f64 v[44:45], v[42:43], v[40:41]
	v_fma_f64 v[36:37], -v[36:37], v[44:45], v[42:43]
	s_nop 1
	v_div_fmas_f64 v[36:37], v[36:37], v[40:41], v[44:45]
	v_div_fixup_f64 v[14:15], v[36:37], v[38:39], v[14:15]
	v_mul_f64 v[36:37], v[14:15], v[14:15]
	v_fma_f64 v[38:39], v[36:37], s[80:81], v[22:23]
	v_fma_f64 v[38:39], v[36:37], v[38:39], s[2:3]
	v_cmp_class_f64_e64 s[2:3], v[4:5], s40
	v_fma_f64 v[38:39], v[36:37], v[38:39], s[42:43]
	s_and_b64 vcc, s[4:5], s[2:3]
	v_cmp_gt_i32_e64 s[2:3], 0, v3
	v_cndmask_b32_e64 v2, v64, v65, s[2:3]
	v_bfi_b32 v12, s38, v2, v5
	v_ashrrev_i32_e32 v2, 31, v3
	v_and_b32_e32 v16, 0x400921fb, v2
	v_and_b32_e32 v19, 0x54442d18, v2
	v_fma_f64 v[38:39], v[36:37], v[38:39], s[44:45]
	v_cmp_eq_f64_e64 s[4:5], 0, v[4:5]
	v_cndmask_b32_e64 v8, v62, v63, s[2:3]
	v_fma_f64 v[38:39], v[36:37], v[38:39], s[46:47]
	v_fma_f64 v[38:39], v[36:37], v[38:39], s[48:49]
	;; [unrolled: 1-line block ×15, first 2 shown]
	v_mul_f64 v[36:37], v[36:37], v[38:39]
	v_fma_f64 v[14:15], v[14:15], v[36:37], v[14:15]
	v_add_f64 v[2:3], -v[14:15], s[76:77]
	v_cndmask_b32_e64 v3, v15, v3, s[0:1]
	v_cndmask_b32_e64 v2, v14, v2, s[0:1]
	v_add_f64 v[14:15], -v[2:3], s[90:91]
	v_cndmask_b32_e64 v3, v3, v15, s[2:3]
	v_cndmask_b32_e64 v2, v2, v14, s[2:3]
	;; [unrolled: 1-line block ×4, first 2 shown]
	v_cndmask_b32_e32 v37, v3, v12, vcc
	v_cndmask_b32_e32 v36, v2, v8, vcc
.LBB185_291:                            ;   in Loop: Header=BB185_162 Depth=1
	s_or_b64 exec, exec, s[6:7]
.LBB185_292:                            ;   in Loop: Header=BB185_162 Depth=1
	s_andn2_saveexec_b64 s[0:1], s[92:93]
	s_cbranch_execz .LBB185_161
; %bb.293:                              ;   in Loop: Header=BB185_162 Depth=1
	v_cmp_nlt_f64_e64 s[2:3], |v[2:3]|, s[88:89]
	v_cmp_nlt_f64_e64 s[4:5], |v[4:5]|, s[88:89]
                                        ; implicit-def: $vgpr14_vgpr15
	s_or_b64 s[2:3], s[2:3], s[4:5]
	s_and_saveexec_b64 s[4:5], s[2:3]
	s_xor_b64 s[2:3], exec, s[4:5]
	s_cbranch_execz .LBB185_295
; %bb.294:                              ;   in Loop: Header=BB185_162 Depth=1
	v_mul_f64 v[14:15], v[4:5], v[4:5]
	v_fma_f64 v[14:15], v[2:3], v[2:3], v[14:15]
.LBB185_295:                            ;   in Loop: Header=BB185_162 Depth=1
	s_andn2_saveexec_b64 s[2:3], s[2:3]
	s_cbranch_execz .LBB185_160
; %bb.296:                              ;   in Loop: Header=BB185_162 Depth=1
	v_mul_f64 v[14:15], v[4:5], 4.0
	v_mul_f64 v[2:3], v[2:3], 4.0
	v_mul_f64 v[14:15], v[14:15], v[14:15]
	v_fma_f64 v[2:3], v[2:3], v[2:3], v[14:15]
	v_ldexp_f64 v[14:15], v[2:3], -4
	s_branch .LBB185_160
.LBB185_297:
	s_endpgm
	.section	.rodata,"a",@progbits
	.p2align	6, 0x0
	.amdhsa_kernel _ZN2at6native12_GLOBAL__N_125multi_tensor_apply_kernelINS1_18TensorListMetadataILi1EEENS1_14UnaryOpFunctorIN3c107complexIdEELi1ELi1ELi0EEEJNS0_5Log10IS8_EEEEEvT_T0_DpT1_
		.amdhsa_group_segment_fixed_size 0
		.amdhsa_private_segment_fixed_size 0
		.amdhsa_kernarg_size 3632
		.amdhsa_user_sgpr_count 6
		.amdhsa_user_sgpr_private_segment_buffer 1
		.amdhsa_user_sgpr_dispatch_ptr 0
		.amdhsa_user_sgpr_queue_ptr 0
		.amdhsa_user_sgpr_kernarg_segment_ptr 1
		.amdhsa_user_sgpr_dispatch_id 0
		.amdhsa_user_sgpr_flat_scratch_init 0
		.amdhsa_user_sgpr_private_segment_size 0
		.amdhsa_uses_dynamic_stack 0
		.amdhsa_system_sgpr_private_segment_wavefront_offset 0
		.amdhsa_system_sgpr_workgroup_id_x 1
		.amdhsa_system_sgpr_workgroup_id_y 0
		.amdhsa_system_sgpr_workgroup_id_z 0
		.amdhsa_system_sgpr_workgroup_info 0
		.amdhsa_system_vgpr_workitem_id 0
		.amdhsa_next_free_vgpr 81
		.amdhsa_next_free_sgpr 96
		.amdhsa_reserve_vcc 1
		.amdhsa_reserve_flat_scratch 0
		.amdhsa_float_round_mode_32 0
		.amdhsa_float_round_mode_16_64 0
		.amdhsa_float_denorm_mode_32 3
		.amdhsa_float_denorm_mode_16_64 3
		.amdhsa_dx10_clamp 1
		.amdhsa_ieee_mode 1
		.amdhsa_fp16_overflow 0
		.amdhsa_exception_fp_ieee_invalid_op 0
		.amdhsa_exception_fp_denorm_src 0
		.amdhsa_exception_fp_ieee_div_zero 0
		.amdhsa_exception_fp_ieee_overflow 0
		.amdhsa_exception_fp_ieee_underflow 0
		.amdhsa_exception_fp_ieee_inexact 0
		.amdhsa_exception_int_div_zero 0
	.end_amdhsa_kernel
	.section	.text._ZN2at6native12_GLOBAL__N_125multi_tensor_apply_kernelINS1_18TensorListMetadataILi1EEENS1_14UnaryOpFunctorIN3c107complexIdEELi1ELi1ELi0EEEJNS0_5Log10IS8_EEEEEvT_T0_DpT1_,"axG",@progbits,_ZN2at6native12_GLOBAL__N_125multi_tensor_apply_kernelINS1_18TensorListMetadataILi1EEENS1_14UnaryOpFunctorIN3c107complexIdEELi1ELi1ELi0EEEJNS0_5Log10IS8_EEEEEvT_T0_DpT1_,comdat
.Lfunc_end185:
	.size	_ZN2at6native12_GLOBAL__N_125multi_tensor_apply_kernelINS1_18TensorListMetadataILi1EEENS1_14UnaryOpFunctorIN3c107complexIdEELi1ELi1ELi0EEEJNS0_5Log10IS8_EEEEEvT_T0_DpT1_, .Lfunc_end185-_ZN2at6native12_GLOBAL__N_125multi_tensor_apply_kernelINS1_18TensorListMetadataILi1EEENS1_14UnaryOpFunctorIN3c107complexIdEELi1ELi1ELi0EEEJNS0_5Log10IS8_EEEEEvT_T0_DpT1_
                                        ; -- End function
	.set _ZN2at6native12_GLOBAL__N_125multi_tensor_apply_kernelINS1_18TensorListMetadataILi1EEENS1_14UnaryOpFunctorIN3c107complexIdEELi1ELi1ELi0EEEJNS0_5Log10IS8_EEEEEvT_T0_DpT1_.num_vgpr, 81
	.set _ZN2at6native12_GLOBAL__N_125multi_tensor_apply_kernelINS1_18TensorListMetadataILi1EEENS1_14UnaryOpFunctorIN3c107complexIdEELi1ELi1ELi0EEEJNS0_5Log10IS8_EEEEEvT_T0_DpT1_.num_agpr, 0
	.set _ZN2at6native12_GLOBAL__N_125multi_tensor_apply_kernelINS1_18TensorListMetadataILi1EEENS1_14UnaryOpFunctorIN3c107complexIdEELi1ELi1ELi0EEEJNS0_5Log10IS8_EEEEEvT_T0_DpT1_.numbered_sgpr, 96
	.set _ZN2at6native12_GLOBAL__N_125multi_tensor_apply_kernelINS1_18TensorListMetadataILi1EEENS1_14UnaryOpFunctorIN3c107complexIdEELi1ELi1ELi0EEEJNS0_5Log10IS8_EEEEEvT_T0_DpT1_.num_named_barrier, 0
	.set _ZN2at6native12_GLOBAL__N_125multi_tensor_apply_kernelINS1_18TensorListMetadataILi1EEENS1_14UnaryOpFunctorIN3c107complexIdEELi1ELi1ELi0EEEJNS0_5Log10IS8_EEEEEvT_T0_DpT1_.private_seg_size, 0
	.set _ZN2at6native12_GLOBAL__N_125multi_tensor_apply_kernelINS1_18TensorListMetadataILi1EEENS1_14UnaryOpFunctorIN3c107complexIdEELi1ELi1ELi0EEEJNS0_5Log10IS8_EEEEEvT_T0_DpT1_.uses_vcc, 1
	.set _ZN2at6native12_GLOBAL__N_125multi_tensor_apply_kernelINS1_18TensorListMetadataILi1EEENS1_14UnaryOpFunctorIN3c107complexIdEELi1ELi1ELi0EEEJNS0_5Log10IS8_EEEEEvT_T0_DpT1_.uses_flat_scratch, 0
	.set _ZN2at6native12_GLOBAL__N_125multi_tensor_apply_kernelINS1_18TensorListMetadataILi1EEENS1_14UnaryOpFunctorIN3c107complexIdEELi1ELi1ELi0EEEJNS0_5Log10IS8_EEEEEvT_T0_DpT1_.has_dyn_sized_stack, 0
	.set _ZN2at6native12_GLOBAL__N_125multi_tensor_apply_kernelINS1_18TensorListMetadataILi1EEENS1_14UnaryOpFunctorIN3c107complexIdEELi1ELi1ELi0EEEJNS0_5Log10IS8_EEEEEvT_T0_DpT1_.has_recursion, 0
	.set _ZN2at6native12_GLOBAL__N_125multi_tensor_apply_kernelINS1_18TensorListMetadataILi1EEENS1_14UnaryOpFunctorIN3c107complexIdEELi1ELi1ELi0EEEJNS0_5Log10IS8_EEEEEvT_T0_DpT1_.has_indirect_call, 0
	.section	.AMDGPU.csdata,"",@progbits
; Kernel info:
; codeLenInByte = 88196
; TotalNumSgprs: 100
; NumVgprs: 81
; ScratchSize: 0
; MemoryBound: 1
; FloatMode: 240
; IeeeMode: 1
; LDSByteSize: 0 bytes/workgroup (compile time only)
; SGPRBlocks: 12
; VGPRBlocks: 20
; NumSGPRsForWavesPerEU: 100
; NumVGPRsForWavesPerEU: 81
; Occupancy: 3
; WaveLimiterHint : 0
; COMPUTE_PGM_RSRC2:SCRATCH_EN: 0
; COMPUTE_PGM_RSRC2:USER_SGPR: 6
; COMPUTE_PGM_RSRC2:TRAP_HANDLER: 0
; COMPUTE_PGM_RSRC2:TGID_X_EN: 1
; COMPUTE_PGM_RSRC2:TGID_Y_EN: 0
; COMPUTE_PGM_RSRC2:TGID_Z_EN: 0
; COMPUTE_PGM_RSRC2:TIDIG_COMP_CNT: 0
	.section	.text._ZN2at6native12_GLOBAL__N_125multi_tensor_apply_kernelINS1_18TensorListMetadataILi1EEENS1_14UnaryOpFunctorIN3c107complexIfEELi1ELi1ELi0EEEJNS0_5Log10IS8_EEEEEvT_T0_DpT1_,"axG",@progbits,_ZN2at6native12_GLOBAL__N_125multi_tensor_apply_kernelINS1_18TensorListMetadataILi1EEENS1_14UnaryOpFunctorIN3c107complexIfEELi1ELi1ELi0EEEJNS0_5Log10IS8_EEEEEvT_T0_DpT1_,comdat
	.globl	_ZN2at6native12_GLOBAL__N_125multi_tensor_apply_kernelINS1_18TensorListMetadataILi1EEENS1_14UnaryOpFunctorIN3c107complexIfEELi1ELi1ELi0EEEJNS0_5Log10IS8_EEEEEvT_T0_DpT1_ ; -- Begin function _ZN2at6native12_GLOBAL__N_125multi_tensor_apply_kernelINS1_18TensorListMetadataILi1EEENS1_14UnaryOpFunctorIN3c107complexIfEELi1ELi1ELi0EEEJNS0_5Log10IS8_EEEEEvT_T0_DpT1_
	.p2align	8
	.type	_ZN2at6native12_GLOBAL__N_125multi_tensor_apply_kernelINS1_18TensorListMetadataILi1EEENS1_14UnaryOpFunctorIN3c107complexIfEELi1ELi1ELi0EEEJNS0_5Log10IS8_EEEEEvT_T0_DpT1_,@function
_ZN2at6native12_GLOBAL__N_125multi_tensor_apply_kernelINS1_18TensorListMetadataILi1EEENS1_14UnaryOpFunctorIN3c107complexIfEELi1ELi1ELi0EEEJNS0_5Log10IS8_EEEEEvT_T0_DpT1_: ; @_ZN2at6native12_GLOBAL__N_125multi_tensor_apply_kernelINS1_18TensorListMetadataILi1EEENS1_14UnaryOpFunctorIN3c107complexIfEELi1ELi1ELi0EEEJNS0_5Log10IS8_EEEEEvT_T0_DpT1_
; %bb.0:
	v_mov_b32_e32 v1, s6
	global_load_ubyte v1, v1, s[4:5] offset:1760
	s_add_u32 s0, s4, s6
	s_mul_hi_u32 s1, s6, 3
	s_mul_i32 s6, s6, 3
	s_addc_u32 s2, s5, 0
	s_add_u32 s0, s0, s6
	s_addc_u32 s1, s2, s1
	s_load_dword s0, s[0:1], 0x820
	s_mov_b32 s9, 0
	s_waitcnt vmcnt(0)
	v_readfirstlane_b32 s1, v1
	s_lshl_b32 s1, s1, 3
	s_load_dwordx2 s[2:3], s[4:5], s1 offset:0x0
	s_load_dwordx2 s[6:7], s[4:5], s1 offset:0x370
	s_waitcnt lgkmcnt(0)
	s_ashr_i32 s1, s0, 31
	s_lshl_b64 s[10:11], s[0:1], 19
	s_add_u32 s33, s2, s10
	s_addc_u32 s38, s3, s11
	s_lshl_b64 s[0:1], s[0:1], 16
	s_and_b32 s8, s33, 31
	s_sub_u32 s14, s6, s0
	s_subb_u32 s15, s7, s1
	s_and_b32 s0, s6, 3
	s_mov_b32 s1, s9
	s_or_b64 s[0:1], s[8:9], s[0:1]
	s_cmp_eq_u64 s[0:1], 0
	s_cbranch_scc1 .LBB186_157
; %bb.1:
	v_cmp_lt_i64_e64 s[0:1], s[14:15], 1
	s_and_b64 vcc, exec, s[0:1]
	s_cbranch_vccnz .LBB186_156
; %bb.2:
	v_mov_b32_e32 v1, 0x10000
	s_load_dword s2, s[4:5], 0xd3c
	v_mov_b32_e32 v2, 0
	v_cmp_lt_i64_e32 vcc, s[14:15], v[1:2]
	s_mov_b64 s[20:21], 0
	s_and_b64 s[0:1], vcc, exec
	v_cmp_lt_u64_e32 vcc, s[14:15], v[1:2]
	s_cselect_b32 s17, s15, 0
	s_cselect_b32 s16, s14, 0x10000
	s_waitcnt lgkmcnt(0)
	s_and_b32 s39, s2, 0xffff
	s_and_b64 s[0:1], vcc, exec
	s_cselect_b32 s19, s15, 0
	s_cselect_b32 s18, s14, 0x10000
	s_lshl_b32 s40, s39, 1
	s_mul_i32 s41, s39, 3
	s_lshl_b32 s42, s39, 2
	s_brev_b32 s43, -2
	s_mov_b32 s44, 0x77f684df
	s_mov_b32 s45, 0x358637bd
	;; [unrolled: 1-line block ×4, first 2 shown]
	v_mov_b32_e32 v17, 0x3f2aaada
	s_mov_b32 s48, 0x3f317218
	s_mov_b32 s49, 0x7f800000
	;; [unrolled: 1-line block ×3, first 2 shown]
	v_mov_b32_e32 v18, 0x3d29fb3f
	v_mov_b32_e32 v19, 0xbd97d4d7
	v_mov_b32_e32 v20, 0x3dd931b2
	v_mov_b32_e32 v21, 0xbe1160e6
	v_mov_b32_e32 v22, 0x3e4cb8bf
	v_mov_b32_e32 v23, 0xbeaaaa62
	s_movk_i32 s51, 0x204
	s_mov_b32 s52, 0x3f333333
	s_mov_b32 s53, 0x800000
	;; [unrolled: 1-line block ×5, first 2 shown]
	s_brev_b32 s57, 4
	s_mov_b32 s58, 0x40135d8e
	v_mov_b32_e32 v24, 0x7f800000
	v_mov_b32_e32 v25, 0x7fc00000
	;; [unrolled: 1-line block ×7, first 2 shown]
	s_branch .LBB186_4
.LBB186_3:                              ;   in Loop: Header=BB186_4 Depth=1
	s_or_b64 exec, exec, s[2:3]
	s_add_u32 s20, s20, s42
	v_mov_b32_e32 v1, s16
	s_addc_u32 s21, s21, 0
	v_mov_b32_e32 v2, s17
	v_cmp_ge_i64_e32 vcc, s[20:21], v[1:2]
	s_cbranch_vccnz .LBB186_156
.LBB186_4:                              ; =>This Loop Header: Depth=1
                                        ;     Child Loop BB186_23 Depth 2
                                        ;     Child Loop BB186_57 Depth 2
	;; [unrolled: 1-line block ×4, first 2 shown]
	v_mov_b32_e32 v2, s21
	v_add_co_u32_e32 v1, vcc, s20, v0
	v_addc_co_u32_e32 v2, vcc, 0, v2, vcc
	v_cmp_gt_u64_e64 s[8:9], s[18:19], v[1:2]
	v_lshlrev_b64 v[11:12], 3, v[1:2]
	v_mov_b32_e32 v16, 0
	v_mov_b32_e32 v15, 0
	s_and_saveexec_b64 s[0:1], s[8:9]
	s_cbranch_execz .LBB186_6
; %bb.5:                                ;   in Loop: Header=BB186_4 Depth=1
	v_mov_b32_e32 v4, s38
	v_add_co_u32_e32 v3, vcc, s33, v11
	v_addc_co_u32_e32 v4, vcc, v4, v12, vcc
	global_load_dwordx2 v[15:16], v[3:4], off
.LBB186_6:                              ;   in Loop: Header=BB186_4 Depth=1
	s_or_b64 exec, exec, s[0:1]
	v_add_co_u32_e32 v3, vcc, s39, v1
	v_addc_co_u32_e32 v4, vcc, 0, v2, vcc
	v_cmp_gt_u64_e64 s[6:7], s[18:19], v[3:4]
	v_lshlrev_b64 v[9:10], 3, v[3:4]
	v_mov_b32_e32 v8, 0
	v_mov_b32_e32 v14, 0
	;; [unrolled: 1-line block ×3, first 2 shown]
	s_and_saveexec_b64 s[0:1], s[6:7]
	s_cbranch_execz .LBB186_8
; %bb.7:                                ;   in Loop: Header=BB186_4 Depth=1
	v_mov_b32_e32 v4, s38
	v_add_co_u32_e32 v3, vcc, s33, v9
	v_addc_co_u32_e32 v4, vcc, v4, v10, vcc
	global_load_dwordx2 v[13:14], v[3:4], off
.LBB186_8:                              ;   in Loop: Header=BB186_4 Depth=1
	s_or_b64 exec, exec, s[0:1]
	v_add_co_u32_e32 v3, vcc, s40, v1
	v_addc_co_u32_e32 v4, vcc, 0, v2, vcc
	v_cmp_gt_u64_e64 s[2:3], s[18:19], v[3:4]
	v_lshlrev_b64 v[3:4], 3, v[3:4]
	v_mov_b32_e32 v7, 0
	s_and_saveexec_b64 s[0:1], s[2:3]
	s_cbranch_execz .LBB186_10
; %bb.9:                                ;   in Loop: Header=BB186_4 Depth=1
	v_mov_b32_e32 v6, s38
	v_add_co_u32_e32 v5, vcc, s33, v3
	v_addc_co_u32_e32 v6, vcc, v6, v4, vcc
	global_load_dwordx2 v[7:8], v[5:6], off
.LBB186_10:                             ;   in Loop: Header=BB186_4 Depth=1
	s_or_b64 exec, exec, s[0:1]
	v_add_co_u32_e32 v1, vcc, s41, v1
	v_addc_co_u32_e32 v2, vcc, 0, v2, vcc
	v_cmp_gt_u64_e64 s[0:1], s[18:19], v[1:2]
	v_lshlrev_b64 v[1:2], 3, v[1:2]
	v_mov_b32_e32 v6, 0
	v_mov_b32_e32 v5, 0
	s_and_saveexec_b64 s[10:11], s[0:1]
	s_cbranch_execz .LBB186_12
; %bb.11:                               ;   in Loop: Header=BB186_4 Depth=1
	v_mov_b32_e32 v6, s38
	v_add_co_u32_e32 v5, vcc, s33, v1
	v_addc_co_u32_e32 v6, vcc, v6, v2, vcc
	global_load_dwordx2 v[5:6], v[5:6], off
.LBB186_12:                             ;   in Loop: Header=BB186_4 Depth=1
	s_or_b64 exec, exec, s[10:11]
	s_waitcnt vmcnt(0)
	v_cmp_o_f32_e32 vcc, v16, v15
                                        ; implicit-def: $vgpr31
                                        ; implicit-def: $vgpr32
	s_and_saveexec_b64 s[10:11], vcc
	s_xor_b64 s[22:23], exec, s[10:11]
	s_cbranch_execz .LBB186_40
; %bb.13:                               ;   in Loop: Header=BB186_4 Depth=1
	v_cmp_lt_f32_e64 s[10:11], |v15|, |v16|
	v_cndmask_b32_e64 v33, |v16|, |v15|, s[10:11]
	v_cmp_nlt_f32_e32 vcc, s44, v33
                                        ; implicit-def: $vgpr31
                                        ; implicit-def: $vgpr32
	s_and_saveexec_b64 s[12:13], vcc
	s_xor_b64 s[24:25], exec, s[12:13]
	s_cbranch_execz .LBB186_37
; %bb.14:                               ;   in Loop: Header=BB186_4 Depth=1
	v_and_b32_e32 v31, 0x7fffffff, v16
	v_cndmask_b32_e64 v34, |v15|, v31, s[10:11]
	v_cmp_neq_f32_e32 vcc, 1.0, v34
                                        ; implicit-def: $vgpr31
                                        ; implicit-def: $vgpr32
	s_and_saveexec_b64 s[12:13], vcc
	s_xor_b64 s[26:27], exec, s[12:13]
	s_cbranch_execz .LBB186_30
; %bb.15:                               ;   in Loop: Header=BB186_4 Depth=1
	v_max_f32_e32 v31, v33, v33
	v_max_f32_e32 v32, v34, v34
	v_min_f32_e32 v35, v32, v31
	v_max_f32_e32 v31, v32, v31
	v_cmp_ngt_f32_e32 vcc, s45, v35
	v_cmp_nlt_f32_e64 s[12:13], s46, v31
	s_and_b64 s[12:13], s[12:13], vcc
                                        ; implicit-def: $vgpr31
                                        ; implicit-def: $vgpr32
	s_and_saveexec_b64 s[28:29], s[12:13]
	s_xor_b64 s[28:29], exec, s[28:29]
	s_cbranch_execz .LBB186_27
; %bb.16:                               ;   in Loop: Header=BB186_4 Depth=1
	v_cmp_le_f32_e32 vcc, 1.0, v34
                                        ; implicit-def: $vgpr31
                                        ; implicit-def: $vgpr32
	s_and_saveexec_b64 s[12:13], vcc
	s_xor_b64 s[30:31], exec, s[12:13]
	s_cbranch_execz .LBB186_18
; %bb.17:                               ;   in Loop: Header=BB186_4 Depth=1
	v_add_f32_e32 v31, -1.0, v34
	v_add_f32_e32 v32, 1.0, v34
	v_mul_f32_e32 v34, v31, v32
	v_fmac_f32_e32 v34, v33, v33
	v_add_f32_e32 v33, 1.0, v34
	v_cvt_f64_f32_e32 v[31:32], v33
	v_add_f32_e32 v35, -1.0, v33
	v_sub_f32_e32 v36, v35, v33
	v_sub_f32_e32 v35, v34, v35
	v_frexp_exp_i32_f64_e32 v31, v[31:32]
	v_frexp_mant_f32_e32 v32, v33
	v_cmp_gt_f32_e32 vcc, s47, v32
	v_add_f32_e32 v36, 1.0, v36
	v_add_f32_e32 v35, v35, v36
	v_cmp_gt_i32_e64 s[12:13], 0, v15
	v_cmp_class_f32_e64 s[34:35], v16, s51
	v_subbrev_co_u32_e32 v31, vcc, 0, v31, vcc
	v_sub_u32_e32 v32, 0, v31
	v_ldexp_f32 v33, v33, v32
	v_ldexp_f32 v32, v35, v32
	v_add_f32_e32 v35, -1.0, v33
	v_add_f32_e32 v38, 1.0, v33
	v_add_f32_e32 v36, 1.0, v35
	v_add_f32_e32 v39, -1.0, v38
	v_sub_f32_e32 v36, v33, v36
	v_sub_f32_e32 v33, v33, v39
	v_add_f32_e32 v36, v32, v36
	v_add_f32_e32 v32, v32, v33
	;; [unrolled: 1-line block ×3, first 2 shown]
	v_rcp_f32_e32 v39, v33
	v_add_f32_e32 v37, v35, v36
	v_sub_f32_e32 v35, v37, v35
	v_sub_f32_e32 v35, v36, v35
	;; [unrolled: 1-line block ×4, first 2 shown]
	v_mul_f32_e32 v36, v37, v39
	v_mul_f32_e32 v38, v33, v36
	v_fma_f32 v40, v36, v33, -v38
	v_fmac_f32_e32 v40, v36, v32
	v_add_f32_e32 v41, v38, v40
	v_sub_f32_e32 v42, v37, v41
	v_sub_f32_e32 v37, v37, v42
	;; [unrolled: 1-line block ×4, first 2 shown]
	v_add_f32_e32 v35, v35, v37
	v_sub_f32_e32 v37, v38, v40
	v_add_f32_e32 v35, v37, v35
	v_add_f32_e32 v37, v42, v35
	v_mul_f32_e32 v38, v39, v37
	v_mul_f32_e32 v40, v33, v38
	v_fma_f32 v33, v38, v33, -v40
	v_fmac_f32_e32 v33, v38, v32
	v_sub_f32_e32 v32, v42, v37
	v_add_f32_e32 v32, v35, v32
	v_add_f32_e32 v35, v40, v33
	v_sub_f32_e32 v41, v37, v35
	v_sub_f32_e32 v37, v37, v41
	;; [unrolled: 1-line block ×4, first 2 shown]
	v_add_f32_e32 v32, v32, v35
	v_sub_f32_e32 v33, v40, v33
	v_cvt_f32_i32_e32 v31, v31
	v_add_f32_e32 v32, v33, v32
	v_add_f32_e32 v33, v36, v38
	v_add_f32_e32 v32, v41, v32
	v_sub_f32_e32 v35, v33, v36
	v_mul_f32_e32 v32, v39, v32
	v_sub_f32_e32 v35, v38, v35
	v_add_f32_e32 v32, v35, v32
	v_mul_f32_e32 v38, 0x3f317218, v31
	v_add_f32_e32 v35, v33, v32
	v_fma_f32 v39, v31, s48, -v38
	v_mul_f32_e32 v36, v35, v35
	v_mov_b32_e32 v37, 0x3ecc95a3
	v_fmac_f32_e32 v39, 0xb102e308, v31
	v_sub_f32_e32 v31, v35, v33
	v_fmac_f32_e32 v37, 0x3e9b6dac, v36
	v_sub_f32_e32 v31, v32, v31
	v_add_f32_e32 v32, v38, v39
	v_fma_f32 v37, v36, v37, v17
	v_sub_f32_e32 v33, v32, v38
	v_ldexp_f32 v38, v35, 1
	v_mul_f32_e32 v35, v35, v36
	v_mul_f32_e32 v35, v35, v37
	v_add_f32_e32 v36, v38, v35
	v_sub_f32_e32 v37, v36, v38
	v_ldexp_f32 v31, v31, 1
	v_sub_f32_e32 v35, v35, v37
	v_add_f32_e32 v31, v31, v35
	v_add_f32_e32 v35, v36, v31
	v_sub_f32_e32 v36, v35, v36
	v_sub_f32_e32 v31, v31, v36
	v_add_f32_e32 v36, v32, v35
	v_sub_f32_e32 v37, v36, v32
	v_sub_f32_e32 v38, v36, v37
	;; [unrolled: 1-line block ×5, first 2 shown]
	v_add_f32_e32 v32, v35, v32
	v_add_f32_e32 v35, v33, v31
	v_sub_f32_e32 v37, v35, v33
	v_sub_f32_e32 v38, v35, v37
	;; [unrolled: 1-line block ×4, first 2 shown]
	v_add_f32_e32 v32, v35, v32
	v_add_f32_e32 v31, v31, v33
	;; [unrolled: 1-line block ×3, first 2 shown]
	v_sub_f32_e32 v35, v33, v36
	v_sub_f32_e32 v32, v32, v35
	v_add_f32_e32 v31, v31, v32
	v_add_f32_e32 v31, v33, v31
	v_cmp_neq_f32_e32 vcc, s49, v34
	v_cndmask_b32_e32 v31, v24, v31, vcc
	v_cmp_ngt_f32_e32 vcc, -1.0, v34
	v_cndmask_b32_e32 v31, v25, v31, vcc
	v_cmp_neq_f32_e32 vcc, -1.0, v34
	v_cndmask_b32_e32 v31, v26, v31, vcc
	v_cmp_lt_f32_e64 vcc, |v34|, s50
	v_max_f32_e64 v32, |v16|, |v16|
	v_max_f32_e64 v33, |v15|, |v15|
	v_cndmask_b32_e32 v31, v31, v34, vcc
	v_min_f32_e32 v34, v33, v32
	v_max_f32_e32 v32, v33, v32
	v_frexp_mant_f32_e32 v33, v32
	v_rcp_f32_e32 v33, v33
	v_frexp_exp_i32_f32_e32 v32, v32
	v_frexp_exp_i32_f32_e32 v35, v34
	v_frexp_mant_f32_e32 v34, v34
	v_mul_f32_e32 v33, v34, v33
	v_sub_u32_e32 v32, v35, v32
	v_ldexp_f32 v32, v33, v32
	v_mul_f32_e32 v33, v32, v32
	v_mov_b32_e32 v34, 0xbc7a590c
	v_fmac_f32_e32 v34, 0x3b2d2a58, v33
	v_fma_f32 v34, v33, v34, v18
	v_fma_f32 v34, v33, v34, v19
	;; [unrolled: 1-line block ×6, first 2 shown]
	v_mul_f32_e32 v33, v33, v34
	v_fmac_f32_e32 v32, v32, v33
	v_sub_f32_e32 v33, 0x3fc90fdb, v32
	v_cndmask_b32_e64 v32, v32, v33, s[10:11]
	v_sub_f32_e32 v33, 0x40490fdb, v32
	v_cmp_gt_f32_e32 vcc, 0, v15
	v_cndmask_b32_e32 v32, v32, v33, vcc
	v_cndmask_b32_e64 v33, 0, v27, s[12:13]
	v_cmp_eq_f32_e64 s[12:13], 0, v16
	v_cndmask_b32_e64 v32, v32, v33, s[12:13]
	v_cmp_class_f32_e64 s[12:13], v15, s51
	v_cndmask_b32_e32 v33, v28, v29, vcc
	s_and_b64 vcc, s[34:35], s[12:13]
	v_mul_f32_e32 v31, 0.5, v31
	v_cndmask_b32_e32 v32, v32, v33, vcc
                                        ; implicit-def: $vgpr33
                                        ; implicit-def: $vgpr34
.LBB186_18:                             ;   in Loop: Header=BB186_4 Depth=1
	s_andn2_saveexec_b64 s[30:31], s[30:31]
	s_cbranch_execz .LBB186_26
; %bb.19:                               ;   in Loop: Header=BB186_4 Depth=1
	v_mul_f32_e32 v35, v33, v33
	v_fmac_f32_e32 v35, v34, v34
	v_cmp_ge_f32_e32 vcc, s52, v35
                                        ; implicit-def: $vgpr31
                                        ; implicit-def: $vgpr32
	s_and_saveexec_b64 s[12:13], vcc
	s_xor_b64 s[34:35], exec, s[12:13]
	s_cbranch_execz .LBB186_21
; %bb.20:                               ;   in Loop: Header=BB186_4 Depth=1
	v_cmp_gt_f32_e32 vcc, s53, v35
	v_cndmask_b32_e64 v31, 0, 32, vcc
	v_ldexp_f32 v31, v35, v31
	v_log_f32_e32 v31, v31
	v_cndmask_b32_e32 v32, 0, v30, vcc
	v_cmp_gt_i32_e64 s[12:13], 0, v15
	v_cmp_class_f32_e64 s[36:37], v16, s51
	v_mul_f32_e32 v33, 0x3f317217, v31
	v_fma_f32 v33, v31, s54, -v33
	v_fmac_f32_e32 v33, 0x3377d1cf, v31
	v_fmac_f32_e32 v33, 0x3f317217, v31
	v_cmp_lt_f32_e64 vcc, |v31|, s49
	v_cndmask_b32_e32 v31, v31, v33, vcc
	v_sub_f32_e32 v31, v31, v32
	v_max_f32_e64 v32, |v16|, |v16|
	v_max_f32_e64 v33, |v15|, |v15|
	v_min_f32_e32 v34, v33, v32
	v_max_f32_e32 v32, v33, v32
	v_frexp_mant_f32_e32 v33, v32
	v_rcp_f32_e32 v33, v33
	v_frexp_exp_i32_f32_e32 v32, v32
	v_frexp_exp_i32_f32_e32 v35, v34
	v_frexp_mant_f32_e32 v34, v34
	v_mul_f32_e32 v33, v34, v33
	v_sub_u32_e32 v32, v35, v32
	v_ldexp_f32 v32, v33, v32
	v_mul_f32_e32 v33, v32, v32
	v_mov_b32_e32 v34, 0xbc7a590c
	v_fmac_f32_e32 v34, 0x3b2d2a58, v33
	v_fma_f32 v34, v33, v34, v18
	v_fma_f32 v34, v33, v34, v19
	;; [unrolled: 1-line block ×6, first 2 shown]
	v_mul_f32_e32 v33, v33, v34
	v_fmac_f32_e32 v32, v32, v33
	v_sub_f32_e32 v33, 0x3fc90fdb, v32
	v_cndmask_b32_e64 v32, v32, v33, s[10:11]
	v_sub_f32_e32 v33, 0x40490fdb, v32
	v_cmp_gt_f32_e32 vcc, 0, v15
	v_cndmask_b32_e32 v32, v32, v33, vcc
	v_cndmask_b32_e64 v33, 0, v27, s[12:13]
	v_cmp_eq_f32_e64 s[12:13], 0, v16
	v_cndmask_b32_e64 v32, v32, v33, s[12:13]
	v_cmp_class_f32_e64 s[12:13], v15, s51
	v_cndmask_b32_e32 v33, v28, v29, vcc
	s_and_b64 vcc, s[36:37], s[12:13]
	v_mul_f32_e32 v31, 0.5, v31
	v_cndmask_b32_e32 v32, v32, v33, vcc
                                        ; implicit-def: $vgpr34
                                        ; implicit-def: $vgpr33
.LBB186_21:                             ;   in Loop: Header=BB186_4 Depth=1
	s_andn2_saveexec_b64 s[34:35], s[34:35]
	s_cbranch_execz .LBB186_25
; %bb.22:                               ;   in Loop: Header=BB186_4 Depth=1
	v_and_b32_e32 v35, 0x7fff0000, v34
	v_sub_f32_e32 v31, v34, v35
	v_and_b32_e32 v39, 0xffff0000, v31
	v_and_b32_e32 v34, 0x7fff0000, v33
	v_sub_f32_e32 v41, v31, v39
	v_sub_f32_e32 v31, v33, v34
	v_and_b32_e32 v40, 0xffff0000, v31
	v_add_f32_e32 v36, v35, v35
	v_add_f32_e32 v43, v34, v34
	v_sub_f32_e32 v42, v31, v40
	v_mul_f32_e32 v31, v35, v35
	v_mul_f32_e32 v32, v34, v34
	;; [unrolled: 1-line block ×6, first 2 shown]
	v_add_f32_e32 v39, v39, v39
	v_add_f32_e32 v40, v40, v40
	v_mul_f32_e32 v37, v36, v41
	v_mul_f32_e32 v36, v43, v42
	;; [unrolled: 1-line block ×6, first 2 shown]
	s_mov_b64 s[36:37], 0
.LBB186_23:                             ;   Parent Loop BB186_4 Depth=1
                                        ; =>  This Inner Loop Header: Depth=2
	v_cmp_nlt_f32_e32 vcc, v31, v32
	v_mov_b32_e32 v43, v42
	v_cndmask_b32_e32 v42, v31, v32, vcc
	v_cmp_nlt_f32_e64 s[12:13], v42, v35
	v_cndmask_b32_e64 v44, v42, v35, s[12:13]
	v_cndmask_b32_e32 v31, v32, v31, vcc
	s_and_b64 s[60:61], vcc, s[12:13]
	v_cmp_nlt_f32_e32 vcc, v44, v34
	v_cndmask_b32_e64 v32, v35, v42, s[12:13]
	v_cndmask_b32_e32 v42, v44, v34, vcc
	v_cmp_nlt_f32_e64 s[12:13], v42, v38
	v_cndmask_b32_e32 v35, v34, v44, vcc
	v_cndmask_b32_e64 v44, v42, v38, s[12:13]
	s_and_b64 s[62:63], vcc, s[12:13]
	v_cmp_nlt_f32_e32 vcc, v44, v33
	v_cndmask_b32_e64 v34, v38, v42, s[12:13]
	v_cndmask_b32_e32 v42, v44, v33, vcc
	v_cmp_nlt_f32_e64 s[12:13], v42, v37
	v_cndmask_b32_e32 v38, v33, v44, vcc
	v_cndmask_b32_e64 v44, v42, v37, s[12:13]
	v_cndmask_b32_e64 v33, v37, v42, s[12:13]
	s_and_b64 s[12:13], vcc, s[12:13]
	v_cmp_nlt_f32_e32 vcc, v44, v36
	v_cndmask_b32_e32 v42, v44, v36, vcc
	v_cndmask_b32_e32 v37, v36, v44, vcc
	s_and_b64 s[12:13], s[12:13], vcc
	v_cmp_nlt_f32_e32 vcc, v42, v39
	v_cndmask_b32_e32 v44, v42, v39, vcc
	v_cndmask_b32_e32 v36, v39, v42, vcc
	s_and_b64 s[12:13], s[12:13], vcc
	;; [unrolled: 4-line block ×4, first 2 shown]
	v_cmp_nlt_f32_e32 vcc, v44, v43
	s_and_b64 s[12:13], s[12:13], vcc
	s_and_b64 s[12:13], s[12:13], s[62:63]
	s_and_b64 s[12:13], s[12:13], s[60:61]
	s_and_b64 s[12:13], exec, s[12:13]
	v_cndmask_b32_e32 v42, v44, v43, vcc
	s_or_b64 s[36:37], s[12:13], s[36:37]
	v_cndmask_b32_e32 v41, v43, v44, vcc
	s_andn2_b64 exec, exec, s[36:37]
	s_cbranch_execnz .LBB186_23
; %bb.24:                               ;   in Loop: Header=BB186_4 Depth=1
	s_or_b64 exec, exec, s[36:37]
	v_add_f32_e32 v31, -1.0, v31
	v_add_f32_e32 v31, v31, v32
	v_add_f32_e32 v31, v31, v35
	;; [unrolled: 1-line block ×11, first 2 shown]
	v_add_f32_e32 v34, 1.0, v33
	v_cvt_f64_f32_e32 v[31:32], v34
	v_add_f32_e32 v35, -1.0, v34
	v_sub_f32_e32 v36, v35, v34
	v_sub_f32_e32 v35, v33, v35
	v_frexp_exp_i32_f64_e32 v31, v[31:32]
	v_frexp_mant_f32_e32 v32, v34
	v_cmp_gt_f32_e32 vcc, s47, v32
	v_add_f32_e32 v36, 1.0, v36
	v_add_f32_e32 v35, v35, v36
	v_cmp_gt_i32_e64 s[12:13], 0, v15
	v_cmp_class_f32_e64 s[36:37], v16, s51
	v_subbrev_co_u32_e32 v31, vcc, 0, v31, vcc
	v_sub_u32_e32 v32, 0, v31
	v_ldexp_f32 v34, v34, v32
	v_ldexp_f32 v32, v35, v32
	v_add_f32_e32 v35, -1.0, v34
	v_add_f32_e32 v36, 1.0, v34
	v_add_f32_e32 v37, 1.0, v35
	v_add_f32_e32 v39, -1.0, v36
	v_sub_f32_e32 v37, v34, v37
	v_sub_f32_e32 v34, v34, v39
	v_add_f32_e32 v37, v32, v37
	v_add_f32_e32 v32, v32, v34
	;; [unrolled: 1-line block ×3, first 2 shown]
	v_rcp_f32_e32 v39, v34
	v_add_f32_e32 v38, v35, v37
	v_sub_f32_e32 v36, v34, v36
	v_sub_f32_e32 v35, v38, v35
	v_sub_f32_e32 v32, v32, v36
	v_mul_f32_e32 v36, v38, v39
	v_sub_f32_e32 v35, v37, v35
	v_mul_f32_e32 v37, v34, v36
	v_fma_f32 v40, v36, v34, -v37
	v_fmac_f32_e32 v40, v36, v32
	v_add_f32_e32 v41, v37, v40
	v_sub_f32_e32 v42, v38, v41
	v_sub_f32_e32 v38, v38, v42
	;; [unrolled: 1-line block ×4, first 2 shown]
	v_add_f32_e32 v35, v35, v38
	v_sub_f32_e32 v37, v37, v40
	v_add_f32_e32 v35, v37, v35
	v_add_f32_e32 v37, v42, v35
	v_mul_f32_e32 v38, v39, v37
	v_mul_f32_e32 v40, v34, v38
	v_fma_f32 v34, v38, v34, -v40
	v_fmac_f32_e32 v34, v38, v32
	v_sub_f32_e32 v32, v42, v37
	v_add_f32_e32 v32, v35, v32
	v_add_f32_e32 v35, v40, v34
	v_sub_f32_e32 v41, v37, v35
	v_sub_f32_e32 v37, v37, v41
	;; [unrolled: 1-line block ×4, first 2 shown]
	v_add_f32_e32 v32, v32, v35
	v_sub_f32_e32 v34, v40, v34
	v_cvt_f32_i32_e32 v31, v31
	v_add_f32_e32 v32, v34, v32
	v_add_f32_e32 v34, v36, v38
	;; [unrolled: 1-line block ×3, first 2 shown]
	v_sub_f32_e32 v35, v34, v36
	v_mul_f32_e32 v32, v39, v32
	v_sub_f32_e32 v35, v38, v35
	v_add_f32_e32 v32, v35, v32
	v_mul_f32_e32 v38, 0x3f317218, v31
	v_add_f32_e32 v35, v34, v32
	v_fma_f32 v39, v31, s48, -v38
	v_mul_f32_e32 v36, v35, v35
	v_mov_b32_e32 v37, 0x3ecc95a3
	v_fmac_f32_e32 v39, 0xb102e308, v31
	v_sub_f32_e32 v31, v35, v34
	v_fmac_f32_e32 v37, 0x3e9b6dac, v36
	v_sub_f32_e32 v31, v32, v31
	v_add_f32_e32 v32, v38, v39
	v_fma_f32 v37, v36, v37, v17
	v_sub_f32_e32 v34, v32, v38
	v_ldexp_f32 v38, v35, 1
	v_mul_f32_e32 v35, v35, v36
	v_mul_f32_e32 v35, v35, v37
	v_add_f32_e32 v36, v38, v35
	v_sub_f32_e32 v37, v36, v38
	v_ldexp_f32 v31, v31, 1
	v_sub_f32_e32 v35, v35, v37
	v_add_f32_e32 v31, v31, v35
	v_add_f32_e32 v35, v36, v31
	v_sub_f32_e32 v36, v35, v36
	v_sub_f32_e32 v31, v31, v36
	v_add_f32_e32 v36, v32, v35
	v_sub_f32_e32 v37, v36, v32
	v_sub_f32_e32 v38, v36, v37
	;; [unrolled: 1-line block ×5, first 2 shown]
	v_add_f32_e32 v32, v35, v32
	v_add_f32_e32 v35, v34, v31
	v_sub_f32_e32 v37, v35, v34
	v_sub_f32_e32 v38, v35, v37
	;; [unrolled: 1-line block ×4, first 2 shown]
	v_add_f32_e32 v32, v35, v32
	v_add_f32_e32 v31, v31, v34
	;; [unrolled: 1-line block ×3, first 2 shown]
	v_sub_f32_e32 v35, v34, v36
	v_sub_f32_e32 v32, v32, v35
	v_add_f32_e32 v31, v31, v32
	v_add_f32_e32 v31, v34, v31
	v_cmp_neq_f32_e32 vcc, s49, v33
	v_cndmask_b32_e32 v31, v24, v31, vcc
	v_cmp_ngt_f32_e32 vcc, -1.0, v33
	v_cndmask_b32_e32 v31, v25, v31, vcc
	v_cmp_neq_f32_e32 vcc, -1.0, v33
	v_cndmask_b32_e32 v31, v26, v31, vcc
	v_cmp_lt_f32_e64 vcc, |v33|, s50
	v_cndmask_b32_e32 v31, v31, v33, vcc
	v_max_f32_e64 v32, |v16|, |v16|
	v_max_f32_e64 v33, |v15|, |v15|
	v_min_f32_e32 v34, v33, v32
	v_max_f32_e32 v32, v33, v32
	v_frexp_mant_f32_e32 v33, v32
	v_rcp_f32_e32 v33, v33
	v_frexp_exp_i32_f32_e32 v32, v32
	v_frexp_exp_i32_f32_e32 v35, v34
	v_frexp_mant_f32_e32 v34, v34
	v_mul_f32_e32 v33, v34, v33
	v_sub_u32_e32 v32, v35, v32
	v_ldexp_f32 v32, v33, v32
	v_mul_f32_e32 v33, v32, v32
	v_mov_b32_e32 v34, 0xbc7a590c
	v_fmac_f32_e32 v34, 0x3b2d2a58, v33
	v_fma_f32 v34, v33, v34, v18
	v_fma_f32 v34, v33, v34, v19
	;; [unrolled: 1-line block ×6, first 2 shown]
	v_mul_f32_e32 v33, v33, v34
	v_fmac_f32_e32 v32, v32, v33
	v_sub_f32_e32 v33, 0x3fc90fdb, v32
	v_cndmask_b32_e64 v32, v32, v33, s[10:11]
	v_sub_f32_e32 v33, 0x40490fdb, v32
	v_cmp_gt_f32_e32 vcc, 0, v15
	v_cndmask_b32_e32 v32, v32, v33, vcc
	v_cndmask_b32_e64 v33, 0, v27, s[12:13]
	v_cmp_eq_f32_e64 s[12:13], 0, v16
	v_cndmask_b32_e64 v32, v32, v33, s[12:13]
	v_cmp_class_f32_e64 s[12:13], v15, s51
	v_cndmask_b32_e32 v33, v28, v29, vcc
	s_and_b64 vcc, s[36:37], s[12:13]
	v_mul_f32_e32 v31, 0.5, v31
	v_cndmask_b32_e32 v32, v32, v33, vcc
.LBB186_25:                             ;   in Loop: Header=BB186_4 Depth=1
	s_or_b64 exec, exec, s[34:35]
.LBB186_26:                             ;   in Loop: Header=BB186_4 Depth=1
	s_or_b64 exec, exec, s[30:31]
.LBB186_27:                             ;   in Loop: Header=BB186_4 Depth=1
	s_andn2_saveexec_b64 s[28:29], s[28:29]
	s_cbranch_execz .LBB186_29
; %bb.28:                               ;   in Loop: Header=BB186_4 Depth=1
	v_max_f32_e64 v33, |v16|, |v16|
	v_max_f32_e64 v34, |v15|, |v15|
	v_max_f32_e32 v35, v34, v33
	v_cvt_f64_f32_e32 v[31:32], v35
	v_cmp_neq_f32_e32 vcc, s49, v35
	v_cmp_gt_i32_e64 s[12:13], 0, v15
	v_cmp_class_f32_e64 s[30:31], v16, s51
	v_frexp_exp_i32_f64_e32 v31, v[31:32]
	v_min_f32_e32 v32, v34, v33
	v_frexp_mant_f32_e32 v34, v35
	v_rcp_f32_e32 v34, v34
	v_frexp_exp_i32_f32_e32 v36, v32
	v_frexp_mant_f32_e32 v32, v32
	v_frexp_exp_i32_f32_e32 v33, v35
	v_mul_f32_e32 v32, v32, v34
	v_sub_u32_e32 v37, 0, v31
	v_ldexp_f32 v38, |v15|, v37
	v_ldexp_f32 v37, |v16|, v37
	v_mul_f32_e32 v37, v37, v37
	v_fmac_f32_e32 v37, v38, v38
	v_sqrt_f32_e32 v37, v37
	v_sub_u32_e32 v33, v36, v33
	v_ldexp_f32 v32, v32, v33
	v_mul_f32_e32 v33, v32, v32
	v_ldexp_f32 v31, v37, v31
	v_cndmask_b32_e32 v31, v24, v31, vcc
	v_cmp_gt_f32_e32 vcc, s53, v31
	v_cndmask_b32_e64 v34, 0, 32, vcc
	v_ldexp_f32 v31, v31, v34
	v_log_f32_e32 v31, v31
	v_cndmask_b32_e32 v34, 0, v30, vcc
	v_mul_f32_e32 v35, 0x3f317217, v31
	v_fma_f32 v35, v31, s54, -v35
	v_fmac_f32_e32 v35, 0x3377d1cf, v31
	v_fmac_f32_e32 v35, 0x3f317217, v31
	v_cmp_lt_f32_e64 vcc, |v31|, s49
	v_cndmask_b32_e32 v31, v31, v35, vcc
	v_sub_f32_e32 v31, v31, v34
	v_mov_b32_e32 v34, 0xbc7a590c
	v_fmac_f32_e32 v34, 0x3b2d2a58, v33
	v_fma_f32 v34, v33, v34, v18
	v_fma_f32 v34, v33, v34, v19
	;; [unrolled: 1-line block ×6, first 2 shown]
	v_mul_f32_e32 v33, v33, v34
	v_fmac_f32_e32 v32, v32, v33
	v_sub_f32_e32 v33, 0x3fc90fdb, v32
	v_cndmask_b32_e64 v32, v32, v33, s[10:11]
	v_sub_f32_e32 v33, 0x40490fdb, v32
	v_cmp_gt_f32_e32 vcc, 0, v15
	v_cndmask_b32_e32 v32, v32, v33, vcc
	v_cndmask_b32_e64 v33, 0, v27, s[12:13]
	v_cmp_eq_f32_e64 s[12:13], 0, v16
	v_cndmask_b32_e64 v32, v32, v33, s[12:13]
	v_cmp_class_f32_e64 s[12:13], v15, s51
	v_cndmask_b32_e32 v33, v28, v29, vcc
	s_and_b64 vcc, s[30:31], s[12:13]
	v_cndmask_b32_e32 v32, v32, v33, vcc
.LBB186_29:                             ;   in Loop: Header=BB186_4 Depth=1
	s_or_b64 exec, exec, s[28:29]
                                        ; implicit-def: $vgpr33
.LBB186_30:                             ;   in Loop: Header=BB186_4 Depth=1
	s_andn2_saveexec_b64 s[26:27], s[26:27]
	s_cbranch_execz .LBB186_36
; %bb.31:                               ;   in Loop: Header=BB186_4 Depth=1
	v_cmp_ngt_f32_e32 vcc, s55, v33
                                        ; implicit-def: $vgpr31
                                        ; implicit-def: $vgpr32
	s_and_saveexec_b64 s[12:13], vcc
	s_xor_b64 s[28:29], exec, s[12:13]
	s_cbranch_execz .LBB186_33
; %bb.32:                               ;   in Loop: Header=BB186_4 Depth=1
	v_mul_f32_e32 v33, v33, v33
	v_add_f32_e32 v34, 1.0, v33
	v_cvt_f64_f32_e32 v[31:32], v34
	v_add_f32_e32 v35, -1.0, v34
	v_sub_f32_e32 v36, v35, v34
	v_sub_f32_e32 v35, v33, v35
	v_frexp_exp_i32_f64_e32 v31, v[31:32]
	v_frexp_mant_f32_e32 v32, v34
	v_cmp_gt_f32_e32 vcc, s47, v32
	v_add_f32_e32 v36, 1.0, v36
	v_add_f32_e32 v35, v35, v36
	v_cmp_gt_i32_e64 s[12:13], 0, v15
	v_cmp_class_f32_e64 s[30:31], v16, s51
	v_subbrev_co_u32_e32 v31, vcc, 0, v31, vcc
	v_sub_u32_e32 v32, 0, v31
	v_ldexp_f32 v34, v34, v32
	v_ldexp_f32 v32, v35, v32
	v_add_f32_e32 v35, -1.0, v34
	v_add_f32_e32 v36, 1.0, v34
	v_add_f32_e32 v37, 1.0, v35
	v_add_f32_e32 v39, -1.0, v36
	v_sub_f32_e32 v37, v34, v37
	v_sub_f32_e32 v34, v34, v39
	v_add_f32_e32 v37, v32, v37
	v_add_f32_e32 v32, v32, v34
	;; [unrolled: 1-line block ×3, first 2 shown]
	v_rcp_f32_e32 v39, v34
	v_add_f32_e32 v38, v35, v37
	v_sub_f32_e32 v36, v36, v34
	v_sub_f32_e32 v35, v35, v38
	v_add_f32_e32 v32, v32, v36
	v_mul_f32_e32 v36, v38, v39
	v_add_f32_e32 v35, v37, v35
	v_mul_f32_e32 v37, v34, v36
	v_fma_f32 v40, v36, v34, -v37
	v_fmac_f32_e32 v40, v36, v32
	v_add_f32_e32 v41, v37, v40
	v_sub_f32_e32 v42, v38, v41
	v_sub_f32_e32 v38, v38, v42
	;; [unrolled: 1-line block ×4, first 2 shown]
	v_add_f32_e32 v35, v35, v38
	v_sub_f32_e32 v37, v37, v40
	v_add_f32_e32 v35, v37, v35
	v_add_f32_e32 v37, v42, v35
	v_mul_f32_e32 v38, v39, v37
	v_mul_f32_e32 v40, v34, v38
	v_fma_f32 v34, v38, v34, -v40
	v_fmac_f32_e32 v34, v38, v32
	v_sub_f32_e32 v32, v42, v37
	v_add_f32_e32 v32, v35, v32
	v_add_f32_e32 v35, v40, v34
	v_sub_f32_e32 v41, v37, v35
	v_sub_f32_e32 v37, v37, v41
	;; [unrolled: 1-line block ×4, first 2 shown]
	v_add_f32_e32 v32, v32, v35
	v_sub_f32_e32 v34, v40, v34
	v_cvt_f32_i32_e32 v31, v31
	v_add_f32_e32 v32, v34, v32
	v_add_f32_e32 v34, v36, v38
	;; [unrolled: 1-line block ×3, first 2 shown]
	v_sub_f32_e32 v35, v34, v36
	v_mul_f32_e32 v32, v39, v32
	v_sub_f32_e32 v35, v38, v35
	v_add_f32_e32 v32, v35, v32
	v_mul_f32_e32 v38, 0x3f317218, v31
	v_add_f32_e32 v35, v34, v32
	v_fma_f32 v39, v31, s48, -v38
	v_mul_f32_e32 v36, v35, v35
	v_mov_b32_e32 v37, 0x3ecc95a3
	v_fmac_f32_e32 v39, 0xb102e308, v31
	v_sub_f32_e32 v31, v35, v34
	v_fmac_f32_e32 v37, 0x3e9b6dac, v36
	v_sub_f32_e32 v31, v32, v31
	v_add_f32_e32 v32, v38, v39
	v_fma_f32 v37, v36, v37, v17
	v_sub_f32_e32 v34, v32, v38
	v_ldexp_f32 v38, v35, 1
	v_mul_f32_e32 v35, v35, v36
	v_mul_f32_e32 v35, v35, v37
	v_add_f32_e32 v36, v38, v35
	v_sub_f32_e32 v37, v36, v38
	v_ldexp_f32 v31, v31, 1
	v_sub_f32_e32 v35, v35, v37
	v_add_f32_e32 v31, v31, v35
	v_add_f32_e32 v35, v36, v31
	v_sub_f32_e32 v36, v35, v36
	v_sub_f32_e32 v31, v31, v36
	v_add_f32_e32 v36, v32, v35
	v_sub_f32_e32 v37, v36, v32
	v_sub_f32_e32 v38, v36, v37
	;; [unrolled: 1-line block ×5, first 2 shown]
	v_add_f32_e32 v32, v35, v32
	v_add_f32_e32 v35, v34, v31
	v_sub_f32_e32 v37, v35, v34
	v_sub_f32_e32 v38, v35, v37
	;; [unrolled: 1-line block ×4, first 2 shown]
	v_add_f32_e32 v32, v35, v32
	v_add_f32_e32 v31, v31, v34
	;; [unrolled: 1-line block ×3, first 2 shown]
	v_sub_f32_e32 v35, v34, v36
	v_sub_f32_e32 v32, v32, v35
	v_add_f32_e32 v31, v31, v32
	v_add_f32_e32 v31, v34, v31
	v_cmp_neq_f32_e32 vcc, s49, v33
	v_cndmask_b32_e32 v31, v24, v31, vcc
	v_cmp_lt_f32_e64 vcc, |v33|, s50
	v_cndmask_b32_e32 v31, v31, v33, vcc
	v_max_f32_e64 v32, |v16|, |v16|
	v_max_f32_e64 v33, |v15|, |v15|
	v_min_f32_e32 v34, v33, v32
	v_max_f32_e32 v32, v33, v32
	v_frexp_mant_f32_e32 v33, v32
	v_rcp_f32_e32 v33, v33
	v_frexp_exp_i32_f32_e32 v32, v32
	v_frexp_exp_i32_f32_e32 v35, v34
	v_frexp_mant_f32_e32 v34, v34
	v_mul_f32_e32 v33, v34, v33
	v_sub_u32_e32 v32, v35, v32
	v_ldexp_f32 v32, v33, v32
	v_mul_f32_e32 v33, v32, v32
	v_mov_b32_e32 v34, 0xbc7a590c
	v_fmac_f32_e32 v34, 0x3b2d2a58, v33
	v_fma_f32 v34, v33, v34, v18
	v_fma_f32 v34, v33, v34, v19
	;; [unrolled: 1-line block ×6, first 2 shown]
	v_mul_f32_e32 v33, v33, v34
	v_fmac_f32_e32 v32, v32, v33
	v_sub_f32_e32 v33, 0x3fc90fdb, v32
	v_cndmask_b32_e64 v32, v32, v33, s[10:11]
	v_sub_f32_e32 v33, 0x40490fdb, v32
	v_cmp_gt_f32_e32 vcc, 0, v15
	v_cndmask_b32_e32 v32, v32, v33, vcc
	v_cndmask_b32_e64 v33, 0, v27, s[12:13]
	v_cmp_eq_f32_e64 s[12:13], 0, v16
	v_cndmask_b32_e64 v32, v32, v33, s[12:13]
	v_cmp_class_f32_e64 s[12:13], v15, s51
	v_cndmask_b32_e32 v33, v28, v29, vcc
	s_and_b64 vcc, s[30:31], s[12:13]
	v_mul_f32_e32 v31, 0.5, v31
	v_cndmask_b32_e32 v32, v32, v33, vcc
                                        ; implicit-def: $vgpr33
.LBB186_33:                             ;   in Loop: Header=BB186_4 Depth=1
	s_andn2_saveexec_b64 s[28:29], s[28:29]
	s_cbranch_execz .LBB186_35
; %bb.34:                               ;   in Loop: Header=BB186_4 Depth=1
	v_mul_f32_e32 v31, 0.5, v33
	v_mul_f32_e32 v31, v33, v31
	v_max_f32_e64 v32, |v16|, |v16|
	v_max_f32_e64 v33, |v15|, |v15|
	v_min_f32_e32 v34, v33, v32
	v_max_f32_e32 v32, v33, v32
	v_frexp_mant_f32_e32 v33, v32
	v_rcp_f32_e32 v33, v33
	v_frexp_exp_i32_f32_e32 v32, v32
	v_frexp_exp_i32_f32_e32 v35, v34
	v_frexp_mant_f32_e32 v34, v34
	v_mul_f32_e32 v33, v34, v33
	v_sub_u32_e32 v32, v35, v32
	v_ldexp_f32 v32, v33, v32
	v_mul_f32_e32 v33, v32, v32
	v_mov_b32_e32 v34, 0xbc7a590c
	v_fmac_f32_e32 v34, 0x3b2d2a58, v33
	v_fma_f32 v34, v33, v34, v18
	v_fma_f32 v34, v33, v34, v19
	;; [unrolled: 1-line block ×6, first 2 shown]
	v_mul_f32_e32 v33, v33, v34
	v_fmac_f32_e32 v32, v32, v33
	v_sub_f32_e32 v33, 0x3fc90fdb, v32
	v_cndmask_b32_e64 v32, v32, v33, s[10:11]
	v_sub_f32_e32 v33, 0x40490fdb, v32
	v_cmp_gt_f32_e32 vcc, 0, v15
	v_cmp_gt_i32_e64 s[12:13], 0, v15
	v_cndmask_b32_e32 v32, v32, v33, vcc
	v_cndmask_b32_e64 v33, 0, v27, s[12:13]
	v_cmp_eq_f32_e64 s[12:13], 0, v16
	v_cndmask_b32_e64 v32, v32, v33, s[12:13]
	v_cmp_class_f32_e64 s[12:13], v15, s51
	v_cmp_class_f32_e64 s[30:31], v16, s51
	v_cndmask_b32_e32 v33, v28, v29, vcc
	s_and_b64 vcc, s[30:31], s[12:13]
	v_cndmask_b32_e32 v32, v32, v33, vcc
.LBB186_35:                             ;   in Loop: Header=BB186_4 Depth=1
	s_or_b64 exec, exec, s[28:29]
.LBB186_36:                             ;   in Loop: Header=BB186_4 Depth=1
	s_or_b64 exec, exec, s[26:27]
.LBB186_37:                             ;   in Loop: Header=BB186_4 Depth=1
	s_andn2_saveexec_b64 s[24:25], s[24:25]
	s_cbranch_execz .LBB186_39
; %bb.38:                               ;   in Loop: Header=BB186_4 Depth=1
	v_div_scale_f32 v31, s[12:13], s56, s56, v15
	v_div_scale_f32 v32, s[12:13], s56, s56, v16
	v_div_scale_f32 v33, vcc, v15, s56, v15
	v_div_scale_f32 v34, s[12:13], v16, s56, v16
	v_rcp_f32_e32 v35, v31
	v_rcp_f32_e32 v36, v32
	v_fma_f32 v37, -v31, v35, 1.0
	v_fmac_f32_e32 v35, v37, v35
	v_fma_f32 v38, -v32, v36, 1.0
	v_fmac_f32_e32 v36, v38, v36
	v_mul_f32_e32 v37, v33, v35
	v_mul_f32_e32 v38, v34, v36
	v_fma_f32 v39, -v31, v37, v33
	v_fma_f32 v40, -v32, v38, v34
	v_fmac_f32_e32 v37, v39, v35
	v_fmac_f32_e32 v38, v40, v36
	v_fma_f32 v31, -v31, v37, v33
	v_fma_f32 v32, -v32, v38, v34
	v_div_fmas_f32 v31, v31, v35, v37
	s_mov_b64 vcc, s[12:13]
	v_div_fmas_f32 v32, v32, v36, v38
	v_max_f32_e64 v33, |v16|, |v16|
	v_max_f32_e64 v34, |v15|, |v15|
	v_min_f32_e32 v36, v34, v33
	v_max_f32_e32 v33, v34, v33
	v_frexp_exp_i32_f32_e32 v34, v33
	v_frexp_exp_i32_f32_e32 v37, v36
	v_sub_u32_e32 v34, v37, v34
	v_frexp_mant_f32_e32 v33, v33
	v_rcp_f32_e32 v33, v33
	v_frexp_mant_f32_e32 v36, v36
	v_mov_b32_e32 v35, 0xbc7a590c
	v_cmp_class_f32_e64 s[12:13], v16, s51
	v_mul_f32_e32 v33, v36, v33
	v_div_fixup_f32 v37, v31, s56, v15
	v_ldexp_f32 v33, v33, v34
	v_div_fixup_f32 v38, v32, s56, v16
	v_max_f32_e64 v39, |v37|, |v38|
	v_cvt_f64_f32_e32 v[31:32], v39
	v_mul_f32_e32 v34, v33, v33
	v_fmac_f32_e32 v35, 0x3b2d2a58, v34
	v_cmp_neq_f32_e32 vcc, s49, v39
	v_frexp_exp_i32_f64_e32 v31, v[31:32]
	v_fma_f32 v32, v34, v35, v18
	v_fma_f32 v32, v34, v32, v19
	;; [unrolled: 1-line block ×6, first 2 shown]
	v_mul_f32_e32 v32, v34, v32
	v_sub_u32_e32 v35, 0, v31
	v_ldexp_f32 v36, |v37|, v35
	v_ldexp_f32 v35, |v38|, v35
	v_mul_f32_e32 v35, v35, v35
	v_fmac_f32_e32 v35, v36, v36
	v_sqrt_f32_e32 v35, v35
	v_fmac_f32_e32 v33, v33, v32
	v_sub_f32_e32 v32, 0x3fc90fdb, v33
	v_cndmask_b32_e64 v32, v33, v32, s[10:11]
	v_ldexp_f32 v31, v35, v31
	v_cndmask_b32_e32 v31, v24, v31, vcc
	v_cmp_gt_f32_e32 vcc, s53, v31
	v_cndmask_b32_e64 v34, 0, 32, vcc
	v_ldexp_f32 v31, v31, v34
	v_log_f32_e32 v31, v31
	v_cndmask_b32_e32 v34, 0, v30, vcc
	v_sub_f32_e32 v33, 0x40490fdb, v32
	v_cmp_gt_i32_e64 s[10:11], 0, v15
	v_mul_f32_e32 v35, 0x3f317217, v31
	v_fma_f32 v35, v31, s54, -v35
	v_fmac_f32_e32 v35, 0x3377d1cf, v31
	v_fmac_f32_e32 v35, 0x3f317217, v31
	v_cmp_lt_f32_e64 vcc, |v31|, s49
	v_cndmask_b32_e32 v31, v31, v35, vcc
	v_cmp_gt_f32_e32 vcc, 0, v15
	v_cndmask_b32_e32 v32, v32, v33, vcc
	v_cndmask_b32_e64 v33, 0, v27, s[10:11]
	v_cmp_eq_f32_e64 s[10:11], 0, v16
	v_cndmask_b32_e64 v32, v32, v33, s[10:11]
	v_cmp_class_f32_e64 s[10:11], v15, s51
	v_sub_f32_e32 v31, v31, v34
	v_cndmask_b32_e32 v33, v28, v29, vcc
	s_and_b64 vcc, s[12:13], s[10:11]
	v_add_f32_e32 v31, 1.0, v31
	v_cndmask_b32_e32 v32, v32, v33, vcc
.LBB186_39:                             ;   in Loop: Header=BB186_4 Depth=1
	s_or_b64 exec, exec, s[24:25]
.LBB186_40:                             ;   in Loop: Header=BB186_4 Depth=1
	s_andn2_saveexec_b64 s[10:11], s[22:23]
	s_cbranch_execz .LBB186_46
; %bb.41:                               ;   in Loop: Header=BB186_4 Depth=1
	v_cmp_nlt_f32_e64 s[12:13], |v15|, s57
	v_cmp_nlt_f32_e64 s[22:23], |v16|, s57
	s_or_b64 s[12:13], s[22:23], s[12:13]
                                        ; implicit-def: $vgpr31
	s_and_saveexec_b64 s[22:23], s[12:13]
	s_xor_b64 s[12:13], exec, s[22:23]
; %bb.42:                               ;   in Loop: Header=BB186_4 Depth=1
	v_mul_f32_e32 v31, v15, v15
	v_fmac_f32_e32 v31, v16, v16
; %bb.43:                               ;   in Loop: Header=BB186_4 Depth=1
	s_andn2_saveexec_b64 s[12:13], s[12:13]
; %bb.44:                               ;   in Loop: Header=BB186_4 Depth=1
	v_mul_f32_e32 v15, 4.0, v15
	v_mul_f32_e32 v31, 4.0, v16
	v_mul_f32_e32 v15, v15, v15
	v_fmac_f32_e32 v15, v31, v31
	v_mul_f32_e32 v31, 0x3d800000, v15
; %bb.45:                               ;   in Loop: Header=BB186_4 Depth=1
	s_or_b64 exec, exec, s[12:13]
	v_cmp_gt_f32_e32 vcc, s53, v31
	v_cndmask_b32_e64 v15, 0, 32, vcc
	v_ldexp_f32 v15, v31, v15
	v_log_f32_e32 v15, v15
	v_cndmask_b32_e32 v31, 0, v30, vcc
	v_mul_f32_e32 v32, 0x3f317217, v15
	v_fma_f32 v32, v15, s54, -v32
	v_fmac_f32_e32 v32, 0x3377d1cf, v15
	v_fmac_f32_e32 v32, 0x3f317217, v15
	v_cmp_lt_f32_e64 vcc, |v15|, s49
	v_cndmask_b32_e32 v15, v15, v32, vcc
	v_sub_f32_e32 v31, v15, v31
	v_mov_b32_e32 v32, 0x7fc00000
.LBB186_46:                             ;   in Loop: Header=BB186_4 Depth=1
	s_or_b64 exec, exec, s[10:11]
	v_cmp_o_f32_e32 vcc, v14, v13
                                        ; implicit-def: $vgpr15
                                        ; implicit-def: $vgpr33
	s_and_saveexec_b64 s[10:11], vcc
	s_xor_b64 s[22:23], exec, s[10:11]
	s_cbranch_execz .LBB186_74
; %bb.47:                               ;   in Loop: Header=BB186_4 Depth=1
	v_cmp_lt_f32_e64 s[10:11], |v13|, |v14|
	v_cndmask_b32_e64 v34, |v14|, |v13|, s[10:11]
	v_cmp_nlt_f32_e32 vcc, s44, v34
                                        ; implicit-def: $vgpr15
                                        ; implicit-def: $vgpr33
	s_and_saveexec_b64 s[12:13], vcc
	s_xor_b64 s[24:25], exec, s[12:13]
	s_cbranch_execz .LBB186_71
; %bb.48:                               ;   in Loop: Header=BB186_4 Depth=1
	v_and_b32_e32 v15, 0x7fffffff, v14
	v_cndmask_b32_e64 v35, |v13|, v15, s[10:11]
	v_cmp_neq_f32_e32 vcc, 1.0, v35
                                        ; implicit-def: $vgpr15
                                        ; implicit-def: $vgpr33
	s_and_saveexec_b64 s[12:13], vcc
	s_xor_b64 s[26:27], exec, s[12:13]
	s_cbranch_execz .LBB186_64
; %bb.49:                               ;   in Loop: Header=BB186_4 Depth=1
	v_max_f32_e32 v15, v34, v34
	v_max_f32_e32 v33, v35, v35
	v_min_f32_e32 v36, v33, v15
	v_max_f32_e32 v15, v33, v15
	v_cmp_ngt_f32_e32 vcc, s45, v36
	v_cmp_nlt_f32_e64 s[12:13], s46, v15
	s_and_b64 s[12:13], s[12:13], vcc
                                        ; implicit-def: $vgpr15
                                        ; implicit-def: $vgpr33
	s_and_saveexec_b64 s[28:29], s[12:13]
	s_xor_b64 s[28:29], exec, s[28:29]
	s_cbranch_execz .LBB186_61
; %bb.50:                               ;   in Loop: Header=BB186_4 Depth=1
	v_cmp_le_f32_e32 vcc, 1.0, v35
                                        ; implicit-def: $vgpr15
                                        ; implicit-def: $vgpr33
	s_and_saveexec_b64 s[12:13], vcc
	s_xor_b64 s[30:31], exec, s[12:13]
	s_cbranch_execz .LBB186_52
; %bb.51:                               ;   in Loop: Header=BB186_4 Depth=1
	v_add_f32_e32 v15, -1.0, v35
	v_add_f32_e32 v33, 1.0, v35
	v_mul_f32_e32 v15, v15, v33
	v_fmac_f32_e32 v15, v34, v34
	v_add_f32_e32 v35, 1.0, v15
	v_cvt_f64_f32_e32 v[33:34], v35
	v_add_f32_e32 v36, -1.0, v35
	v_sub_f32_e32 v37, v36, v35
	v_sub_f32_e32 v36, v15, v36
	v_frexp_exp_i32_f64_e32 v33, v[33:34]
	v_frexp_mant_f32_e32 v34, v35
	v_cmp_gt_f32_e32 vcc, s47, v34
	v_add_f32_e32 v37, 1.0, v37
	v_add_f32_e32 v36, v36, v37
	v_cmp_gt_i32_e64 s[12:13], 0, v13
	v_cmp_class_f32_e64 s[34:35], v14, s51
	v_subbrev_co_u32_e32 v33, vcc, 0, v33, vcc
	v_sub_u32_e32 v34, 0, v33
	v_ldexp_f32 v35, v35, v34
	v_ldexp_f32 v34, v36, v34
	v_add_f32_e32 v36, -1.0, v35
	v_add_f32_e32 v39, 1.0, v35
	v_add_f32_e32 v37, 1.0, v36
	v_add_f32_e32 v40, -1.0, v39
	v_sub_f32_e32 v37, v35, v37
	v_sub_f32_e32 v35, v35, v40
	v_add_f32_e32 v37, v34, v37
	v_add_f32_e32 v34, v34, v35
	;; [unrolled: 1-line block ×3, first 2 shown]
	v_rcp_f32_e32 v40, v35
	v_add_f32_e32 v38, v36, v37
	v_sub_f32_e32 v36, v38, v36
	v_sub_f32_e32 v36, v37, v36
	;; [unrolled: 1-line block ×4, first 2 shown]
	v_mul_f32_e32 v37, v38, v40
	v_mul_f32_e32 v39, v35, v37
	v_fma_f32 v41, v37, v35, -v39
	v_fmac_f32_e32 v41, v37, v34
	v_add_f32_e32 v42, v39, v41
	v_sub_f32_e32 v43, v38, v42
	v_sub_f32_e32 v38, v38, v43
	;; [unrolled: 1-line block ×4, first 2 shown]
	v_add_f32_e32 v36, v36, v38
	v_sub_f32_e32 v38, v39, v41
	v_add_f32_e32 v36, v38, v36
	v_add_f32_e32 v38, v43, v36
	v_mul_f32_e32 v39, v40, v38
	v_mul_f32_e32 v41, v35, v39
	v_fma_f32 v35, v39, v35, -v41
	v_fmac_f32_e32 v35, v39, v34
	v_sub_f32_e32 v34, v43, v38
	v_add_f32_e32 v34, v36, v34
	v_add_f32_e32 v36, v41, v35
	v_sub_f32_e32 v42, v38, v36
	v_sub_f32_e32 v38, v38, v42
	;; [unrolled: 1-line block ×4, first 2 shown]
	v_add_f32_e32 v34, v34, v36
	v_sub_f32_e32 v35, v41, v35
	v_cvt_f32_i32_e32 v33, v33
	v_add_f32_e32 v34, v35, v34
	v_add_f32_e32 v35, v37, v39
	;; [unrolled: 1-line block ×3, first 2 shown]
	v_sub_f32_e32 v36, v35, v37
	v_mul_f32_e32 v34, v40, v34
	v_sub_f32_e32 v36, v39, v36
	v_add_f32_e32 v34, v36, v34
	v_mul_f32_e32 v39, 0x3f317218, v33
	v_add_f32_e32 v36, v35, v34
	v_fma_f32 v40, v33, s48, -v39
	v_mul_f32_e32 v37, v36, v36
	v_mov_b32_e32 v38, 0x3ecc95a3
	v_fmac_f32_e32 v40, 0xb102e308, v33
	v_sub_f32_e32 v33, v36, v35
	v_fmac_f32_e32 v38, 0x3e9b6dac, v37
	v_sub_f32_e32 v33, v34, v33
	v_add_f32_e32 v34, v39, v40
	v_fma_f32 v38, v37, v38, v17
	v_sub_f32_e32 v35, v34, v39
	v_ldexp_f32 v39, v36, 1
	v_mul_f32_e32 v36, v36, v37
	v_mul_f32_e32 v36, v36, v38
	v_add_f32_e32 v37, v39, v36
	v_sub_f32_e32 v38, v37, v39
	v_ldexp_f32 v33, v33, 1
	v_sub_f32_e32 v36, v36, v38
	v_add_f32_e32 v33, v33, v36
	v_add_f32_e32 v36, v37, v33
	v_sub_f32_e32 v37, v36, v37
	v_sub_f32_e32 v33, v33, v37
	v_add_f32_e32 v37, v34, v36
	v_sub_f32_e32 v38, v37, v34
	v_sub_f32_e32 v39, v37, v38
	;; [unrolled: 1-line block ×5, first 2 shown]
	v_add_f32_e32 v34, v36, v34
	v_add_f32_e32 v36, v35, v33
	v_sub_f32_e32 v38, v36, v35
	v_sub_f32_e32 v39, v36, v38
	;; [unrolled: 1-line block ×4, first 2 shown]
	v_add_f32_e32 v34, v36, v34
	v_add_f32_e32 v33, v33, v35
	;; [unrolled: 1-line block ×3, first 2 shown]
	v_sub_f32_e32 v36, v35, v37
	v_sub_f32_e32 v34, v34, v36
	v_add_f32_e32 v33, v33, v34
	v_add_f32_e32 v33, v35, v33
	v_cmp_neq_f32_e32 vcc, s49, v15
	v_cndmask_b32_e32 v33, v24, v33, vcc
	v_cmp_ngt_f32_e32 vcc, -1.0, v15
	v_cndmask_b32_e32 v33, v25, v33, vcc
	v_cmp_neq_f32_e32 vcc, -1.0, v15
	v_cndmask_b32_e32 v33, v26, v33, vcc
	v_cmp_lt_f32_e64 vcc, |v15|, s50
	v_cndmask_b32_e32 v15, v33, v15, vcc
	v_max_f32_e64 v33, |v14|, |v14|
	v_max_f32_e64 v34, |v13|, |v13|
	v_min_f32_e32 v35, v34, v33
	v_max_f32_e32 v33, v34, v33
	v_frexp_mant_f32_e32 v34, v33
	v_rcp_f32_e32 v34, v34
	v_frexp_exp_i32_f32_e32 v33, v33
	v_frexp_exp_i32_f32_e32 v36, v35
	v_frexp_mant_f32_e32 v35, v35
	v_mul_f32_e32 v34, v35, v34
	v_sub_u32_e32 v33, v36, v33
	v_ldexp_f32 v33, v34, v33
	v_mul_f32_e32 v34, v33, v33
	v_mov_b32_e32 v35, 0xbc7a590c
	v_fmac_f32_e32 v35, 0x3b2d2a58, v34
	v_fma_f32 v35, v34, v35, v18
	v_fma_f32 v35, v34, v35, v19
	;; [unrolled: 1-line block ×6, first 2 shown]
	v_mul_f32_e32 v34, v34, v35
	v_fmac_f32_e32 v33, v33, v34
	v_sub_f32_e32 v34, 0x3fc90fdb, v33
	v_cndmask_b32_e64 v33, v33, v34, s[10:11]
	v_sub_f32_e32 v34, 0x40490fdb, v33
	v_cmp_gt_f32_e32 vcc, 0, v13
	v_cndmask_b32_e32 v33, v33, v34, vcc
	v_cndmask_b32_e64 v34, 0, v27, s[12:13]
	v_cmp_eq_f32_e64 s[12:13], 0, v14
	v_cndmask_b32_e64 v33, v33, v34, s[12:13]
	v_cmp_class_f32_e64 s[12:13], v13, s51
	v_cndmask_b32_e32 v34, v28, v29, vcc
	s_and_b64 vcc, s[34:35], s[12:13]
	v_mul_f32_e32 v15, 0.5, v15
	v_cndmask_b32_e32 v33, v33, v34, vcc
                                        ; implicit-def: $vgpr34
                                        ; implicit-def: $vgpr35
.LBB186_52:                             ;   in Loop: Header=BB186_4 Depth=1
	s_andn2_saveexec_b64 s[30:31], s[30:31]
	s_cbranch_execz .LBB186_60
; %bb.53:                               ;   in Loop: Header=BB186_4 Depth=1
	v_mul_f32_e32 v36, v34, v34
	v_fmac_f32_e32 v36, v35, v35
	v_cmp_ge_f32_e32 vcc, s52, v36
                                        ; implicit-def: $vgpr15
                                        ; implicit-def: $vgpr33
	s_and_saveexec_b64 s[12:13], vcc
	s_xor_b64 s[34:35], exec, s[12:13]
	s_cbranch_execz .LBB186_55
; %bb.54:                               ;   in Loop: Header=BB186_4 Depth=1
	v_cmp_gt_f32_e32 vcc, s53, v36
	v_cndmask_b32_e64 v15, 0, 32, vcc
	v_ldexp_f32 v15, v36, v15
	v_log_f32_e32 v15, v15
	v_cndmask_b32_e32 v33, 0, v30, vcc
	v_cmp_gt_i32_e64 s[12:13], 0, v13
	v_cmp_class_f32_e64 s[36:37], v14, s51
	v_mul_f32_e32 v34, 0x3f317217, v15
	v_fma_f32 v34, v15, s54, -v34
	v_fmac_f32_e32 v34, 0x3377d1cf, v15
	v_fmac_f32_e32 v34, 0x3f317217, v15
	v_cmp_lt_f32_e64 vcc, |v15|, s49
	v_cndmask_b32_e32 v15, v15, v34, vcc
	v_sub_f32_e32 v15, v15, v33
	v_max_f32_e64 v33, |v14|, |v14|
	v_max_f32_e64 v34, |v13|, |v13|
	v_min_f32_e32 v35, v34, v33
	v_max_f32_e32 v33, v34, v33
	v_frexp_mant_f32_e32 v34, v33
	v_rcp_f32_e32 v34, v34
	v_frexp_exp_i32_f32_e32 v33, v33
	v_frexp_exp_i32_f32_e32 v36, v35
	v_frexp_mant_f32_e32 v35, v35
	v_mul_f32_e32 v34, v35, v34
	v_sub_u32_e32 v33, v36, v33
	v_ldexp_f32 v33, v34, v33
	v_mul_f32_e32 v34, v33, v33
	v_mov_b32_e32 v35, 0xbc7a590c
	v_fmac_f32_e32 v35, 0x3b2d2a58, v34
	v_fma_f32 v35, v34, v35, v18
	v_fma_f32 v35, v34, v35, v19
	;; [unrolled: 1-line block ×6, first 2 shown]
	v_mul_f32_e32 v34, v34, v35
	v_fmac_f32_e32 v33, v33, v34
	v_sub_f32_e32 v34, 0x3fc90fdb, v33
	v_cndmask_b32_e64 v33, v33, v34, s[10:11]
	v_sub_f32_e32 v34, 0x40490fdb, v33
	v_cmp_gt_f32_e32 vcc, 0, v13
	v_cndmask_b32_e32 v33, v33, v34, vcc
	v_cndmask_b32_e64 v34, 0, v27, s[12:13]
	v_cmp_eq_f32_e64 s[12:13], 0, v14
	v_cndmask_b32_e64 v33, v33, v34, s[12:13]
	v_cmp_class_f32_e64 s[12:13], v13, s51
	v_cndmask_b32_e32 v34, v28, v29, vcc
	s_and_b64 vcc, s[36:37], s[12:13]
	v_mul_f32_e32 v15, 0.5, v15
	v_cndmask_b32_e32 v33, v33, v34, vcc
                                        ; implicit-def: $vgpr35
                                        ; implicit-def: $vgpr34
.LBB186_55:                             ;   in Loop: Header=BB186_4 Depth=1
	s_andn2_saveexec_b64 s[34:35], s[34:35]
	s_cbranch_execz .LBB186_59
; %bb.56:                               ;   in Loop: Header=BB186_4 Depth=1
	v_and_b32_e32 v36, 0x7fff0000, v35
	v_sub_f32_e32 v15, v35, v36
	v_and_b32_e32 v40, 0xffff0000, v15
	v_and_b32_e32 v35, 0x7fff0000, v34
	v_sub_f32_e32 v42, v15, v40
	v_sub_f32_e32 v15, v34, v35
	v_and_b32_e32 v41, 0xffff0000, v15
	v_add_f32_e32 v37, v36, v36
	v_add_f32_e32 v44, v35, v35
	v_sub_f32_e32 v43, v15, v41
	v_mul_f32_e32 v15, v36, v36
	v_mul_f32_e32 v33, v35, v35
	;; [unrolled: 1-line block ×6, first 2 shown]
	v_add_f32_e32 v40, v40, v40
	v_add_f32_e32 v41, v41, v41
	v_mul_f32_e32 v38, v37, v42
	v_mul_f32_e32 v37, v44, v43
	;; [unrolled: 1-line block ×6, first 2 shown]
	s_mov_b64 s[36:37], 0
.LBB186_57:                             ;   Parent Loop BB186_4 Depth=1
                                        ; =>  This Inner Loop Header: Depth=2
	v_cmp_nlt_f32_e32 vcc, v15, v33
	v_mov_b32_e32 v44, v43
	v_cndmask_b32_e32 v43, v15, v33, vcc
	v_cmp_nlt_f32_e64 s[12:13], v43, v36
	v_cndmask_b32_e64 v45, v43, v36, s[12:13]
	v_cndmask_b32_e32 v15, v33, v15, vcc
	s_and_b64 s[60:61], vcc, s[12:13]
	v_cmp_nlt_f32_e32 vcc, v45, v35
	v_cndmask_b32_e64 v33, v36, v43, s[12:13]
	v_cndmask_b32_e32 v43, v45, v35, vcc
	v_cmp_nlt_f32_e64 s[12:13], v43, v39
	v_cndmask_b32_e32 v36, v35, v45, vcc
	v_cndmask_b32_e64 v45, v43, v39, s[12:13]
	s_and_b64 s[62:63], vcc, s[12:13]
	v_cmp_nlt_f32_e32 vcc, v45, v34
	v_cndmask_b32_e64 v35, v39, v43, s[12:13]
	v_cndmask_b32_e32 v43, v45, v34, vcc
	v_cmp_nlt_f32_e64 s[12:13], v43, v38
	v_cndmask_b32_e32 v39, v34, v45, vcc
	v_cndmask_b32_e64 v45, v43, v38, s[12:13]
	v_cndmask_b32_e64 v34, v38, v43, s[12:13]
	s_and_b64 s[12:13], vcc, s[12:13]
	v_cmp_nlt_f32_e32 vcc, v45, v37
	v_cndmask_b32_e32 v43, v45, v37, vcc
	v_cndmask_b32_e32 v38, v37, v45, vcc
	s_and_b64 s[12:13], s[12:13], vcc
	v_cmp_nlt_f32_e32 vcc, v43, v40
	v_cndmask_b32_e32 v45, v43, v40, vcc
	v_cndmask_b32_e32 v37, v40, v43, vcc
	s_and_b64 s[12:13], s[12:13], vcc
	;; [unrolled: 4-line block ×4, first 2 shown]
	v_cmp_nlt_f32_e32 vcc, v45, v44
	s_and_b64 s[12:13], s[12:13], vcc
	s_and_b64 s[12:13], s[12:13], s[62:63]
	s_and_b64 s[12:13], s[12:13], s[60:61]
	s_and_b64 s[12:13], exec, s[12:13]
	v_cndmask_b32_e32 v43, v45, v44, vcc
	s_or_b64 s[36:37], s[12:13], s[36:37]
	v_cndmask_b32_e32 v42, v44, v45, vcc
	s_andn2_b64 exec, exec, s[36:37]
	s_cbranch_execnz .LBB186_57
; %bb.58:                               ;   in Loop: Header=BB186_4 Depth=1
	s_or_b64 exec, exec, s[36:37]
	v_add_f32_e32 v15, -1.0, v15
	v_add_f32_e32 v15, v15, v33
	v_add_f32_e32 v15, v15, v36
	v_add_f32_e32 v15, v15, v35
	v_add_f32_e32 v15, v15, v39
	v_add_f32_e32 v15, v15, v34
	v_add_f32_e32 v15, v15, v38
	v_add_f32_e32 v15, v15, v37
	v_add_f32_e32 v15, v15, v40
	v_add_f32_e32 v15, v15, v41
	v_add_f32_e32 v15, v15, v42
	v_add_f32_e32 v15, v43, v15
	v_add_f32_e32 v35, 1.0, v15
	v_cvt_f64_f32_e32 v[33:34], v35
	v_add_f32_e32 v36, -1.0, v35
	v_sub_f32_e32 v37, v36, v35
	v_sub_f32_e32 v36, v15, v36
	v_frexp_exp_i32_f64_e32 v33, v[33:34]
	v_frexp_mant_f32_e32 v34, v35
	v_cmp_gt_f32_e32 vcc, s47, v34
	v_add_f32_e32 v37, 1.0, v37
	v_add_f32_e32 v36, v36, v37
	v_cmp_gt_i32_e64 s[12:13], 0, v13
	v_cmp_class_f32_e64 s[36:37], v14, s51
	v_subbrev_co_u32_e32 v33, vcc, 0, v33, vcc
	v_sub_u32_e32 v34, 0, v33
	v_ldexp_f32 v35, v35, v34
	v_ldexp_f32 v34, v36, v34
	v_add_f32_e32 v36, -1.0, v35
	v_add_f32_e32 v37, 1.0, v35
	v_add_f32_e32 v38, 1.0, v36
	v_add_f32_e32 v40, -1.0, v37
	v_sub_f32_e32 v38, v35, v38
	v_sub_f32_e32 v35, v35, v40
	v_add_f32_e32 v38, v34, v38
	v_add_f32_e32 v34, v34, v35
	;; [unrolled: 1-line block ×3, first 2 shown]
	v_rcp_f32_e32 v40, v35
	v_add_f32_e32 v39, v36, v38
	v_sub_f32_e32 v37, v35, v37
	v_sub_f32_e32 v36, v39, v36
	;; [unrolled: 1-line block ×3, first 2 shown]
	v_mul_f32_e32 v37, v39, v40
	v_sub_f32_e32 v36, v38, v36
	v_mul_f32_e32 v38, v35, v37
	v_fma_f32 v41, v37, v35, -v38
	v_fmac_f32_e32 v41, v37, v34
	v_add_f32_e32 v42, v38, v41
	v_sub_f32_e32 v43, v39, v42
	v_sub_f32_e32 v39, v39, v43
	;; [unrolled: 1-line block ×4, first 2 shown]
	v_add_f32_e32 v36, v36, v39
	v_sub_f32_e32 v38, v38, v41
	v_add_f32_e32 v36, v38, v36
	v_add_f32_e32 v38, v43, v36
	v_mul_f32_e32 v39, v40, v38
	v_mul_f32_e32 v41, v35, v39
	v_fma_f32 v35, v39, v35, -v41
	v_fmac_f32_e32 v35, v39, v34
	v_sub_f32_e32 v34, v43, v38
	v_add_f32_e32 v34, v36, v34
	v_add_f32_e32 v36, v41, v35
	v_sub_f32_e32 v42, v38, v36
	v_sub_f32_e32 v38, v38, v42
	;; [unrolled: 1-line block ×4, first 2 shown]
	v_add_f32_e32 v34, v34, v36
	v_sub_f32_e32 v35, v41, v35
	v_cvt_f32_i32_e32 v33, v33
	v_add_f32_e32 v34, v35, v34
	v_add_f32_e32 v35, v37, v39
	;; [unrolled: 1-line block ×3, first 2 shown]
	v_sub_f32_e32 v36, v35, v37
	v_mul_f32_e32 v34, v40, v34
	v_sub_f32_e32 v36, v39, v36
	v_add_f32_e32 v34, v36, v34
	v_mul_f32_e32 v39, 0x3f317218, v33
	v_add_f32_e32 v36, v35, v34
	v_fma_f32 v40, v33, s48, -v39
	v_mul_f32_e32 v37, v36, v36
	v_mov_b32_e32 v38, 0x3ecc95a3
	v_fmac_f32_e32 v40, 0xb102e308, v33
	v_sub_f32_e32 v33, v36, v35
	v_fmac_f32_e32 v38, 0x3e9b6dac, v37
	v_sub_f32_e32 v33, v34, v33
	v_add_f32_e32 v34, v39, v40
	v_fma_f32 v38, v37, v38, v17
	v_sub_f32_e32 v35, v34, v39
	v_ldexp_f32 v39, v36, 1
	v_mul_f32_e32 v36, v36, v37
	v_mul_f32_e32 v36, v36, v38
	v_add_f32_e32 v37, v39, v36
	v_sub_f32_e32 v38, v37, v39
	v_ldexp_f32 v33, v33, 1
	v_sub_f32_e32 v36, v36, v38
	v_add_f32_e32 v33, v33, v36
	v_add_f32_e32 v36, v37, v33
	v_sub_f32_e32 v37, v36, v37
	v_sub_f32_e32 v33, v33, v37
	v_add_f32_e32 v37, v34, v36
	v_sub_f32_e32 v38, v37, v34
	v_sub_f32_e32 v39, v37, v38
	v_sub_f32_e32 v35, v40, v35
	v_sub_f32_e32 v34, v34, v39
	v_sub_f32_e32 v36, v36, v38
	v_add_f32_e32 v34, v36, v34
	v_add_f32_e32 v36, v35, v33
	v_sub_f32_e32 v38, v36, v35
	v_sub_f32_e32 v39, v36, v38
	;; [unrolled: 1-line block ×4, first 2 shown]
	v_add_f32_e32 v34, v36, v34
	v_add_f32_e32 v33, v33, v35
	;; [unrolled: 1-line block ×3, first 2 shown]
	v_sub_f32_e32 v36, v35, v37
	v_sub_f32_e32 v34, v34, v36
	v_add_f32_e32 v33, v33, v34
	v_add_f32_e32 v33, v35, v33
	v_cmp_neq_f32_e32 vcc, s49, v15
	v_cndmask_b32_e32 v33, v24, v33, vcc
	v_cmp_ngt_f32_e32 vcc, -1.0, v15
	v_cndmask_b32_e32 v33, v25, v33, vcc
	v_cmp_neq_f32_e32 vcc, -1.0, v15
	v_cndmask_b32_e32 v33, v26, v33, vcc
	v_cmp_lt_f32_e64 vcc, |v15|, s50
	v_cndmask_b32_e32 v15, v33, v15, vcc
	v_max_f32_e64 v33, |v14|, |v14|
	v_max_f32_e64 v34, |v13|, |v13|
	v_min_f32_e32 v35, v34, v33
	v_max_f32_e32 v33, v34, v33
	v_frexp_mant_f32_e32 v34, v33
	v_rcp_f32_e32 v34, v34
	v_frexp_exp_i32_f32_e32 v33, v33
	v_frexp_exp_i32_f32_e32 v36, v35
	v_frexp_mant_f32_e32 v35, v35
	v_mul_f32_e32 v34, v35, v34
	v_sub_u32_e32 v33, v36, v33
	v_ldexp_f32 v33, v34, v33
	v_mul_f32_e32 v34, v33, v33
	v_mov_b32_e32 v35, 0xbc7a590c
	v_fmac_f32_e32 v35, 0x3b2d2a58, v34
	v_fma_f32 v35, v34, v35, v18
	v_fma_f32 v35, v34, v35, v19
	;; [unrolled: 1-line block ×6, first 2 shown]
	v_mul_f32_e32 v34, v34, v35
	v_fmac_f32_e32 v33, v33, v34
	v_sub_f32_e32 v34, 0x3fc90fdb, v33
	v_cndmask_b32_e64 v33, v33, v34, s[10:11]
	v_sub_f32_e32 v34, 0x40490fdb, v33
	v_cmp_gt_f32_e32 vcc, 0, v13
	v_cndmask_b32_e32 v33, v33, v34, vcc
	v_cndmask_b32_e64 v34, 0, v27, s[12:13]
	v_cmp_eq_f32_e64 s[12:13], 0, v14
	v_cndmask_b32_e64 v33, v33, v34, s[12:13]
	v_cmp_class_f32_e64 s[12:13], v13, s51
	v_cndmask_b32_e32 v34, v28, v29, vcc
	s_and_b64 vcc, s[36:37], s[12:13]
	v_mul_f32_e32 v15, 0.5, v15
	v_cndmask_b32_e32 v33, v33, v34, vcc
.LBB186_59:                             ;   in Loop: Header=BB186_4 Depth=1
	s_or_b64 exec, exec, s[34:35]
.LBB186_60:                             ;   in Loop: Header=BB186_4 Depth=1
	s_or_b64 exec, exec, s[30:31]
.LBB186_61:                             ;   in Loop: Header=BB186_4 Depth=1
	s_andn2_saveexec_b64 s[28:29], s[28:29]
	s_cbranch_execz .LBB186_63
; %bb.62:                               ;   in Loop: Header=BB186_4 Depth=1
	v_max_f32_e64 v15, |v14|, |v14|
	v_max_f32_e64 v35, |v13|, |v13|
	v_max_f32_e32 v36, v35, v15
	v_cvt_f64_f32_e32 v[33:34], v36
	v_min_f32_e32 v15, v35, v15
	v_frexp_mant_f32_e32 v35, v36
	v_rcp_f32_e32 v35, v35
	v_frexp_exp_i32_f64_e32 v33, v[33:34]
	v_cmp_neq_f32_e32 vcc, s49, v36
	v_frexp_exp_i32_f32_e32 v37, v15
	v_frexp_mant_f32_e32 v15, v15
	v_mul_f32_e32 v15, v15, v35
	v_frexp_exp_i32_f32_e32 v34, v36
	v_sub_u32_e32 v34, v37, v34
	v_ldexp_f32 v34, v15, v34
	v_sub_u32_e32 v38, 0, v33
	v_ldexp_f32 v39, |v13|, v38
	v_ldexp_f32 v38, |v14|, v38
	v_mul_f32_e32 v38, v38, v38
	v_fmac_f32_e32 v38, v39, v39
	v_sqrt_f32_e32 v38, v38
	v_cmp_gt_i32_e64 s[12:13], 0, v13
	v_cmp_class_f32_e64 s[30:31], v14, s51
	v_ldexp_f32 v33, v38, v33
	v_cndmask_b32_e32 v33, v24, v33, vcc
	v_cmp_gt_f32_e32 vcc, s53, v33
	v_cndmask_b32_e64 v35, 0, 32, vcc
	v_ldexp_f32 v33, v33, v35
	v_log_f32_e32 v33, v33
	v_cndmask_b32_e32 v15, 0, v30, vcc
	v_mul_f32_e32 v35, v34, v34
	v_mul_f32_e32 v36, 0x3f317217, v33
	v_fma_f32 v36, v33, s54, -v36
	v_fmac_f32_e32 v36, 0x3377d1cf, v33
	v_fmac_f32_e32 v36, 0x3f317217, v33
	v_cmp_lt_f32_e64 vcc, |v33|, s49
	v_cndmask_b32_e32 v33, v33, v36, vcc
	v_sub_f32_e32 v15, v33, v15
	v_mov_b32_e32 v33, 0xbc7a590c
	v_fmac_f32_e32 v33, 0x3b2d2a58, v35
	v_fma_f32 v33, v35, v33, v18
	v_fma_f32 v33, v35, v33, v19
	;; [unrolled: 1-line block ×6, first 2 shown]
	v_mul_f32_e32 v33, v35, v33
	v_fmac_f32_e32 v34, v34, v33
	v_sub_f32_e32 v33, 0x3fc90fdb, v34
	v_cndmask_b32_e64 v33, v34, v33, s[10:11]
	v_sub_f32_e32 v34, 0x40490fdb, v33
	v_cmp_gt_f32_e32 vcc, 0, v13
	v_cndmask_b32_e32 v33, v33, v34, vcc
	v_cndmask_b32_e64 v34, 0, v27, s[12:13]
	v_cmp_eq_f32_e64 s[12:13], 0, v14
	v_cndmask_b32_e64 v33, v33, v34, s[12:13]
	v_cmp_class_f32_e64 s[12:13], v13, s51
	v_cndmask_b32_e32 v34, v28, v29, vcc
	s_and_b64 vcc, s[30:31], s[12:13]
	v_cndmask_b32_e32 v33, v33, v34, vcc
.LBB186_63:                             ;   in Loop: Header=BB186_4 Depth=1
	s_or_b64 exec, exec, s[28:29]
                                        ; implicit-def: $vgpr34
.LBB186_64:                             ;   in Loop: Header=BB186_4 Depth=1
	s_andn2_saveexec_b64 s[26:27], s[26:27]
	s_cbranch_execz .LBB186_70
; %bb.65:                               ;   in Loop: Header=BB186_4 Depth=1
	v_cmp_ngt_f32_e32 vcc, s55, v34
                                        ; implicit-def: $vgpr15
                                        ; implicit-def: $vgpr33
	s_and_saveexec_b64 s[12:13], vcc
	s_xor_b64 s[28:29], exec, s[12:13]
	s_cbranch_execz .LBB186_67
; %bb.66:                               ;   in Loop: Header=BB186_4 Depth=1
	v_mul_f32_e32 v15, v34, v34
	v_add_f32_e32 v35, 1.0, v15
	v_cvt_f64_f32_e32 v[33:34], v35
	v_add_f32_e32 v36, -1.0, v35
	v_sub_f32_e32 v37, v36, v35
	v_sub_f32_e32 v36, v15, v36
	v_frexp_exp_i32_f64_e32 v33, v[33:34]
	v_frexp_mant_f32_e32 v34, v35
	v_cmp_gt_f32_e32 vcc, s47, v34
	v_add_f32_e32 v37, 1.0, v37
	v_add_f32_e32 v36, v36, v37
	v_cmp_gt_i32_e64 s[12:13], 0, v13
	v_cmp_class_f32_e64 s[30:31], v14, s51
	v_subbrev_co_u32_e32 v33, vcc, 0, v33, vcc
	v_sub_u32_e32 v34, 0, v33
	v_ldexp_f32 v35, v35, v34
	v_ldexp_f32 v34, v36, v34
	v_add_f32_e32 v36, -1.0, v35
	v_add_f32_e32 v37, 1.0, v35
	v_add_f32_e32 v38, 1.0, v36
	v_add_f32_e32 v40, -1.0, v37
	v_sub_f32_e32 v38, v35, v38
	v_sub_f32_e32 v35, v35, v40
	v_add_f32_e32 v38, v34, v38
	v_add_f32_e32 v34, v34, v35
	;; [unrolled: 1-line block ×3, first 2 shown]
	v_rcp_f32_e32 v40, v35
	v_add_f32_e32 v39, v36, v38
	v_sub_f32_e32 v37, v37, v35
	v_sub_f32_e32 v36, v36, v39
	v_add_f32_e32 v34, v34, v37
	v_mul_f32_e32 v37, v39, v40
	v_add_f32_e32 v36, v38, v36
	v_mul_f32_e32 v38, v35, v37
	v_fma_f32 v41, v37, v35, -v38
	v_fmac_f32_e32 v41, v37, v34
	v_add_f32_e32 v42, v38, v41
	v_sub_f32_e32 v43, v39, v42
	v_sub_f32_e32 v39, v39, v43
	;; [unrolled: 1-line block ×4, first 2 shown]
	v_add_f32_e32 v36, v36, v39
	v_sub_f32_e32 v38, v38, v41
	v_add_f32_e32 v36, v38, v36
	v_add_f32_e32 v38, v43, v36
	v_mul_f32_e32 v39, v40, v38
	v_mul_f32_e32 v41, v35, v39
	v_fma_f32 v35, v39, v35, -v41
	v_fmac_f32_e32 v35, v39, v34
	v_sub_f32_e32 v34, v43, v38
	v_add_f32_e32 v34, v36, v34
	v_add_f32_e32 v36, v41, v35
	v_sub_f32_e32 v42, v38, v36
	v_sub_f32_e32 v38, v38, v42
	v_sub_f32_e32 v41, v36, v41
	v_sub_f32_e32 v36, v38, v36
	v_add_f32_e32 v34, v34, v36
	v_sub_f32_e32 v35, v41, v35
	v_cvt_f32_i32_e32 v33, v33
	v_add_f32_e32 v34, v35, v34
	v_add_f32_e32 v35, v37, v39
	;; [unrolled: 1-line block ×3, first 2 shown]
	v_sub_f32_e32 v36, v35, v37
	v_mul_f32_e32 v34, v40, v34
	v_sub_f32_e32 v36, v39, v36
	v_add_f32_e32 v34, v36, v34
	v_mul_f32_e32 v39, 0x3f317218, v33
	v_add_f32_e32 v36, v35, v34
	v_fma_f32 v40, v33, s48, -v39
	v_mul_f32_e32 v37, v36, v36
	v_mov_b32_e32 v38, 0x3ecc95a3
	v_fmac_f32_e32 v40, 0xb102e308, v33
	v_sub_f32_e32 v33, v36, v35
	v_fmac_f32_e32 v38, 0x3e9b6dac, v37
	v_sub_f32_e32 v33, v34, v33
	v_add_f32_e32 v34, v39, v40
	v_fma_f32 v38, v37, v38, v17
	v_sub_f32_e32 v35, v34, v39
	v_ldexp_f32 v39, v36, 1
	v_mul_f32_e32 v36, v36, v37
	v_mul_f32_e32 v36, v36, v38
	v_add_f32_e32 v37, v39, v36
	v_sub_f32_e32 v38, v37, v39
	v_ldexp_f32 v33, v33, 1
	v_sub_f32_e32 v36, v36, v38
	v_add_f32_e32 v33, v33, v36
	v_add_f32_e32 v36, v37, v33
	v_sub_f32_e32 v37, v36, v37
	v_sub_f32_e32 v33, v33, v37
	v_add_f32_e32 v37, v34, v36
	v_sub_f32_e32 v38, v37, v34
	v_sub_f32_e32 v39, v37, v38
	v_sub_f32_e32 v35, v40, v35
	v_sub_f32_e32 v34, v34, v39
	v_sub_f32_e32 v36, v36, v38
	v_add_f32_e32 v34, v36, v34
	v_add_f32_e32 v36, v35, v33
	v_sub_f32_e32 v38, v36, v35
	v_sub_f32_e32 v39, v36, v38
	;; [unrolled: 1-line block ×4, first 2 shown]
	v_add_f32_e32 v34, v36, v34
	v_add_f32_e32 v33, v33, v35
	;; [unrolled: 1-line block ×3, first 2 shown]
	v_sub_f32_e32 v36, v35, v37
	v_sub_f32_e32 v34, v34, v36
	v_add_f32_e32 v33, v33, v34
	v_add_f32_e32 v33, v35, v33
	v_cmp_neq_f32_e32 vcc, s49, v15
	v_cndmask_b32_e32 v33, v24, v33, vcc
	v_cmp_lt_f32_e64 vcc, |v15|, s50
	v_cndmask_b32_e32 v15, v33, v15, vcc
	v_max_f32_e64 v33, |v14|, |v14|
	v_max_f32_e64 v34, |v13|, |v13|
	v_min_f32_e32 v35, v34, v33
	v_max_f32_e32 v33, v34, v33
	v_frexp_mant_f32_e32 v34, v33
	v_rcp_f32_e32 v34, v34
	v_frexp_exp_i32_f32_e32 v33, v33
	v_frexp_exp_i32_f32_e32 v36, v35
	v_frexp_mant_f32_e32 v35, v35
	v_mul_f32_e32 v34, v35, v34
	v_sub_u32_e32 v33, v36, v33
	v_ldexp_f32 v33, v34, v33
	v_mul_f32_e32 v34, v33, v33
	v_mov_b32_e32 v35, 0xbc7a590c
	v_fmac_f32_e32 v35, 0x3b2d2a58, v34
	v_fma_f32 v35, v34, v35, v18
	v_fma_f32 v35, v34, v35, v19
	;; [unrolled: 1-line block ×6, first 2 shown]
	v_mul_f32_e32 v34, v34, v35
	v_fmac_f32_e32 v33, v33, v34
	v_sub_f32_e32 v34, 0x3fc90fdb, v33
	v_cndmask_b32_e64 v33, v33, v34, s[10:11]
	v_sub_f32_e32 v34, 0x40490fdb, v33
	v_cmp_gt_f32_e32 vcc, 0, v13
	v_cndmask_b32_e32 v33, v33, v34, vcc
	v_cndmask_b32_e64 v34, 0, v27, s[12:13]
	v_cmp_eq_f32_e64 s[12:13], 0, v14
	v_cndmask_b32_e64 v33, v33, v34, s[12:13]
	v_cmp_class_f32_e64 s[12:13], v13, s51
	v_cndmask_b32_e32 v34, v28, v29, vcc
	s_and_b64 vcc, s[30:31], s[12:13]
	v_mul_f32_e32 v15, 0.5, v15
	v_cndmask_b32_e32 v33, v33, v34, vcc
                                        ; implicit-def: $vgpr34
.LBB186_67:                             ;   in Loop: Header=BB186_4 Depth=1
	s_andn2_saveexec_b64 s[28:29], s[28:29]
	s_cbranch_execz .LBB186_69
; %bb.68:                               ;   in Loop: Header=BB186_4 Depth=1
	v_mul_f32_e32 v15, 0.5, v34
	v_mul_f32_e32 v15, v34, v15
	v_max_f32_e64 v33, |v14|, |v14|
	v_max_f32_e64 v34, |v13|, |v13|
	v_min_f32_e32 v35, v34, v33
	v_max_f32_e32 v33, v34, v33
	v_frexp_mant_f32_e32 v34, v33
	v_rcp_f32_e32 v34, v34
	v_frexp_exp_i32_f32_e32 v33, v33
	v_frexp_exp_i32_f32_e32 v36, v35
	v_frexp_mant_f32_e32 v35, v35
	v_mul_f32_e32 v34, v35, v34
	v_sub_u32_e32 v33, v36, v33
	v_ldexp_f32 v33, v34, v33
	v_mul_f32_e32 v34, v33, v33
	v_mov_b32_e32 v35, 0xbc7a590c
	v_fmac_f32_e32 v35, 0x3b2d2a58, v34
	v_fma_f32 v35, v34, v35, v18
	v_fma_f32 v35, v34, v35, v19
	;; [unrolled: 1-line block ×6, first 2 shown]
	v_mul_f32_e32 v34, v34, v35
	v_fmac_f32_e32 v33, v33, v34
	v_sub_f32_e32 v34, 0x3fc90fdb, v33
	v_cndmask_b32_e64 v33, v33, v34, s[10:11]
	v_sub_f32_e32 v34, 0x40490fdb, v33
	v_cmp_gt_f32_e32 vcc, 0, v13
	v_cmp_gt_i32_e64 s[12:13], 0, v13
	v_cndmask_b32_e32 v33, v33, v34, vcc
	v_cndmask_b32_e64 v34, 0, v27, s[12:13]
	v_cmp_eq_f32_e64 s[12:13], 0, v14
	v_cndmask_b32_e64 v33, v33, v34, s[12:13]
	v_cmp_class_f32_e64 s[12:13], v13, s51
	v_cmp_class_f32_e64 s[30:31], v14, s51
	v_cndmask_b32_e32 v34, v28, v29, vcc
	s_and_b64 vcc, s[30:31], s[12:13]
	v_cndmask_b32_e32 v33, v33, v34, vcc
.LBB186_69:                             ;   in Loop: Header=BB186_4 Depth=1
	s_or_b64 exec, exec, s[28:29]
.LBB186_70:                             ;   in Loop: Header=BB186_4 Depth=1
	s_or_b64 exec, exec, s[26:27]
.LBB186_71:                             ;   in Loop: Header=BB186_4 Depth=1
	s_andn2_saveexec_b64 s[24:25], s[24:25]
	s_cbranch_execz .LBB186_73
; %bb.72:                               ;   in Loop: Header=BB186_4 Depth=1
	v_div_scale_f32 v15, s[12:13], s56, s56, v13
	v_div_scale_f32 v33, s[12:13], s56, s56, v14
	v_div_scale_f32 v34, vcc, v13, s56, v13
	v_div_scale_f32 v35, s[12:13], v14, s56, v14
	v_rcp_f32_e32 v36, v15
	v_rcp_f32_e32 v37, v33
	v_fma_f32 v38, -v15, v36, 1.0
	v_fmac_f32_e32 v36, v38, v36
	v_fma_f32 v39, -v33, v37, 1.0
	v_fmac_f32_e32 v37, v39, v37
	v_mul_f32_e32 v38, v34, v36
	v_mul_f32_e32 v39, v35, v37
	v_fma_f32 v40, -v15, v38, v34
	v_fma_f32 v41, -v33, v39, v35
	v_fmac_f32_e32 v38, v40, v36
	v_fmac_f32_e32 v39, v41, v37
	v_fma_f32 v15, -v15, v38, v34
	v_fma_f32 v33, -v33, v39, v35
	v_div_fmas_f32 v15, v15, v36, v38
	s_mov_b64 vcc, s[12:13]
	v_div_fmas_f32 v33, v33, v37, v39
	v_max_f32_e64 v34, |v14|, |v14|
	v_max_f32_e64 v35, |v13|, |v13|
	v_min_f32_e32 v37, v35, v34
	v_max_f32_e32 v34, v35, v34
	v_frexp_exp_i32_f32_e32 v35, v34
	v_frexp_exp_i32_f32_e32 v38, v37
	v_sub_u32_e32 v35, v38, v35
	v_frexp_mant_f32_e32 v34, v34
	v_rcp_f32_e32 v39, v34
	v_frexp_mant_f32_e32 v37, v37
	v_mov_b32_e32 v36, 0xbc7a590c
	v_cmp_class_f32_e64 s[12:13], v14, s51
	v_mul_f32_e32 v37, v37, v39
	v_div_fixup_f32 v15, v15, s56, v13
	v_ldexp_f32 v35, v37, v35
	v_div_fixup_f32 v38, v33, s56, v14
	v_max_f32_e64 v40, |v15|, |v38|
	v_cvt_f64_f32_e32 v[33:34], v40
	v_mul_f32_e32 v37, v35, v35
	v_fmac_f32_e32 v36, 0x3b2d2a58, v37
	v_cmp_neq_f32_e32 vcc, s49, v40
	v_frexp_exp_i32_f64_e32 v33, v[33:34]
	v_fma_f32 v34, v37, v36, v18
	v_fma_f32 v34, v37, v34, v19
	;; [unrolled: 1-line block ×6, first 2 shown]
	v_mul_f32_e32 v34, v37, v34
	v_sub_u32_e32 v36, 0, v33
	v_ldexp_f32 v15, |v15|, v36
	v_ldexp_f32 v36, |v38|, v36
	v_mul_f32_e32 v36, v36, v36
	v_fmac_f32_e32 v36, v15, v15
	v_sqrt_f32_e32 v15, v36
	v_fmac_f32_e32 v35, v35, v34
	v_sub_f32_e32 v34, 0x3fc90fdb, v35
	v_ldexp_f32 v15, v15, v33
	v_cndmask_b32_e32 v15, v24, v15, vcc
	v_cmp_gt_f32_e32 vcc, s53, v15
	v_cndmask_b32_e64 v33, 0, 32, vcc
	v_ldexp_f32 v15, v15, v33
	v_log_f32_e32 v15, v15
	v_cndmask_b32_e64 v33, v35, v34, s[10:11]
	v_cndmask_b32_e32 v35, 0, v30, vcc
	v_sub_f32_e32 v34, 0x40490fdb, v33
	v_mul_f32_e32 v36, 0x3f317217, v15
	v_fma_f32 v36, v15, s54, -v36
	v_fmac_f32_e32 v36, 0x3377d1cf, v15
	v_fmac_f32_e32 v36, 0x3f317217, v15
	v_cmp_lt_f32_e64 vcc, |v15|, s49
	v_cndmask_b32_e32 v15, v15, v36, vcc
	v_cmp_gt_f32_e32 vcc, 0, v13
	v_cmp_gt_i32_e64 s[10:11], 0, v13
	v_cndmask_b32_e32 v33, v33, v34, vcc
	v_cndmask_b32_e64 v34, 0, v27, s[10:11]
	v_cmp_eq_f32_e64 s[10:11], 0, v14
	v_cndmask_b32_e64 v33, v33, v34, s[10:11]
	v_cmp_class_f32_e64 s[10:11], v13, s51
	v_sub_f32_e32 v15, v15, v35
	v_cndmask_b32_e32 v34, v28, v29, vcc
	s_and_b64 vcc, s[12:13], s[10:11]
	v_add_f32_e32 v15, 1.0, v15
	v_cndmask_b32_e32 v33, v33, v34, vcc
.LBB186_73:                             ;   in Loop: Header=BB186_4 Depth=1
	s_or_b64 exec, exec, s[24:25]
.LBB186_74:                             ;   in Loop: Header=BB186_4 Depth=1
	s_andn2_saveexec_b64 s[10:11], s[22:23]
	s_cbranch_execz .LBB186_80
; %bb.75:                               ;   in Loop: Header=BB186_4 Depth=1
	v_cmp_nlt_f32_e64 s[12:13], |v13|, s57
	v_cmp_nlt_f32_e64 s[22:23], |v14|, s57
	s_or_b64 s[12:13], s[22:23], s[12:13]
                                        ; implicit-def: $vgpr15
	s_and_saveexec_b64 s[22:23], s[12:13]
	s_xor_b64 s[12:13], exec, s[22:23]
; %bb.76:                               ;   in Loop: Header=BB186_4 Depth=1
	v_mul_f32_e32 v15, v13, v13
	v_fmac_f32_e32 v15, v14, v14
; %bb.77:                               ;   in Loop: Header=BB186_4 Depth=1
	s_andn2_saveexec_b64 s[12:13], s[12:13]
; %bb.78:                               ;   in Loop: Header=BB186_4 Depth=1
	v_mul_f32_e32 v13, 4.0, v13
	v_mul_f32_e32 v15, 4.0, v14
	v_mul_f32_e32 v13, v13, v13
	v_fmac_f32_e32 v13, v15, v15
	v_mul_f32_e32 v15, 0x3d800000, v13
; %bb.79:                               ;   in Loop: Header=BB186_4 Depth=1
	s_or_b64 exec, exec, s[12:13]
	v_cmp_gt_f32_e32 vcc, s53, v15
	v_cndmask_b32_e64 v13, 0, 32, vcc
	v_ldexp_f32 v13, v15, v13
	v_log_f32_e32 v13, v13
	v_cndmask_b32_e32 v15, 0, v30, vcc
	v_mul_f32_e32 v33, 0x3f317217, v13
	v_fma_f32 v33, v13, s54, -v33
	v_fmac_f32_e32 v33, 0x3377d1cf, v13
	v_fmac_f32_e32 v33, 0x3f317217, v13
	v_cmp_lt_f32_e64 vcc, |v13|, s49
	v_cndmask_b32_e32 v13, v13, v33, vcc
	v_sub_f32_e32 v15, v13, v15
	v_mov_b32_e32 v33, 0x7fc00000
.LBB186_80:                             ;   in Loop: Header=BB186_4 Depth=1
	s_or_b64 exec, exec, s[10:11]
	v_cmp_o_f32_e32 vcc, v8, v7
                                        ; implicit-def: $vgpr13
                                        ; implicit-def: $vgpr34
	s_and_saveexec_b64 s[10:11], vcc
	s_xor_b64 s[22:23], exec, s[10:11]
	s_cbranch_execz .LBB186_108
; %bb.81:                               ;   in Loop: Header=BB186_4 Depth=1
	v_cmp_lt_f32_e64 s[10:11], |v7|, |v8|
	v_cndmask_b32_e64 v35, |v8|, |v7|, s[10:11]
	v_cmp_nlt_f32_e32 vcc, s44, v35
                                        ; implicit-def: $vgpr13
                                        ; implicit-def: $vgpr34
	s_and_saveexec_b64 s[12:13], vcc
	s_xor_b64 s[24:25], exec, s[12:13]
	s_cbranch_execz .LBB186_105
; %bb.82:                               ;   in Loop: Header=BB186_4 Depth=1
	v_and_b32_e32 v13, 0x7fffffff, v8
	v_cndmask_b32_e64 v36, |v7|, v13, s[10:11]
	v_cmp_neq_f32_e32 vcc, 1.0, v36
                                        ; implicit-def: $vgpr13
                                        ; implicit-def: $vgpr34
	s_and_saveexec_b64 s[12:13], vcc
	s_xor_b64 s[26:27], exec, s[12:13]
	s_cbranch_execz .LBB186_98
; %bb.83:                               ;   in Loop: Header=BB186_4 Depth=1
	v_max_f32_e32 v13, v35, v35
	v_max_f32_e32 v34, v36, v36
	v_min_f32_e32 v37, v34, v13
	v_max_f32_e32 v13, v34, v13
	v_cmp_ngt_f32_e32 vcc, s45, v37
	v_cmp_nlt_f32_e64 s[12:13], s46, v13
	s_and_b64 s[12:13], s[12:13], vcc
                                        ; implicit-def: $vgpr13
                                        ; implicit-def: $vgpr34
	s_and_saveexec_b64 s[28:29], s[12:13]
	s_xor_b64 s[28:29], exec, s[28:29]
	s_cbranch_execz .LBB186_95
; %bb.84:                               ;   in Loop: Header=BB186_4 Depth=1
	v_cmp_le_f32_e32 vcc, 1.0, v36
                                        ; implicit-def: $vgpr13
                                        ; implicit-def: $vgpr34
	s_and_saveexec_b64 s[12:13], vcc
	s_xor_b64 s[30:31], exec, s[12:13]
	s_cbranch_execz .LBB186_86
; %bb.85:                               ;   in Loop: Header=BB186_4 Depth=1
	v_add_f32_e32 v13, -1.0, v36
	v_add_f32_e32 v34, 1.0, v36
	v_mul_f32_e32 v13, v13, v34
	v_fmac_f32_e32 v13, v35, v35
	v_add_f32_e32 v36, 1.0, v13
	v_cvt_f64_f32_e32 v[34:35], v36
	v_add_f32_e32 v37, -1.0, v36
	v_sub_f32_e32 v38, v37, v36
	v_sub_f32_e32 v37, v13, v37
	v_frexp_exp_i32_f64_e32 v34, v[34:35]
	v_frexp_mant_f32_e32 v35, v36
	v_cmp_gt_f32_e32 vcc, s47, v35
	v_add_f32_e32 v38, 1.0, v38
	v_add_f32_e32 v37, v37, v38
	v_cmp_gt_i32_e64 s[12:13], 0, v7
	v_cmp_class_f32_e64 s[34:35], v8, s51
	v_subbrev_co_u32_e32 v34, vcc, 0, v34, vcc
	v_sub_u32_e32 v35, 0, v34
	v_ldexp_f32 v36, v36, v35
	v_ldexp_f32 v35, v37, v35
	v_add_f32_e32 v37, -1.0, v36
	v_add_f32_e32 v40, 1.0, v36
	v_add_f32_e32 v38, 1.0, v37
	v_add_f32_e32 v41, -1.0, v40
	v_sub_f32_e32 v38, v36, v38
	v_sub_f32_e32 v36, v36, v41
	v_add_f32_e32 v38, v35, v38
	v_add_f32_e32 v35, v35, v36
	;; [unrolled: 1-line block ×3, first 2 shown]
	v_rcp_f32_e32 v41, v36
	v_add_f32_e32 v39, v37, v38
	v_sub_f32_e32 v37, v39, v37
	v_sub_f32_e32 v37, v38, v37
	v_sub_f32_e32 v38, v36, v40
	v_sub_f32_e32 v35, v35, v38
	v_mul_f32_e32 v38, v39, v41
	v_mul_f32_e32 v40, v36, v38
	v_fma_f32 v42, v38, v36, -v40
	v_fmac_f32_e32 v42, v38, v35
	v_add_f32_e32 v43, v40, v42
	v_sub_f32_e32 v44, v39, v43
	v_sub_f32_e32 v39, v39, v44
	;; [unrolled: 1-line block ×4, first 2 shown]
	v_add_f32_e32 v37, v37, v39
	v_sub_f32_e32 v39, v40, v42
	v_add_f32_e32 v37, v39, v37
	v_add_f32_e32 v39, v44, v37
	v_mul_f32_e32 v40, v41, v39
	v_mul_f32_e32 v42, v36, v40
	v_fma_f32 v36, v40, v36, -v42
	v_fmac_f32_e32 v36, v40, v35
	v_sub_f32_e32 v35, v44, v39
	v_add_f32_e32 v35, v37, v35
	v_add_f32_e32 v37, v42, v36
	v_sub_f32_e32 v43, v39, v37
	v_sub_f32_e32 v39, v39, v43
	;; [unrolled: 1-line block ×4, first 2 shown]
	v_add_f32_e32 v35, v35, v37
	v_sub_f32_e32 v36, v42, v36
	v_cvt_f32_i32_e32 v34, v34
	v_add_f32_e32 v35, v36, v35
	v_add_f32_e32 v36, v38, v40
	;; [unrolled: 1-line block ×3, first 2 shown]
	v_sub_f32_e32 v37, v36, v38
	v_mul_f32_e32 v35, v41, v35
	v_sub_f32_e32 v37, v40, v37
	v_add_f32_e32 v35, v37, v35
	v_mul_f32_e32 v40, 0x3f317218, v34
	v_add_f32_e32 v37, v36, v35
	v_fma_f32 v41, v34, s48, -v40
	v_mul_f32_e32 v38, v37, v37
	v_mov_b32_e32 v39, 0x3ecc95a3
	v_fmac_f32_e32 v41, 0xb102e308, v34
	v_sub_f32_e32 v34, v37, v36
	v_fmac_f32_e32 v39, 0x3e9b6dac, v38
	v_sub_f32_e32 v34, v35, v34
	v_add_f32_e32 v35, v40, v41
	v_fma_f32 v39, v38, v39, v17
	v_sub_f32_e32 v36, v35, v40
	v_ldexp_f32 v40, v37, 1
	v_mul_f32_e32 v37, v37, v38
	v_mul_f32_e32 v37, v37, v39
	v_add_f32_e32 v38, v40, v37
	v_sub_f32_e32 v39, v38, v40
	v_ldexp_f32 v34, v34, 1
	v_sub_f32_e32 v37, v37, v39
	v_add_f32_e32 v34, v34, v37
	v_add_f32_e32 v37, v38, v34
	v_sub_f32_e32 v38, v37, v38
	v_sub_f32_e32 v34, v34, v38
	v_add_f32_e32 v38, v35, v37
	v_sub_f32_e32 v39, v38, v35
	v_sub_f32_e32 v40, v38, v39
	v_sub_f32_e32 v36, v41, v36
	v_sub_f32_e32 v35, v35, v40
	v_sub_f32_e32 v37, v37, v39
	v_add_f32_e32 v35, v37, v35
	v_add_f32_e32 v37, v36, v34
	v_sub_f32_e32 v39, v37, v36
	v_sub_f32_e32 v40, v37, v39
	;; [unrolled: 1-line block ×4, first 2 shown]
	v_add_f32_e32 v35, v37, v35
	v_add_f32_e32 v34, v34, v36
	;; [unrolled: 1-line block ×3, first 2 shown]
	v_sub_f32_e32 v37, v36, v38
	v_sub_f32_e32 v35, v35, v37
	v_add_f32_e32 v34, v34, v35
	v_add_f32_e32 v34, v36, v34
	v_cmp_neq_f32_e32 vcc, s49, v13
	v_cndmask_b32_e32 v34, v24, v34, vcc
	v_cmp_ngt_f32_e32 vcc, -1.0, v13
	v_cndmask_b32_e32 v34, v25, v34, vcc
	v_cmp_neq_f32_e32 vcc, -1.0, v13
	v_cndmask_b32_e32 v34, v26, v34, vcc
	v_cmp_lt_f32_e64 vcc, |v13|, s50
	v_cndmask_b32_e32 v13, v34, v13, vcc
	v_max_f32_e64 v34, |v8|, |v8|
	v_max_f32_e64 v35, |v7|, |v7|
	v_min_f32_e32 v36, v35, v34
	v_max_f32_e32 v34, v35, v34
	v_frexp_mant_f32_e32 v35, v34
	v_rcp_f32_e32 v35, v35
	v_frexp_exp_i32_f32_e32 v34, v34
	v_frexp_exp_i32_f32_e32 v37, v36
	v_frexp_mant_f32_e32 v36, v36
	v_mul_f32_e32 v35, v36, v35
	v_sub_u32_e32 v34, v37, v34
	v_ldexp_f32 v34, v35, v34
	v_mul_f32_e32 v35, v34, v34
	v_mov_b32_e32 v36, 0xbc7a590c
	v_fmac_f32_e32 v36, 0x3b2d2a58, v35
	v_fma_f32 v36, v35, v36, v18
	v_fma_f32 v36, v35, v36, v19
	;; [unrolled: 1-line block ×6, first 2 shown]
	v_mul_f32_e32 v35, v35, v36
	v_fmac_f32_e32 v34, v34, v35
	v_sub_f32_e32 v35, 0x3fc90fdb, v34
	v_cndmask_b32_e64 v34, v34, v35, s[10:11]
	v_sub_f32_e32 v35, 0x40490fdb, v34
	v_cmp_gt_f32_e32 vcc, 0, v7
	v_cndmask_b32_e32 v34, v34, v35, vcc
	v_cndmask_b32_e64 v35, 0, v27, s[12:13]
	v_cmp_eq_f32_e64 s[12:13], 0, v8
	v_cndmask_b32_e64 v34, v34, v35, s[12:13]
	v_cmp_class_f32_e64 s[12:13], v7, s51
	v_cndmask_b32_e32 v35, v28, v29, vcc
	s_and_b64 vcc, s[34:35], s[12:13]
	v_mul_f32_e32 v13, 0.5, v13
	v_cndmask_b32_e32 v34, v34, v35, vcc
                                        ; implicit-def: $vgpr35
                                        ; implicit-def: $vgpr36
.LBB186_86:                             ;   in Loop: Header=BB186_4 Depth=1
	s_andn2_saveexec_b64 s[30:31], s[30:31]
	s_cbranch_execz .LBB186_94
; %bb.87:                               ;   in Loop: Header=BB186_4 Depth=1
	v_mul_f32_e32 v37, v35, v35
	v_fmac_f32_e32 v37, v36, v36
	v_cmp_ge_f32_e32 vcc, s52, v37
                                        ; implicit-def: $vgpr13
                                        ; implicit-def: $vgpr34
	s_and_saveexec_b64 s[12:13], vcc
	s_xor_b64 s[34:35], exec, s[12:13]
	s_cbranch_execz .LBB186_89
; %bb.88:                               ;   in Loop: Header=BB186_4 Depth=1
	v_cmp_gt_f32_e32 vcc, s53, v37
	v_cndmask_b32_e64 v13, 0, 32, vcc
	v_ldexp_f32 v13, v37, v13
	v_log_f32_e32 v13, v13
	v_cndmask_b32_e32 v34, 0, v30, vcc
	v_cmp_gt_i32_e64 s[12:13], 0, v7
	v_cmp_class_f32_e64 s[36:37], v8, s51
	v_mul_f32_e32 v35, 0x3f317217, v13
	v_fma_f32 v35, v13, s54, -v35
	v_fmac_f32_e32 v35, 0x3377d1cf, v13
	v_fmac_f32_e32 v35, 0x3f317217, v13
	v_cmp_lt_f32_e64 vcc, |v13|, s49
	v_cndmask_b32_e32 v13, v13, v35, vcc
	v_sub_f32_e32 v13, v13, v34
	v_max_f32_e64 v34, |v8|, |v8|
	v_max_f32_e64 v35, |v7|, |v7|
	v_min_f32_e32 v36, v35, v34
	v_max_f32_e32 v34, v35, v34
	v_frexp_mant_f32_e32 v35, v34
	v_rcp_f32_e32 v35, v35
	v_frexp_exp_i32_f32_e32 v34, v34
	v_frexp_exp_i32_f32_e32 v37, v36
	v_frexp_mant_f32_e32 v36, v36
	v_mul_f32_e32 v35, v36, v35
	v_sub_u32_e32 v34, v37, v34
	v_ldexp_f32 v34, v35, v34
	v_mul_f32_e32 v35, v34, v34
	v_mov_b32_e32 v36, 0xbc7a590c
	v_fmac_f32_e32 v36, 0x3b2d2a58, v35
	v_fma_f32 v36, v35, v36, v18
	v_fma_f32 v36, v35, v36, v19
	;; [unrolled: 1-line block ×6, first 2 shown]
	v_mul_f32_e32 v35, v35, v36
	v_fmac_f32_e32 v34, v34, v35
	v_sub_f32_e32 v35, 0x3fc90fdb, v34
	v_cndmask_b32_e64 v34, v34, v35, s[10:11]
	v_sub_f32_e32 v35, 0x40490fdb, v34
	v_cmp_gt_f32_e32 vcc, 0, v7
	v_cndmask_b32_e32 v34, v34, v35, vcc
	v_cndmask_b32_e64 v35, 0, v27, s[12:13]
	v_cmp_eq_f32_e64 s[12:13], 0, v8
	v_cndmask_b32_e64 v34, v34, v35, s[12:13]
	v_cmp_class_f32_e64 s[12:13], v7, s51
	v_cndmask_b32_e32 v35, v28, v29, vcc
	s_and_b64 vcc, s[36:37], s[12:13]
	v_mul_f32_e32 v13, 0.5, v13
	v_cndmask_b32_e32 v34, v34, v35, vcc
                                        ; implicit-def: $vgpr36
                                        ; implicit-def: $vgpr35
.LBB186_89:                             ;   in Loop: Header=BB186_4 Depth=1
	s_andn2_saveexec_b64 s[34:35], s[34:35]
	s_cbranch_execz .LBB186_93
; %bb.90:                               ;   in Loop: Header=BB186_4 Depth=1
	v_and_b32_e32 v37, 0x7fff0000, v36
	v_sub_f32_e32 v13, v36, v37
	v_and_b32_e32 v41, 0xffff0000, v13
	v_and_b32_e32 v36, 0x7fff0000, v35
	v_sub_f32_e32 v43, v13, v41
	v_sub_f32_e32 v13, v35, v36
	v_and_b32_e32 v42, 0xffff0000, v13
	v_add_f32_e32 v38, v37, v37
	v_add_f32_e32 v45, v36, v36
	v_sub_f32_e32 v44, v13, v42
	v_mul_f32_e32 v13, v37, v37
	v_mul_f32_e32 v34, v36, v36
	v_mul_f32_e32 v37, v38, v41
	v_mul_f32_e32 v36, v45, v42
	v_mul_f32_e32 v40, v41, v41
	v_mul_f32_e32 v35, v42, v42
	v_add_f32_e32 v41, v41, v41
	v_add_f32_e32 v42, v42, v42
	v_mul_f32_e32 v39, v38, v43
	v_mul_f32_e32 v38, v45, v44
	v_mul_f32_e32 v41, v41, v43
	v_mul_f32_e32 v42, v42, v44
	v_mul_f32_e32 v43, v43, v43
	v_mul_f32_e32 v44, v44, v44
	s_mov_b64 s[36:37], 0
.LBB186_91:                             ;   Parent Loop BB186_4 Depth=1
                                        ; =>  This Inner Loop Header: Depth=2
	v_cmp_nlt_f32_e32 vcc, v13, v34
	v_mov_b32_e32 v45, v44
	v_cndmask_b32_e32 v44, v13, v34, vcc
	v_cmp_nlt_f32_e64 s[12:13], v44, v37
	v_cndmask_b32_e64 v46, v44, v37, s[12:13]
	v_cndmask_b32_e32 v13, v34, v13, vcc
	s_and_b64 s[60:61], vcc, s[12:13]
	v_cmp_nlt_f32_e32 vcc, v46, v36
	v_cndmask_b32_e64 v34, v37, v44, s[12:13]
	v_cndmask_b32_e32 v44, v46, v36, vcc
	v_cmp_nlt_f32_e64 s[12:13], v44, v40
	v_cndmask_b32_e32 v37, v36, v46, vcc
	v_cndmask_b32_e64 v46, v44, v40, s[12:13]
	s_and_b64 s[62:63], vcc, s[12:13]
	v_cmp_nlt_f32_e32 vcc, v46, v35
	v_cndmask_b32_e64 v36, v40, v44, s[12:13]
	v_cndmask_b32_e32 v44, v46, v35, vcc
	v_cmp_nlt_f32_e64 s[12:13], v44, v39
	v_cndmask_b32_e32 v40, v35, v46, vcc
	v_cndmask_b32_e64 v46, v44, v39, s[12:13]
	v_cndmask_b32_e64 v35, v39, v44, s[12:13]
	s_and_b64 s[12:13], vcc, s[12:13]
	v_cmp_nlt_f32_e32 vcc, v46, v38
	v_cndmask_b32_e32 v44, v46, v38, vcc
	v_cndmask_b32_e32 v39, v38, v46, vcc
	s_and_b64 s[12:13], s[12:13], vcc
	v_cmp_nlt_f32_e32 vcc, v44, v41
	v_cndmask_b32_e32 v46, v44, v41, vcc
	v_cndmask_b32_e32 v38, v41, v44, vcc
	s_and_b64 s[12:13], s[12:13], vcc
	;; [unrolled: 4-line block ×4, first 2 shown]
	v_cmp_nlt_f32_e32 vcc, v46, v45
	s_and_b64 s[12:13], s[12:13], vcc
	s_and_b64 s[12:13], s[12:13], s[62:63]
	s_and_b64 s[12:13], s[12:13], s[60:61]
	s_and_b64 s[12:13], exec, s[12:13]
	v_cndmask_b32_e32 v44, v46, v45, vcc
	s_or_b64 s[36:37], s[12:13], s[36:37]
	v_cndmask_b32_e32 v43, v45, v46, vcc
	s_andn2_b64 exec, exec, s[36:37]
	s_cbranch_execnz .LBB186_91
; %bb.92:                               ;   in Loop: Header=BB186_4 Depth=1
	s_or_b64 exec, exec, s[36:37]
	v_add_f32_e32 v13, -1.0, v13
	v_add_f32_e32 v13, v13, v34
	v_add_f32_e32 v13, v13, v37
	;; [unrolled: 1-line block ×11, first 2 shown]
	v_add_f32_e32 v36, 1.0, v13
	v_cvt_f64_f32_e32 v[34:35], v36
	v_add_f32_e32 v37, -1.0, v36
	v_sub_f32_e32 v38, v37, v36
	v_sub_f32_e32 v37, v13, v37
	v_frexp_exp_i32_f64_e32 v34, v[34:35]
	v_frexp_mant_f32_e32 v35, v36
	v_cmp_gt_f32_e32 vcc, s47, v35
	v_add_f32_e32 v38, 1.0, v38
	v_add_f32_e32 v37, v37, v38
	v_cmp_gt_i32_e64 s[12:13], 0, v7
	v_cmp_class_f32_e64 s[36:37], v8, s51
	v_subbrev_co_u32_e32 v34, vcc, 0, v34, vcc
	v_sub_u32_e32 v35, 0, v34
	v_ldexp_f32 v36, v36, v35
	v_ldexp_f32 v35, v37, v35
	v_add_f32_e32 v37, -1.0, v36
	v_add_f32_e32 v38, 1.0, v36
	v_add_f32_e32 v39, 1.0, v37
	v_add_f32_e32 v41, -1.0, v38
	v_sub_f32_e32 v39, v36, v39
	v_sub_f32_e32 v36, v36, v41
	v_add_f32_e32 v39, v35, v39
	v_add_f32_e32 v35, v35, v36
	;; [unrolled: 1-line block ×3, first 2 shown]
	v_rcp_f32_e32 v41, v36
	v_add_f32_e32 v40, v37, v39
	v_sub_f32_e32 v38, v36, v38
	v_sub_f32_e32 v37, v40, v37
	;; [unrolled: 1-line block ×3, first 2 shown]
	v_mul_f32_e32 v38, v40, v41
	v_sub_f32_e32 v37, v39, v37
	v_mul_f32_e32 v39, v36, v38
	v_fma_f32 v42, v38, v36, -v39
	v_fmac_f32_e32 v42, v38, v35
	v_add_f32_e32 v43, v39, v42
	v_sub_f32_e32 v44, v40, v43
	v_sub_f32_e32 v40, v40, v44
	;; [unrolled: 1-line block ×4, first 2 shown]
	v_add_f32_e32 v37, v37, v40
	v_sub_f32_e32 v39, v39, v42
	v_add_f32_e32 v37, v39, v37
	v_add_f32_e32 v39, v44, v37
	v_mul_f32_e32 v40, v41, v39
	v_mul_f32_e32 v42, v36, v40
	v_fma_f32 v36, v40, v36, -v42
	v_fmac_f32_e32 v36, v40, v35
	v_sub_f32_e32 v35, v44, v39
	v_add_f32_e32 v35, v37, v35
	v_add_f32_e32 v37, v42, v36
	v_sub_f32_e32 v43, v39, v37
	v_sub_f32_e32 v39, v39, v43
	;; [unrolled: 1-line block ×4, first 2 shown]
	v_add_f32_e32 v35, v35, v37
	v_sub_f32_e32 v36, v42, v36
	v_cvt_f32_i32_e32 v34, v34
	v_add_f32_e32 v35, v36, v35
	v_add_f32_e32 v36, v38, v40
	;; [unrolled: 1-line block ×3, first 2 shown]
	v_sub_f32_e32 v37, v36, v38
	v_mul_f32_e32 v35, v41, v35
	v_sub_f32_e32 v37, v40, v37
	v_add_f32_e32 v35, v37, v35
	v_mul_f32_e32 v40, 0x3f317218, v34
	v_add_f32_e32 v37, v36, v35
	v_fma_f32 v41, v34, s48, -v40
	v_mul_f32_e32 v38, v37, v37
	v_mov_b32_e32 v39, 0x3ecc95a3
	v_fmac_f32_e32 v41, 0xb102e308, v34
	v_sub_f32_e32 v34, v37, v36
	v_fmac_f32_e32 v39, 0x3e9b6dac, v38
	v_sub_f32_e32 v34, v35, v34
	v_add_f32_e32 v35, v40, v41
	v_fma_f32 v39, v38, v39, v17
	v_sub_f32_e32 v36, v35, v40
	v_ldexp_f32 v40, v37, 1
	v_mul_f32_e32 v37, v37, v38
	v_mul_f32_e32 v37, v37, v39
	v_add_f32_e32 v38, v40, v37
	v_sub_f32_e32 v39, v38, v40
	v_ldexp_f32 v34, v34, 1
	v_sub_f32_e32 v37, v37, v39
	v_add_f32_e32 v34, v34, v37
	v_add_f32_e32 v37, v38, v34
	v_sub_f32_e32 v38, v37, v38
	v_sub_f32_e32 v34, v34, v38
	v_add_f32_e32 v38, v35, v37
	v_sub_f32_e32 v39, v38, v35
	v_sub_f32_e32 v40, v38, v39
	v_sub_f32_e32 v36, v41, v36
	v_sub_f32_e32 v35, v35, v40
	v_sub_f32_e32 v37, v37, v39
	v_add_f32_e32 v35, v37, v35
	v_add_f32_e32 v37, v36, v34
	v_sub_f32_e32 v39, v37, v36
	v_sub_f32_e32 v40, v37, v39
	v_sub_f32_e32 v36, v36, v40
	v_sub_f32_e32 v34, v34, v39
	v_add_f32_e32 v35, v37, v35
	v_add_f32_e32 v34, v34, v36
	;; [unrolled: 1-line block ×3, first 2 shown]
	v_sub_f32_e32 v37, v36, v38
	v_sub_f32_e32 v35, v35, v37
	v_add_f32_e32 v34, v34, v35
	v_add_f32_e32 v34, v36, v34
	v_cmp_neq_f32_e32 vcc, s49, v13
	v_cndmask_b32_e32 v34, v24, v34, vcc
	v_cmp_ngt_f32_e32 vcc, -1.0, v13
	v_cndmask_b32_e32 v34, v25, v34, vcc
	v_cmp_neq_f32_e32 vcc, -1.0, v13
	v_cndmask_b32_e32 v34, v26, v34, vcc
	v_cmp_lt_f32_e64 vcc, |v13|, s50
	v_cndmask_b32_e32 v13, v34, v13, vcc
	v_max_f32_e64 v34, |v8|, |v8|
	v_max_f32_e64 v35, |v7|, |v7|
	v_min_f32_e32 v36, v35, v34
	v_max_f32_e32 v34, v35, v34
	v_frexp_mant_f32_e32 v35, v34
	v_rcp_f32_e32 v35, v35
	v_frexp_exp_i32_f32_e32 v34, v34
	v_frexp_exp_i32_f32_e32 v37, v36
	v_frexp_mant_f32_e32 v36, v36
	v_mul_f32_e32 v35, v36, v35
	v_sub_u32_e32 v34, v37, v34
	v_ldexp_f32 v34, v35, v34
	v_mul_f32_e32 v35, v34, v34
	v_mov_b32_e32 v36, 0xbc7a590c
	v_fmac_f32_e32 v36, 0x3b2d2a58, v35
	v_fma_f32 v36, v35, v36, v18
	v_fma_f32 v36, v35, v36, v19
	;; [unrolled: 1-line block ×6, first 2 shown]
	v_mul_f32_e32 v35, v35, v36
	v_fmac_f32_e32 v34, v34, v35
	v_sub_f32_e32 v35, 0x3fc90fdb, v34
	v_cndmask_b32_e64 v34, v34, v35, s[10:11]
	v_sub_f32_e32 v35, 0x40490fdb, v34
	v_cmp_gt_f32_e32 vcc, 0, v7
	v_cndmask_b32_e32 v34, v34, v35, vcc
	v_cndmask_b32_e64 v35, 0, v27, s[12:13]
	v_cmp_eq_f32_e64 s[12:13], 0, v8
	v_cndmask_b32_e64 v34, v34, v35, s[12:13]
	v_cmp_class_f32_e64 s[12:13], v7, s51
	v_cndmask_b32_e32 v35, v28, v29, vcc
	s_and_b64 vcc, s[36:37], s[12:13]
	v_mul_f32_e32 v13, 0.5, v13
	v_cndmask_b32_e32 v34, v34, v35, vcc
.LBB186_93:                             ;   in Loop: Header=BB186_4 Depth=1
	s_or_b64 exec, exec, s[34:35]
.LBB186_94:                             ;   in Loop: Header=BB186_4 Depth=1
	s_or_b64 exec, exec, s[30:31]
.LBB186_95:                             ;   in Loop: Header=BB186_4 Depth=1
	s_andn2_saveexec_b64 s[28:29], s[28:29]
	s_cbranch_execz .LBB186_97
; %bb.96:                               ;   in Loop: Header=BB186_4 Depth=1
	v_max_f32_e64 v13, |v8|, |v8|
	v_max_f32_e64 v36, |v7|, |v7|
	v_max_f32_e32 v37, v36, v13
	v_cvt_f64_f32_e32 v[34:35], v37
	v_min_f32_e32 v13, v36, v13
	v_frexp_mant_f32_e32 v36, v37
	v_rcp_f32_e32 v36, v36
	v_frexp_exp_i32_f64_e32 v34, v[34:35]
	v_cmp_neq_f32_e32 vcc, s49, v37
	v_frexp_exp_i32_f32_e32 v38, v13
	v_frexp_mant_f32_e32 v13, v13
	v_mul_f32_e32 v13, v13, v36
	v_frexp_exp_i32_f32_e32 v35, v37
	v_sub_u32_e32 v35, v38, v35
	v_ldexp_f32 v35, v13, v35
	v_sub_u32_e32 v39, 0, v34
	v_ldexp_f32 v40, |v7|, v39
	v_ldexp_f32 v39, |v8|, v39
	v_mul_f32_e32 v39, v39, v39
	v_fmac_f32_e32 v39, v40, v40
	v_sqrt_f32_e32 v39, v39
	v_cmp_gt_i32_e64 s[12:13], 0, v7
	v_cmp_class_f32_e64 s[30:31], v8, s51
	v_ldexp_f32 v34, v39, v34
	v_cndmask_b32_e32 v34, v24, v34, vcc
	v_cmp_gt_f32_e32 vcc, s53, v34
	v_cndmask_b32_e64 v36, 0, 32, vcc
	v_ldexp_f32 v34, v34, v36
	v_log_f32_e32 v34, v34
	v_cndmask_b32_e32 v13, 0, v30, vcc
	v_mul_f32_e32 v36, v35, v35
	v_mul_f32_e32 v37, 0x3f317217, v34
	v_fma_f32 v37, v34, s54, -v37
	v_fmac_f32_e32 v37, 0x3377d1cf, v34
	v_fmac_f32_e32 v37, 0x3f317217, v34
	v_cmp_lt_f32_e64 vcc, |v34|, s49
	v_cndmask_b32_e32 v34, v34, v37, vcc
	v_sub_f32_e32 v13, v34, v13
	v_mov_b32_e32 v34, 0xbc7a590c
	v_fmac_f32_e32 v34, 0x3b2d2a58, v36
	v_fma_f32 v34, v36, v34, v18
	v_fma_f32 v34, v36, v34, v19
	;; [unrolled: 1-line block ×6, first 2 shown]
	v_mul_f32_e32 v34, v36, v34
	v_fmac_f32_e32 v35, v35, v34
	v_sub_f32_e32 v34, 0x3fc90fdb, v35
	v_cndmask_b32_e64 v34, v35, v34, s[10:11]
	v_sub_f32_e32 v35, 0x40490fdb, v34
	v_cmp_gt_f32_e32 vcc, 0, v7
	v_cndmask_b32_e32 v34, v34, v35, vcc
	v_cndmask_b32_e64 v35, 0, v27, s[12:13]
	v_cmp_eq_f32_e64 s[12:13], 0, v8
	v_cndmask_b32_e64 v34, v34, v35, s[12:13]
	v_cmp_class_f32_e64 s[12:13], v7, s51
	v_cndmask_b32_e32 v35, v28, v29, vcc
	s_and_b64 vcc, s[30:31], s[12:13]
	v_cndmask_b32_e32 v34, v34, v35, vcc
.LBB186_97:                             ;   in Loop: Header=BB186_4 Depth=1
	s_or_b64 exec, exec, s[28:29]
                                        ; implicit-def: $vgpr35
.LBB186_98:                             ;   in Loop: Header=BB186_4 Depth=1
	s_andn2_saveexec_b64 s[26:27], s[26:27]
	s_cbranch_execz .LBB186_104
; %bb.99:                               ;   in Loop: Header=BB186_4 Depth=1
	v_cmp_ngt_f32_e32 vcc, s55, v35
                                        ; implicit-def: $vgpr13
                                        ; implicit-def: $vgpr34
	s_and_saveexec_b64 s[12:13], vcc
	s_xor_b64 s[28:29], exec, s[12:13]
	s_cbranch_execz .LBB186_101
; %bb.100:                              ;   in Loop: Header=BB186_4 Depth=1
	v_mul_f32_e32 v13, v35, v35
	v_add_f32_e32 v36, 1.0, v13
	v_cvt_f64_f32_e32 v[34:35], v36
	v_add_f32_e32 v37, -1.0, v36
	v_sub_f32_e32 v38, v37, v36
	v_sub_f32_e32 v37, v13, v37
	v_frexp_exp_i32_f64_e32 v34, v[34:35]
	v_frexp_mant_f32_e32 v35, v36
	v_cmp_gt_f32_e32 vcc, s47, v35
	v_add_f32_e32 v38, 1.0, v38
	v_add_f32_e32 v37, v37, v38
	v_cmp_gt_i32_e64 s[12:13], 0, v7
	v_cmp_class_f32_e64 s[30:31], v8, s51
	v_subbrev_co_u32_e32 v34, vcc, 0, v34, vcc
	v_sub_u32_e32 v35, 0, v34
	v_ldexp_f32 v36, v36, v35
	v_ldexp_f32 v35, v37, v35
	v_add_f32_e32 v37, -1.0, v36
	v_add_f32_e32 v38, 1.0, v36
	v_add_f32_e32 v39, 1.0, v37
	v_add_f32_e32 v41, -1.0, v38
	v_sub_f32_e32 v39, v36, v39
	v_sub_f32_e32 v36, v36, v41
	v_add_f32_e32 v39, v35, v39
	v_add_f32_e32 v35, v35, v36
	;; [unrolled: 1-line block ×3, first 2 shown]
	v_rcp_f32_e32 v41, v36
	v_add_f32_e32 v40, v37, v39
	v_sub_f32_e32 v38, v38, v36
	v_sub_f32_e32 v37, v37, v40
	v_add_f32_e32 v35, v35, v38
	v_mul_f32_e32 v38, v40, v41
	v_add_f32_e32 v37, v39, v37
	v_mul_f32_e32 v39, v36, v38
	v_fma_f32 v42, v38, v36, -v39
	v_fmac_f32_e32 v42, v38, v35
	v_add_f32_e32 v43, v39, v42
	v_sub_f32_e32 v44, v40, v43
	v_sub_f32_e32 v40, v40, v44
	;; [unrolled: 1-line block ×4, first 2 shown]
	v_add_f32_e32 v37, v37, v40
	v_sub_f32_e32 v39, v39, v42
	v_add_f32_e32 v37, v39, v37
	v_add_f32_e32 v39, v44, v37
	v_mul_f32_e32 v40, v41, v39
	v_mul_f32_e32 v42, v36, v40
	v_fma_f32 v36, v40, v36, -v42
	v_fmac_f32_e32 v36, v40, v35
	v_sub_f32_e32 v35, v44, v39
	v_add_f32_e32 v35, v37, v35
	v_add_f32_e32 v37, v42, v36
	v_sub_f32_e32 v43, v39, v37
	v_sub_f32_e32 v39, v39, v43
	;; [unrolled: 1-line block ×4, first 2 shown]
	v_add_f32_e32 v35, v35, v37
	v_sub_f32_e32 v36, v42, v36
	v_cvt_f32_i32_e32 v34, v34
	v_add_f32_e32 v35, v36, v35
	v_add_f32_e32 v36, v38, v40
	v_add_f32_e32 v35, v43, v35
	v_sub_f32_e32 v37, v36, v38
	v_mul_f32_e32 v35, v41, v35
	v_sub_f32_e32 v37, v40, v37
	v_add_f32_e32 v35, v37, v35
	v_mul_f32_e32 v40, 0x3f317218, v34
	v_add_f32_e32 v37, v36, v35
	v_fma_f32 v41, v34, s48, -v40
	v_mul_f32_e32 v38, v37, v37
	v_mov_b32_e32 v39, 0x3ecc95a3
	v_fmac_f32_e32 v41, 0xb102e308, v34
	v_sub_f32_e32 v34, v37, v36
	v_fmac_f32_e32 v39, 0x3e9b6dac, v38
	v_sub_f32_e32 v34, v35, v34
	v_add_f32_e32 v35, v40, v41
	v_fma_f32 v39, v38, v39, v17
	v_sub_f32_e32 v36, v35, v40
	v_ldexp_f32 v40, v37, 1
	v_mul_f32_e32 v37, v37, v38
	v_mul_f32_e32 v37, v37, v39
	v_add_f32_e32 v38, v40, v37
	v_sub_f32_e32 v39, v38, v40
	v_ldexp_f32 v34, v34, 1
	v_sub_f32_e32 v37, v37, v39
	v_add_f32_e32 v34, v34, v37
	v_add_f32_e32 v37, v38, v34
	v_sub_f32_e32 v38, v37, v38
	v_sub_f32_e32 v34, v34, v38
	v_add_f32_e32 v38, v35, v37
	v_sub_f32_e32 v39, v38, v35
	v_sub_f32_e32 v40, v38, v39
	;; [unrolled: 1-line block ×5, first 2 shown]
	v_add_f32_e32 v35, v37, v35
	v_add_f32_e32 v37, v36, v34
	v_sub_f32_e32 v39, v37, v36
	v_sub_f32_e32 v40, v37, v39
	;; [unrolled: 1-line block ×4, first 2 shown]
	v_add_f32_e32 v35, v37, v35
	v_add_f32_e32 v34, v34, v36
	;; [unrolled: 1-line block ×3, first 2 shown]
	v_sub_f32_e32 v37, v36, v38
	v_sub_f32_e32 v35, v35, v37
	v_add_f32_e32 v34, v34, v35
	v_add_f32_e32 v34, v36, v34
	v_cmp_neq_f32_e32 vcc, s49, v13
	v_cndmask_b32_e32 v34, v24, v34, vcc
	v_cmp_lt_f32_e64 vcc, |v13|, s50
	v_cndmask_b32_e32 v13, v34, v13, vcc
	v_max_f32_e64 v34, |v8|, |v8|
	v_max_f32_e64 v35, |v7|, |v7|
	v_min_f32_e32 v36, v35, v34
	v_max_f32_e32 v34, v35, v34
	v_frexp_mant_f32_e32 v35, v34
	v_rcp_f32_e32 v35, v35
	v_frexp_exp_i32_f32_e32 v34, v34
	v_frexp_exp_i32_f32_e32 v37, v36
	v_frexp_mant_f32_e32 v36, v36
	v_mul_f32_e32 v35, v36, v35
	v_sub_u32_e32 v34, v37, v34
	v_ldexp_f32 v34, v35, v34
	v_mul_f32_e32 v35, v34, v34
	v_mov_b32_e32 v36, 0xbc7a590c
	v_fmac_f32_e32 v36, 0x3b2d2a58, v35
	v_fma_f32 v36, v35, v36, v18
	v_fma_f32 v36, v35, v36, v19
	;; [unrolled: 1-line block ×6, first 2 shown]
	v_mul_f32_e32 v35, v35, v36
	v_fmac_f32_e32 v34, v34, v35
	v_sub_f32_e32 v35, 0x3fc90fdb, v34
	v_cndmask_b32_e64 v34, v34, v35, s[10:11]
	v_sub_f32_e32 v35, 0x40490fdb, v34
	v_cmp_gt_f32_e32 vcc, 0, v7
	v_cndmask_b32_e32 v34, v34, v35, vcc
	v_cndmask_b32_e64 v35, 0, v27, s[12:13]
	v_cmp_eq_f32_e64 s[12:13], 0, v8
	v_cndmask_b32_e64 v34, v34, v35, s[12:13]
	v_cmp_class_f32_e64 s[12:13], v7, s51
	v_cndmask_b32_e32 v35, v28, v29, vcc
	s_and_b64 vcc, s[30:31], s[12:13]
	v_mul_f32_e32 v13, 0.5, v13
	v_cndmask_b32_e32 v34, v34, v35, vcc
                                        ; implicit-def: $vgpr35
.LBB186_101:                            ;   in Loop: Header=BB186_4 Depth=1
	s_andn2_saveexec_b64 s[28:29], s[28:29]
	s_cbranch_execz .LBB186_103
; %bb.102:                              ;   in Loop: Header=BB186_4 Depth=1
	v_mul_f32_e32 v13, 0.5, v35
	v_mul_f32_e32 v13, v35, v13
	v_max_f32_e64 v34, |v8|, |v8|
	v_max_f32_e64 v35, |v7|, |v7|
	v_min_f32_e32 v36, v35, v34
	v_max_f32_e32 v34, v35, v34
	v_frexp_mant_f32_e32 v35, v34
	v_rcp_f32_e32 v35, v35
	v_frexp_exp_i32_f32_e32 v34, v34
	v_frexp_exp_i32_f32_e32 v37, v36
	v_frexp_mant_f32_e32 v36, v36
	v_mul_f32_e32 v35, v36, v35
	v_sub_u32_e32 v34, v37, v34
	v_ldexp_f32 v34, v35, v34
	v_mul_f32_e32 v35, v34, v34
	v_mov_b32_e32 v36, 0xbc7a590c
	v_fmac_f32_e32 v36, 0x3b2d2a58, v35
	v_fma_f32 v36, v35, v36, v18
	v_fma_f32 v36, v35, v36, v19
	;; [unrolled: 1-line block ×6, first 2 shown]
	v_mul_f32_e32 v35, v35, v36
	v_fmac_f32_e32 v34, v34, v35
	v_sub_f32_e32 v35, 0x3fc90fdb, v34
	v_cndmask_b32_e64 v34, v34, v35, s[10:11]
	v_sub_f32_e32 v35, 0x40490fdb, v34
	v_cmp_gt_f32_e32 vcc, 0, v7
	v_cmp_gt_i32_e64 s[12:13], 0, v7
	v_cndmask_b32_e32 v34, v34, v35, vcc
	v_cndmask_b32_e64 v35, 0, v27, s[12:13]
	v_cmp_eq_f32_e64 s[12:13], 0, v8
	v_cndmask_b32_e64 v34, v34, v35, s[12:13]
	v_cmp_class_f32_e64 s[12:13], v7, s51
	v_cmp_class_f32_e64 s[30:31], v8, s51
	v_cndmask_b32_e32 v35, v28, v29, vcc
	s_and_b64 vcc, s[30:31], s[12:13]
	v_cndmask_b32_e32 v34, v34, v35, vcc
.LBB186_103:                            ;   in Loop: Header=BB186_4 Depth=1
	s_or_b64 exec, exec, s[28:29]
.LBB186_104:                            ;   in Loop: Header=BB186_4 Depth=1
	s_or_b64 exec, exec, s[26:27]
.LBB186_105:                            ;   in Loop: Header=BB186_4 Depth=1
	s_andn2_saveexec_b64 s[24:25], s[24:25]
	s_cbranch_execz .LBB186_107
; %bb.106:                              ;   in Loop: Header=BB186_4 Depth=1
	v_div_scale_f32 v13, s[12:13], s56, s56, v7
	v_div_scale_f32 v34, s[12:13], s56, s56, v8
	v_div_scale_f32 v35, vcc, v7, s56, v7
	v_div_scale_f32 v36, s[12:13], v8, s56, v8
	v_rcp_f32_e32 v37, v13
	v_rcp_f32_e32 v38, v34
	v_fma_f32 v39, -v13, v37, 1.0
	v_fmac_f32_e32 v37, v39, v37
	v_fma_f32 v40, -v34, v38, 1.0
	v_fmac_f32_e32 v38, v40, v38
	v_mul_f32_e32 v39, v35, v37
	v_mul_f32_e32 v40, v36, v38
	v_fma_f32 v41, -v13, v39, v35
	v_fma_f32 v42, -v34, v40, v36
	v_fmac_f32_e32 v39, v41, v37
	v_fmac_f32_e32 v40, v42, v38
	v_fma_f32 v13, -v13, v39, v35
	v_fma_f32 v34, -v34, v40, v36
	v_div_fmas_f32 v13, v13, v37, v39
	s_mov_b64 vcc, s[12:13]
	v_div_fmas_f32 v34, v34, v38, v40
	v_max_f32_e64 v35, |v8|, |v8|
	v_max_f32_e64 v36, |v7|, |v7|
	v_min_f32_e32 v38, v36, v35
	v_max_f32_e32 v35, v36, v35
	v_frexp_exp_i32_f32_e32 v36, v35
	v_frexp_exp_i32_f32_e32 v39, v38
	v_sub_u32_e32 v36, v39, v36
	v_frexp_mant_f32_e32 v35, v35
	v_rcp_f32_e32 v40, v35
	v_frexp_mant_f32_e32 v38, v38
	v_mov_b32_e32 v37, 0xbc7a590c
	v_cmp_class_f32_e64 s[12:13], v8, s51
	v_mul_f32_e32 v38, v38, v40
	v_div_fixup_f32 v13, v13, s56, v7
	v_ldexp_f32 v36, v38, v36
	v_div_fixup_f32 v39, v34, s56, v8
	v_max_f32_e64 v41, |v13|, |v39|
	v_cvt_f64_f32_e32 v[34:35], v41
	v_mul_f32_e32 v38, v36, v36
	v_fmac_f32_e32 v37, 0x3b2d2a58, v38
	v_cmp_neq_f32_e32 vcc, s49, v41
	v_frexp_exp_i32_f64_e32 v34, v[34:35]
	v_fma_f32 v35, v38, v37, v18
	v_fma_f32 v35, v38, v35, v19
	;; [unrolled: 1-line block ×6, first 2 shown]
	v_mul_f32_e32 v35, v38, v35
	v_sub_u32_e32 v37, 0, v34
	v_ldexp_f32 v13, |v13|, v37
	v_ldexp_f32 v37, |v39|, v37
	v_mul_f32_e32 v37, v37, v37
	v_fmac_f32_e32 v37, v13, v13
	v_sqrt_f32_e32 v13, v37
	v_fmac_f32_e32 v36, v36, v35
	v_sub_f32_e32 v35, 0x3fc90fdb, v36
	v_ldexp_f32 v13, v13, v34
	v_cndmask_b32_e32 v13, v24, v13, vcc
	v_cmp_gt_f32_e32 vcc, s53, v13
	v_cndmask_b32_e64 v34, 0, 32, vcc
	v_ldexp_f32 v13, v13, v34
	v_log_f32_e32 v13, v13
	v_cndmask_b32_e64 v34, v36, v35, s[10:11]
	v_cndmask_b32_e32 v36, 0, v30, vcc
	v_sub_f32_e32 v35, 0x40490fdb, v34
	v_mul_f32_e32 v37, 0x3f317217, v13
	v_fma_f32 v37, v13, s54, -v37
	v_fmac_f32_e32 v37, 0x3377d1cf, v13
	v_fmac_f32_e32 v37, 0x3f317217, v13
	v_cmp_lt_f32_e64 vcc, |v13|, s49
	v_cndmask_b32_e32 v13, v13, v37, vcc
	v_cmp_gt_f32_e32 vcc, 0, v7
	v_cmp_gt_i32_e64 s[10:11], 0, v7
	v_cndmask_b32_e32 v34, v34, v35, vcc
	v_cndmask_b32_e64 v35, 0, v27, s[10:11]
	v_cmp_eq_f32_e64 s[10:11], 0, v8
	v_cndmask_b32_e64 v34, v34, v35, s[10:11]
	v_cmp_class_f32_e64 s[10:11], v7, s51
	v_sub_f32_e32 v13, v13, v36
	v_cndmask_b32_e32 v35, v28, v29, vcc
	s_and_b64 vcc, s[12:13], s[10:11]
	v_add_f32_e32 v13, 1.0, v13
	v_cndmask_b32_e32 v34, v34, v35, vcc
.LBB186_107:                            ;   in Loop: Header=BB186_4 Depth=1
	s_or_b64 exec, exec, s[24:25]
.LBB186_108:                            ;   in Loop: Header=BB186_4 Depth=1
	s_andn2_saveexec_b64 s[10:11], s[22:23]
	s_cbranch_execz .LBB186_114
; %bb.109:                              ;   in Loop: Header=BB186_4 Depth=1
	v_cmp_nlt_f32_e64 s[12:13], |v7|, s57
	v_cmp_nlt_f32_e64 s[22:23], |v8|, s57
	s_or_b64 s[12:13], s[22:23], s[12:13]
                                        ; implicit-def: $vgpr13
	s_and_saveexec_b64 s[22:23], s[12:13]
	s_xor_b64 s[12:13], exec, s[22:23]
; %bb.110:                              ;   in Loop: Header=BB186_4 Depth=1
	v_mul_f32_e32 v13, v7, v7
	v_fmac_f32_e32 v13, v8, v8
; %bb.111:                              ;   in Loop: Header=BB186_4 Depth=1
	s_andn2_saveexec_b64 s[12:13], s[12:13]
; %bb.112:                              ;   in Loop: Header=BB186_4 Depth=1
	v_mul_f32_e32 v7, 4.0, v7
	v_mul_f32_e32 v13, 4.0, v8
	v_mul_f32_e32 v7, v7, v7
	v_fmac_f32_e32 v7, v13, v13
	v_mul_f32_e32 v13, 0x3d800000, v7
; %bb.113:                              ;   in Loop: Header=BB186_4 Depth=1
	s_or_b64 exec, exec, s[12:13]
	v_cmp_gt_f32_e32 vcc, s53, v13
	v_cndmask_b32_e64 v7, 0, 32, vcc
	v_ldexp_f32 v7, v13, v7
	v_log_f32_e32 v7, v7
	v_cndmask_b32_e32 v13, 0, v30, vcc
	v_mul_f32_e32 v34, 0x3f317217, v7
	v_fma_f32 v34, v7, s54, -v34
	v_fmac_f32_e32 v34, 0x3377d1cf, v7
	v_fmac_f32_e32 v34, 0x3f317217, v7
	v_cmp_lt_f32_e64 vcc, |v7|, s49
	v_cndmask_b32_e32 v7, v7, v34, vcc
	v_sub_f32_e32 v13, v7, v13
	v_mov_b32_e32 v34, 0x7fc00000
.LBB186_114:                            ;   in Loop: Header=BB186_4 Depth=1
	s_or_b64 exec, exec, s[10:11]
	v_cmp_o_f32_e32 vcc, v6, v5
                                        ; implicit-def: $vgpr7
                                        ; implicit-def: $vgpr35
	s_and_saveexec_b64 s[10:11], vcc
	s_xor_b64 s[22:23], exec, s[10:11]
	s_cbranch_execnz .LBB186_120
; %bb.115:                              ;   in Loop: Header=BB186_4 Depth=1
	s_andn2_saveexec_b64 s[10:11], s[22:23]
	s_cbranch_execnz .LBB186_147
.LBB186_116:                            ;   in Loop: Header=BB186_4 Depth=1
	s_or_b64 exec, exec, s[10:11]
	s_and_saveexec_b64 s[10:11], s[8:9]
	s_xor_b64 s[10:11], exec, s[10:11]
	s_cbranch_execnz .LBB186_152
.LBB186_117:                            ;   in Loop: Header=BB186_4 Depth=1
	s_or_b64 exec, exec, s[10:11]
	s_and_saveexec_b64 s[8:9], s[6:7]
	s_cbranch_execnz .LBB186_153
.LBB186_118:                            ;   in Loop: Header=BB186_4 Depth=1
	s_or_b64 exec, exec, s[8:9]
	s_and_saveexec_b64 s[6:7], s[2:3]
	s_cbranch_execnz .LBB186_154
.LBB186_119:                            ;   in Loop: Header=BB186_4 Depth=1
	s_or_b64 exec, exec, s[6:7]
	s_and_saveexec_b64 s[2:3], s[0:1]
	s_cbranch_execz .LBB186_3
	s_branch .LBB186_155
.LBB186_120:                            ;   in Loop: Header=BB186_4 Depth=1
	v_cmp_lt_f32_e64 s[10:11], |v5|, |v6|
	v_cndmask_b32_e64 v36, |v6|, |v5|, s[10:11]
	v_cmp_nlt_f32_e32 vcc, s44, v36
                                        ; implicit-def: $vgpr7
                                        ; implicit-def: $vgpr35
	s_and_saveexec_b64 s[12:13], vcc
	s_xor_b64 s[24:25], exec, s[12:13]
	s_cbranch_execz .LBB186_144
; %bb.121:                              ;   in Loop: Header=BB186_4 Depth=1
	v_and_b32_e32 v7, 0x7fffffff, v6
	v_cndmask_b32_e64 v37, |v5|, v7, s[10:11]
	v_cmp_neq_f32_e32 vcc, 1.0, v37
                                        ; implicit-def: $vgpr7
                                        ; implicit-def: $vgpr35
	s_and_saveexec_b64 s[12:13], vcc
	s_xor_b64 s[26:27], exec, s[12:13]
	s_cbranch_execz .LBB186_137
; %bb.122:                              ;   in Loop: Header=BB186_4 Depth=1
	v_max_f32_e32 v7, v36, v36
	v_max_f32_e32 v35, v37, v37
	v_min_f32_e32 v38, v35, v7
	v_max_f32_e32 v7, v35, v7
	v_cmp_ngt_f32_e32 vcc, s45, v38
	v_cmp_nlt_f32_e64 s[12:13], s46, v7
	s_and_b64 s[12:13], s[12:13], vcc
                                        ; implicit-def: $vgpr7
                                        ; implicit-def: $vgpr35
	s_and_saveexec_b64 s[28:29], s[12:13]
	s_xor_b64 s[28:29], exec, s[28:29]
	s_cbranch_execz .LBB186_134
; %bb.123:                              ;   in Loop: Header=BB186_4 Depth=1
	v_cmp_le_f32_e32 vcc, 1.0, v37
                                        ; implicit-def: $vgpr7
                                        ; implicit-def: $vgpr35
	s_and_saveexec_b64 s[12:13], vcc
	s_xor_b64 s[30:31], exec, s[12:13]
	s_cbranch_execz .LBB186_125
; %bb.124:                              ;   in Loop: Header=BB186_4 Depth=1
	v_add_f32_e32 v7, -1.0, v37
	v_add_f32_e32 v35, 1.0, v37
	v_mul_f32_e32 v7, v7, v35
	v_fmac_f32_e32 v7, v36, v36
	v_add_f32_e32 v37, 1.0, v7
	v_cvt_f64_f32_e32 v[35:36], v37
	v_add_f32_e32 v38, -1.0, v37
	v_sub_f32_e32 v39, v38, v37
	v_sub_f32_e32 v38, v7, v38
	v_frexp_exp_i32_f64_e32 v35, v[35:36]
	v_frexp_mant_f32_e32 v36, v37
	v_cmp_gt_f32_e32 vcc, s47, v36
	v_add_f32_e32 v39, 1.0, v39
	v_add_f32_e32 v38, v38, v39
	v_cmp_gt_i32_e64 s[12:13], 0, v5
	v_cmp_class_f32_e64 s[34:35], v6, s51
	v_subbrev_co_u32_e32 v35, vcc, 0, v35, vcc
	v_sub_u32_e32 v36, 0, v35
	v_ldexp_f32 v37, v37, v36
	v_ldexp_f32 v36, v38, v36
	v_add_f32_e32 v38, -1.0, v37
	v_add_f32_e32 v41, 1.0, v37
	v_add_f32_e32 v39, 1.0, v38
	v_add_f32_e32 v42, -1.0, v41
	v_sub_f32_e32 v39, v37, v39
	v_sub_f32_e32 v37, v37, v42
	v_add_f32_e32 v39, v36, v39
	v_add_f32_e32 v36, v36, v37
	;; [unrolled: 1-line block ×3, first 2 shown]
	v_rcp_f32_e32 v42, v37
	v_add_f32_e32 v40, v38, v39
	v_sub_f32_e32 v38, v40, v38
	v_sub_f32_e32 v38, v39, v38
	;; [unrolled: 1-line block ×4, first 2 shown]
	v_mul_f32_e32 v39, v40, v42
	v_mul_f32_e32 v41, v37, v39
	v_fma_f32 v43, v39, v37, -v41
	v_fmac_f32_e32 v43, v39, v36
	v_add_f32_e32 v44, v41, v43
	v_sub_f32_e32 v45, v40, v44
	v_sub_f32_e32 v40, v40, v45
	;; [unrolled: 1-line block ×4, first 2 shown]
	v_add_f32_e32 v38, v38, v40
	v_sub_f32_e32 v40, v41, v43
	v_add_f32_e32 v38, v40, v38
	v_add_f32_e32 v40, v45, v38
	v_mul_f32_e32 v41, v42, v40
	v_mul_f32_e32 v43, v37, v41
	v_fma_f32 v37, v41, v37, -v43
	v_fmac_f32_e32 v37, v41, v36
	v_sub_f32_e32 v36, v45, v40
	v_add_f32_e32 v36, v38, v36
	v_add_f32_e32 v38, v43, v37
	v_sub_f32_e32 v44, v40, v38
	v_sub_f32_e32 v40, v40, v44
	;; [unrolled: 1-line block ×4, first 2 shown]
	v_add_f32_e32 v36, v36, v38
	v_sub_f32_e32 v37, v43, v37
	v_cvt_f32_i32_e32 v35, v35
	v_add_f32_e32 v36, v37, v36
	v_add_f32_e32 v37, v39, v41
	;; [unrolled: 1-line block ×3, first 2 shown]
	v_sub_f32_e32 v38, v37, v39
	v_mul_f32_e32 v36, v42, v36
	v_sub_f32_e32 v38, v41, v38
	v_add_f32_e32 v36, v38, v36
	v_mul_f32_e32 v41, 0x3f317218, v35
	v_add_f32_e32 v38, v37, v36
	v_fma_f32 v42, v35, s48, -v41
	v_mul_f32_e32 v39, v38, v38
	v_mov_b32_e32 v40, 0x3ecc95a3
	v_fmac_f32_e32 v42, 0xb102e308, v35
	v_sub_f32_e32 v35, v38, v37
	v_fmac_f32_e32 v40, 0x3e9b6dac, v39
	v_sub_f32_e32 v35, v36, v35
	v_add_f32_e32 v36, v41, v42
	v_fma_f32 v40, v39, v40, v17
	v_sub_f32_e32 v37, v36, v41
	v_ldexp_f32 v41, v38, 1
	v_mul_f32_e32 v38, v38, v39
	v_mul_f32_e32 v38, v38, v40
	v_add_f32_e32 v39, v41, v38
	v_sub_f32_e32 v40, v39, v41
	v_ldexp_f32 v35, v35, 1
	v_sub_f32_e32 v38, v38, v40
	v_add_f32_e32 v35, v35, v38
	v_add_f32_e32 v38, v39, v35
	v_sub_f32_e32 v39, v38, v39
	v_sub_f32_e32 v35, v35, v39
	v_add_f32_e32 v39, v36, v38
	v_sub_f32_e32 v40, v39, v36
	v_sub_f32_e32 v41, v39, v40
	v_sub_f32_e32 v37, v42, v37
	v_sub_f32_e32 v36, v36, v41
	v_sub_f32_e32 v38, v38, v40
	v_add_f32_e32 v36, v38, v36
	v_add_f32_e32 v38, v37, v35
	v_sub_f32_e32 v40, v38, v37
	v_sub_f32_e32 v41, v38, v40
	;; [unrolled: 1-line block ×4, first 2 shown]
	v_add_f32_e32 v36, v38, v36
	v_add_f32_e32 v35, v35, v37
	;; [unrolled: 1-line block ×3, first 2 shown]
	v_sub_f32_e32 v38, v37, v39
	v_sub_f32_e32 v36, v36, v38
	v_add_f32_e32 v35, v35, v36
	v_add_f32_e32 v35, v37, v35
	v_cmp_neq_f32_e32 vcc, s49, v7
	v_cndmask_b32_e32 v35, v24, v35, vcc
	v_cmp_ngt_f32_e32 vcc, -1.0, v7
	v_cndmask_b32_e32 v35, v25, v35, vcc
	v_cmp_neq_f32_e32 vcc, -1.0, v7
	v_cndmask_b32_e32 v35, v26, v35, vcc
	v_cmp_lt_f32_e64 vcc, |v7|, s50
	v_cndmask_b32_e32 v7, v35, v7, vcc
	v_max_f32_e64 v35, |v6|, |v6|
	v_max_f32_e64 v36, |v5|, |v5|
	v_min_f32_e32 v37, v36, v35
	v_max_f32_e32 v35, v36, v35
	v_frexp_mant_f32_e32 v36, v35
	v_rcp_f32_e32 v36, v36
	v_frexp_exp_i32_f32_e32 v35, v35
	v_frexp_exp_i32_f32_e32 v38, v37
	v_frexp_mant_f32_e32 v37, v37
	v_mul_f32_e32 v36, v37, v36
	v_sub_u32_e32 v35, v38, v35
	v_ldexp_f32 v35, v36, v35
	v_mul_f32_e32 v36, v35, v35
	v_mov_b32_e32 v37, 0xbc7a590c
	v_fmac_f32_e32 v37, 0x3b2d2a58, v36
	v_fma_f32 v37, v36, v37, v18
	v_fma_f32 v37, v36, v37, v19
	;; [unrolled: 1-line block ×6, first 2 shown]
	v_mul_f32_e32 v36, v36, v37
	v_fmac_f32_e32 v35, v35, v36
	v_sub_f32_e32 v36, 0x3fc90fdb, v35
	v_cndmask_b32_e64 v35, v35, v36, s[10:11]
	v_sub_f32_e32 v36, 0x40490fdb, v35
	v_cmp_gt_f32_e32 vcc, 0, v5
	v_cndmask_b32_e32 v35, v35, v36, vcc
	v_cndmask_b32_e64 v36, 0, v27, s[12:13]
	v_cmp_eq_f32_e64 s[12:13], 0, v6
	v_cndmask_b32_e64 v35, v35, v36, s[12:13]
	v_cmp_class_f32_e64 s[12:13], v5, s51
	v_cndmask_b32_e32 v36, v28, v29, vcc
	s_and_b64 vcc, s[34:35], s[12:13]
	v_mul_f32_e32 v7, 0.5, v7
	v_cndmask_b32_e32 v35, v35, v36, vcc
                                        ; implicit-def: $vgpr36
                                        ; implicit-def: $vgpr37
.LBB186_125:                            ;   in Loop: Header=BB186_4 Depth=1
	s_andn2_saveexec_b64 s[30:31], s[30:31]
	s_cbranch_execz .LBB186_133
; %bb.126:                              ;   in Loop: Header=BB186_4 Depth=1
	v_mul_f32_e32 v38, v36, v36
	v_fmac_f32_e32 v38, v37, v37
	v_cmp_ge_f32_e32 vcc, s52, v38
                                        ; implicit-def: $vgpr7
                                        ; implicit-def: $vgpr35
	s_and_saveexec_b64 s[12:13], vcc
	s_xor_b64 s[34:35], exec, s[12:13]
	s_cbranch_execz .LBB186_128
; %bb.127:                              ;   in Loop: Header=BB186_4 Depth=1
	v_cmp_gt_f32_e32 vcc, s53, v38
	v_cndmask_b32_e64 v7, 0, 32, vcc
	v_ldexp_f32 v7, v38, v7
	v_log_f32_e32 v7, v7
	v_cndmask_b32_e32 v35, 0, v30, vcc
	v_cmp_gt_i32_e64 s[12:13], 0, v5
	v_cmp_class_f32_e64 s[36:37], v6, s51
	v_mul_f32_e32 v36, 0x3f317217, v7
	v_fma_f32 v36, v7, s54, -v36
	v_fmac_f32_e32 v36, 0x3377d1cf, v7
	v_fmac_f32_e32 v36, 0x3f317217, v7
	v_cmp_lt_f32_e64 vcc, |v7|, s49
	v_cndmask_b32_e32 v7, v7, v36, vcc
	v_sub_f32_e32 v7, v7, v35
	v_max_f32_e64 v35, |v6|, |v6|
	v_max_f32_e64 v36, |v5|, |v5|
	v_min_f32_e32 v37, v36, v35
	v_max_f32_e32 v35, v36, v35
	v_frexp_mant_f32_e32 v36, v35
	v_rcp_f32_e32 v36, v36
	v_frexp_exp_i32_f32_e32 v35, v35
	v_frexp_exp_i32_f32_e32 v38, v37
	v_frexp_mant_f32_e32 v37, v37
	v_mul_f32_e32 v36, v37, v36
	v_sub_u32_e32 v35, v38, v35
	v_ldexp_f32 v35, v36, v35
	v_mul_f32_e32 v36, v35, v35
	v_mov_b32_e32 v37, 0xbc7a590c
	v_fmac_f32_e32 v37, 0x3b2d2a58, v36
	v_fma_f32 v37, v36, v37, v18
	v_fma_f32 v37, v36, v37, v19
	;; [unrolled: 1-line block ×6, first 2 shown]
	v_mul_f32_e32 v36, v36, v37
	v_fmac_f32_e32 v35, v35, v36
	v_sub_f32_e32 v36, 0x3fc90fdb, v35
	v_cndmask_b32_e64 v35, v35, v36, s[10:11]
	v_sub_f32_e32 v36, 0x40490fdb, v35
	v_cmp_gt_f32_e32 vcc, 0, v5
	v_cndmask_b32_e32 v35, v35, v36, vcc
	v_cndmask_b32_e64 v36, 0, v27, s[12:13]
	v_cmp_eq_f32_e64 s[12:13], 0, v6
	v_cndmask_b32_e64 v35, v35, v36, s[12:13]
	v_cmp_class_f32_e64 s[12:13], v5, s51
	v_cndmask_b32_e32 v36, v28, v29, vcc
	s_and_b64 vcc, s[36:37], s[12:13]
	v_mul_f32_e32 v7, 0.5, v7
	v_cndmask_b32_e32 v35, v35, v36, vcc
                                        ; implicit-def: $vgpr37
                                        ; implicit-def: $vgpr36
.LBB186_128:                            ;   in Loop: Header=BB186_4 Depth=1
	s_andn2_saveexec_b64 s[34:35], s[34:35]
	s_cbranch_execz .LBB186_132
; %bb.129:                              ;   in Loop: Header=BB186_4 Depth=1
	v_and_b32_e32 v38, 0x7fff0000, v37
	v_sub_f32_e32 v7, v37, v38
	v_and_b32_e32 v42, 0xffff0000, v7
	v_and_b32_e32 v37, 0x7fff0000, v36
	v_sub_f32_e32 v44, v7, v42
	v_sub_f32_e32 v7, v36, v37
	v_and_b32_e32 v43, 0xffff0000, v7
	v_add_f32_e32 v39, v38, v38
	v_add_f32_e32 v46, v37, v37
	v_sub_f32_e32 v45, v7, v43
	v_mul_f32_e32 v7, v38, v38
	v_mul_f32_e32 v35, v37, v37
	;; [unrolled: 1-line block ×6, first 2 shown]
	v_add_f32_e32 v42, v42, v42
	v_add_f32_e32 v43, v43, v43
	v_mul_f32_e32 v40, v39, v44
	v_mul_f32_e32 v39, v46, v45
	;; [unrolled: 1-line block ×6, first 2 shown]
	s_mov_b64 s[36:37], 0
.LBB186_130:                            ;   Parent Loop BB186_4 Depth=1
                                        ; =>  This Inner Loop Header: Depth=2
	v_cmp_nlt_f32_e32 vcc, v7, v35
	v_mov_b32_e32 v46, v45
	v_cndmask_b32_e32 v45, v7, v35, vcc
	v_cmp_nlt_f32_e64 s[12:13], v45, v38
	v_cndmask_b32_e64 v47, v45, v38, s[12:13]
	v_cndmask_b32_e32 v7, v35, v7, vcc
	s_and_b64 s[60:61], vcc, s[12:13]
	v_cmp_nlt_f32_e32 vcc, v47, v37
	v_cndmask_b32_e64 v35, v38, v45, s[12:13]
	v_cndmask_b32_e32 v45, v47, v37, vcc
	v_cmp_nlt_f32_e64 s[12:13], v45, v41
	v_cndmask_b32_e32 v38, v37, v47, vcc
	v_cndmask_b32_e64 v47, v45, v41, s[12:13]
	s_and_b64 s[62:63], vcc, s[12:13]
	v_cmp_nlt_f32_e32 vcc, v47, v36
	v_cndmask_b32_e64 v37, v41, v45, s[12:13]
	v_cndmask_b32_e32 v45, v47, v36, vcc
	v_cmp_nlt_f32_e64 s[12:13], v45, v40
	v_cndmask_b32_e32 v41, v36, v47, vcc
	v_cndmask_b32_e64 v47, v45, v40, s[12:13]
	v_cndmask_b32_e64 v36, v40, v45, s[12:13]
	s_and_b64 s[12:13], vcc, s[12:13]
	v_cmp_nlt_f32_e32 vcc, v47, v39
	v_cndmask_b32_e32 v45, v47, v39, vcc
	v_cndmask_b32_e32 v40, v39, v47, vcc
	s_and_b64 s[12:13], s[12:13], vcc
	v_cmp_nlt_f32_e32 vcc, v45, v42
	v_cndmask_b32_e32 v47, v45, v42, vcc
	v_cndmask_b32_e32 v39, v42, v45, vcc
	s_and_b64 s[12:13], s[12:13], vcc
	v_cmp_nlt_f32_e32 vcc, v47, v43
	v_cndmask_b32_e32 v45, v47, v43, vcc
	v_cndmask_b32_e32 v42, v43, v47, vcc
	s_and_b64 s[12:13], s[12:13], vcc
	v_cmp_nlt_f32_e32 vcc, v45, v44
	v_cndmask_b32_e32 v47, v45, v44, vcc
	v_cndmask_b32_e32 v43, v44, v45, vcc
	s_and_b64 s[12:13], s[12:13], vcc
	v_cmp_nlt_f32_e32 vcc, v47, v46
	s_and_b64 s[12:13], s[12:13], vcc
	s_and_b64 s[12:13], s[12:13], s[62:63]
	s_and_b64 s[12:13], s[12:13], s[60:61]
	s_and_b64 s[12:13], exec, s[12:13]
	v_cndmask_b32_e32 v45, v47, v46, vcc
	s_or_b64 s[36:37], s[12:13], s[36:37]
	v_cndmask_b32_e32 v44, v46, v47, vcc
	s_andn2_b64 exec, exec, s[36:37]
	s_cbranch_execnz .LBB186_130
; %bb.131:                              ;   in Loop: Header=BB186_4 Depth=1
	s_or_b64 exec, exec, s[36:37]
	v_add_f32_e32 v7, -1.0, v7
	v_add_f32_e32 v7, v7, v35
	v_add_f32_e32 v7, v7, v38
	;; [unrolled: 1-line block ×11, first 2 shown]
	v_add_f32_e32 v37, 1.0, v7
	v_cvt_f64_f32_e32 v[35:36], v37
	v_add_f32_e32 v38, -1.0, v37
	v_sub_f32_e32 v39, v38, v37
	v_sub_f32_e32 v38, v7, v38
	v_frexp_exp_i32_f64_e32 v35, v[35:36]
	v_frexp_mant_f32_e32 v36, v37
	v_cmp_gt_f32_e32 vcc, s47, v36
	v_add_f32_e32 v39, 1.0, v39
	v_add_f32_e32 v38, v38, v39
	v_cmp_gt_i32_e64 s[12:13], 0, v5
	v_cmp_class_f32_e64 s[36:37], v6, s51
	v_subbrev_co_u32_e32 v35, vcc, 0, v35, vcc
	v_sub_u32_e32 v36, 0, v35
	v_ldexp_f32 v37, v37, v36
	v_ldexp_f32 v36, v38, v36
	v_add_f32_e32 v38, -1.0, v37
	v_add_f32_e32 v39, 1.0, v37
	v_add_f32_e32 v40, 1.0, v38
	v_add_f32_e32 v42, -1.0, v39
	v_sub_f32_e32 v40, v37, v40
	v_sub_f32_e32 v37, v37, v42
	v_add_f32_e32 v40, v36, v40
	v_add_f32_e32 v36, v36, v37
	;; [unrolled: 1-line block ×3, first 2 shown]
	v_rcp_f32_e32 v42, v37
	v_add_f32_e32 v41, v38, v40
	v_sub_f32_e32 v39, v37, v39
	v_sub_f32_e32 v38, v41, v38
	;; [unrolled: 1-line block ×3, first 2 shown]
	v_mul_f32_e32 v39, v41, v42
	v_sub_f32_e32 v38, v40, v38
	v_mul_f32_e32 v40, v37, v39
	v_fma_f32 v43, v39, v37, -v40
	v_fmac_f32_e32 v43, v39, v36
	v_add_f32_e32 v44, v40, v43
	v_sub_f32_e32 v45, v41, v44
	v_sub_f32_e32 v41, v41, v45
	;; [unrolled: 1-line block ×4, first 2 shown]
	v_add_f32_e32 v38, v38, v41
	v_sub_f32_e32 v40, v40, v43
	v_add_f32_e32 v38, v40, v38
	v_add_f32_e32 v40, v45, v38
	v_mul_f32_e32 v41, v42, v40
	v_mul_f32_e32 v43, v37, v41
	v_fma_f32 v37, v41, v37, -v43
	v_fmac_f32_e32 v37, v41, v36
	v_sub_f32_e32 v36, v45, v40
	v_add_f32_e32 v36, v38, v36
	v_add_f32_e32 v38, v43, v37
	v_sub_f32_e32 v44, v40, v38
	v_sub_f32_e32 v40, v40, v44
	;; [unrolled: 1-line block ×4, first 2 shown]
	v_add_f32_e32 v36, v36, v38
	v_sub_f32_e32 v37, v43, v37
	v_cvt_f32_i32_e32 v35, v35
	v_add_f32_e32 v36, v37, v36
	v_add_f32_e32 v37, v39, v41
	;; [unrolled: 1-line block ×3, first 2 shown]
	v_sub_f32_e32 v38, v37, v39
	v_mul_f32_e32 v36, v42, v36
	v_sub_f32_e32 v38, v41, v38
	v_add_f32_e32 v36, v38, v36
	v_mul_f32_e32 v41, 0x3f317218, v35
	v_add_f32_e32 v38, v37, v36
	v_fma_f32 v42, v35, s48, -v41
	v_mul_f32_e32 v39, v38, v38
	v_mov_b32_e32 v40, 0x3ecc95a3
	v_fmac_f32_e32 v42, 0xb102e308, v35
	v_sub_f32_e32 v35, v38, v37
	v_fmac_f32_e32 v40, 0x3e9b6dac, v39
	v_sub_f32_e32 v35, v36, v35
	v_add_f32_e32 v36, v41, v42
	v_fma_f32 v40, v39, v40, v17
	v_sub_f32_e32 v37, v36, v41
	v_ldexp_f32 v41, v38, 1
	v_mul_f32_e32 v38, v38, v39
	v_mul_f32_e32 v38, v38, v40
	v_add_f32_e32 v39, v41, v38
	v_sub_f32_e32 v40, v39, v41
	v_ldexp_f32 v35, v35, 1
	v_sub_f32_e32 v38, v38, v40
	v_add_f32_e32 v35, v35, v38
	v_add_f32_e32 v38, v39, v35
	v_sub_f32_e32 v39, v38, v39
	v_sub_f32_e32 v35, v35, v39
	v_add_f32_e32 v39, v36, v38
	v_sub_f32_e32 v40, v39, v36
	v_sub_f32_e32 v41, v39, v40
	;; [unrolled: 1-line block ×5, first 2 shown]
	v_add_f32_e32 v36, v38, v36
	v_add_f32_e32 v38, v37, v35
	v_sub_f32_e32 v40, v38, v37
	v_sub_f32_e32 v41, v38, v40
	;; [unrolled: 1-line block ×4, first 2 shown]
	v_add_f32_e32 v36, v38, v36
	v_add_f32_e32 v35, v35, v37
	;; [unrolled: 1-line block ×3, first 2 shown]
	v_sub_f32_e32 v38, v37, v39
	v_sub_f32_e32 v36, v36, v38
	v_add_f32_e32 v35, v35, v36
	v_add_f32_e32 v35, v37, v35
	v_cmp_neq_f32_e32 vcc, s49, v7
	v_cndmask_b32_e32 v35, v24, v35, vcc
	v_cmp_ngt_f32_e32 vcc, -1.0, v7
	v_cndmask_b32_e32 v35, v25, v35, vcc
	v_cmp_neq_f32_e32 vcc, -1.0, v7
	v_cndmask_b32_e32 v35, v26, v35, vcc
	v_cmp_lt_f32_e64 vcc, |v7|, s50
	v_cndmask_b32_e32 v7, v35, v7, vcc
	v_max_f32_e64 v35, |v6|, |v6|
	v_max_f32_e64 v36, |v5|, |v5|
	v_min_f32_e32 v37, v36, v35
	v_max_f32_e32 v35, v36, v35
	v_frexp_mant_f32_e32 v36, v35
	v_rcp_f32_e32 v36, v36
	v_frexp_exp_i32_f32_e32 v35, v35
	v_frexp_exp_i32_f32_e32 v38, v37
	v_frexp_mant_f32_e32 v37, v37
	v_mul_f32_e32 v36, v37, v36
	v_sub_u32_e32 v35, v38, v35
	v_ldexp_f32 v35, v36, v35
	v_mul_f32_e32 v36, v35, v35
	v_mov_b32_e32 v37, 0xbc7a590c
	v_fmac_f32_e32 v37, 0x3b2d2a58, v36
	v_fma_f32 v37, v36, v37, v18
	v_fma_f32 v37, v36, v37, v19
	v_fma_f32 v37, v36, v37, v20
	v_fma_f32 v37, v36, v37, v21
	v_fma_f32 v37, v36, v37, v22
	v_fma_f32 v37, v36, v37, v23
	v_mul_f32_e32 v36, v36, v37
	v_fmac_f32_e32 v35, v35, v36
	v_sub_f32_e32 v36, 0x3fc90fdb, v35
	v_cndmask_b32_e64 v35, v35, v36, s[10:11]
	v_sub_f32_e32 v36, 0x40490fdb, v35
	v_cmp_gt_f32_e32 vcc, 0, v5
	v_cndmask_b32_e32 v35, v35, v36, vcc
	v_cndmask_b32_e64 v36, 0, v27, s[12:13]
	v_cmp_eq_f32_e64 s[12:13], 0, v6
	v_cndmask_b32_e64 v35, v35, v36, s[12:13]
	v_cmp_class_f32_e64 s[12:13], v5, s51
	v_cndmask_b32_e32 v36, v28, v29, vcc
	s_and_b64 vcc, s[36:37], s[12:13]
	v_mul_f32_e32 v7, 0.5, v7
	v_cndmask_b32_e32 v35, v35, v36, vcc
.LBB186_132:                            ;   in Loop: Header=BB186_4 Depth=1
	s_or_b64 exec, exec, s[34:35]
.LBB186_133:                            ;   in Loop: Header=BB186_4 Depth=1
	s_or_b64 exec, exec, s[30:31]
.LBB186_134:                            ;   in Loop: Header=BB186_4 Depth=1
	s_andn2_saveexec_b64 s[28:29], s[28:29]
	s_cbranch_execz .LBB186_136
; %bb.135:                              ;   in Loop: Header=BB186_4 Depth=1
	v_max_f32_e64 v7, |v6|, |v6|
	v_max_f32_e64 v37, |v5|, |v5|
	v_max_f32_e32 v38, v37, v7
	v_cvt_f64_f32_e32 v[35:36], v38
	v_min_f32_e32 v7, v37, v7
	v_frexp_mant_f32_e32 v37, v38
	v_rcp_f32_e32 v37, v37
	v_frexp_exp_i32_f64_e32 v35, v[35:36]
	v_cmp_neq_f32_e32 vcc, s49, v38
	v_frexp_exp_i32_f32_e32 v39, v7
	v_frexp_mant_f32_e32 v7, v7
	v_mul_f32_e32 v7, v7, v37
	v_frexp_exp_i32_f32_e32 v36, v38
	v_sub_u32_e32 v36, v39, v36
	v_ldexp_f32 v36, v7, v36
	v_sub_u32_e32 v40, 0, v35
	v_ldexp_f32 v41, |v5|, v40
	v_ldexp_f32 v40, |v6|, v40
	v_mul_f32_e32 v40, v40, v40
	v_fmac_f32_e32 v40, v41, v41
	v_sqrt_f32_e32 v40, v40
	v_cmp_gt_i32_e64 s[12:13], 0, v5
	v_cmp_class_f32_e64 s[30:31], v6, s51
	v_ldexp_f32 v35, v40, v35
	v_cndmask_b32_e32 v35, v24, v35, vcc
	v_cmp_gt_f32_e32 vcc, s53, v35
	v_cndmask_b32_e64 v37, 0, 32, vcc
	v_ldexp_f32 v35, v35, v37
	v_log_f32_e32 v35, v35
	v_cndmask_b32_e32 v7, 0, v30, vcc
	v_mul_f32_e32 v37, v36, v36
	v_mul_f32_e32 v38, 0x3f317217, v35
	v_fma_f32 v38, v35, s54, -v38
	v_fmac_f32_e32 v38, 0x3377d1cf, v35
	v_fmac_f32_e32 v38, 0x3f317217, v35
	v_cmp_lt_f32_e64 vcc, |v35|, s49
	v_cndmask_b32_e32 v35, v35, v38, vcc
	v_sub_f32_e32 v7, v35, v7
	v_mov_b32_e32 v35, 0xbc7a590c
	v_fmac_f32_e32 v35, 0x3b2d2a58, v37
	v_fma_f32 v35, v37, v35, v18
	v_fma_f32 v35, v37, v35, v19
	;; [unrolled: 1-line block ×6, first 2 shown]
	v_mul_f32_e32 v35, v37, v35
	v_fmac_f32_e32 v36, v36, v35
	v_sub_f32_e32 v35, 0x3fc90fdb, v36
	v_cndmask_b32_e64 v35, v36, v35, s[10:11]
	v_sub_f32_e32 v36, 0x40490fdb, v35
	v_cmp_gt_f32_e32 vcc, 0, v5
	v_cndmask_b32_e32 v35, v35, v36, vcc
	v_cndmask_b32_e64 v36, 0, v27, s[12:13]
	v_cmp_eq_f32_e64 s[12:13], 0, v6
	v_cndmask_b32_e64 v35, v35, v36, s[12:13]
	v_cmp_class_f32_e64 s[12:13], v5, s51
	v_cndmask_b32_e32 v36, v28, v29, vcc
	s_and_b64 vcc, s[30:31], s[12:13]
	v_cndmask_b32_e32 v35, v35, v36, vcc
.LBB186_136:                            ;   in Loop: Header=BB186_4 Depth=1
	s_or_b64 exec, exec, s[28:29]
                                        ; implicit-def: $vgpr36
.LBB186_137:                            ;   in Loop: Header=BB186_4 Depth=1
	s_andn2_saveexec_b64 s[26:27], s[26:27]
	s_cbranch_execz .LBB186_143
; %bb.138:                              ;   in Loop: Header=BB186_4 Depth=1
	v_cmp_ngt_f32_e32 vcc, s55, v36
                                        ; implicit-def: $vgpr7
                                        ; implicit-def: $vgpr35
	s_and_saveexec_b64 s[12:13], vcc
	s_xor_b64 s[28:29], exec, s[12:13]
	s_cbranch_execz .LBB186_140
; %bb.139:                              ;   in Loop: Header=BB186_4 Depth=1
	v_mul_f32_e32 v7, v36, v36
	v_add_f32_e32 v37, 1.0, v7
	v_cvt_f64_f32_e32 v[35:36], v37
	v_add_f32_e32 v38, -1.0, v37
	v_sub_f32_e32 v39, v38, v37
	v_sub_f32_e32 v38, v7, v38
	v_frexp_exp_i32_f64_e32 v35, v[35:36]
	v_frexp_mant_f32_e32 v36, v37
	v_cmp_gt_f32_e32 vcc, s47, v36
	v_add_f32_e32 v39, 1.0, v39
	v_add_f32_e32 v38, v38, v39
	v_cmp_gt_i32_e64 s[12:13], 0, v5
	v_cmp_class_f32_e64 s[30:31], v6, s51
	v_subbrev_co_u32_e32 v35, vcc, 0, v35, vcc
	v_sub_u32_e32 v36, 0, v35
	v_ldexp_f32 v37, v37, v36
	v_ldexp_f32 v36, v38, v36
	v_add_f32_e32 v38, -1.0, v37
	v_add_f32_e32 v39, 1.0, v37
	v_add_f32_e32 v40, 1.0, v38
	v_add_f32_e32 v42, -1.0, v39
	v_sub_f32_e32 v40, v37, v40
	v_sub_f32_e32 v37, v37, v42
	v_add_f32_e32 v40, v36, v40
	v_add_f32_e32 v36, v36, v37
	v_add_f32_e32 v37, v39, v36
	v_rcp_f32_e32 v42, v37
	v_add_f32_e32 v41, v38, v40
	v_sub_f32_e32 v39, v39, v37
	v_sub_f32_e32 v38, v38, v41
	v_add_f32_e32 v36, v36, v39
	v_mul_f32_e32 v39, v41, v42
	v_add_f32_e32 v38, v40, v38
	v_mul_f32_e32 v40, v37, v39
	v_fma_f32 v43, v39, v37, -v40
	v_fmac_f32_e32 v43, v39, v36
	v_add_f32_e32 v44, v40, v43
	v_sub_f32_e32 v45, v41, v44
	v_sub_f32_e32 v41, v41, v45
	;; [unrolled: 1-line block ×4, first 2 shown]
	v_add_f32_e32 v38, v38, v41
	v_sub_f32_e32 v40, v40, v43
	v_add_f32_e32 v38, v40, v38
	v_add_f32_e32 v40, v45, v38
	v_mul_f32_e32 v41, v42, v40
	v_mul_f32_e32 v43, v37, v41
	v_fma_f32 v37, v41, v37, -v43
	v_fmac_f32_e32 v37, v41, v36
	v_sub_f32_e32 v36, v45, v40
	v_add_f32_e32 v36, v38, v36
	v_add_f32_e32 v38, v43, v37
	v_sub_f32_e32 v44, v40, v38
	v_sub_f32_e32 v40, v40, v44
	;; [unrolled: 1-line block ×4, first 2 shown]
	v_add_f32_e32 v36, v36, v38
	v_sub_f32_e32 v37, v43, v37
	v_cvt_f32_i32_e32 v35, v35
	v_add_f32_e32 v36, v37, v36
	v_add_f32_e32 v37, v39, v41
	;; [unrolled: 1-line block ×3, first 2 shown]
	v_sub_f32_e32 v38, v37, v39
	v_mul_f32_e32 v36, v42, v36
	v_sub_f32_e32 v38, v41, v38
	v_add_f32_e32 v36, v38, v36
	v_mul_f32_e32 v41, 0x3f317218, v35
	v_add_f32_e32 v38, v37, v36
	v_fma_f32 v42, v35, s48, -v41
	v_mul_f32_e32 v39, v38, v38
	v_mov_b32_e32 v40, 0x3ecc95a3
	v_fmac_f32_e32 v42, 0xb102e308, v35
	v_sub_f32_e32 v35, v38, v37
	v_fmac_f32_e32 v40, 0x3e9b6dac, v39
	v_sub_f32_e32 v35, v36, v35
	v_add_f32_e32 v36, v41, v42
	v_fma_f32 v40, v39, v40, v17
	v_sub_f32_e32 v37, v36, v41
	v_ldexp_f32 v41, v38, 1
	v_mul_f32_e32 v38, v38, v39
	v_mul_f32_e32 v38, v38, v40
	v_add_f32_e32 v39, v41, v38
	v_sub_f32_e32 v40, v39, v41
	v_ldexp_f32 v35, v35, 1
	v_sub_f32_e32 v38, v38, v40
	v_add_f32_e32 v35, v35, v38
	v_add_f32_e32 v38, v39, v35
	v_sub_f32_e32 v39, v38, v39
	v_sub_f32_e32 v35, v35, v39
	v_add_f32_e32 v39, v36, v38
	v_sub_f32_e32 v40, v39, v36
	v_sub_f32_e32 v41, v39, v40
	;; [unrolled: 1-line block ×5, first 2 shown]
	v_add_f32_e32 v36, v38, v36
	v_add_f32_e32 v38, v37, v35
	v_sub_f32_e32 v40, v38, v37
	v_sub_f32_e32 v41, v38, v40
	;; [unrolled: 1-line block ×4, first 2 shown]
	v_add_f32_e32 v36, v38, v36
	v_add_f32_e32 v35, v35, v37
	;; [unrolled: 1-line block ×3, first 2 shown]
	v_sub_f32_e32 v38, v37, v39
	v_sub_f32_e32 v36, v36, v38
	v_add_f32_e32 v35, v35, v36
	v_add_f32_e32 v35, v37, v35
	v_cmp_neq_f32_e32 vcc, s49, v7
	v_cndmask_b32_e32 v35, v24, v35, vcc
	v_cmp_lt_f32_e64 vcc, |v7|, s50
	v_cndmask_b32_e32 v7, v35, v7, vcc
	v_max_f32_e64 v35, |v6|, |v6|
	v_max_f32_e64 v36, |v5|, |v5|
	v_min_f32_e32 v37, v36, v35
	v_max_f32_e32 v35, v36, v35
	v_frexp_mant_f32_e32 v36, v35
	v_rcp_f32_e32 v36, v36
	v_frexp_exp_i32_f32_e32 v35, v35
	v_frexp_exp_i32_f32_e32 v38, v37
	v_frexp_mant_f32_e32 v37, v37
	v_mul_f32_e32 v36, v37, v36
	v_sub_u32_e32 v35, v38, v35
	v_ldexp_f32 v35, v36, v35
	v_mul_f32_e32 v36, v35, v35
	v_mov_b32_e32 v37, 0xbc7a590c
	v_fmac_f32_e32 v37, 0x3b2d2a58, v36
	v_fma_f32 v37, v36, v37, v18
	v_fma_f32 v37, v36, v37, v19
	;; [unrolled: 1-line block ×6, first 2 shown]
	v_mul_f32_e32 v36, v36, v37
	v_fmac_f32_e32 v35, v35, v36
	v_sub_f32_e32 v36, 0x3fc90fdb, v35
	v_cndmask_b32_e64 v35, v35, v36, s[10:11]
	v_sub_f32_e32 v36, 0x40490fdb, v35
	v_cmp_gt_f32_e32 vcc, 0, v5
	v_cndmask_b32_e32 v35, v35, v36, vcc
	v_cndmask_b32_e64 v36, 0, v27, s[12:13]
	v_cmp_eq_f32_e64 s[12:13], 0, v6
	v_cndmask_b32_e64 v35, v35, v36, s[12:13]
	v_cmp_class_f32_e64 s[12:13], v5, s51
	v_cndmask_b32_e32 v36, v28, v29, vcc
	s_and_b64 vcc, s[30:31], s[12:13]
	v_mul_f32_e32 v7, 0.5, v7
	v_cndmask_b32_e32 v35, v35, v36, vcc
                                        ; implicit-def: $vgpr36
.LBB186_140:                            ;   in Loop: Header=BB186_4 Depth=1
	s_andn2_saveexec_b64 s[28:29], s[28:29]
	s_cbranch_execz .LBB186_142
; %bb.141:                              ;   in Loop: Header=BB186_4 Depth=1
	v_mul_f32_e32 v7, 0.5, v36
	v_mul_f32_e32 v7, v36, v7
	v_max_f32_e64 v35, |v6|, |v6|
	v_max_f32_e64 v36, |v5|, |v5|
	v_min_f32_e32 v37, v36, v35
	v_max_f32_e32 v35, v36, v35
	v_frexp_mant_f32_e32 v36, v35
	v_rcp_f32_e32 v36, v36
	v_frexp_exp_i32_f32_e32 v35, v35
	v_frexp_exp_i32_f32_e32 v38, v37
	v_frexp_mant_f32_e32 v37, v37
	v_mul_f32_e32 v36, v37, v36
	v_sub_u32_e32 v35, v38, v35
	v_ldexp_f32 v35, v36, v35
	v_mul_f32_e32 v36, v35, v35
	v_mov_b32_e32 v37, 0xbc7a590c
	v_fmac_f32_e32 v37, 0x3b2d2a58, v36
	v_fma_f32 v37, v36, v37, v18
	v_fma_f32 v37, v36, v37, v19
	;; [unrolled: 1-line block ×6, first 2 shown]
	v_mul_f32_e32 v36, v36, v37
	v_fmac_f32_e32 v35, v35, v36
	v_sub_f32_e32 v36, 0x3fc90fdb, v35
	v_cndmask_b32_e64 v35, v35, v36, s[10:11]
	v_sub_f32_e32 v36, 0x40490fdb, v35
	v_cmp_gt_f32_e32 vcc, 0, v5
	v_cmp_gt_i32_e64 s[12:13], 0, v5
	v_cndmask_b32_e32 v35, v35, v36, vcc
	v_cndmask_b32_e64 v36, 0, v27, s[12:13]
	v_cmp_eq_f32_e64 s[12:13], 0, v6
	v_cndmask_b32_e64 v35, v35, v36, s[12:13]
	v_cmp_class_f32_e64 s[12:13], v5, s51
	v_cmp_class_f32_e64 s[30:31], v6, s51
	v_cndmask_b32_e32 v36, v28, v29, vcc
	s_and_b64 vcc, s[30:31], s[12:13]
	v_cndmask_b32_e32 v35, v35, v36, vcc
.LBB186_142:                            ;   in Loop: Header=BB186_4 Depth=1
	s_or_b64 exec, exec, s[28:29]
.LBB186_143:                            ;   in Loop: Header=BB186_4 Depth=1
	s_or_b64 exec, exec, s[26:27]
.LBB186_144:                            ;   in Loop: Header=BB186_4 Depth=1
	s_andn2_saveexec_b64 s[24:25], s[24:25]
	s_cbranch_execz .LBB186_146
; %bb.145:                              ;   in Loop: Header=BB186_4 Depth=1
	v_div_scale_f32 v7, s[12:13], s56, s56, v5
	v_div_scale_f32 v35, s[12:13], s56, s56, v6
	v_div_scale_f32 v36, vcc, v5, s56, v5
	v_div_scale_f32 v37, s[12:13], v6, s56, v6
	v_rcp_f32_e32 v38, v7
	v_rcp_f32_e32 v39, v35
	v_fma_f32 v40, -v7, v38, 1.0
	v_fmac_f32_e32 v38, v40, v38
	v_fma_f32 v41, -v35, v39, 1.0
	v_fmac_f32_e32 v39, v41, v39
	v_mul_f32_e32 v40, v36, v38
	v_mul_f32_e32 v41, v37, v39
	v_fma_f32 v42, -v7, v40, v36
	v_fma_f32 v43, -v35, v41, v37
	v_fmac_f32_e32 v40, v42, v38
	v_fmac_f32_e32 v41, v43, v39
	v_fma_f32 v7, -v7, v40, v36
	v_fma_f32 v35, -v35, v41, v37
	v_div_fmas_f32 v7, v7, v38, v40
	s_mov_b64 vcc, s[12:13]
	v_div_fmas_f32 v35, v35, v39, v41
	v_max_f32_e64 v36, |v6|, |v6|
	v_max_f32_e64 v37, |v5|, |v5|
	v_min_f32_e32 v39, v37, v36
	v_max_f32_e32 v36, v37, v36
	v_frexp_exp_i32_f32_e32 v37, v36
	v_frexp_exp_i32_f32_e32 v40, v39
	v_sub_u32_e32 v37, v40, v37
	v_frexp_mant_f32_e32 v36, v36
	v_rcp_f32_e32 v41, v36
	v_frexp_mant_f32_e32 v39, v39
	v_mov_b32_e32 v38, 0xbc7a590c
	v_cmp_class_f32_e64 s[12:13], v6, s51
	v_mul_f32_e32 v39, v39, v41
	v_div_fixup_f32 v7, v7, s56, v5
	v_ldexp_f32 v37, v39, v37
	v_div_fixup_f32 v40, v35, s56, v6
	v_max_f32_e64 v42, |v7|, |v40|
	v_cvt_f64_f32_e32 v[35:36], v42
	v_mul_f32_e32 v39, v37, v37
	v_fmac_f32_e32 v38, 0x3b2d2a58, v39
	v_cmp_neq_f32_e32 vcc, s49, v42
	v_frexp_exp_i32_f64_e32 v35, v[35:36]
	v_fma_f32 v36, v39, v38, v18
	v_fma_f32 v36, v39, v36, v19
	;; [unrolled: 1-line block ×6, first 2 shown]
	v_mul_f32_e32 v36, v39, v36
	v_sub_u32_e32 v38, 0, v35
	v_ldexp_f32 v7, |v7|, v38
	v_ldexp_f32 v38, |v40|, v38
	v_mul_f32_e32 v38, v38, v38
	v_fmac_f32_e32 v38, v7, v7
	v_sqrt_f32_e32 v7, v38
	v_fmac_f32_e32 v37, v37, v36
	v_sub_f32_e32 v36, 0x3fc90fdb, v37
	v_ldexp_f32 v7, v7, v35
	v_cndmask_b32_e32 v7, v24, v7, vcc
	v_cmp_gt_f32_e32 vcc, s53, v7
	v_cndmask_b32_e64 v35, 0, 32, vcc
	v_ldexp_f32 v7, v7, v35
	v_log_f32_e32 v7, v7
	v_cndmask_b32_e64 v35, v37, v36, s[10:11]
	v_cndmask_b32_e32 v37, 0, v30, vcc
	v_sub_f32_e32 v36, 0x40490fdb, v35
	v_mul_f32_e32 v38, 0x3f317217, v7
	v_fma_f32 v38, v7, s54, -v38
	v_fmac_f32_e32 v38, 0x3377d1cf, v7
	v_fmac_f32_e32 v38, 0x3f317217, v7
	v_cmp_lt_f32_e64 vcc, |v7|, s49
	v_cndmask_b32_e32 v7, v7, v38, vcc
	v_cmp_gt_f32_e32 vcc, 0, v5
	v_cmp_gt_i32_e64 s[10:11], 0, v5
	v_cndmask_b32_e32 v35, v35, v36, vcc
	v_cndmask_b32_e64 v36, 0, v27, s[10:11]
	v_cmp_eq_f32_e64 s[10:11], 0, v6
	v_cndmask_b32_e64 v35, v35, v36, s[10:11]
	v_cmp_class_f32_e64 s[10:11], v5, s51
	v_sub_f32_e32 v7, v7, v37
	v_cndmask_b32_e32 v36, v28, v29, vcc
	s_and_b64 vcc, s[12:13], s[10:11]
	v_add_f32_e32 v7, 1.0, v7
	v_cndmask_b32_e32 v35, v35, v36, vcc
.LBB186_146:                            ;   in Loop: Header=BB186_4 Depth=1
	s_or_b64 exec, exec, s[24:25]
	s_andn2_saveexec_b64 s[10:11], s[22:23]
	s_cbranch_execz .LBB186_116
.LBB186_147:                            ;   in Loop: Header=BB186_4 Depth=1
	v_cmp_nlt_f32_e64 s[12:13], |v5|, s57
	v_cmp_nlt_f32_e64 s[22:23], |v6|, s57
	s_or_b64 s[12:13], s[22:23], s[12:13]
                                        ; implicit-def: $vgpr7
	s_and_saveexec_b64 s[22:23], s[12:13]
	s_xor_b64 s[12:13], exec, s[22:23]
; %bb.148:                              ;   in Loop: Header=BB186_4 Depth=1
	v_mul_f32_e32 v7, v5, v5
	v_fmac_f32_e32 v7, v6, v6
; %bb.149:                              ;   in Loop: Header=BB186_4 Depth=1
	s_andn2_saveexec_b64 s[12:13], s[12:13]
; %bb.150:                              ;   in Loop: Header=BB186_4 Depth=1
	v_mul_f32_e32 v5, 4.0, v5
	v_mul_f32_e32 v7, 4.0, v6
	v_mul_f32_e32 v5, v5, v5
	v_fmac_f32_e32 v5, v7, v7
	v_mul_f32_e32 v7, 0x3d800000, v5
; %bb.151:                              ;   in Loop: Header=BB186_4 Depth=1
	s_or_b64 exec, exec, s[12:13]
	v_cmp_gt_f32_e32 vcc, s53, v7
	v_cndmask_b32_e64 v5, 0, 32, vcc
	v_ldexp_f32 v5, v7, v5
	v_log_f32_e32 v5, v5
	v_cndmask_b32_e32 v7, 0, v30, vcc
	v_mul_f32_e32 v35, 0x3f317217, v5
	v_fma_f32 v35, v5, s54, -v35
	v_fmac_f32_e32 v35, 0x3377d1cf, v5
	v_fmac_f32_e32 v35, 0x3f317217, v5
	v_cmp_lt_f32_e64 vcc, |v5|, s49
	v_cndmask_b32_e32 v5, v5, v35, vcc
	v_sub_f32_e32 v7, v5, v7
	v_mov_b32_e32 v35, 0x7fc00000
	s_or_b64 exec, exec, s[10:11]
	s_and_saveexec_b64 s[10:11], s[8:9]
	s_xor_b64 s[10:11], exec, s[10:11]
	s_cbranch_execz .LBB186_117
.LBB186_152:                            ;   in Loop: Header=BB186_4 Depth=1
	v_bfi_b32 v5, s43, v32, v16
	v_div_scale_f32 v16, s[8:9], s58, s58, v31
	v_div_scale_f32 v32, s[8:9], s58, s58, v5
	v_div_scale_f32 v36, vcc, v31, s58, v31
	v_div_scale_f32 v37, s[8:9], v5, s58, v5
	v_rcp_f32_e32 v38, v16
	v_rcp_f32_e32 v39, v32
	v_fma_f32 v40, -v16, v38, 1.0
	v_fmac_f32_e32 v38, v40, v38
	v_fma_f32 v40, -v32, v39, 1.0
	v_mul_f32_e32 v41, v36, v38
	v_fmac_f32_e32 v39, v40, v39
	v_fma_f32 v40, -v16, v41, v36
	v_mul_f32_e32 v42, v37, v39
	v_fmac_f32_e32 v41, v40, v38
	v_fma_f32 v40, -v32, v42, v37
	v_fma_f32 v16, -v16, v41, v36
	v_fmac_f32_e32 v42, v40, v39
	v_div_fmas_f32 v16, v16, v38, v41
	v_fma_f32 v32, -v32, v42, v37
	s_mov_b64 vcc, s[8:9]
	v_div_fmas_f32 v32, v32, v39, v42
	v_mov_b32_e32 v36, s38
	v_add_co_u32_e32 v11, vcc, s33, v11
	v_addc_co_u32_e32 v12, vcc, v36, v12, vcc
	v_div_fixup_f32 v31, v16, s58, v31
	v_div_fixup_f32 v32, v32, s58, v5
	global_store_dwordx2 v[11:12], v[31:32], off
	s_or_b64 exec, exec, s[10:11]
	s_and_saveexec_b64 s[8:9], s[6:7]
	s_cbranch_execz .LBB186_118
.LBB186_153:                            ;   in Loop: Header=BB186_4 Depth=1
	v_bfi_b32 v5, s43, v33, v14
	v_div_scale_f32 v11, s[6:7], s58, s58, v15
	v_div_scale_f32 v12, s[6:7], s58, s58, v5
	v_div_scale_f32 v14, vcc, v15, s58, v15
	v_div_scale_f32 v16, s[6:7], v5, s58, v5
	v_rcp_f32_e32 v31, v11
	v_rcp_f32_e32 v32, v12
	v_fma_f32 v33, -v11, v31, 1.0
	v_fmac_f32_e32 v31, v33, v31
	v_fma_f32 v33, -v12, v32, 1.0
	v_mul_f32_e32 v36, v14, v31
	v_fmac_f32_e32 v32, v33, v32
	v_fma_f32 v33, -v11, v36, v14
	v_mul_f32_e32 v37, v16, v32
	v_fmac_f32_e32 v36, v33, v31
	v_fma_f32 v33, -v12, v37, v16
	v_fma_f32 v11, -v11, v36, v14
	v_fmac_f32_e32 v37, v33, v32
	v_div_fmas_f32 v11, v11, v31, v36
	v_fma_f32 v12, -v12, v37, v16
	s_mov_b64 vcc, s[6:7]
	v_div_fmas_f32 v12, v12, v32, v37
	v_mov_b32_e32 v14, s38
	v_add_co_u32_e32 v9, vcc, s33, v9
	v_addc_co_u32_e32 v10, vcc, v14, v10, vcc
	v_div_fixup_f32 v11, v11, s58, v15
	v_div_fixup_f32 v12, v12, s58, v5
	global_store_dwordx2 v[9:10], v[11:12], off
	s_or_b64 exec, exec, s[8:9]
	s_and_saveexec_b64 s[6:7], s[2:3]
	s_cbranch_execz .LBB186_119
.LBB186_154:                            ;   in Loop: Header=BB186_4 Depth=1
	v_bfi_b32 v5, s43, v34, v8
	v_div_scale_f32 v8, s[2:3], s58, s58, v13
	v_div_scale_f32 v9, s[2:3], s58, s58, v5
	v_div_scale_f32 v10, vcc, v13, s58, v13
	v_div_scale_f32 v11, s[2:3], v5, s58, v5
	v_rcp_f32_e32 v12, v8
	v_rcp_f32_e32 v14, v9
	v_fma_f32 v15, -v8, v12, 1.0
	v_fmac_f32_e32 v12, v15, v12
	v_fma_f32 v15, -v9, v14, 1.0
	v_mul_f32_e32 v16, v10, v12
	v_fmac_f32_e32 v14, v15, v14
	v_fma_f32 v15, -v8, v16, v10
	v_mul_f32_e32 v31, v11, v14
	v_fmac_f32_e32 v16, v15, v12
	v_fma_f32 v15, -v9, v31, v11
	v_fma_f32 v8, -v8, v16, v10
	v_fmac_f32_e32 v31, v15, v14
	v_div_fmas_f32 v8, v8, v12, v16
	v_fma_f32 v9, -v9, v31, v11
	s_mov_b64 vcc, s[2:3]
	v_div_fmas_f32 v9, v9, v14, v31
	v_mov_b32_e32 v10, s38
	v_add_co_u32_e32 v3, vcc, s33, v3
	v_addc_co_u32_e32 v4, vcc, v10, v4, vcc
	v_div_fixup_f32 v8, v8, s58, v13
	v_div_fixup_f32 v9, v9, s58, v5
	global_store_dwordx2 v[3:4], v[8:9], off
	s_or_b64 exec, exec, s[6:7]
	s_and_saveexec_b64 s[2:3], s[0:1]
	s_cbranch_execz .LBB186_3
.LBB186_155:                            ;   in Loop: Header=BB186_4 Depth=1
	v_bfi_b32 v4, s43, v35, v6
	v_div_scale_f32 v3, s[0:1], s58, s58, v7
	v_div_scale_f32 v5, s[0:1], s58, s58, v4
	v_div_scale_f32 v6, vcc, v7, s58, v7
	v_div_scale_f32 v8, s[0:1], v4, s58, v4
	v_rcp_f32_e32 v9, v3
	v_rcp_f32_e32 v10, v5
	v_fma_f32 v11, -v3, v9, 1.0
	v_fmac_f32_e32 v9, v11, v9
	v_fma_f32 v11, -v5, v10, 1.0
	v_mul_f32_e32 v12, v6, v9
	v_fmac_f32_e32 v10, v11, v10
	v_fma_f32 v11, -v3, v12, v6
	v_mul_f32_e32 v13, v8, v10
	v_fmac_f32_e32 v12, v11, v9
	v_fma_f32 v11, -v5, v13, v8
	v_fma_f32 v3, -v3, v12, v6
	v_fmac_f32_e32 v13, v11, v10
	v_div_fmas_f32 v3, v3, v9, v12
	v_fma_f32 v5, -v5, v13, v8
	s_mov_b64 vcc, s[0:1]
	v_div_fmas_f32 v5, v5, v10, v13
	v_mov_b32_e32 v6, s38
	v_add_co_u32_e32 v1, vcc, s33, v1
	v_addc_co_u32_e32 v2, vcc, v6, v2, vcc
	v_div_fixup_f32 v3, v3, s58, v7
	v_div_fixup_f32 v4, v5, s58, v4
	global_store_dwordx2 v[1:2], v[3:4], off
	s_branch .LBB186_3
.LBB186_156:
	s_cbranch_execz .LBB186_158
	s_branch .LBB186_297
.LBB186_157:
.LBB186_158:
	v_mov_b32_e32 v1, 0x10000
	v_mov_b32_e32 v2, 0
	v_cmp_lt_i64_e32 vcc, s[14:15], v[1:2]
	v_mov_b32_e32 v2, 0
	s_and_b64 s[0:1], vcc, exec
	s_cselect_b32 s7, s15, 0
	s_cselect_b32 s6, s14, 0x10000
	v_lshlrev_b32_e32 v1, 2, v0
	v_cmp_gt_i64_e32 vcc, s[6:7], v[1:2]
	s_and_saveexec_b64 s[0:1], vcc
	s_cbranch_execz .LBB186_297
; %bb.159:
	s_load_dword s0, s[4:5], 0xd3c
	v_mov_b32_e32 v1, v2
	s_mov_b64 s[8:9], 0
	v_mov_b32_e32 v12, s38
	s_brev_b32 s22, -2
	s_waitcnt lgkmcnt(0)
	s_and_b32 s23, s0, 0xffff
	s_mov_b32 s24, 0x77f684df
	s_mov_b32 s25, 0x358637bd
	;; [unrolled: 1-line block ×4, first 2 shown]
	v_mov_b32_e32 v13, 0x3f2aaada
	s_mov_b32 s28, 0x3f317218
	s_mov_b32 s29, 0x7f800000
	;; [unrolled: 1-line block ×3, first 2 shown]
	v_mov_b32_e32 v14, 0x3d29fb3f
	v_mov_b32_e32 v15, 0xbd97d4d7
	;; [unrolled: 1-line block ×6, first 2 shown]
	s_movk_i32 s31, 0x204
	s_mov_b32 s34, 0x3f333333
	s_mov_b32 s35, 0x800000
	;; [unrolled: 1-line block ×5, first 2 shown]
	s_brev_b32 s39, 4
	s_mov_b32 s40, 0x40135d8e
	v_mov_b32_e32 v20, 0x7f800000
	v_mov_b32_e32 v21, 0x7fc00000
	;; [unrolled: 1-line block ×7, first 2 shown]
	s_branch .LBB186_162
.LBB186_160:                            ;   in Loop: Header=BB186_162 Depth=1
	s_or_b64 exec, exec, s[2:3]
	v_cmp_gt_f32_e32 vcc, s35, v2
	v_cndmask_b32_e64 v4, 0, 32, vcc
	v_ldexp_f32 v2, v2, v4
	v_log_f32_e32 v2, v2
	v_cndmask_b32_e32 v4, 0, v26, vcc
	v_mul_f32_e32 v31, 0x3f317217, v2
	v_fma_f32 v31, v2, s36, -v31
	v_fmac_f32_e32 v31, 0x3377d1cf, v2
	v_fmac_f32_e32 v31, 0x3f317217, v2
	v_cmp_lt_f32_e64 vcc, |v2|, s29
	v_cndmask_b32_e32 v2, v2, v31, vcc
	v_sub_f32_e32 v2, v2, v4
	v_mov_b32_e32 v31, 0x7fc00000
.LBB186_161:                            ;   in Loop: Header=BB186_162 Depth=1
	s_or_b64 exec, exec, s[0:1]
	v_bfi_b32 v4, s22, v30, v3
	v_div_scale_f32 v3, s[0:1], s40, s40, v8
	v_div_scale_f32 v30, s[0:1], s40, s40, v4
	v_div_scale_f32 v32, vcc, v8, s40, v8
	v_div_scale_f32 v34, s[2:3], s40, s40, v6
	v_div_scale_f32 v33, s[0:1], v4, s40, v4
	;; [unrolled: 1-line block ×3, first 2 shown]
	v_bfi_b32 v9, s22, v29, v9
	v_div_scale_f32 v29, s[4:5], s40, s40, v9
	v_bfi_b32 v7, s22, v28, v7
	v_rcp_f32_e32 v35, v3
	v_bfi_b32 v31, s22, v31, v5
	v_rcp_f32_e32 v36, v30
	v_fma_f32 v38, -v3, v35, 1.0
	v_fmac_f32_e32 v35, v38, v35
	v_fma_f32 v38, -v30, v36, 1.0
	v_mul_f32_e32 v39, v32, v35
	v_fmac_f32_e32 v36, v38, v36
	v_fma_f32 v38, -v3, v39, v32
	v_fmac_f32_e32 v39, v38, v35
	v_fma_f32 v3, -v3, v39, v32
	v_div_fmas_f32 v3, v3, v35, v39
	v_rcp_f32_e32 v32, v34
	s_mov_b64 vcc, s[0:1]
	v_div_scale_f32 v35, s[0:1], v9, s40, v9
	v_mul_f32_e32 v40, v33, v36
	v_fma_f32 v38, -v30, v40, v33
	v_fmac_f32_e32 v40, v38, v36
	v_div_scale_f32 v38, s[4:5], s40, s40, v27
	v_fma_f32 v30, -v30, v40, v33
	v_fma_f32 v33, -v34, v32, 1.0
	v_fmac_f32_e32 v32, v33, v32
	v_mul_f32_e32 v33, v37, v32
	v_div_fmas_f32 v30, v30, v36, v40
	v_fma_f32 v36, -v34, v33, v37
	v_fmac_f32_e32 v33, v36, v32
	v_fma_f32 v34, -v34, v33, v37
	v_div_scale_f32 v37, s[4:5], v27, s40, v27
	v_rcp_f32_e32 v36, v29
	s_mov_b64 vcc, s[2:3]
	v_div_scale_f32 v28, s[2:3], s40, s40, v7
	v_div_fmas_f32 v32, v34, v32, v33
	v_fma_f32 v33, -v29, v36, 1.0
	v_fmac_f32_e32 v36, v33, v36
	v_mul_f32_e32 v33, v35, v36
	v_fma_f32 v34, -v29, v33, v35
	v_fmac_f32_e32 v33, v34, v36
	v_rcp_f32_e32 v34, v38
	v_fma_f32 v29, -v29, v33, v35
	s_mov_b64 vcc, s[0:1]
	v_div_scale_f32 v35, s[0:1], v7, s40, v7
	v_div_fmas_f32 v33, v29, v36, v33
	v_fma_f32 v29, -v38, v34, 1.0
	v_div_scale_f32 v39, s[2:3], s40, s40, v2
	v_fmac_f32_e32 v34, v29, v34
	v_mul_f32_e32 v29, v37, v34
	v_fma_f32 v36, -v38, v29, v37
	v_fmac_f32_e32 v29, v36, v34
	v_fma_f32 v37, -v38, v29, v37
	s_mov_b64 vcc, s[4:5]
	v_rcp_f32_e32 v36, v28
	v_div_fmas_f32 v34, v37, v34, v29
	v_div_scale_f32 v37, s[2:3], v2, s40, v2
	v_div_scale_f32 v5, s[4:5], s40, s40, v31
	v_fma_f32 v29, -v28, v36, 1.0
	v_fmac_f32_e32 v36, v29, v36
	v_mul_f32_e32 v29, v35, v36
	v_fma_f32 v38, -v28, v29, v35
	v_fmac_f32_e32 v29, v38, v36
	v_div_scale_f32 v38, s[4:5], v31, s40, v31
	v_rcp_f32_e32 v40, v39
	v_fma_f32 v28, -v28, v29, v35
	s_mov_b64 vcc, s[0:1]
	v_div_fmas_f32 v28, v28, v36, v29
	v_fma_f32 v29, -v39, v40, 1.0
	v_fmac_f32_e32 v40, v29, v40
	v_mul_f32_e32 v29, v37, v40
	v_fma_f32 v35, -v39, v29, v37
	v_fmac_f32_e32 v29, v35, v40
	v_rcp_f32_e32 v35, v5
	v_fma_f32 v36, -v39, v29, v37
	s_mov_b64 vcc, s[2:3]
	v_div_fmas_f32 v36, v36, v40, v29
	v_fma_f32 v29, -v5, v35, 1.0
	v_fmac_f32_e32 v35, v29, v35
	v_mul_f32_e32 v29, v38, v35
	v_fma_f32 v37, -v5, v29, v38
	v_fmac_f32_e32 v29, v37, v35
	v_fma_f32 v5, -v5, v29, v38
	s_mov_b64 vcc, s[4:5]
	v_div_fmas_f32 v35, v5, v35, v29
	v_add_co_u32_e32 v0, vcc, s23, v0
	v_addc_co_u32_e32 v1, vcc, 0, v1, vcc
	v_div_fixup_f32 v3, v3, s40, v8
	v_div_fixup_f32 v28, v28, s40, v7
	v_lshlrev_b64 v[7:8], 2, v[0:1]
	v_div_fixup_f32 v4, v30, s40, v4
	v_cmp_le_i64_e32 vcc, s[6:7], v[7:8]
	v_div_fixup_f32 v29, v32, s40, v6
	v_div_fixup_f32 v30, v33, s40, v9
	;; [unrolled: 1-line block ×4, first 2 shown]
	s_or_b64 s[8:9], vcc, s[8:9]
	global_store_dwordx4 v[10:11], v[27:30], off
	v_div_fixup_f32 v6, v35, s40, v31
	global_store_dwordx4 v[10:11], v[3:6], off offset:16
	s_andn2_b64 exec, exec, s[8:9]
	s_cbranch_execz .LBB186_297
.LBB186_162:                            ; =>This Loop Header: Depth=1
                                        ;     Child Loop BB186_173 Depth 2
                                        ;     Child Loop BB186_207 Depth 2
	;; [unrolled: 1-line block ×4, first 2 shown]
	v_lshlrev_b64 v[2:3], 5, v[0:1]
                                        ; implicit-def: $vgpr27
                                        ; implicit-def: $vgpr28
	v_add_co_u32_e32 v10, vcc, s33, v2
	v_addc_co_u32_e32 v11, vcc, v12, v3, vcc
	global_load_dwordx4 v[6:9], v[10:11], off
	global_load_dwordx4 v[2:5], v[10:11], off offset:16
	s_waitcnt vmcnt(1)
	v_cmp_o_f32_e32 vcc, v7, v6
	s_and_saveexec_b64 s[0:1], vcc
	s_xor_b64 s[4:5], exec, s[0:1]
	s_cbranch_execz .LBB186_190
; %bb.163:                              ;   in Loop: Header=BB186_162 Depth=1
	v_cmp_lt_f32_e64 s[0:1], |v6|, |v7|
	v_cndmask_b32_e64 v29, |v7|, |v6|, s[0:1]
	v_cmp_nlt_f32_e32 vcc, s24, v29
                                        ; implicit-def: $vgpr27
                                        ; implicit-def: $vgpr28
	s_and_saveexec_b64 s[2:3], vcc
	s_xor_b64 s[10:11], exec, s[2:3]
	s_cbranch_execz .LBB186_187
; %bb.164:                              ;   in Loop: Header=BB186_162 Depth=1
	v_and_b32_e32 v27, 0x7fffffff, v7
	v_cndmask_b32_e64 v30, |v6|, v27, s[0:1]
	v_cmp_neq_f32_e32 vcc, 1.0, v30
                                        ; implicit-def: $vgpr27
                                        ; implicit-def: $vgpr28
	s_and_saveexec_b64 s[2:3], vcc
	s_xor_b64 s[12:13], exec, s[2:3]
	s_cbranch_execz .LBB186_180
; %bb.165:                              ;   in Loop: Header=BB186_162 Depth=1
	v_max_f32_e32 v27, v29, v29
	v_max_f32_e32 v28, v30, v30
	v_min_f32_e32 v31, v28, v27
	v_max_f32_e32 v27, v28, v27
	v_cmp_ngt_f32_e32 vcc, s25, v31
	v_cmp_nlt_f32_e64 s[2:3], s26, v27
	s_and_b64 s[2:3], s[2:3], vcc
                                        ; implicit-def: $vgpr27
                                        ; implicit-def: $vgpr28
	s_and_saveexec_b64 s[14:15], s[2:3]
	s_xor_b64 s[14:15], exec, s[14:15]
	s_cbranch_execz .LBB186_177
; %bb.166:                              ;   in Loop: Header=BB186_162 Depth=1
	v_cmp_le_f32_e32 vcc, 1.0, v30
                                        ; implicit-def: $vgpr27
                                        ; implicit-def: $vgpr28
	s_and_saveexec_b64 s[2:3], vcc
	s_xor_b64 s[16:17], exec, s[2:3]
	s_cbranch_execz .LBB186_168
; %bb.167:                              ;   in Loop: Header=BB186_162 Depth=1
	v_add_f32_e32 v27, -1.0, v30
	v_add_f32_e32 v28, 1.0, v30
	v_mul_f32_e32 v30, v27, v28
	v_fmac_f32_e32 v30, v29, v29
	v_add_f32_e32 v29, 1.0, v30
	v_cvt_f64_f32_e32 v[27:28], v29
	v_add_f32_e32 v31, -1.0, v29
	v_sub_f32_e32 v32, v31, v29
	v_sub_f32_e32 v31, v30, v31
	v_frexp_exp_i32_f64_e32 v27, v[27:28]
	v_frexp_mant_f32_e32 v28, v29
	v_cmp_gt_f32_e32 vcc, s27, v28
	v_add_f32_e32 v32, 1.0, v32
	v_add_f32_e32 v31, v31, v32
	v_cmp_gt_i32_e64 s[2:3], 0, v6
	v_cmp_class_f32_e64 s[18:19], v7, s31
	v_subbrev_co_u32_e32 v27, vcc, 0, v27, vcc
	v_sub_u32_e32 v28, 0, v27
	v_ldexp_f32 v29, v29, v28
	v_ldexp_f32 v28, v31, v28
	v_add_f32_e32 v31, -1.0, v29
	v_add_f32_e32 v34, 1.0, v29
	v_add_f32_e32 v32, 1.0, v31
	v_add_f32_e32 v35, -1.0, v34
	v_sub_f32_e32 v32, v29, v32
	v_sub_f32_e32 v29, v29, v35
	v_add_f32_e32 v32, v28, v32
	v_add_f32_e32 v28, v28, v29
	;; [unrolled: 1-line block ×3, first 2 shown]
	v_rcp_f32_e32 v35, v29
	v_add_f32_e32 v33, v31, v32
	v_sub_f32_e32 v31, v33, v31
	v_sub_f32_e32 v31, v32, v31
	;; [unrolled: 1-line block ×4, first 2 shown]
	v_mul_f32_e32 v32, v33, v35
	v_mul_f32_e32 v34, v29, v32
	v_fma_f32 v36, v32, v29, -v34
	v_fmac_f32_e32 v36, v32, v28
	v_add_f32_e32 v37, v34, v36
	v_sub_f32_e32 v38, v33, v37
	v_sub_f32_e32 v33, v33, v38
	;; [unrolled: 1-line block ×4, first 2 shown]
	v_add_f32_e32 v31, v31, v33
	v_sub_f32_e32 v33, v34, v36
	v_add_f32_e32 v31, v33, v31
	v_add_f32_e32 v33, v38, v31
	v_mul_f32_e32 v34, v35, v33
	v_mul_f32_e32 v36, v29, v34
	v_fma_f32 v29, v34, v29, -v36
	v_fmac_f32_e32 v29, v34, v28
	v_sub_f32_e32 v28, v38, v33
	v_add_f32_e32 v28, v31, v28
	v_add_f32_e32 v31, v36, v29
	v_sub_f32_e32 v37, v33, v31
	v_sub_f32_e32 v33, v33, v37
	;; [unrolled: 1-line block ×4, first 2 shown]
	v_add_f32_e32 v28, v28, v31
	v_sub_f32_e32 v29, v36, v29
	v_cvt_f32_i32_e32 v27, v27
	v_add_f32_e32 v28, v29, v28
	v_add_f32_e32 v29, v32, v34
	;; [unrolled: 1-line block ×3, first 2 shown]
	v_sub_f32_e32 v31, v29, v32
	v_mul_f32_e32 v28, v35, v28
	v_sub_f32_e32 v31, v34, v31
	v_add_f32_e32 v28, v31, v28
	v_mul_f32_e32 v34, 0x3f317218, v27
	v_add_f32_e32 v31, v29, v28
	v_fma_f32 v35, v27, s28, -v34
	v_mul_f32_e32 v32, v31, v31
	v_mov_b32_e32 v33, 0x3ecc95a3
	v_fmac_f32_e32 v35, 0xb102e308, v27
	v_sub_f32_e32 v27, v31, v29
	v_fmac_f32_e32 v33, 0x3e9b6dac, v32
	v_sub_f32_e32 v27, v28, v27
	v_add_f32_e32 v28, v34, v35
	v_fma_f32 v33, v32, v33, v13
	v_sub_f32_e32 v29, v28, v34
	v_ldexp_f32 v34, v31, 1
	v_mul_f32_e32 v31, v31, v32
	v_mul_f32_e32 v31, v31, v33
	v_add_f32_e32 v32, v34, v31
	v_sub_f32_e32 v33, v32, v34
	v_ldexp_f32 v27, v27, 1
	v_sub_f32_e32 v31, v31, v33
	v_add_f32_e32 v27, v27, v31
	v_add_f32_e32 v31, v32, v27
	v_sub_f32_e32 v32, v31, v32
	v_sub_f32_e32 v27, v27, v32
	v_add_f32_e32 v32, v28, v31
	v_sub_f32_e32 v33, v32, v28
	v_sub_f32_e32 v34, v32, v33
	;; [unrolled: 1-line block ×5, first 2 shown]
	v_add_f32_e32 v28, v31, v28
	v_add_f32_e32 v31, v29, v27
	v_sub_f32_e32 v33, v31, v29
	v_sub_f32_e32 v34, v31, v33
	;; [unrolled: 1-line block ×4, first 2 shown]
	v_add_f32_e32 v28, v31, v28
	v_add_f32_e32 v27, v27, v29
	;; [unrolled: 1-line block ×3, first 2 shown]
	v_sub_f32_e32 v31, v29, v32
	v_sub_f32_e32 v28, v28, v31
	v_add_f32_e32 v27, v27, v28
	v_add_f32_e32 v27, v29, v27
	v_cmp_neq_f32_e32 vcc, s29, v30
	v_cndmask_b32_e32 v27, v20, v27, vcc
	v_cmp_ngt_f32_e32 vcc, -1.0, v30
	v_cndmask_b32_e32 v27, v21, v27, vcc
	v_cmp_neq_f32_e32 vcc, -1.0, v30
	v_cndmask_b32_e32 v27, v22, v27, vcc
	v_cmp_lt_f32_e64 vcc, |v30|, s30
	v_max_f32_e64 v28, |v7|, |v7|
	v_max_f32_e64 v29, |v6|, |v6|
	v_cndmask_b32_e32 v27, v27, v30, vcc
	v_min_f32_e32 v30, v29, v28
	v_max_f32_e32 v28, v29, v28
	v_frexp_mant_f32_e32 v29, v28
	v_rcp_f32_e32 v29, v29
	v_frexp_exp_i32_f32_e32 v28, v28
	v_frexp_exp_i32_f32_e32 v31, v30
	v_frexp_mant_f32_e32 v30, v30
	v_mul_f32_e32 v29, v30, v29
	v_sub_u32_e32 v28, v31, v28
	v_ldexp_f32 v28, v29, v28
	v_mul_f32_e32 v29, v28, v28
	v_mov_b32_e32 v30, 0xbc7a590c
	v_fmac_f32_e32 v30, 0x3b2d2a58, v29
	v_fma_f32 v30, v29, v30, v14
	v_fma_f32 v30, v29, v30, v15
	;; [unrolled: 1-line block ×6, first 2 shown]
	v_mul_f32_e32 v29, v29, v30
	v_fmac_f32_e32 v28, v28, v29
	v_sub_f32_e32 v29, 0x3fc90fdb, v28
	v_cndmask_b32_e64 v28, v28, v29, s[0:1]
	v_sub_f32_e32 v29, 0x40490fdb, v28
	v_cmp_gt_f32_e32 vcc, 0, v6
	v_cndmask_b32_e32 v28, v28, v29, vcc
	v_cndmask_b32_e64 v29, 0, v23, s[2:3]
	v_cmp_eq_f32_e64 s[2:3], 0, v7
	v_cndmask_b32_e64 v28, v28, v29, s[2:3]
	v_cmp_class_f32_e64 s[2:3], v6, s31
	v_cndmask_b32_e32 v29, v24, v25, vcc
	s_and_b64 vcc, s[2:3], s[18:19]
	v_mul_f32_e32 v27, 0.5, v27
	v_cndmask_b32_e32 v28, v28, v29, vcc
                                        ; implicit-def: $vgpr29
                                        ; implicit-def: $vgpr30
.LBB186_168:                            ;   in Loop: Header=BB186_162 Depth=1
	s_andn2_saveexec_b64 s[16:17], s[16:17]
	s_cbranch_execz .LBB186_176
; %bb.169:                              ;   in Loop: Header=BB186_162 Depth=1
	v_mul_f32_e32 v31, v29, v29
	v_fmac_f32_e32 v31, v30, v30
	v_cmp_ge_f32_e32 vcc, s34, v31
                                        ; implicit-def: $vgpr27
                                        ; implicit-def: $vgpr28
	s_and_saveexec_b64 s[2:3], vcc
	s_xor_b64 s[18:19], exec, s[2:3]
	s_cbranch_execz .LBB186_171
; %bb.170:                              ;   in Loop: Header=BB186_162 Depth=1
	v_cmp_gt_f32_e32 vcc, s35, v31
	v_cndmask_b32_e64 v27, 0, 32, vcc
	v_ldexp_f32 v27, v31, v27
	v_log_f32_e32 v27, v27
	v_cndmask_b32_e32 v28, 0, v26, vcc
	v_cmp_gt_i32_e64 s[2:3], 0, v6
	v_cmp_class_f32_e64 s[20:21], v7, s31
	v_mul_f32_e32 v29, 0x3f317217, v27
	v_fma_f32 v29, v27, s36, -v29
	v_fmac_f32_e32 v29, 0x3377d1cf, v27
	v_fmac_f32_e32 v29, 0x3f317217, v27
	v_cmp_lt_f32_e64 vcc, |v27|, s29
	v_cndmask_b32_e32 v27, v27, v29, vcc
	v_sub_f32_e32 v27, v27, v28
	v_max_f32_e64 v28, |v7|, |v7|
	v_max_f32_e64 v29, |v6|, |v6|
	v_min_f32_e32 v30, v29, v28
	v_max_f32_e32 v28, v29, v28
	v_frexp_mant_f32_e32 v29, v28
	v_rcp_f32_e32 v29, v29
	v_frexp_exp_i32_f32_e32 v28, v28
	v_frexp_exp_i32_f32_e32 v31, v30
	v_frexp_mant_f32_e32 v30, v30
	v_mul_f32_e32 v29, v30, v29
	v_sub_u32_e32 v28, v31, v28
	v_ldexp_f32 v28, v29, v28
	v_mul_f32_e32 v29, v28, v28
	v_mov_b32_e32 v30, 0xbc7a590c
	v_fmac_f32_e32 v30, 0x3b2d2a58, v29
	v_fma_f32 v30, v29, v30, v14
	v_fma_f32 v30, v29, v30, v15
	;; [unrolled: 1-line block ×6, first 2 shown]
	v_mul_f32_e32 v29, v29, v30
	v_fmac_f32_e32 v28, v28, v29
	v_sub_f32_e32 v29, 0x3fc90fdb, v28
	v_cndmask_b32_e64 v28, v28, v29, s[0:1]
	v_sub_f32_e32 v29, 0x40490fdb, v28
	v_cmp_gt_f32_e32 vcc, 0, v6
	v_cndmask_b32_e32 v28, v28, v29, vcc
	v_cndmask_b32_e64 v29, 0, v23, s[2:3]
	v_cmp_eq_f32_e64 s[2:3], 0, v7
	v_cndmask_b32_e64 v28, v28, v29, s[2:3]
	v_cmp_class_f32_e64 s[2:3], v6, s31
	v_cndmask_b32_e32 v29, v24, v25, vcc
	s_and_b64 vcc, s[2:3], s[20:21]
	v_mul_f32_e32 v27, 0.5, v27
	v_cndmask_b32_e32 v28, v28, v29, vcc
                                        ; implicit-def: $vgpr30
                                        ; implicit-def: $vgpr29
.LBB186_171:                            ;   in Loop: Header=BB186_162 Depth=1
	s_andn2_saveexec_b64 s[18:19], s[18:19]
	s_cbranch_execz .LBB186_175
; %bb.172:                              ;   in Loop: Header=BB186_162 Depth=1
	v_and_b32_e32 v31, 0x7fff0000, v30
	v_sub_f32_e32 v27, v30, v31
	v_and_b32_e32 v35, 0xffff0000, v27
	v_and_b32_e32 v30, 0x7fff0000, v29
	v_sub_f32_e32 v37, v27, v35
	v_sub_f32_e32 v27, v29, v30
	v_and_b32_e32 v36, 0xffff0000, v27
	v_add_f32_e32 v32, v31, v31
	v_add_f32_e32 v39, v30, v30
	v_sub_f32_e32 v38, v27, v36
	v_mul_f32_e32 v27, v31, v31
	v_mul_f32_e32 v28, v30, v30
	;; [unrolled: 1-line block ×6, first 2 shown]
	v_add_f32_e32 v35, v35, v35
	v_add_f32_e32 v36, v36, v36
	v_mul_f32_e32 v33, v32, v37
	v_mul_f32_e32 v32, v39, v38
	;; [unrolled: 1-line block ×6, first 2 shown]
	s_mov_b64 s[20:21], 0
.LBB186_173:                            ;   Parent Loop BB186_162 Depth=1
                                        ; =>  This Inner Loop Header: Depth=2
	v_cmp_nlt_f32_e32 vcc, v27, v28
	v_mov_b32_e32 v39, v38
	v_cndmask_b32_e32 v38, v27, v28, vcc
	v_cmp_nlt_f32_e64 s[2:3], v38, v31
	v_cndmask_b32_e64 v40, v38, v31, s[2:3]
	v_cndmask_b32_e32 v27, v28, v27, vcc
	s_and_b64 s[42:43], vcc, s[2:3]
	v_cmp_nlt_f32_e32 vcc, v40, v30
	v_cndmask_b32_e64 v28, v31, v38, s[2:3]
	v_cndmask_b32_e32 v38, v40, v30, vcc
	v_cmp_nlt_f32_e64 s[2:3], v38, v34
	v_cndmask_b32_e32 v31, v30, v40, vcc
	v_cndmask_b32_e64 v40, v38, v34, s[2:3]
	s_and_b64 s[44:45], vcc, s[2:3]
	v_cmp_nlt_f32_e32 vcc, v40, v29
	v_cndmask_b32_e64 v30, v34, v38, s[2:3]
	v_cndmask_b32_e32 v38, v40, v29, vcc
	v_cmp_nlt_f32_e64 s[2:3], v38, v33
	v_cndmask_b32_e32 v34, v29, v40, vcc
	v_cndmask_b32_e64 v40, v38, v33, s[2:3]
	v_cndmask_b32_e64 v29, v33, v38, s[2:3]
	s_and_b64 s[2:3], vcc, s[2:3]
	v_cmp_nlt_f32_e32 vcc, v40, v32
	v_cndmask_b32_e32 v38, v40, v32, vcc
	v_cndmask_b32_e32 v33, v32, v40, vcc
	s_and_b64 s[2:3], s[2:3], vcc
	v_cmp_nlt_f32_e32 vcc, v38, v35
	v_cndmask_b32_e32 v40, v38, v35, vcc
	v_cndmask_b32_e32 v32, v35, v38, vcc
	s_and_b64 s[2:3], s[2:3], vcc
	v_cmp_nlt_f32_e32 vcc, v40, v36
	v_cndmask_b32_e32 v38, v40, v36, vcc
	v_cndmask_b32_e32 v35, v36, v40, vcc
	s_and_b64 s[2:3], s[2:3], vcc
	v_cmp_nlt_f32_e32 vcc, v38, v37
	v_cndmask_b32_e32 v40, v38, v37, vcc
	v_cndmask_b32_e32 v36, v37, v38, vcc
	s_and_b64 s[2:3], s[2:3], vcc
	v_cmp_nlt_f32_e32 vcc, v40, v39
	s_and_b64 s[2:3], s[2:3], vcc
	s_and_b64 s[2:3], s[2:3], s[44:45]
	s_and_b64 s[2:3], s[2:3], s[42:43]
	s_and_b64 s[2:3], exec, s[2:3]
	v_cndmask_b32_e32 v38, v40, v39, vcc
	s_or_b64 s[20:21], s[2:3], s[20:21]
	v_cndmask_b32_e32 v37, v39, v40, vcc
	s_andn2_b64 exec, exec, s[20:21]
	s_cbranch_execnz .LBB186_173
; %bb.174:                              ;   in Loop: Header=BB186_162 Depth=1
	s_or_b64 exec, exec, s[20:21]
	v_add_f32_e32 v27, -1.0, v27
	v_add_f32_e32 v27, v27, v28
	v_add_f32_e32 v27, v27, v31
	;; [unrolled: 1-line block ×11, first 2 shown]
	v_add_f32_e32 v30, 1.0, v29
	v_cvt_f64_f32_e32 v[27:28], v30
	v_add_f32_e32 v31, -1.0, v30
	v_sub_f32_e32 v32, v31, v30
	v_sub_f32_e32 v31, v29, v31
	v_frexp_exp_i32_f64_e32 v27, v[27:28]
	v_frexp_mant_f32_e32 v28, v30
	v_cmp_gt_f32_e32 vcc, s27, v28
	v_add_f32_e32 v32, 1.0, v32
	v_add_f32_e32 v31, v31, v32
	v_cmp_gt_i32_e64 s[2:3], 0, v6
	v_cmp_class_f32_e64 s[20:21], v7, s31
	v_subbrev_co_u32_e32 v27, vcc, 0, v27, vcc
	v_sub_u32_e32 v28, 0, v27
	v_ldexp_f32 v30, v30, v28
	v_ldexp_f32 v28, v31, v28
	v_add_f32_e32 v31, -1.0, v30
	v_add_f32_e32 v32, 1.0, v30
	v_add_f32_e32 v33, 1.0, v31
	v_add_f32_e32 v35, -1.0, v32
	v_sub_f32_e32 v33, v30, v33
	v_sub_f32_e32 v30, v30, v35
	v_add_f32_e32 v33, v28, v33
	v_add_f32_e32 v28, v28, v30
	v_add_f32_e32 v30, v32, v28
	v_rcp_f32_e32 v35, v30
	v_add_f32_e32 v34, v31, v33
	v_sub_f32_e32 v32, v30, v32
	v_sub_f32_e32 v31, v34, v31
	;; [unrolled: 1-line block ×3, first 2 shown]
	v_mul_f32_e32 v32, v34, v35
	v_sub_f32_e32 v31, v33, v31
	v_mul_f32_e32 v33, v30, v32
	v_fma_f32 v36, v32, v30, -v33
	v_fmac_f32_e32 v36, v32, v28
	v_add_f32_e32 v37, v33, v36
	v_sub_f32_e32 v38, v34, v37
	v_sub_f32_e32 v34, v34, v38
	;; [unrolled: 1-line block ×4, first 2 shown]
	v_add_f32_e32 v31, v31, v34
	v_sub_f32_e32 v33, v33, v36
	v_add_f32_e32 v31, v33, v31
	v_add_f32_e32 v33, v38, v31
	v_mul_f32_e32 v34, v35, v33
	v_mul_f32_e32 v36, v30, v34
	v_fma_f32 v30, v34, v30, -v36
	v_fmac_f32_e32 v30, v34, v28
	v_sub_f32_e32 v28, v38, v33
	v_add_f32_e32 v28, v31, v28
	v_add_f32_e32 v31, v36, v30
	v_sub_f32_e32 v37, v33, v31
	v_sub_f32_e32 v33, v33, v37
	;; [unrolled: 1-line block ×4, first 2 shown]
	v_add_f32_e32 v28, v28, v31
	v_sub_f32_e32 v30, v36, v30
	v_cvt_f32_i32_e32 v27, v27
	v_add_f32_e32 v28, v30, v28
	v_add_f32_e32 v30, v32, v34
	;; [unrolled: 1-line block ×3, first 2 shown]
	v_sub_f32_e32 v31, v30, v32
	v_mul_f32_e32 v28, v35, v28
	v_sub_f32_e32 v31, v34, v31
	v_add_f32_e32 v28, v31, v28
	v_mul_f32_e32 v34, 0x3f317218, v27
	v_add_f32_e32 v31, v30, v28
	v_fma_f32 v35, v27, s28, -v34
	v_mul_f32_e32 v32, v31, v31
	v_mov_b32_e32 v33, 0x3ecc95a3
	v_fmac_f32_e32 v35, 0xb102e308, v27
	v_sub_f32_e32 v27, v31, v30
	v_fmac_f32_e32 v33, 0x3e9b6dac, v32
	v_sub_f32_e32 v27, v28, v27
	v_add_f32_e32 v28, v34, v35
	v_fma_f32 v33, v32, v33, v13
	v_sub_f32_e32 v30, v28, v34
	v_ldexp_f32 v34, v31, 1
	v_mul_f32_e32 v31, v31, v32
	v_mul_f32_e32 v31, v31, v33
	v_add_f32_e32 v32, v34, v31
	v_sub_f32_e32 v33, v32, v34
	v_ldexp_f32 v27, v27, 1
	v_sub_f32_e32 v31, v31, v33
	v_add_f32_e32 v27, v27, v31
	v_add_f32_e32 v31, v32, v27
	v_sub_f32_e32 v32, v31, v32
	v_sub_f32_e32 v27, v27, v32
	v_add_f32_e32 v32, v28, v31
	v_sub_f32_e32 v33, v32, v28
	v_sub_f32_e32 v34, v32, v33
	;; [unrolled: 1-line block ×5, first 2 shown]
	v_add_f32_e32 v28, v31, v28
	v_add_f32_e32 v31, v30, v27
	v_sub_f32_e32 v33, v31, v30
	v_sub_f32_e32 v34, v31, v33
	;; [unrolled: 1-line block ×4, first 2 shown]
	v_add_f32_e32 v28, v31, v28
	v_add_f32_e32 v27, v27, v30
	;; [unrolled: 1-line block ×3, first 2 shown]
	v_sub_f32_e32 v31, v30, v32
	v_sub_f32_e32 v28, v28, v31
	v_add_f32_e32 v27, v27, v28
	v_add_f32_e32 v27, v30, v27
	v_cmp_neq_f32_e32 vcc, s29, v29
	v_cndmask_b32_e32 v27, v20, v27, vcc
	v_cmp_ngt_f32_e32 vcc, -1.0, v29
	v_cndmask_b32_e32 v27, v21, v27, vcc
	v_cmp_neq_f32_e32 vcc, -1.0, v29
	v_cndmask_b32_e32 v27, v22, v27, vcc
	v_cmp_lt_f32_e64 vcc, |v29|, s30
	v_cndmask_b32_e32 v27, v27, v29, vcc
	v_max_f32_e64 v28, |v7|, |v7|
	v_max_f32_e64 v29, |v6|, |v6|
	v_min_f32_e32 v30, v29, v28
	v_max_f32_e32 v28, v29, v28
	v_frexp_mant_f32_e32 v29, v28
	v_rcp_f32_e32 v29, v29
	v_frexp_exp_i32_f32_e32 v28, v28
	v_frexp_exp_i32_f32_e32 v31, v30
	v_frexp_mant_f32_e32 v30, v30
	v_mul_f32_e32 v29, v30, v29
	v_sub_u32_e32 v28, v31, v28
	v_ldexp_f32 v28, v29, v28
	v_mul_f32_e32 v29, v28, v28
	v_mov_b32_e32 v30, 0xbc7a590c
	v_fmac_f32_e32 v30, 0x3b2d2a58, v29
	v_fma_f32 v30, v29, v30, v14
	v_fma_f32 v30, v29, v30, v15
	;; [unrolled: 1-line block ×6, first 2 shown]
	v_mul_f32_e32 v29, v29, v30
	v_fmac_f32_e32 v28, v28, v29
	v_sub_f32_e32 v29, 0x3fc90fdb, v28
	v_cndmask_b32_e64 v28, v28, v29, s[0:1]
	v_sub_f32_e32 v29, 0x40490fdb, v28
	v_cmp_gt_f32_e32 vcc, 0, v6
	v_cndmask_b32_e32 v28, v28, v29, vcc
	v_cndmask_b32_e64 v29, 0, v23, s[2:3]
	v_cmp_eq_f32_e64 s[2:3], 0, v7
	v_cndmask_b32_e64 v28, v28, v29, s[2:3]
	v_cmp_class_f32_e64 s[2:3], v6, s31
	v_cndmask_b32_e32 v29, v24, v25, vcc
	s_and_b64 vcc, s[2:3], s[20:21]
	v_mul_f32_e32 v27, 0.5, v27
	v_cndmask_b32_e32 v28, v28, v29, vcc
.LBB186_175:                            ;   in Loop: Header=BB186_162 Depth=1
	s_or_b64 exec, exec, s[18:19]
.LBB186_176:                            ;   in Loop: Header=BB186_162 Depth=1
	s_or_b64 exec, exec, s[16:17]
.LBB186_177:                            ;   in Loop: Header=BB186_162 Depth=1
	s_andn2_saveexec_b64 s[14:15], s[14:15]
	s_cbranch_execz .LBB186_179
; %bb.178:                              ;   in Loop: Header=BB186_162 Depth=1
	v_max_f32_e64 v29, |v7|, |v7|
	v_max_f32_e64 v30, |v6|, |v6|
	v_max_f32_e32 v31, v30, v29
	v_cvt_f64_f32_e32 v[27:28], v31
	v_cmp_neq_f32_e32 vcc, s29, v31
	v_cmp_gt_i32_e64 s[2:3], 0, v6
	v_cmp_class_f32_e64 s[16:17], v7, s31
	v_frexp_exp_i32_f64_e32 v27, v[27:28]
	v_min_f32_e32 v28, v30, v29
	v_frexp_mant_f32_e32 v30, v31
	v_rcp_f32_e32 v30, v30
	v_frexp_exp_i32_f32_e32 v32, v28
	v_frexp_mant_f32_e32 v28, v28
	v_frexp_exp_i32_f32_e32 v29, v31
	v_mul_f32_e32 v28, v28, v30
	v_sub_u32_e32 v33, 0, v27
	v_ldexp_f32 v34, |v6|, v33
	v_ldexp_f32 v33, |v7|, v33
	v_mul_f32_e32 v33, v33, v33
	v_fmac_f32_e32 v33, v34, v34
	v_sqrt_f32_e32 v33, v33
	v_sub_u32_e32 v29, v32, v29
	v_ldexp_f32 v28, v28, v29
	v_mul_f32_e32 v29, v28, v28
	v_ldexp_f32 v27, v33, v27
	v_cndmask_b32_e32 v27, v20, v27, vcc
	v_cmp_gt_f32_e32 vcc, s35, v27
	v_cndmask_b32_e64 v30, 0, 32, vcc
	v_ldexp_f32 v27, v27, v30
	v_log_f32_e32 v27, v27
	v_cndmask_b32_e32 v30, 0, v26, vcc
	v_mul_f32_e32 v31, 0x3f317217, v27
	v_fma_f32 v31, v27, s36, -v31
	v_fmac_f32_e32 v31, 0x3377d1cf, v27
	v_fmac_f32_e32 v31, 0x3f317217, v27
	v_cmp_lt_f32_e64 vcc, |v27|, s29
	v_cndmask_b32_e32 v27, v27, v31, vcc
	v_sub_f32_e32 v27, v27, v30
	v_mov_b32_e32 v30, 0xbc7a590c
	v_fmac_f32_e32 v30, 0x3b2d2a58, v29
	v_fma_f32 v30, v29, v30, v14
	v_fma_f32 v30, v29, v30, v15
	;; [unrolled: 1-line block ×6, first 2 shown]
	v_mul_f32_e32 v29, v29, v30
	v_fmac_f32_e32 v28, v28, v29
	v_sub_f32_e32 v29, 0x3fc90fdb, v28
	v_cndmask_b32_e64 v28, v28, v29, s[0:1]
	v_sub_f32_e32 v29, 0x40490fdb, v28
	v_cmp_gt_f32_e32 vcc, 0, v6
	v_cndmask_b32_e32 v28, v28, v29, vcc
	v_cndmask_b32_e64 v29, 0, v23, s[2:3]
	v_cmp_eq_f32_e64 s[2:3], 0, v7
	v_cndmask_b32_e64 v28, v28, v29, s[2:3]
	v_cmp_class_f32_e64 s[2:3], v6, s31
	v_cndmask_b32_e32 v29, v24, v25, vcc
	s_and_b64 vcc, s[2:3], s[16:17]
	v_cndmask_b32_e32 v28, v28, v29, vcc
.LBB186_179:                            ;   in Loop: Header=BB186_162 Depth=1
	s_or_b64 exec, exec, s[14:15]
                                        ; implicit-def: $vgpr29
.LBB186_180:                            ;   in Loop: Header=BB186_162 Depth=1
	s_andn2_saveexec_b64 s[12:13], s[12:13]
	s_cbranch_execz .LBB186_186
; %bb.181:                              ;   in Loop: Header=BB186_162 Depth=1
	v_cmp_ngt_f32_e32 vcc, s37, v29
                                        ; implicit-def: $vgpr27
                                        ; implicit-def: $vgpr28
	s_and_saveexec_b64 s[2:3], vcc
	s_xor_b64 s[14:15], exec, s[2:3]
	s_cbranch_execz .LBB186_183
; %bb.182:                              ;   in Loop: Header=BB186_162 Depth=1
	v_mul_f32_e32 v29, v29, v29
	v_add_f32_e32 v30, 1.0, v29
	v_cvt_f64_f32_e32 v[27:28], v30
	v_add_f32_e32 v31, -1.0, v30
	v_sub_f32_e32 v32, v31, v30
	v_sub_f32_e32 v31, v29, v31
	v_frexp_exp_i32_f64_e32 v27, v[27:28]
	v_frexp_mant_f32_e32 v28, v30
	v_cmp_gt_f32_e32 vcc, s27, v28
	v_add_f32_e32 v32, 1.0, v32
	v_add_f32_e32 v31, v31, v32
	v_cmp_gt_i32_e64 s[2:3], 0, v6
	v_cmp_class_f32_e64 s[16:17], v7, s31
	v_subbrev_co_u32_e32 v27, vcc, 0, v27, vcc
	v_sub_u32_e32 v28, 0, v27
	v_ldexp_f32 v30, v30, v28
	v_ldexp_f32 v28, v31, v28
	v_add_f32_e32 v31, -1.0, v30
	v_add_f32_e32 v32, 1.0, v30
	v_add_f32_e32 v33, 1.0, v31
	v_add_f32_e32 v35, -1.0, v32
	v_sub_f32_e32 v33, v30, v33
	v_sub_f32_e32 v30, v30, v35
	v_add_f32_e32 v33, v28, v33
	v_add_f32_e32 v28, v28, v30
	;; [unrolled: 1-line block ×3, first 2 shown]
	v_rcp_f32_e32 v35, v30
	v_add_f32_e32 v34, v31, v33
	v_sub_f32_e32 v32, v32, v30
	v_sub_f32_e32 v31, v31, v34
	v_add_f32_e32 v28, v28, v32
	v_mul_f32_e32 v32, v34, v35
	v_add_f32_e32 v31, v33, v31
	v_mul_f32_e32 v33, v30, v32
	v_fma_f32 v36, v32, v30, -v33
	v_fmac_f32_e32 v36, v32, v28
	v_add_f32_e32 v37, v33, v36
	v_sub_f32_e32 v38, v34, v37
	v_sub_f32_e32 v34, v34, v38
	;; [unrolled: 1-line block ×4, first 2 shown]
	v_add_f32_e32 v31, v31, v34
	v_sub_f32_e32 v33, v33, v36
	v_add_f32_e32 v31, v33, v31
	v_add_f32_e32 v33, v38, v31
	v_mul_f32_e32 v34, v35, v33
	v_mul_f32_e32 v36, v30, v34
	v_fma_f32 v30, v34, v30, -v36
	v_fmac_f32_e32 v30, v34, v28
	v_sub_f32_e32 v28, v38, v33
	v_add_f32_e32 v28, v31, v28
	v_add_f32_e32 v31, v36, v30
	v_sub_f32_e32 v37, v33, v31
	v_sub_f32_e32 v33, v33, v37
	;; [unrolled: 1-line block ×4, first 2 shown]
	v_add_f32_e32 v28, v28, v31
	v_sub_f32_e32 v30, v36, v30
	v_cvt_f32_i32_e32 v27, v27
	v_add_f32_e32 v28, v30, v28
	v_add_f32_e32 v30, v32, v34
	;; [unrolled: 1-line block ×3, first 2 shown]
	v_sub_f32_e32 v31, v30, v32
	v_mul_f32_e32 v28, v35, v28
	v_sub_f32_e32 v31, v34, v31
	v_add_f32_e32 v28, v31, v28
	v_mul_f32_e32 v34, 0x3f317218, v27
	v_add_f32_e32 v31, v30, v28
	v_fma_f32 v35, v27, s28, -v34
	v_mul_f32_e32 v32, v31, v31
	v_mov_b32_e32 v33, 0x3ecc95a3
	v_fmac_f32_e32 v35, 0xb102e308, v27
	v_sub_f32_e32 v27, v31, v30
	v_fmac_f32_e32 v33, 0x3e9b6dac, v32
	v_sub_f32_e32 v27, v28, v27
	v_add_f32_e32 v28, v34, v35
	v_fma_f32 v33, v32, v33, v13
	v_sub_f32_e32 v30, v28, v34
	v_ldexp_f32 v34, v31, 1
	v_mul_f32_e32 v31, v31, v32
	v_mul_f32_e32 v31, v31, v33
	v_add_f32_e32 v32, v34, v31
	v_sub_f32_e32 v33, v32, v34
	v_ldexp_f32 v27, v27, 1
	v_sub_f32_e32 v31, v31, v33
	v_add_f32_e32 v27, v27, v31
	v_add_f32_e32 v31, v32, v27
	v_sub_f32_e32 v32, v31, v32
	v_sub_f32_e32 v27, v27, v32
	v_add_f32_e32 v32, v28, v31
	v_sub_f32_e32 v33, v32, v28
	v_sub_f32_e32 v34, v32, v33
	;; [unrolled: 1-line block ×5, first 2 shown]
	v_add_f32_e32 v28, v31, v28
	v_add_f32_e32 v31, v30, v27
	v_sub_f32_e32 v33, v31, v30
	v_sub_f32_e32 v34, v31, v33
	;; [unrolled: 1-line block ×4, first 2 shown]
	v_add_f32_e32 v28, v31, v28
	v_add_f32_e32 v27, v27, v30
	;; [unrolled: 1-line block ×3, first 2 shown]
	v_sub_f32_e32 v31, v30, v32
	v_sub_f32_e32 v28, v28, v31
	v_add_f32_e32 v27, v27, v28
	v_add_f32_e32 v27, v30, v27
	v_cmp_neq_f32_e32 vcc, s29, v29
	v_cndmask_b32_e32 v27, v20, v27, vcc
	v_cmp_lt_f32_e64 vcc, |v29|, s30
	v_cndmask_b32_e32 v27, v27, v29, vcc
	v_max_f32_e64 v28, |v7|, |v7|
	v_max_f32_e64 v29, |v6|, |v6|
	v_min_f32_e32 v30, v29, v28
	v_max_f32_e32 v28, v29, v28
	v_frexp_mant_f32_e32 v29, v28
	v_rcp_f32_e32 v29, v29
	v_frexp_exp_i32_f32_e32 v28, v28
	v_frexp_exp_i32_f32_e32 v31, v30
	v_frexp_mant_f32_e32 v30, v30
	v_mul_f32_e32 v29, v30, v29
	v_sub_u32_e32 v28, v31, v28
	v_ldexp_f32 v28, v29, v28
	v_mul_f32_e32 v29, v28, v28
	v_mov_b32_e32 v30, 0xbc7a590c
	v_fmac_f32_e32 v30, 0x3b2d2a58, v29
	v_fma_f32 v30, v29, v30, v14
	v_fma_f32 v30, v29, v30, v15
	;; [unrolled: 1-line block ×6, first 2 shown]
	v_mul_f32_e32 v29, v29, v30
	v_fmac_f32_e32 v28, v28, v29
	v_sub_f32_e32 v29, 0x3fc90fdb, v28
	v_cndmask_b32_e64 v28, v28, v29, s[0:1]
	v_sub_f32_e32 v29, 0x40490fdb, v28
	v_cmp_gt_f32_e32 vcc, 0, v6
	v_cndmask_b32_e32 v28, v28, v29, vcc
	v_cndmask_b32_e64 v29, 0, v23, s[2:3]
	v_cmp_eq_f32_e64 s[2:3], 0, v7
	v_cndmask_b32_e64 v28, v28, v29, s[2:3]
	v_cmp_class_f32_e64 s[2:3], v6, s31
	v_cndmask_b32_e32 v29, v24, v25, vcc
	s_and_b64 vcc, s[2:3], s[16:17]
	v_mul_f32_e32 v27, 0.5, v27
	v_cndmask_b32_e32 v28, v28, v29, vcc
                                        ; implicit-def: $vgpr29
.LBB186_183:                            ;   in Loop: Header=BB186_162 Depth=1
	s_andn2_saveexec_b64 s[14:15], s[14:15]
	s_cbranch_execz .LBB186_185
; %bb.184:                              ;   in Loop: Header=BB186_162 Depth=1
	v_mul_f32_e32 v27, 0.5, v29
	v_mul_f32_e32 v27, v29, v27
	v_max_f32_e64 v28, |v7|, |v7|
	v_max_f32_e64 v29, |v6|, |v6|
	v_min_f32_e32 v30, v29, v28
	v_max_f32_e32 v28, v29, v28
	v_frexp_mant_f32_e32 v29, v28
	v_rcp_f32_e32 v29, v29
	v_frexp_exp_i32_f32_e32 v28, v28
	v_frexp_exp_i32_f32_e32 v31, v30
	v_frexp_mant_f32_e32 v30, v30
	v_mul_f32_e32 v29, v30, v29
	v_sub_u32_e32 v28, v31, v28
	v_ldexp_f32 v28, v29, v28
	v_mul_f32_e32 v29, v28, v28
	v_mov_b32_e32 v30, 0xbc7a590c
	v_fmac_f32_e32 v30, 0x3b2d2a58, v29
	v_fma_f32 v30, v29, v30, v14
	v_fma_f32 v30, v29, v30, v15
	;; [unrolled: 1-line block ×6, first 2 shown]
	v_mul_f32_e32 v29, v29, v30
	v_fmac_f32_e32 v28, v28, v29
	v_sub_f32_e32 v29, 0x3fc90fdb, v28
	v_cndmask_b32_e64 v28, v28, v29, s[0:1]
	v_sub_f32_e32 v29, 0x40490fdb, v28
	v_cmp_gt_f32_e32 vcc, 0, v6
	v_cmp_gt_i32_e64 s[2:3], 0, v6
	v_cndmask_b32_e32 v28, v28, v29, vcc
	v_cndmask_b32_e64 v29, 0, v23, s[2:3]
	v_cmp_eq_f32_e64 s[2:3], 0, v7
	v_cndmask_b32_e64 v28, v28, v29, s[2:3]
	v_cmp_class_f32_e64 s[2:3], v6, s31
	v_cmp_class_f32_e64 s[16:17], v7, s31
	v_cndmask_b32_e32 v29, v24, v25, vcc
	s_and_b64 vcc, s[2:3], s[16:17]
	v_cndmask_b32_e32 v28, v28, v29, vcc
.LBB186_185:                            ;   in Loop: Header=BB186_162 Depth=1
	s_or_b64 exec, exec, s[14:15]
.LBB186_186:                            ;   in Loop: Header=BB186_162 Depth=1
	s_or_b64 exec, exec, s[12:13]
.LBB186_187:                            ;   in Loop: Header=BB186_162 Depth=1
	s_andn2_saveexec_b64 s[10:11], s[10:11]
	s_cbranch_execz .LBB186_189
; %bb.188:                              ;   in Loop: Header=BB186_162 Depth=1
	v_div_scale_f32 v27, s[2:3], s38, s38, v6
	v_div_scale_f32 v28, s[2:3], s38, s38, v7
	v_div_scale_f32 v29, vcc, v6, s38, v6
	v_div_scale_f32 v30, s[2:3], v7, s38, v7
	v_rcp_f32_e32 v31, v27
	v_rcp_f32_e32 v32, v28
	v_fma_f32 v33, -v27, v31, 1.0
	v_fmac_f32_e32 v31, v33, v31
	v_fma_f32 v34, -v28, v32, 1.0
	v_fmac_f32_e32 v32, v34, v32
	v_mul_f32_e32 v33, v29, v31
	v_mul_f32_e32 v34, v30, v32
	v_fma_f32 v35, -v27, v33, v29
	v_fma_f32 v36, -v28, v34, v30
	v_fmac_f32_e32 v33, v35, v31
	v_fmac_f32_e32 v34, v36, v32
	v_fma_f32 v27, -v27, v33, v29
	v_fma_f32 v28, -v28, v34, v30
	v_div_fmas_f32 v27, v27, v31, v33
	s_mov_b64 vcc, s[2:3]
	v_div_fmas_f32 v28, v28, v32, v34
	v_max_f32_e64 v29, |v7|, |v7|
	v_max_f32_e64 v30, |v6|, |v6|
	v_min_f32_e32 v32, v30, v29
	v_max_f32_e32 v29, v30, v29
	v_frexp_exp_i32_f32_e32 v30, v29
	v_frexp_exp_i32_f32_e32 v33, v32
	v_sub_u32_e32 v30, v33, v30
	v_frexp_mant_f32_e32 v29, v29
	v_rcp_f32_e32 v29, v29
	v_frexp_mant_f32_e32 v32, v32
	v_mov_b32_e32 v31, 0xbc7a590c
	v_cmp_class_f32_e64 s[2:3], v7, s31
	v_mul_f32_e32 v29, v32, v29
	v_div_fixup_f32 v33, v27, s38, v6
	v_ldexp_f32 v29, v29, v30
	v_div_fixup_f32 v34, v28, s38, v7
	v_max_f32_e64 v35, |v33|, |v34|
	v_cvt_f64_f32_e32 v[27:28], v35
	v_mul_f32_e32 v30, v29, v29
	v_fmac_f32_e32 v31, 0x3b2d2a58, v30
	v_cmp_neq_f32_e32 vcc, s29, v35
	v_frexp_exp_i32_f64_e32 v27, v[27:28]
	v_fma_f32 v28, v30, v31, v14
	v_fma_f32 v28, v30, v28, v15
	;; [unrolled: 1-line block ×6, first 2 shown]
	v_mul_f32_e32 v28, v30, v28
	v_sub_u32_e32 v31, 0, v27
	v_ldexp_f32 v32, |v33|, v31
	v_ldexp_f32 v31, |v34|, v31
	v_mul_f32_e32 v31, v31, v31
	v_fmac_f32_e32 v31, v32, v32
	v_sqrt_f32_e32 v31, v31
	v_fmac_f32_e32 v29, v29, v28
	v_sub_f32_e32 v28, 0x3fc90fdb, v29
	v_cndmask_b32_e64 v28, v29, v28, s[0:1]
	v_ldexp_f32 v27, v31, v27
	v_cndmask_b32_e32 v27, v20, v27, vcc
	v_cmp_gt_f32_e32 vcc, s35, v27
	v_cndmask_b32_e64 v30, 0, 32, vcc
	v_ldexp_f32 v27, v27, v30
	v_log_f32_e32 v27, v27
	v_cndmask_b32_e32 v30, 0, v26, vcc
	v_sub_f32_e32 v29, 0x40490fdb, v28
	v_cmp_gt_i32_e64 s[0:1], 0, v6
	v_mul_f32_e32 v31, 0x3f317217, v27
	v_fma_f32 v31, v27, s36, -v31
	v_fmac_f32_e32 v31, 0x3377d1cf, v27
	v_fmac_f32_e32 v31, 0x3f317217, v27
	v_cmp_lt_f32_e64 vcc, |v27|, s29
	v_cndmask_b32_e32 v27, v27, v31, vcc
	v_cmp_gt_f32_e32 vcc, 0, v6
	v_cndmask_b32_e32 v28, v28, v29, vcc
	v_cndmask_b32_e64 v29, 0, v23, s[0:1]
	v_cmp_eq_f32_e64 s[0:1], 0, v7
	v_cndmask_b32_e64 v28, v28, v29, s[0:1]
	v_cmp_class_f32_e64 s[0:1], v6, s31
	v_sub_f32_e32 v27, v27, v30
	v_cndmask_b32_e32 v29, v24, v25, vcc
	s_and_b64 vcc, s[0:1], s[2:3]
	v_add_f32_e32 v27, 1.0, v27
	v_cndmask_b32_e32 v28, v28, v29, vcc
.LBB186_189:                            ;   in Loop: Header=BB186_162 Depth=1
	s_or_b64 exec, exec, s[10:11]
.LBB186_190:                            ;   in Loop: Header=BB186_162 Depth=1
	s_andn2_saveexec_b64 s[0:1], s[4:5]
	s_cbranch_execz .LBB186_196
; %bb.191:                              ;   in Loop: Header=BB186_162 Depth=1
	v_cmp_nlt_f32_e64 s[2:3], |v6|, s39
	v_cmp_nlt_f32_e64 s[4:5], |v7|, s39
	s_or_b64 s[2:3], s[2:3], s[4:5]
                                        ; implicit-def: $vgpr27
	s_and_saveexec_b64 s[4:5], s[2:3]
	s_xor_b64 s[2:3], exec, s[4:5]
; %bb.192:                              ;   in Loop: Header=BB186_162 Depth=1
	v_mul_f32_e32 v27, v7, v7
	v_fmac_f32_e32 v27, v6, v6
; %bb.193:                              ;   in Loop: Header=BB186_162 Depth=1
	s_andn2_saveexec_b64 s[2:3], s[2:3]
; %bb.194:                              ;   in Loop: Header=BB186_162 Depth=1
	v_mul_f32_e32 v27, 4.0, v7
	v_mul_f32_e32 v6, 4.0, v6
	v_mul_f32_e32 v27, v27, v27
	v_fmac_f32_e32 v27, v6, v6
	v_mul_f32_e32 v27, 0x3d800000, v27
; %bb.195:                              ;   in Loop: Header=BB186_162 Depth=1
	s_or_b64 exec, exec, s[2:3]
	v_cmp_gt_f32_e32 vcc, s35, v27
	v_cndmask_b32_e64 v6, 0, 32, vcc
	v_ldexp_f32 v6, v27, v6
	v_log_f32_e32 v6, v6
	v_cndmask_b32_e32 v27, 0, v26, vcc
	v_mul_f32_e32 v28, 0x3f317217, v6
	v_fma_f32 v28, v6, s36, -v28
	v_fmac_f32_e32 v28, 0x3377d1cf, v6
	v_fmac_f32_e32 v28, 0x3f317217, v6
	v_cmp_lt_f32_e64 vcc, |v6|, s29
	v_cndmask_b32_e32 v6, v6, v28, vcc
	v_sub_f32_e32 v27, v6, v27
	v_mov_b32_e32 v28, 0x7fc00000
.LBB186_196:                            ;   in Loop: Header=BB186_162 Depth=1
	s_or_b64 exec, exec, s[0:1]
	v_cmp_o_f32_e32 vcc, v9, v8
                                        ; implicit-def: $vgpr6
                                        ; implicit-def: $vgpr29
	s_and_saveexec_b64 s[0:1], vcc
	s_xor_b64 s[4:5], exec, s[0:1]
	s_cbranch_execz .LBB186_224
; %bb.197:                              ;   in Loop: Header=BB186_162 Depth=1
	v_cmp_lt_f32_e64 s[0:1], |v8|, |v9|
	v_cndmask_b32_e64 v30, |v9|, |v8|, s[0:1]
	v_cmp_nlt_f32_e32 vcc, s24, v30
                                        ; implicit-def: $vgpr6
                                        ; implicit-def: $vgpr29
	s_and_saveexec_b64 s[2:3], vcc
	s_xor_b64 s[10:11], exec, s[2:3]
	s_cbranch_execz .LBB186_221
; %bb.198:                              ;   in Loop: Header=BB186_162 Depth=1
	v_and_b32_e32 v6, 0x7fffffff, v9
	v_cndmask_b32_e64 v31, |v8|, v6, s[0:1]
	v_cmp_neq_f32_e32 vcc, 1.0, v31
                                        ; implicit-def: $vgpr6
                                        ; implicit-def: $vgpr29
	s_and_saveexec_b64 s[2:3], vcc
	s_xor_b64 s[12:13], exec, s[2:3]
	s_cbranch_execz .LBB186_214
; %bb.199:                              ;   in Loop: Header=BB186_162 Depth=1
	v_max_f32_e32 v6, v30, v30
	v_max_f32_e32 v29, v31, v31
	v_min_f32_e32 v32, v29, v6
	v_max_f32_e32 v6, v29, v6
	v_cmp_ngt_f32_e32 vcc, s25, v32
	v_cmp_nlt_f32_e64 s[2:3], s26, v6
	s_and_b64 s[2:3], s[2:3], vcc
                                        ; implicit-def: $vgpr6
                                        ; implicit-def: $vgpr29
	s_and_saveexec_b64 s[14:15], s[2:3]
	s_xor_b64 s[14:15], exec, s[14:15]
	s_cbranch_execz .LBB186_211
; %bb.200:                              ;   in Loop: Header=BB186_162 Depth=1
	v_cmp_le_f32_e32 vcc, 1.0, v31
                                        ; implicit-def: $vgpr6
                                        ; implicit-def: $vgpr29
	s_and_saveexec_b64 s[2:3], vcc
	s_xor_b64 s[16:17], exec, s[2:3]
	s_cbranch_execz .LBB186_202
; %bb.201:                              ;   in Loop: Header=BB186_162 Depth=1
	v_add_f32_e32 v6, -1.0, v31
	v_add_f32_e32 v29, 1.0, v31
	v_mul_f32_e32 v6, v6, v29
	v_fmac_f32_e32 v6, v30, v30
	v_add_f32_e32 v31, 1.0, v6
	v_cvt_f64_f32_e32 v[29:30], v31
	v_add_f32_e32 v32, -1.0, v31
	v_sub_f32_e32 v33, v32, v31
	v_sub_f32_e32 v32, v6, v32
	v_frexp_exp_i32_f64_e32 v29, v[29:30]
	v_frexp_mant_f32_e32 v30, v31
	v_cmp_gt_f32_e32 vcc, s27, v30
	v_add_f32_e32 v33, 1.0, v33
	v_add_f32_e32 v32, v32, v33
	v_cmp_gt_i32_e64 s[2:3], 0, v8
	v_cmp_class_f32_e64 s[18:19], v9, s31
	v_subbrev_co_u32_e32 v29, vcc, 0, v29, vcc
	v_sub_u32_e32 v30, 0, v29
	v_ldexp_f32 v31, v31, v30
	v_ldexp_f32 v30, v32, v30
	v_add_f32_e32 v32, -1.0, v31
	v_add_f32_e32 v35, 1.0, v31
	v_add_f32_e32 v33, 1.0, v32
	v_add_f32_e32 v36, -1.0, v35
	v_sub_f32_e32 v33, v31, v33
	v_sub_f32_e32 v31, v31, v36
	v_add_f32_e32 v33, v30, v33
	v_add_f32_e32 v30, v30, v31
	;; [unrolled: 1-line block ×3, first 2 shown]
	v_rcp_f32_e32 v36, v31
	v_add_f32_e32 v34, v32, v33
	v_sub_f32_e32 v32, v34, v32
	v_sub_f32_e32 v32, v33, v32
	;; [unrolled: 1-line block ×4, first 2 shown]
	v_mul_f32_e32 v33, v34, v36
	v_mul_f32_e32 v35, v31, v33
	v_fma_f32 v37, v33, v31, -v35
	v_fmac_f32_e32 v37, v33, v30
	v_add_f32_e32 v38, v35, v37
	v_sub_f32_e32 v39, v34, v38
	v_sub_f32_e32 v34, v34, v39
	;; [unrolled: 1-line block ×4, first 2 shown]
	v_add_f32_e32 v32, v32, v34
	v_sub_f32_e32 v34, v35, v37
	v_add_f32_e32 v32, v34, v32
	v_add_f32_e32 v34, v39, v32
	v_mul_f32_e32 v35, v36, v34
	v_mul_f32_e32 v37, v31, v35
	v_fma_f32 v31, v35, v31, -v37
	v_fmac_f32_e32 v31, v35, v30
	v_sub_f32_e32 v30, v39, v34
	v_add_f32_e32 v30, v32, v30
	v_add_f32_e32 v32, v37, v31
	v_sub_f32_e32 v38, v34, v32
	v_sub_f32_e32 v34, v34, v38
	;; [unrolled: 1-line block ×4, first 2 shown]
	v_add_f32_e32 v30, v30, v32
	v_sub_f32_e32 v31, v37, v31
	v_cvt_f32_i32_e32 v29, v29
	v_add_f32_e32 v30, v31, v30
	v_add_f32_e32 v31, v33, v35
	;; [unrolled: 1-line block ×3, first 2 shown]
	v_sub_f32_e32 v32, v31, v33
	v_mul_f32_e32 v30, v36, v30
	v_sub_f32_e32 v32, v35, v32
	v_add_f32_e32 v30, v32, v30
	v_mul_f32_e32 v35, 0x3f317218, v29
	v_add_f32_e32 v32, v31, v30
	v_fma_f32 v36, v29, s28, -v35
	v_mul_f32_e32 v33, v32, v32
	v_mov_b32_e32 v34, 0x3ecc95a3
	v_fmac_f32_e32 v36, 0xb102e308, v29
	v_sub_f32_e32 v29, v32, v31
	v_fmac_f32_e32 v34, 0x3e9b6dac, v33
	v_sub_f32_e32 v29, v30, v29
	v_add_f32_e32 v30, v35, v36
	v_fma_f32 v34, v33, v34, v13
	v_sub_f32_e32 v31, v30, v35
	v_ldexp_f32 v35, v32, 1
	v_mul_f32_e32 v32, v32, v33
	v_mul_f32_e32 v32, v32, v34
	v_add_f32_e32 v33, v35, v32
	v_sub_f32_e32 v34, v33, v35
	v_ldexp_f32 v29, v29, 1
	v_sub_f32_e32 v32, v32, v34
	v_add_f32_e32 v29, v29, v32
	v_add_f32_e32 v32, v33, v29
	v_sub_f32_e32 v33, v32, v33
	v_sub_f32_e32 v29, v29, v33
	v_add_f32_e32 v33, v30, v32
	v_sub_f32_e32 v34, v33, v30
	v_sub_f32_e32 v35, v33, v34
	;; [unrolled: 1-line block ×5, first 2 shown]
	v_add_f32_e32 v30, v32, v30
	v_add_f32_e32 v32, v31, v29
	v_sub_f32_e32 v34, v32, v31
	v_sub_f32_e32 v35, v32, v34
	v_sub_f32_e32 v31, v31, v35
	v_sub_f32_e32 v29, v29, v34
	v_add_f32_e32 v30, v32, v30
	v_add_f32_e32 v29, v29, v31
	;; [unrolled: 1-line block ×3, first 2 shown]
	v_sub_f32_e32 v32, v31, v33
	v_sub_f32_e32 v30, v30, v32
	v_add_f32_e32 v29, v29, v30
	v_add_f32_e32 v29, v31, v29
	v_cmp_neq_f32_e32 vcc, s29, v6
	v_cndmask_b32_e32 v29, v20, v29, vcc
	v_cmp_ngt_f32_e32 vcc, -1.0, v6
	v_cndmask_b32_e32 v29, v21, v29, vcc
	v_cmp_neq_f32_e32 vcc, -1.0, v6
	v_cndmask_b32_e32 v29, v22, v29, vcc
	v_cmp_lt_f32_e64 vcc, |v6|, s30
	v_cndmask_b32_e32 v6, v29, v6, vcc
	v_max_f32_e64 v29, |v9|, |v9|
	v_max_f32_e64 v30, |v8|, |v8|
	v_min_f32_e32 v31, v30, v29
	v_max_f32_e32 v29, v30, v29
	v_frexp_mant_f32_e32 v30, v29
	v_rcp_f32_e32 v30, v30
	v_frexp_exp_i32_f32_e32 v29, v29
	v_frexp_exp_i32_f32_e32 v32, v31
	v_frexp_mant_f32_e32 v31, v31
	v_mul_f32_e32 v30, v31, v30
	v_sub_u32_e32 v29, v32, v29
	v_ldexp_f32 v29, v30, v29
	v_mul_f32_e32 v30, v29, v29
	v_mov_b32_e32 v31, 0xbc7a590c
	v_fmac_f32_e32 v31, 0x3b2d2a58, v30
	v_fma_f32 v31, v30, v31, v14
	v_fma_f32 v31, v30, v31, v15
	;; [unrolled: 1-line block ×6, first 2 shown]
	v_mul_f32_e32 v30, v30, v31
	v_fmac_f32_e32 v29, v29, v30
	v_sub_f32_e32 v30, 0x3fc90fdb, v29
	v_cndmask_b32_e64 v29, v29, v30, s[0:1]
	v_sub_f32_e32 v30, 0x40490fdb, v29
	v_cmp_gt_f32_e32 vcc, 0, v8
	v_cndmask_b32_e32 v29, v29, v30, vcc
	v_cndmask_b32_e64 v30, 0, v23, s[2:3]
	v_cmp_eq_f32_e64 s[2:3], 0, v9
	v_cndmask_b32_e64 v29, v29, v30, s[2:3]
	v_cmp_class_f32_e64 s[2:3], v8, s31
	v_cndmask_b32_e32 v30, v24, v25, vcc
	s_and_b64 vcc, s[2:3], s[18:19]
	v_mul_f32_e32 v6, 0.5, v6
	v_cndmask_b32_e32 v29, v29, v30, vcc
                                        ; implicit-def: $vgpr30
                                        ; implicit-def: $vgpr31
.LBB186_202:                            ;   in Loop: Header=BB186_162 Depth=1
	s_andn2_saveexec_b64 s[16:17], s[16:17]
	s_cbranch_execz .LBB186_210
; %bb.203:                              ;   in Loop: Header=BB186_162 Depth=1
	v_mul_f32_e32 v32, v30, v30
	v_fmac_f32_e32 v32, v31, v31
	v_cmp_ge_f32_e32 vcc, s34, v32
                                        ; implicit-def: $vgpr6
                                        ; implicit-def: $vgpr29
	s_and_saveexec_b64 s[2:3], vcc
	s_xor_b64 s[18:19], exec, s[2:3]
	s_cbranch_execz .LBB186_205
; %bb.204:                              ;   in Loop: Header=BB186_162 Depth=1
	v_cmp_gt_f32_e32 vcc, s35, v32
	v_cndmask_b32_e64 v6, 0, 32, vcc
	v_ldexp_f32 v6, v32, v6
	v_log_f32_e32 v6, v6
	v_cndmask_b32_e32 v29, 0, v26, vcc
	v_cmp_gt_i32_e64 s[2:3], 0, v8
	v_cmp_class_f32_e64 s[20:21], v9, s31
	v_mul_f32_e32 v30, 0x3f317217, v6
	v_fma_f32 v30, v6, s36, -v30
	v_fmac_f32_e32 v30, 0x3377d1cf, v6
	v_fmac_f32_e32 v30, 0x3f317217, v6
	v_cmp_lt_f32_e64 vcc, |v6|, s29
	v_cndmask_b32_e32 v6, v6, v30, vcc
	v_sub_f32_e32 v6, v6, v29
	v_max_f32_e64 v29, |v9|, |v9|
	v_max_f32_e64 v30, |v8|, |v8|
	v_min_f32_e32 v31, v30, v29
	v_max_f32_e32 v29, v30, v29
	v_frexp_mant_f32_e32 v30, v29
	v_rcp_f32_e32 v30, v30
	v_frexp_exp_i32_f32_e32 v29, v29
	v_frexp_exp_i32_f32_e32 v32, v31
	v_frexp_mant_f32_e32 v31, v31
	v_mul_f32_e32 v30, v31, v30
	v_sub_u32_e32 v29, v32, v29
	v_ldexp_f32 v29, v30, v29
	v_mul_f32_e32 v30, v29, v29
	v_mov_b32_e32 v31, 0xbc7a590c
	v_fmac_f32_e32 v31, 0x3b2d2a58, v30
	v_fma_f32 v31, v30, v31, v14
	v_fma_f32 v31, v30, v31, v15
	;; [unrolled: 1-line block ×6, first 2 shown]
	v_mul_f32_e32 v30, v30, v31
	v_fmac_f32_e32 v29, v29, v30
	v_sub_f32_e32 v30, 0x3fc90fdb, v29
	v_cndmask_b32_e64 v29, v29, v30, s[0:1]
	v_sub_f32_e32 v30, 0x40490fdb, v29
	v_cmp_gt_f32_e32 vcc, 0, v8
	v_cndmask_b32_e32 v29, v29, v30, vcc
	v_cndmask_b32_e64 v30, 0, v23, s[2:3]
	v_cmp_eq_f32_e64 s[2:3], 0, v9
	v_cndmask_b32_e64 v29, v29, v30, s[2:3]
	v_cmp_class_f32_e64 s[2:3], v8, s31
	v_cndmask_b32_e32 v30, v24, v25, vcc
	s_and_b64 vcc, s[2:3], s[20:21]
	v_mul_f32_e32 v6, 0.5, v6
	v_cndmask_b32_e32 v29, v29, v30, vcc
                                        ; implicit-def: $vgpr31
                                        ; implicit-def: $vgpr30
.LBB186_205:                            ;   in Loop: Header=BB186_162 Depth=1
	s_andn2_saveexec_b64 s[18:19], s[18:19]
	s_cbranch_execz .LBB186_209
; %bb.206:                              ;   in Loop: Header=BB186_162 Depth=1
	v_and_b32_e32 v32, 0x7fff0000, v31
	v_sub_f32_e32 v6, v31, v32
	v_and_b32_e32 v36, 0xffff0000, v6
	v_and_b32_e32 v31, 0x7fff0000, v30
	v_sub_f32_e32 v38, v6, v36
	v_sub_f32_e32 v6, v30, v31
	v_and_b32_e32 v37, 0xffff0000, v6
	v_add_f32_e32 v33, v32, v32
	v_add_f32_e32 v40, v31, v31
	v_sub_f32_e32 v39, v6, v37
	v_mul_f32_e32 v6, v32, v32
	v_mul_f32_e32 v29, v31, v31
	;; [unrolled: 1-line block ×6, first 2 shown]
	v_add_f32_e32 v36, v36, v36
	v_add_f32_e32 v37, v37, v37
	v_mul_f32_e32 v34, v33, v38
	v_mul_f32_e32 v33, v40, v39
	;; [unrolled: 1-line block ×6, first 2 shown]
	s_mov_b64 s[20:21], 0
.LBB186_207:                            ;   Parent Loop BB186_162 Depth=1
                                        ; =>  This Inner Loop Header: Depth=2
	v_cmp_nlt_f32_e32 vcc, v6, v29
	v_mov_b32_e32 v40, v39
	v_cndmask_b32_e32 v39, v6, v29, vcc
	v_cmp_nlt_f32_e64 s[2:3], v39, v32
	v_cndmask_b32_e64 v41, v39, v32, s[2:3]
	v_cndmask_b32_e32 v6, v29, v6, vcc
	s_and_b64 s[42:43], vcc, s[2:3]
	v_cmp_nlt_f32_e32 vcc, v41, v31
	v_cndmask_b32_e64 v29, v32, v39, s[2:3]
	v_cndmask_b32_e32 v39, v41, v31, vcc
	v_cmp_nlt_f32_e64 s[2:3], v39, v35
	v_cndmask_b32_e32 v32, v31, v41, vcc
	v_cndmask_b32_e64 v41, v39, v35, s[2:3]
	s_and_b64 s[44:45], vcc, s[2:3]
	v_cmp_nlt_f32_e32 vcc, v41, v30
	v_cndmask_b32_e64 v31, v35, v39, s[2:3]
	v_cndmask_b32_e32 v39, v41, v30, vcc
	v_cmp_nlt_f32_e64 s[2:3], v39, v34
	v_cndmask_b32_e32 v35, v30, v41, vcc
	v_cndmask_b32_e64 v41, v39, v34, s[2:3]
	v_cndmask_b32_e64 v30, v34, v39, s[2:3]
	s_and_b64 s[2:3], vcc, s[2:3]
	v_cmp_nlt_f32_e32 vcc, v41, v33
	v_cndmask_b32_e32 v39, v41, v33, vcc
	v_cndmask_b32_e32 v34, v33, v41, vcc
	s_and_b64 s[2:3], s[2:3], vcc
	v_cmp_nlt_f32_e32 vcc, v39, v36
	v_cndmask_b32_e32 v41, v39, v36, vcc
	v_cndmask_b32_e32 v33, v36, v39, vcc
	s_and_b64 s[2:3], s[2:3], vcc
	;; [unrolled: 4-line block ×4, first 2 shown]
	v_cmp_nlt_f32_e32 vcc, v41, v40
	s_and_b64 s[2:3], s[2:3], vcc
	s_and_b64 s[2:3], s[2:3], s[44:45]
	s_and_b64 s[2:3], s[2:3], s[42:43]
	s_and_b64 s[2:3], exec, s[2:3]
	v_cndmask_b32_e32 v39, v41, v40, vcc
	s_or_b64 s[20:21], s[2:3], s[20:21]
	v_cndmask_b32_e32 v38, v40, v41, vcc
	s_andn2_b64 exec, exec, s[20:21]
	s_cbranch_execnz .LBB186_207
; %bb.208:                              ;   in Loop: Header=BB186_162 Depth=1
	s_or_b64 exec, exec, s[20:21]
	v_add_f32_e32 v6, -1.0, v6
	v_add_f32_e32 v6, v6, v29
	v_add_f32_e32 v6, v6, v32
	;; [unrolled: 1-line block ×11, first 2 shown]
	v_add_f32_e32 v31, 1.0, v6
	v_cvt_f64_f32_e32 v[29:30], v31
	v_add_f32_e32 v32, -1.0, v31
	v_sub_f32_e32 v33, v32, v31
	v_sub_f32_e32 v32, v6, v32
	v_frexp_exp_i32_f64_e32 v29, v[29:30]
	v_frexp_mant_f32_e32 v30, v31
	v_cmp_gt_f32_e32 vcc, s27, v30
	v_add_f32_e32 v33, 1.0, v33
	v_add_f32_e32 v32, v32, v33
	v_cmp_gt_i32_e64 s[2:3], 0, v8
	v_cmp_class_f32_e64 s[20:21], v9, s31
	v_subbrev_co_u32_e32 v29, vcc, 0, v29, vcc
	v_sub_u32_e32 v30, 0, v29
	v_ldexp_f32 v31, v31, v30
	v_ldexp_f32 v30, v32, v30
	v_add_f32_e32 v32, -1.0, v31
	v_add_f32_e32 v33, 1.0, v31
	v_add_f32_e32 v34, 1.0, v32
	v_add_f32_e32 v36, -1.0, v33
	v_sub_f32_e32 v34, v31, v34
	v_sub_f32_e32 v31, v31, v36
	v_add_f32_e32 v34, v30, v34
	v_add_f32_e32 v30, v30, v31
	;; [unrolled: 1-line block ×3, first 2 shown]
	v_rcp_f32_e32 v36, v31
	v_add_f32_e32 v35, v32, v34
	v_sub_f32_e32 v33, v31, v33
	v_sub_f32_e32 v32, v35, v32
	;; [unrolled: 1-line block ×3, first 2 shown]
	v_mul_f32_e32 v33, v35, v36
	v_sub_f32_e32 v32, v34, v32
	v_mul_f32_e32 v34, v31, v33
	v_fma_f32 v37, v33, v31, -v34
	v_fmac_f32_e32 v37, v33, v30
	v_add_f32_e32 v38, v34, v37
	v_sub_f32_e32 v39, v35, v38
	v_sub_f32_e32 v35, v35, v39
	;; [unrolled: 1-line block ×4, first 2 shown]
	v_add_f32_e32 v32, v32, v35
	v_sub_f32_e32 v34, v34, v37
	v_add_f32_e32 v32, v34, v32
	v_add_f32_e32 v34, v39, v32
	v_mul_f32_e32 v35, v36, v34
	v_mul_f32_e32 v37, v31, v35
	v_fma_f32 v31, v35, v31, -v37
	v_fmac_f32_e32 v31, v35, v30
	v_sub_f32_e32 v30, v39, v34
	v_add_f32_e32 v30, v32, v30
	v_add_f32_e32 v32, v37, v31
	v_sub_f32_e32 v38, v34, v32
	v_sub_f32_e32 v34, v34, v38
	;; [unrolled: 1-line block ×4, first 2 shown]
	v_add_f32_e32 v30, v30, v32
	v_sub_f32_e32 v31, v37, v31
	v_cvt_f32_i32_e32 v29, v29
	v_add_f32_e32 v30, v31, v30
	v_add_f32_e32 v31, v33, v35
	;; [unrolled: 1-line block ×3, first 2 shown]
	v_sub_f32_e32 v32, v31, v33
	v_mul_f32_e32 v30, v36, v30
	v_sub_f32_e32 v32, v35, v32
	v_add_f32_e32 v30, v32, v30
	v_mul_f32_e32 v35, 0x3f317218, v29
	v_add_f32_e32 v32, v31, v30
	v_fma_f32 v36, v29, s28, -v35
	v_mul_f32_e32 v33, v32, v32
	v_mov_b32_e32 v34, 0x3ecc95a3
	v_fmac_f32_e32 v36, 0xb102e308, v29
	v_sub_f32_e32 v29, v32, v31
	v_fmac_f32_e32 v34, 0x3e9b6dac, v33
	v_sub_f32_e32 v29, v30, v29
	v_add_f32_e32 v30, v35, v36
	v_fma_f32 v34, v33, v34, v13
	v_sub_f32_e32 v31, v30, v35
	v_ldexp_f32 v35, v32, 1
	v_mul_f32_e32 v32, v32, v33
	v_mul_f32_e32 v32, v32, v34
	v_add_f32_e32 v33, v35, v32
	v_sub_f32_e32 v34, v33, v35
	v_ldexp_f32 v29, v29, 1
	v_sub_f32_e32 v32, v32, v34
	v_add_f32_e32 v29, v29, v32
	v_add_f32_e32 v32, v33, v29
	v_sub_f32_e32 v33, v32, v33
	v_sub_f32_e32 v29, v29, v33
	v_add_f32_e32 v33, v30, v32
	v_sub_f32_e32 v34, v33, v30
	v_sub_f32_e32 v35, v33, v34
	;; [unrolled: 1-line block ×5, first 2 shown]
	v_add_f32_e32 v30, v32, v30
	v_add_f32_e32 v32, v31, v29
	v_sub_f32_e32 v34, v32, v31
	v_sub_f32_e32 v35, v32, v34
	;; [unrolled: 1-line block ×4, first 2 shown]
	v_add_f32_e32 v30, v32, v30
	v_add_f32_e32 v29, v29, v31
	;; [unrolled: 1-line block ×3, first 2 shown]
	v_sub_f32_e32 v32, v31, v33
	v_sub_f32_e32 v30, v30, v32
	v_add_f32_e32 v29, v29, v30
	v_add_f32_e32 v29, v31, v29
	v_cmp_neq_f32_e32 vcc, s29, v6
	v_cndmask_b32_e32 v29, v20, v29, vcc
	v_cmp_ngt_f32_e32 vcc, -1.0, v6
	v_cndmask_b32_e32 v29, v21, v29, vcc
	v_cmp_neq_f32_e32 vcc, -1.0, v6
	v_cndmask_b32_e32 v29, v22, v29, vcc
	v_cmp_lt_f32_e64 vcc, |v6|, s30
	v_cndmask_b32_e32 v6, v29, v6, vcc
	v_max_f32_e64 v29, |v9|, |v9|
	v_max_f32_e64 v30, |v8|, |v8|
	v_min_f32_e32 v31, v30, v29
	v_max_f32_e32 v29, v30, v29
	v_frexp_mant_f32_e32 v30, v29
	v_rcp_f32_e32 v30, v30
	v_frexp_exp_i32_f32_e32 v29, v29
	v_frexp_exp_i32_f32_e32 v32, v31
	v_frexp_mant_f32_e32 v31, v31
	v_mul_f32_e32 v30, v31, v30
	v_sub_u32_e32 v29, v32, v29
	v_ldexp_f32 v29, v30, v29
	v_mul_f32_e32 v30, v29, v29
	v_mov_b32_e32 v31, 0xbc7a590c
	v_fmac_f32_e32 v31, 0x3b2d2a58, v30
	v_fma_f32 v31, v30, v31, v14
	v_fma_f32 v31, v30, v31, v15
	;; [unrolled: 1-line block ×6, first 2 shown]
	v_mul_f32_e32 v30, v30, v31
	v_fmac_f32_e32 v29, v29, v30
	v_sub_f32_e32 v30, 0x3fc90fdb, v29
	v_cndmask_b32_e64 v29, v29, v30, s[0:1]
	v_sub_f32_e32 v30, 0x40490fdb, v29
	v_cmp_gt_f32_e32 vcc, 0, v8
	v_cndmask_b32_e32 v29, v29, v30, vcc
	v_cndmask_b32_e64 v30, 0, v23, s[2:3]
	v_cmp_eq_f32_e64 s[2:3], 0, v9
	v_cndmask_b32_e64 v29, v29, v30, s[2:3]
	v_cmp_class_f32_e64 s[2:3], v8, s31
	v_cndmask_b32_e32 v30, v24, v25, vcc
	s_and_b64 vcc, s[2:3], s[20:21]
	v_mul_f32_e32 v6, 0.5, v6
	v_cndmask_b32_e32 v29, v29, v30, vcc
.LBB186_209:                            ;   in Loop: Header=BB186_162 Depth=1
	s_or_b64 exec, exec, s[18:19]
.LBB186_210:                            ;   in Loop: Header=BB186_162 Depth=1
	s_or_b64 exec, exec, s[16:17]
.LBB186_211:                            ;   in Loop: Header=BB186_162 Depth=1
	s_andn2_saveexec_b64 s[14:15], s[14:15]
	s_cbranch_execz .LBB186_213
; %bb.212:                              ;   in Loop: Header=BB186_162 Depth=1
	v_max_f32_e64 v6, |v9|, |v9|
	v_max_f32_e64 v31, |v8|, |v8|
	v_max_f32_e32 v32, v31, v6
	v_cvt_f64_f32_e32 v[29:30], v32
	v_min_f32_e32 v6, v31, v6
	v_frexp_mant_f32_e32 v31, v32
	v_rcp_f32_e32 v31, v31
	v_frexp_exp_i32_f64_e32 v29, v[29:30]
	v_cmp_neq_f32_e32 vcc, s29, v32
	v_frexp_exp_i32_f32_e32 v33, v6
	v_frexp_mant_f32_e32 v6, v6
	v_mul_f32_e32 v6, v6, v31
	v_frexp_exp_i32_f32_e32 v30, v32
	v_sub_u32_e32 v30, v33, v30
	v_ldexp_f32 v30, v6, v30
	v_sub_u32_e32 v34, 0, v29
	v_ldexp_f32 v35, |v8|, v34
	v_ldexp_f32 v34, |v9|, v34
	v_mul_f32_e32 v34, v34, v34
	v_fmac_f32_e32 v34, v35, v35
	v_sqrt_f32_e32 v34, v34
	v_cmp_gt_i32_e64 s[2:3], 0, v8
	v_cmp_class_f32_e64 s[16:17], v9, s31
	v_ldexp_f32 v29, v34, v29
	v_cndmask_b32_e32 v29, v20, v29, vcc
	v_cmp_gt_f32_e32 vcc, s35, v29
	v_cndmask_b32_e64 v31, 0, 32, vcc
	v_ldexp_f32 v29, v29, v31
	v_log_f32_e32 v29, v29
	v_cndmask_b32_e32 v6, 0, v26, vcc
	v_mul_f32_e32 v31, v30, v30
	v_mul_f32_e32 v32, 0x3f317217, v29
	v_fma_f32 v32, v29, s36, -v32
	v_fmac_f32_e32 v32, 0x3377d1cf, v29
	v_fmac_f32_e32 v32, 0x3f317217, v29
	v_cmp_lt_f32_e64 vcc, |v29|, s29
	v_cndmask_b32_e32 v29, v29, v32, vcc
	v_sub_f32_e32 v6, v29, v6
	v_mov_b32_e32 v29, 0xbc7a590c
	v_fmac_f32_e32 v29, 0x3b2d2a58, v31
	v_fma_f32 v29, v31, v29, v14
	v_fma_f32 v29, v31, v29, v15
	;; [unrolled: 1-line block ×6, first 2 shown]
	v_mul_f32_e32 v29, v31, v29
	v_fmac_f32_e32 v30, v30, v29
	v_sub_f32_e32 v29, 0x3fc90fdb, v30
	v_cndmask_b32_e64 v29, v30, v29, s[0:1]
	v_sub_f32_e32 v30, 0x40490fdb, v29
	v_cmp_gt_f32_e32 vcc, 0, v8
	v_cndmask_b32_e32 v29, v29, v30, vcc
	v_cndmask_b32_e64 v30, 0, v23, s[2:3]
	v_cmp_eq_f32_e64 s[2:3], 0, v9
	v_cndmask_b32_e64 v29, v29, v30, s[2:3]
	v_cmp_class_f32_e64 s[2:3], v8, s31
	v_cndmask_b32_e32 v30, v24, v25, vcc
	s_and_b64 vcc, s[2:3], s[16:17]
	v_cndmask_b32_e32 v29, v29, v30, vcc
.LBB186_213:                            ;   in Loop: Header=BB186_162 Depth=1
	s_or_b64 exec, exec, s[14:15]
                                        ; implicit-def: $vgpr30
.LBB186_214:                            ;   in Loop: Header=BB186_162 Depth=1
	s_andn2_saveexec_b64 s[12:13], s[12:13]
	s_cbranch_execz .LBB186_220
; %bb.215:                              ;   in Loop: Header=BB186_162 Depth=1
	v_cmp_ngt_f32_e32 vcc, s37, v30
                                        ; implicit-def: $vgpr6
                                        ; implicit-def: $vgpr29
	s_and_saveexec_b64 s[2:3], vcc
	s_xor_b64 s[14:15], exec, s[2:3]
	s_cbranch_execz .LBB186_217
; %bb.216:                              ;   in Loop: Header=BB186_162 Depth=1
	v_mul_f32_e32 v6, v30, v30
	v_add_f32_e32 v31, 1.0, v6
	v_cvt_f64_f32_e32 v[29:30], v31
	v_add_f32_e32 v32, -1.0, v31
	v_sub_f32_e32 v33, v32, v31
	v_sub_f32_e32 v32, v6, v32
	v_frexp_exp_i32_f64_e32 v29, v[29:30]
	v_frexp_mant_f32_e32 v30, v31
	v_cmp_gt_f32_e32 vcc, s27, v30
	v_add_f32_e32 v33, 1.0, v33
	v_add_f32_e32 v32, v32, v33
	v_cmp_gt_i32_e64 s[2:3], 0, v8
	v_cmp_class_f32_e64 s[16:17], v9, s31
	v_subbrev_co_u32_e32 v29, vcc, 0, v29, vcc
	v_sub_u32_e32 v30, 0, v29
	v_ldexp_f32 v31, v31, v30
	v_ldexp_f32 v30, v32, v30
	v_add_f32_e32 v32, -1.0, v31
	v_add_f32_e32 v33, 1.0, v31
	v_add_f32_e32 v34, 1.0, v32
	v_add_f32_e32 v36, -1.0, v33
	v_sub_f32_e32 v34, v31, v34
	v_sub_f32_e32 v31, v31, v36
	v_add_f32_e32 v34, v30, v34
	v_add_f32_e32 v30, v30, v31
	;; [unrolled: 1-line block ×3, first 2 shown]
	v_rcp_f32_e32 v36, v31
	v_add_f32_e32 v35, v32, v34
	v_sub_f32_e32 v33, v33, v31
	v_sub_f32_e32 v32, v32, v35
	v_add_f32_e32 v30, v30, v33
	v_mul_f32_e32 v33, v35, v36
	v_add_f32_e32 v32, v34, v32
	v_mul_f32_e32 v34, v31, v33
	v_fma_f32 v37, v33, v31, -v34
	v_fmac_f32_e32 v37, v33, v30
	v_add_f32_e32 v38, v34, v37
	v_sub_f32_e32 v39, v35, v38
	v_sub_f32_e32 v35, v35, v39
	;; [unrolled: 1-line block ×4, first 2 shown]
	v_add_f32_e32 v32, v32, v35
	v_sub_f32_e32 v34, v34, v37
	v_add_f32_e32 v32, v34, v32
	v_add_f32_e32 v34, v39, v32
	v_mul_f32_e32 v35, v36, v34
	v_mul_f32_e32 v37, v31, v35
	v_fma_f32 v31, v35, v31, -v37
	v_fmac_f32_e32 v31, v35, v30
	v_sub_f32_e32 v30, v39, v34
	v_add_f32_e32 v30, v32, v30
	v_add_f32_e32 v32, v37, v31
	v_sub_f32_e32 v38, v34, v32
	v_sub_f32_e32 v34, v34, v38
	;; [unrolled: 1-line block ×4, first 2 shown]
	v_add_f32_e32 v30, v30, v32
	v_sub_f32_e32 v31, v37, v31
	v_cvt_f32_i32_e32 v29, v29
	v_add_f32_e32 v30, v31, v30
	v_add_f32_e32 v31, v33, v35
	;; [unrolled: 1-line block ×3, first 2 shown]
	v_sub_f32_e32 v32, v31, v33
	v_mul_f32_e32 v30, v36, v30
	v_sub_f32_e32 v32, v35, v32
	v_add_f32_e32 v30, v32, v30
	v_mul_f32_e32 v35, 0x3f317218, v29
	v_add_f32_e32 v32, v31, v30
	v_fma_f32 v36, v29, s28, -v35
	v_mul_f32_e32 v33, v32, v32
	v_mov_b32_e32 v34, 0x3ecc95a3
	v_fmac_f32_e32 v36, 0xb102e308, v29
	v_sub_f32_e32 v29, v32, v31
	v_fmac_f32_e32 v34, 0x3e9b6dac, v33
	v_sub_f32_e32 v29, v30, v29
	v_add_f32_e32 v30, v35, v36
	v_fma_f32 v34, v33, v34, v13
	v_sub_f32_e32 v31, v30, v35
	v_ldexp_f32 v35, v32, 1
	v_mul_f32_e32 v32, v32, v33
	v_mul_f32_e32 v32, v32, v34
	v_add_f32_e32 v33, v35, v32
	v_sub_f32_e32 v34, v33, v35
	v_ldexp_f32 v29, v29, 1
	v_sub_f32_e32 v32, v32, v34
	v_add_f32_e32 v29, v29, v32
	v_add_f32_e32 v32, v33, v29
	v_sub_f32_e32 v33, v32, v33
	v_sub_f32_e32 v29, v29, v33
	v_add_f32_e32 v33, v30, v32
	v_sub_f32_e32 v34, v33, v30
	v_sub_f32_e32 v35, v33, v34
	;; [unrolled: 1-line block ×5, first 2 shown]
	v_add_f32_e32 v30, v32, v30
	v_add_f32_e32 v32, v31, v29
	v_sub_f32_e32 v34, v32, v31
	v_sub_f32_e32 v35, v32, v34
	;; [unrolled: 1-line block ×4, first 2 shown]
	v_add_f32_e32 v30, v32, v30
	v_add_f32_e32 v29, v29, v31
	;; [unrolled: 1-line block ×3, first 2 shown]
	v_sub_f32_e32 v32, v31, v33
	v_sub_f32_e32 v30, v30, v32
	v_add_f32_e32 v29, v29, v30
	v_add_f32_e32 v29, v31, v29
	v_cmp_neq_f32_e32 vcc, s29, v6
	v_cndmask_b32_e32 v29, v20, v29, vcc
	v_cmp_lt_f32_e64 vcc, |v6|, s30
	v_cndmask_b32_e32 v6, v29, v6, vcc
	v_max_f32_e64 v29, |v9|, |v9|
	v_max_f32_e64 v30, |v8|, |v8|
	v_min_f32_e32 v31, v30, v29
	v_max_f32_e32 v29, v30, v29
	v_frexp_mant_f32_e32 v30, v29
	v_rcp_f32_e32 v30, v30
	v_frexp_exp_i32_f32_e32 v29, v29
	v_frexp_exp_i32_f32_e32 v32, v31
	v_frexp_mant_f32_e32 v31, v31
	v_mul_f32_e32 v30, v31, v30
	v_sub_u32_e32 v29, v32, v29
	v_ldexp_f32 v29, v30, v29
	v_mul_f32_e32 v30, v29, v29
	v_mov_b32_e32 v31, 0xbc7a590c
	v_fmac_f32_e32 v31, 0x3b2d2a58, v30
	v_fma_f32 v31, v30, v31, v14
	v_fma_f32 v31, v30, v31, v15
	;; [unrolled: 1-line block ×6, first 2 shown]
	v_mul_f32_e32 v30, v30, v31
	v_fmac_f32_e32 v29, v29, v30
	v_sub_f32_e32 v30, 0x3fc90fdb, v29
	v_cndmask_b32_e64 v29, v29, v30, s[0:1]
	v_sub_f32_e32 v30, 0x40490fdb, v29
	v_cmp_gt_f32_e32 vcc, 0, v8
	v_cndmask_b32_e32 v29, v29, v30, vcc
	v_cndmask_b32_e64 v30, 0, v23, s[2:3]
	v_cmp_eq_f32_e64 s[2:3], 0, v9
	v_cndmask_b32_e64 v29, v29, v30, s[2:3]
	v_cmp_class_f32_e64 s[2:3], v8, s31
	v_cndmask_b32_e32 v30, v24, v25, vcc
	s_and_b64 vcc, s[2:3], s[16:17]
	v_mul_f32_e32 v6, 0.5, v6
	v_cndmask_b32_e32 v29, v29, v30, vcc
                                        ; implicit-def: $vgpr30
.LBB186_217:                            ;   in Loop: Header=BB186_162 Depth=1
	s_andn2_saveexec_b64 s[14:15], s[14:15]
	s_cbranch_execz .LBB186_219
; %bb.218:                              ;   in Loop: Header=BB186_162 Depth=1
	v_mul_f32_e32 v6, 0.5, v30
	v_mul_f32_e32 v6, v30, v6
	v_max_f32_e64 v29, |v9|, |v9|
	v_max_f32_e64 v30, |v8|, |v8|
	v_min_f32_e32 v31, v30, v29
	v_max_f32_e32 v29, v30, v29
	v_frexp_mant_f32_e32 v30, v29
	v_rcp_f32_e32 v30, v30
	v_frexp_exp_i32_f32_e32 v29, v29
	v_frexp_exp_i32_f32_e32 v32, v31
	v_frexp_mant_f32_e32 v31, v31
	v_mul_f32_e32 v30, v31, v30
	v_sub_u32_e32 v29, v32, v29
	v_ldexp_f32 v29, v30, v29
	v_mul_f32_e32 v30, v29, v29
	v_mov_b32_e32 v31, 0xbc7a590c
	v_fmac_f32_e32 v31, 0x3b2d2a58, v30
	v_fma_f32 v31, v30, v31, v14
	v_fma_f32 v31, v30, v31, v15
	;; [unrolled: 1-line block ×6, first 2 shown]
	v_mul_f32_e32 v30, v30, v31
	v_fmac_f32_e32 v29, v29, v30
	v_sub_f32_e32 v30, 0x3fc90fdb, v29
	v_cndmask_b32_e64 v29, v29, v30, s[0:1]
	v_sub_f32_e32 v30, 0x40490fdb, v29
	v_cmp_gt_f32_e32 vcc, 0, v8
	v_cmp_gt_i32_e64 s[2:3], 0, v8
	v_cndmask_b32_e32 v29, v29, v30, vcc
	v_cndmask_b32_e64 v30, 0, v23, s[2:3]
	v_cmp_eq_f32_e64 s[2:3], 0, v9
	v_cndmask_b32_e64 v29, v29, v30, s[2:3]
	v_cmp_class_f32_e64 s[2:3], v8, s31
	v_cmp_class_f32_e64 s[16:17], v9, s31
	v_cndmask_b32_e32 v30, v24, v25, vcc
	s_and_b64 vcc, s[2:3], s[16:17]
	v_cndmask_b32_e32 v29, v29, v30, vcc
.LBB186_219:                            ;   in Loop: Header=BB186_162 Depth=1
	s_or_b64 exec, exec, s[14:15]
.LBB186_220:                            ;   in Loop: Header=BB186_162 Depth=1
	s_or_b64 exec, exec, s[12:13]
.LBB186_221:                            ;   in Loop: Header=BB186_162 Depth=1
	s_andn2_saveexec_b64 s[10:11], s[10:11]
	s_cbranch_execz .LBB186_223
; %bb.222:                              ;   in Loop: Header=BB186_162 Depth=1
	v_div_scale_f32 v6, s[2:3], s38, s38, v8
	v_div_scale_f32 v29, s[2:3], s38, s38, v9
	v_div_scale_f32 v30, vcc, v8, s38, v8
	v_div_scale_f32 v31, s[2:3], v9, s38, v9
	v_rcp_f32_e32 v32, v6
	v_rcp_f32_e32 v33, v29
	v_fma_f32 v34, -v6, v32, 1.0
	v_fmac_f32_e32 v32, v34, v32
	v_fma_f32 v35, -v29, v33, 1.0
	v_fmac_f32_e32 v33, v35, v33
	v_mul_f32_e32 v34, v30, v32
	v_mul_f32_e32 v35, v31, v33
	v_fma_f32 v36, -v6, v34, v30
	v_fma_f32 v37, -v29, v35, v31
	v_fmac_f32_e32 v34, v36, v32
	v_fmac_f32_e32 v35, v37, v33
	v_fma_f32 v6, -v6, v34, v30
	v_fma_f32 v29, -v29, v35, v31
	v_div_fmas_f32 v6, v6, v32, v34
	s_mov_b64 vcc, s[2:3]
	v_div_fmas_f32 v29, v29, v33, v35
	v_max_f32_e64 v30, |v9|, |v9|
	v_max_f32_e64 v31, |v8|, |v8|
	v_min_f32_e32 v33, v31, v30
	v_max_f32_e32 v30, v31, v30
	v_frexp_exp_i32_f32_e32 v31, v30
	v_frexp_exp_i32_f32_e32 v34, v33
	v_sub_u32_e32 v31, v34, v31
	v_frexp_mant_f32_e32 v30, v30
	v_rcp_f32_e32 v35, v30
	v_frexp_mant_f32_e32 v33, v33
	v_mov_b32_e32 v32, 0xbc7a590c
	v_cmp_class_f32_e64 s[2:3], v9, s31
	v_mul_f32_e32 v33, v33, v35
	v_div_fixup_f32 v6, v6, s38, v8
	v_ldexp_f32 v31, v33, v31
	v_div_fixup_f32 v34, v29, s38, v9
	v_max_f32_e64 v36, |v6|, |v34|
	v_cvt_f64_f32_e32 v[29:30], v36
	v_mul_f32_e32 v33, v31, v31
	v_fmac_f32_e32 v32, 0x3b2d2a58, v33
	v_cmp_neq_f32_e32 vcc, s29, v36
	v_frexp_exp_i32_f64_e32 v29, v[29:30]
	v_fma_f32 v30, v33, v32, v14
	v_fma_f32 v30, v33, v30, v15
	;; [unrolled: 1-line block ×6, first 2 shown]
	v_mul_f32_e32 v30, v33, v30
	v_sub_u32_e32 v32, 0, v29
	v_ldexp_f32 v6, |v6|, v32
	v_ldexp_f32 v32, |v34|, v32
	v_mul_f32_e32 v32, v32, v32
	v_fmac_f32_e32 v32, v6, v6
	v_sqrt_f32_e32 v6, v32
	v_fmac_f32_e32 v31, v31, v30
	v_sub_f32_e32 v30, 0x3fc90fdb, v31
	v_ldexp_f32 v6, v6, v29
	v_cndmask_b32_e32 v6, v20, v6, vcc
	v_cmp_gt_f32_e32 vcc, s35, v6
	v_cndmask_b32_e64 v29, 0, 32, vcc
	v_ldexp_f32 v6, v6, v29
	v_log_f32_e32 v6, v6
	v_cndmask_b32_e64 v29, v31, v30, s[0:1]
	v_cndmask_b32_e32 v31, 0, v26, vcc
	v_sub_f32_e32 v30, 0x40490fdb, v29
	v_mul_f32_e32 v32, 0x3f317217, v6
	v_fma_f32 v32, v6, s36, -v32
	v_fmac_f32_e32 v32, 0x3377d1cf, v6
	v_fmac_f32_e32 v32, 0x3f317217, v6
	v_cmp_lt_f32_e64 vcc, |v6|, s29
	v_cndmask_b32_e32 v6, v6, v32, vcc
	v_cmp_gt_f32_e32 vcc, 0, v8
	v_cmp_gt_i32_e64 s[0:1], 0, v8
	v_cndmask_b32_e32 v29, v29, v30, vcc
	v_cndmask_b32_e64 v30, 0, v23, s[0:1]
	v_cmp_eq_f32_e64 s[0:1], 0, v9
	v_cndmask_b32_e64 v29, v29, v30, s[0:1]
	v_cmp_class_f32_e64 s[0:1], v8, s31
	v_sub_f32_e32 v6, v6, v31
	v_cndmask_b32_e32 v30, v24, v25, vcc
	s_and_b64 vcc, s[0:1], s[2:3]
	v_add_f32_e32 v6, 1.0, v6
	v_cndmask_b32_e32 v29, v29, v30, vcc
.LBB186_223:                            ;   in Loop: Header=BB186_162 Depth=1
	s_or_b64 exec, exec, s[10:11]
.LBB186_224:                            ;   in Loop: Header=BB186_162 Depth=1
	s_andn2_saveexec_b64 s[0:1], s[4:5]
	s_cbranch_execz .LBB186_230
; %bb.225:                              ;   in Loop: Header=BB186_162 Depth=1
	v_cmp_nlt_f32_e64 s[2:3], |v8|, s39
	v_cmp_nlt_f32_e64 s[4:5], |v9|, s39
	s_or_b64 s[2:3], s[2:3], s[4:5]
                                        ; implicit-def: $vgpr6
	s_and_saveexec_b64 s[4:5], s[2:3]
	s_xor_b64 s[2:3], exec, s[4:5]
; %bb.226:                              ;   in Loop: Header=BB186_162 Depth=1
	v_mul_f32_e32 v6, v9, v9
	v_fmac_f32_e32 v6, v8, v8
; %bb.227:                              ;   in Loop: Header=BB186_162 Depth=1
	s_andn2_saveexec_b64 s[2:3], s[2:3]
; %bb.228:                              ;   in Loop: Header=BB186_162 Depth=1
	v_mul_f32_e32 v6, 4.0, v8
	v_mul_f32_e32 v8, 4.0, v9
	v_mul_f32_e32 v8, v8, v8
	v_fmac_f32_e32 v8, v6, v6
	v_mul_f32_e32 v6, 0x3d800000, v8
; %bb.229:                              ;   in Loop: Header=BB186_162 Depth=1
	s_or_b64 exec, exec, s[2:3]
	v_cmp_gt_f32_e32 vcc, s35, v6
	v_cndmask_b32_e64 v8, 0, 32, vcc
	v_ldexp_f32 v6, v6, v8
	v_log_f32_e32 v6, v6
	v_cndmask_b32_e32 v8, 0, v26, vcc
	v_mul_f32_e32 v29, 0x3f317217, v6
	v_fma_f32 v29, v6, s36, -v29
	v_fmac_f32_e32 v29, 0x3377d1cf, v6
	v_fmac_f32_e32 v29, 0x3f317217, v6
	v_cmp_lt_f32_e64 vcc, |v6|, s29
	v_cndmask_b32_e32 v6, v6, v29, vcc
	v_sub_f32_e32 v6, v6, v8
	v_mov_b32_e32 v29, 0x7fc00000
.LBB186_230:                            ;   in Loop: Header=BB186_162 Depth=1
	s_or_b64 exec, exec, s[0:1]
	s_waitcnt vmcnt(0)
	v_cmp_o_f32_e32 vcc, v3, v2
                                        ; implicit-def: $vgpr8
                                        ; implicit-def: $vgpr30
	s_and_saveexec_b64 s[0:1], vcc
	s_xor_b64 s[4:5], exec, s[0:1]
	s_cbranch_execz .LBB186_258
; %bb.231:                              ;   in Loop: Header=BB186_162 Depth=1
	v_cmp_lt_f32_e64 s[0:1], |v2|, |v3|
	v_cndmask_b32_e64 v31, |v3|, |v2|, s[0:1]
	v_cmp_nlt_f32_e32 vcc, s24, v31
                                        ; implicit-def: $vgpr8
                                        ; implicit-def: $vgpr30
	s_and_saveexec_b64 s[2:3], vcc
	s_xor_b64 s[10:11], exec, s[2:3]
	s_cbranch_execz .LBB186_255
; %bb.232:                              ;   in Loop: Header=BB186_162 Depth=1
	v_and_b32_e32 v8, 0x7fffffff, v3
	v_cndmask_b32_e64 v32, |v2|, v8, s[0:1]
	v_cmp_neq_f32_e32 vcc, 1.0, v32
                                        ; implicit-def: $vgpr8
                                        ; implicit-def: $vgpr30
	s_and_saveexec_b64 s[2:3], vcc
	s_xor_b64 s[12:13], exec, s[2:3]
	s_cbranch_execz .LBB186_248
; %bb.233:                              ;   in Loop: Header=BB186_162 Depth=1
	v_max_f32_e32 v8, v31, v31
	v_max_f32_e32 v30, v32, v32
	v_min_f32_e32 v33, v30, v8
	v_max_f32_e32 v8, v30, v8
	v_cmp_ngt_f32_e32 vcc, s25, v33
	v_cmp_nlt_f32_e64 s[2:3], s26, v8
	s_and_b64 s[2:3], s[2:3], vcc
                                        ; implicit-def: $vgpr8
                                        ; implicit-def: $vgpr30
	s_and_saveexec_b64 s[14:15], s[2:3]
	s_xor_b64 s[14:15], exec, s[14:15]
	s_cbranch_execz .LBB186_245
; %bb.234:                              ;   in Loop: Header=BB186_162 Depth=1
	v_cmp_le_f32_e32 vcc, 1.0, v32
                                        ; implicit-def: $vgpr8
                                        ; implicit-def: $vgpr30
	s_and_saveexec_b64 s[2:3], vcc
	s_xor_b64 s[16:17], exec, s[2:3]
	s_cbranch_execz .LBB186_236
; %bb.235:                              ;   in Loop: Header=BB186_162 Depth=1
	v_add_f32_e32 v8, -1.0, v32
	v_add_f32_e32 v30, 1.0, v32
	v_mul_f32_e32 v8, v8, v30
	v_fmac_f32_e32 v8, v31, v31
	v_add_f32_e32 v32, 1.0, v8
	v_cvt_f64_f32_e32 v[30:31], v32
	v_add_f32_e32 v33, -1.0, v32
	v_sub_f32_e32 v34, v33, v32
	v_sub_f32_e32 v33, v8, v33
	v_frexp_exp_i32_f64_e32 v30, v[30:31]
	v_frexp_mant_f32_e32 v31, v32
	v_cmp_gt_f32_e32 vcc, s27, v31
	v_add_f32_e32 v34, 1.0, v34
	v_add_f32_e32 v33, v33, v34
	v_cmp_gt_i32_e64 s[2:3], 0, v2
	v_cmp_class_f32_e64 s[18:19], v3, s31
	v_subbrev_co_u32_e32 v30, vcc, 0, v30, vcc
	v_sub_u32_e32 v31, 0, v30
	v_ldexp_f32 v32, v32, v31
	v_ldexp_f32 v31, v33, v31
	v_add_f32_e32 v33, -1.0, v32
	v_add_f32_e32 v36, 1.0, v32
	v_add_f32_e32 v34, 1.0, v33
	v_add_f32_e32 v37, -1.0, v36
	v_sub_f32_e32 v34, v32, v34
	v_sub_f32_e32 v32, v32, v37
	v_add_f32_e32 v34, v31, v34
	v_add_f32_e32 v31, v31, v32
	;; [unrolled: 1-line block ×3, first 2 shown]
	v_rcp_f32_e32 v37, v32
	v_add_f32_e32 v35, v33, v34
	v_sub_f32_e32 v33, v35, v33
	v_sub_f32_e32 v33, v34, v33
	;; [unrolled: 1-line block ×4, first 2 shown]
	v_mul_f32_e32 v34, v35, v37
	v_mul_f32_e32 v36, v32, v34
	v_fma_f32 v38, v34, v32, -v36
	v_fmac_f32_e32 v38, v34, v31
	v_add_f32_e32 v39, v36, v38
	v_sub_f32_e32 v40, v35, v39
	v_sub_f32_e32 v35, v35, v40
	;; [unrolled: 1-line block ×4, first 2 shown]
	v_add_f32_e32 v33, v33, v35
	v_sub_f32_e32 v35, v36, v38
	v_add_f32_e32 v33, v35, v33
	v_add_f32_e32 v35, v40, v33
	v_mul_f32_e32 v36, v37, v35
	v_mul_f32_e32 v38, v32, v36
	v_fma_f32 v32, v36, v32, -v38
	v_fmac_f32_e32 v32, v36, v31
	v_sub_f32_e32 v31, v40, v35
	v_add_f32_e32 v31, v33, v31
	v_add_f32_e32 v33, v38, v32
	v_sub_f32_e32 v39, v35, v33
	v_sub_f32_e32 v35, v35, v39
	v_sub_f32_e32 v38, v33, v38
	v_sub_f32_e32 v33, v35, v33
	v_add_f32_e32 v31, v31, v33
	v_sub_f32_e32 v32, v38, v32
	v_cvt_f32_i32_e32 v30, v30
	v_add_f32_e32 v31, v32, v31
	v_add_f32_e32 v32, v34, v36
	;; [unrolled: 1-line block ×3, first 2 shown]
	v_sub_f32_e32 v33, v32, v34
	v_mul_f32_e32 v31, v37, v31
	v_sub_f32_e32 v33, v36, v33
	v_add_f32_e32 v31, v33, v31
	v_mul_f32_e32 v36, 0x3f317218, v30
	v_add_f32_e32 v33, v32, v31
	v_fma_f32 v37, v30, s28, -v36
	v_mul_f32_e32 v34, v33, v33
	v_mov_b32_e32 v35, 0x3ecc95a3
	v_fmac_f32_e32 v37, 0xb102e308, v30
	v_sub_f32_e32 v30, v33, v32
	v_fmac_f32_e32 v35, 0x3e9b6dac, v34
	v_sub_f32_e32 v30, v31, v30
	v_add_f32_e32 v31, v36, v37
	v_fma_f32 v35, v34, v35, v13
	v_sub_f32_e32 v32, v31, v36
	v_ldexp_f32 v36, v33, 1
	v_mul_f32_e32 v33, v33, v34
	v_mul_f32_e32 v33, v33, v35
	v_add_f32_e32 v34, v36, v33
	v_sub_f32_e32 v35, v34, v36
	v_ldexp_f32 v30, v30, 1
	v_sub_f32_e32 v33, v33, v35
	v_add_f32_e32 v30, v30, v33
	v_add_f32_e32 v33, v34, v30
	v_sub_f32_e32 v34, v33, v34
	v_sub_f32_e32 v30, v30, v34
	v_add_f32_e32 v34, v31, v33
	v_sub_f32_e32 v35, v34, v31
	v_sub_f32_e32 v36, v34, v35
	v_sub_f32_e32 v32, v37, v32
	v_sub_f32_e32 v31, v31, v36
	v_sub_f32_e32 v33, v33, v35
	v_add_f32_e32 v31, v33, v31
	v_add_f32_e32 v33, v32, v30
	v_sub_f32_e32 v35, v33, v32
	v_sub_f32_e32 v36, v33, v35
	;; [unrolled: 1-line block ×4, first 2 shown]
	v_add_f32_e32 v31, v33, v31
	v_add_f32_e32 v30, v30, v32
	v_add_f32_e32 v32, v34, v31
	v_sub_f32_e32 v33, v32, v34
	v_sub_f32_e32 v31, v31, v33
	v_add_f32_e32 v30, v30, v31
	v_add_f32_e32 v30, v32, v30
	v_cmp_neq_f32_e32 vcc, s29, v8
	v_cndmask_b32_e32 v30, v20, v30, vcc
	v_cmp_ngt_f32_e32 vcc, -1.0, v8
	v_cndmask_b32_e32 v30, v21, v30, vcc
	v_cmp_neq_f32_e32 vcc, -1.0, v8
	v_cndmask_b32_e32 v30, v22, v30, vcc
	v_cmp_lt_f32_e64 vcc, |v8|, s30
	v_cndmask_b32_e32 v8, v30, v8, vcc
	v_max_f32_e64 v30, |v3|, |v3|
	v_max_f32_e64 v31, |v2|, |v2|
	v_min_f32_e32 v32, v31, v30
	v_max_f32_e32 v30, v31, v30
	v_frexp_mant_f32_e32 v31, v30
	v_rcp_f32_e32 v31, v31
	v_frexp_exp_i32_f32_e32 v30, v30
	v_frexp_exp_i32_f32_e32 v33, v32
	v_frexp_mant_f32_e32 v32, v32
	v_mul_f32_e32 v31, v32, v31
	v_sub_u32_e32 v30, v33, v30
	v_ldexp_f32 v30, v31, v30
	v_mul_f32_e32 v31, v30, v30
	v_mov_b32_e32 v32, 0xbc7a590c
	v_fmac_f32_e32 v32, 0x3b2d2a58, v31
	v_fma_f32 v32, v31, v32, v14
	v_fma_f32 v32, v31, v32, v15
	;; [unrolled: 1-line block ×6, first 2 shown]
	v_mul_f32_e32 v31, v31, v32
	v_fmac_f32_e32 v30, v30, v31
	v_sub_f32_e32 v31, 0x3fc90fdb, v30
	v_cndmask_b32_e64 v30, v30, v31, s[0:1]
	v_sub_f32_e32 v31, 0x40490fdb, v30
	v_cmp_gt_f32_e32 vcc, 0, v2
	v_cndmask_b32_e32 v30, v30, v31, vcc
	v_cndmask_b32_e64 v31, 0, v23, s[2:3]
	v_cmp_eq_f32_e64 s[2:3], 0, v3
	v_cndmask_b32_e64 v30, v30, v31, s[2:3]
	v_cmp_class_f32_e64 s[2:3], v2, s31
	v_cndmask_b32_e32 v31, v24, v25, vcc
	s_and_b64 vcc, s[2:3], s[18:19]
	v_mul_f32_e32 v8, 0.5, v8
	v_cndmask_b32_e32 v30, v30, v31, vcc
                                        ; implicit-def: $vgpr31
                                        ; implicit-def: $vgpr32
.LBB186_236:                            ;   in Loop: Header=BB186_162 Depth=1
	s_andn2_saveexec_b64 s[16:17], s[16:17]
	s_cbranch_execz .LBB186_244
; %bb.237:                              ;   in Loop: Header=BB186_162 Depth=1
	v_mul_f32_e32 v33, v31, v31
	v_fmac_f32_e32 v33, v32, v32
	v_cmp_ge_f32_e32 vcc, s34, v33
                                        ; implicit-def: $vgpr8
                                        ; implicit-def: $vgpr30
	s_and_saveexec_b64 s[2:3], vcc
	s_xor_b64 s[18:19], exec, s[2:3]
	s_cbranch_execz .LBB186_239
; %bb.238:                              ;   in Loop: Header=BB186_162 Depth=1
	v_cmp_gt_f32_e32 vcc, s35, v33
	v_cndmask_b32_e64 v8, 0, 32, vcc
	v_ldexp_f32 v8, v33, v8
	v_log_f32_e32 v8, v8
	v_cndmask_b32_e32 v30, 0, v26, vcc
	v_cmp_gt_i32_e64 s[2:3], 0, v2
	v_cmp_class_f32_e64 s[20:21], v3, s31
	v_mul_f32_e32 v31, 0x3f317217, v8
	v_fma_f32 v31, v8, s36, -v31
	v_fmac_f32_e32 v31, 0x3377d1cf, v8
	v_fmac_f32_e32 v31, 0x3f317217, v8
	v_cmp_lt_f32_e64 vcc, |v8|, s29
	v_cndmask_b32_e32 v8, v8, v31, vcc
	v_sub_f32_e32 v8, v8, v30
	v_max_f32_e64 v30, |v3|, |v3|
	v_max_f32_e64 v31, |v2|, |v2|
	v_min_f32_e32 v32, v31, v30
	v_max_f32_e32 v30, v31, v30
	v_frexp_mant_f32_e32 v31, v30
	v_rcp_f32_e32 v31, v31
	v_frexp_exp_i32_f32_e32 v30, v30
	v_frexp_exp_i32_f32_e32 v33, v32
	v_frexp_mant_f32_e32 v32, v32
	v_mul_f32_e32 v31, v32, v31
	v_sub_u32_e32 v30, v33, v30
	v_ldexp_f32 v30, v31, v30
	v_mul_f32_e32 v31, v30, v30
	v_mov_b32_e32 v32, 0xbc7a590c
	v_fmac_f32_e32 v32, 0x3b2d2a58, v31
	v_fma_f32 v32, v31, v32, v14
	v_fma_f32 v32, v31, v32, v15
	;; [unrolled: 1-line block ×6, first 2 shown]
	v_mul_f32_e32 v31, v31, v32
	v_fmac_f32_e32 v30, v30, v31
	v_sub_f32_e32 v31, 0x3fc90fdb, v30
	v_cndmask_b32_e64 v30, v30, v31, s[0:1]
	v_sub_f32_e32 v31, 0x40490fdb, v30
	v_cmp_gt_f32_e32 vcc, 0, v2
	v_cndmask_b32_e32 v30, v30, v31, vcc
	v_cndmask_b32_e64 v31, 0, v23, s[2:3]
	v_cmp_eq_f32_e64 s[2:3], 0, v3
	v_cndmask_b32_e64 v30, v30, v31, s[2:3]
	v_cmp_class_f32_e64 s[2:3], v2, s31
	v_cndmask_b32_e32 v31, v24, v25, vcc
	s_and_b64 vcc, s[2:3], s[20:21]
	v_mul_f32_e32 v8, 0.5, v8
	v_cndmask_b32_e32 v30, v30, v31, vcc
                                        ; implicit-def: $vgpr32
                                        ; implicit-def: $vgpr31
.LBB186_239:                            ;   in Loop: Header=BB186_162 Depth=1
	s_andn2_saveexec_b64 s[18:19], s[18:19]
	s_cbranch_execz .LBB186_243
; %bb.240:                              ;   in Loop: Header=BB186_162 Depth=1
	v_and_b32_e32 v33, 0x7fff0000, v32
	v_sub_f32_e32 v8, v32, v33
	v_and_b32_e32 v37, 0xffff0000, v8
	v_and_b32_e32 v32, 0x7fff0000, v31
	v_sub_f32_e32 v39, v8, v37
	v_sub_f32_e32 v8, v31, v32
	v_and_b32_e32 v38, 0xffff0000, v8
	v_add_f32_e32 v34, v33, v33
	v_add_f32_e32 v41, v32, v32
	v_sub_f32_e32 v40, v8, v38
	v_mul_f32_e32 v8, v33, v33
	v_mul_f32_e32 v30, v32, v32
	;; [unrolled: 1-line block ×6, first 2 shown]
	v_add_f32_e32 v37, v37, v37
	v_add_f32_e32 v38, v38, v38
	v_mul_f32_e32 v35, v34, v39
	v_mul_f32_e32 v34, v41, v40
	v_mul_f32_e32 v37, v37, v39
	v_mul_f32_e32 v38, v38, v40
	v_mul_f32_e32 v39, v39, v39
	v_mul_f32_e32 v40, v40, v40
	s_mov_b64 s[20:21], 0
.LBB186_241:                            ;   Parent Loop BB186_162 Depth=1
                                        ; =>  This Inner Loop Header: Depth=2
	v_cmp_nlt_f32_e32 vcc, v8, v30
	v_mov_b32_e32 v41, v40
	v_cndmask_b32_e32 v40, v8, v30, vcc
	v_cmp_nlt_f32_e64 s[2:3], v40, v33
	v_cndmask_b32_e64 v42, v40, v33, s[2:3]
	v_cndmask_b32_e32 v8, v30, v8, vcc
	s_and_b64 s[42:43], vcc, s[2:3]
	v_cmp_nlt_f32_e32 vcc, v42, v32
	v_cndmask_b32_e64 v30, v33, v40, s[2:3]
	v_cndmask_b32_e32 v40, v42, v32, vcc
	v_cmp_nlt_f32_e64 s[2:3], v40, v36
	v_cndmask_b32_e32 v33, v32, v42, vcc
	v_cndmask_b32_e64 v42, v40, v36, s[2:3]
	s_and_b64 s[44:45], vcc, s[2:3]
	v_cmp_nlt_f32_e32 vcc, v42, v31
	v_cndmask_b32_e64 v32, v36, v40, s[2:3]
	v_cndmask_b32_e32 v40, v42, v31, vcc
	v_cmp_nlt_f32_e64 s[2:3], v40, v35
	v_cndmask_b32_e32 v36, v31, v42, vcc
	v_cndmask_b32_e64 v42, v40, v35, s[2:3]
	v_cndmask_b32_e64 v31, v35, v40, s[2:3]
	s_and_b64 s[2:3], vcc, s[2:3]
	v_cmp_nlt_f32_e32 vcc, v42, v34
	v_cndmask_b32_e32 v40, v42, v34, vcc
	v_cndmask_b32_e32 v35, v34, v42, vcc
	s_and_b64 s[2:3], s[2:3], vcc
	v_cmp_nlt_f32_e32 vcc, v40, v37
	v_cndmask_b32_e32 v42, v40, v37, vcc
	v_cndmask_b32_e32 v34, v37, v40, vcc
	s_and_b64 s[2:3], s[2:3], vcc
	v_cmp_nlt_f32_e32 vcc, v42, v38
	v_cndmask_b32_e32 v40, v42, v38, vcc
	v_cndmask_b32_e32 v37, v38, v42, vcc
	s_and_b64 s[2:3], s[2:3], vcc
	v_cmp_nlt_f32_e32 vcc, v40, v39
	v_cndmask_b32_e32 v42, v40, v39, vcc
	v_cndmask_b32_e32 v38, v39, v40, vcc
	s_and_b64 s[2:3], s[2:3], vcc
	v_cmp_nlt_f32_e32 vcc, v42, v41
	s_and_b64 s[2:3], s[2:3], vcc
	s_and_b64 s[2:3], s[2:3], s[44:45]
	s_and_b64 s[2:3], s[2:3], s[42:43]
	s_and_b64 s[2:3], exec, s[2:3]
	v_cndmask_b32_e32 v40, v42, v41, vcc
	s_or_b64 s[20:21], s[2:3], s[20:21]
	v_cndmask_b32_e32 v39, v41, v42, vcc
	s_andn2_b64 exec, exec, s[20:21]
	s_cbranch_execnz .LBB186_241
; %bb.242:                              ;   in Loop: Header=BB186_162 Depth=1
	s_or_b64 exec, exec, s[20:21]
	v_add_f32_e32 v8, -1.0, v8
	v_add_f32_e32 v8, v8, v30
	v_add_f32_e32 v8, v8, v33
	;; [unrolled: 1-line block ×11, first 2 shown]
	v_add_f32_e32 v32, 1.0, v8
	v_cvt_f64_f32_e32 v[30:31], v32
	v_add_f32_e32 v33, -1.0, v32
	v_sub_f32_e32 v34, v33, v32
	v_sub_f32_e32 v33, v8, v33
	v_frexp_exp_i32_f64_e32 v30, v[30:31]
	v_frexp_mant_f32_e32 v31, v32
	v_cmp_gt_f32_e32 vcc, s27, v31
	v_add_f32_e32 v34, 1.0, v34
	v_add_f32_e32 v33, v33, v34
	v_cmp_gt_i32_e64 s[2:3], 0, v2
	v_cmp_class_f32_e64 s[20:21], v3, s31
	v_subbrev_co_u32_e32 v30, vcc, 0, v30, vcc
	v_sub_u32_e32 v31, 0, v30
	v_ldexp_f32 v32, v32, v31
	v_ldexp_f32 v31, v33, v31
	v_add_f32_e32 v33, -1.0, v32
	v_add_f32_e32 v34, 1.0, v32
	v_add_f32_e32 v35, 1.0, v33
	v_add_f32_e32 v37, -1.0, v34
	v_sub_f32_e32 v35, v32, v35
	v_sub_f32_e32 v32, v32, v37
	v_add_f32_e32 v35, v31, v35
	v_add_f32_e32 v31, v31, v32
	;; [unrolled: 1-line block ×3, first 2 shown]
	v_rcp_f32_e32 v37, v32
	v_add_f32_e32 v36, v33, v35
	v_sub_f32_e32 v34, v32, v34
	v_sub_f32_e32 v33, v36, v33
	;; [unrolled: 1-line block ×3, first 2 shown]
	v_mul_f32_e32 v34, v36, v37
	v_sub_f32_e32 v33, v35, v33
	v_mul_f32_e32 v35, v32, v34
	v_fma_f32 v38, v34, v32, -v35
	v_fmac_f32_e32 v38, v34, v31
	v_add_f32_e32 v39, v35, v38
	v_sub_f32_e32 v40, v36, v39
	v_sub_f32_e32 v36, v36, v40
	v_sub_f32_e32 v35, v39, v35
	v_sub_f32_e32 v36, v36, v39
	v_add_f32_e32 v33, v33, v36
	v_sub_f32_e32 v35, v35, v38
	v_add_f32_e32 v33, v35, v33
	v_add_f32_e32 v35, v40, v33
	v_mul_f32_e32 v36, v37, v35
	v_mul_f32_e32 v38, v32, v36
	v_fma_f32 v32, v36, v32, -v38
	v_fmac_f32_e32 v32, v36, v31
	v_sub_f32_e32 v31, v40, v35
	v_add_f32_e32 v31, v33, v31
	v_add_f32_e32 v33, v38, v32
	v_sub_f32_e32 v39, v35, v33
	v_sub_f32_e32 v35, v35, v39
	;; [unrolled: 1-line block ×4, first 2 shown]
	v_add_f32_e32 v31, v31, v33
	v_sub_f32_e32 v32, v38, v32
	v_cvt_f32_i32_e32 v30, v30
	v_add_f32_e32 v31, v32, v31
	v_add_f32_e32 v32, v34, v36
	;; [unrolled: 1-line block ×3, first 2 shown]
	v_sub_f32_e32 v33, v32, v34
	v_mul_f32_e32 v31, v37, v31
	v_sub_f32_e32 v33, v36, v33
	v_add_f32_e32 v31, v33, v31
	v_mul_f32_e32 v36, 0x3f317218, v30
	v_add_f32_e32 v33, v32, v31
	v_fma_f32 v37, v30, s28, -v36
	v_mul_f32_e32 v34, v33, v33
	v_mov_b32_e32 v35, 0x3ecc95a3
	v_fmac_f32_e32 v37, 0xb102e308, v30
	v_sub_f32_e32 v30, v33, v32
	v_fmac_f32_e32 v35, 0x3e9b6dac, v34
	v_sub_f32_e32 v30, v31, v30
	v_add_f32_e32 v31, v36, v37
	v_fma_f32 v35, v34, v35, v13
	v_sub_f32_e32 v32, v31, v36
	v_ldexp_f32 v36, v33, 1
	v_mul_f32_e32 v33, v33, v34
	v_mul_f32_e32 v33, v33, v35
	v_add_f32_e32 v34, v36, v33
	v_sub_f32_e32 v35, v34, v36
	v_ldexp_f32 v30, v30, 1
	v_sub_f32_e32 v33, v33, v35
	v_add_f32_e32 v30, v30, v33
	v_add_f32_e32 v33, v34, v30
	v_sub_f32_e32 v34, v33, v34
	v_sub_f32_e32 v30, v30, v34
	v_add_f32_e32 v34, v31, v33
	v_sub_f32_e32 v35, v34, v31
	v_sub_f32_e32 v36, v34, v35
	v_sub_f32_e32 v32, v37, v32
	v_sub_f32_e32 v31, v31, v36
	v_sub_f32_e32 v33, v33, v35
	v_add_f32_e32 v31, v33, v31
	v_add_f32_e32 v33, v32, v30
	v_sub_f32_e32 v35, v33, v32
	v_sub_f32_e32 v36, v33, v35
	v_sub_f32_e32 v32, v32, v36
	v_sub_f32_e32 v30, v30, v35
	v_add_f32_e32 v31, v33, v31
	v_add_f32_e32 v30, v30, v32
	;; [unrolled: 1-line block ×3, first 2 shown]
	v_sub_f32_e32 v33, v32, v34
	v_sub_f32_e32 v31, v31, v33
	v_add_f32_e32 v30, v30, v31
	v_add_f32_e32 v30, v32, v30
	v_cmp_neq_f32_e32 vcc, s29, v8
	v_cndmask_b32_e32 v30, v20, v30, vcc
	v_cmp_ngt_f32_e32 vcc, -1.0, v8
	v_cndmask_b32_e32 v30, v21, v30, vcc
	v_cmp_neq_f32_e32 vcc, -1.0, v8
	v_cndmask_b32_e32 v30, v22, v30, vcc
	v_cmp_lt_f32_e64 vcc, |v8|, s30
	v_cndmask_b32_e32 v8, v30, v8, vcc
	v_max_f32_e64 v30, |v3|, |v3|
	v_max_f32_e64 v31, |v2|, |v2|
	v_min_f32_e32 v32, v31, v30
	v_max_f32_e32 v30, v31, v30
	v_frexp_mant_f32_e32 v31, v30
	v_rcp_f32_e32 v31, v31
	v_frexp_exp_i32_f32_e32 v30, v30
	v_frexp_exp_i32_f32_e32 v33, v32
	v_frexp_mant_f32_e32 v32, v32
	v_mul_f32_e32 v31, v32, v31
	v_sub_u32_e32 v30, v33, v30
	v_ldexp_f32 v30, v31, v30
	v_mul_f32_e32 v31, v30, v30
	v_mov_b32_e32 v32, 0xbc7a590c
	v_fmac_f32_e32 v32, 0x3b2d2a58, v31
	v_fma_f32 v32, v31, v32, v14
	v_fma_f32 v32, v31, v32, v15
	;; [unrolled: 1-line block ×6, first 2 shown]
	v_mul_f32_e32 v31, v31, v32
	v_fmac_f32_e32 v30, v30, v31
	v_sub_f32_e32 v31, 0x3fc90fdb, v30
	v_cndmask_b32_e64 v30, v30, v31, s[0:1]
	v_sub_f32_e32 v31, 0x40490fdb, v30
	v_cmp_gt_f32_e32 vcc, 0, v2
	v_cndmask_b32_e32 v30, v30, v31, vcc
	v_cndmask_b32_e64 v31, 0, v23, s[2:3]
	v_cmp_eq_f32_e64 s[2:3], 0, v3
	v_cndmask_b32_e64 v30, v30, v31, s[2:3]
	v_cmp_class_f32_e64 s[2:3], v2, s31
	v_cndmask_b32_e32 v31, v24, v25, vcc
	s_and_b64 vcc, s[2:3], s[20:21]
	v_mul_f32_e32 v8, 0.5, v8
	v_cndmask_b32_e32 v30, v30, v31, vcc
.LBB186_243:                            ;   in Loop: Header=BB186_162 Depth=1
	s_or_b64 exec, exec, s[18:19]
.LBB186_244:                            ;   in Loop: Header=BB186_162 Depth=1
	s_or_b64 exec, exec, s[16:17]
.LBB186_245:                            ;   in Loop: Header=BB186_162 Depth=1
	s_andn2_saveexec_b64 s[14:15], s[14:15]
	s_cbranch_execz .LBB186_247
; %bb.246:                              ;   in Loop: Header=BB186_162 Depth=1
	v_max_f32_e64 v8, |v3|, |v3|
	v_max_f32_e64 v32, |v2|, |v2|
	v_max_f32_e32 v33, v32, v8
	v_cvt_f64_f32_e32 v[30:31], v33
	v_min_f32_e32 v8, v32, v8
	v_frexp_mant_f32_e32 v32, v33
	v_rcp_f32_e32 v32, v32
	v_frexp_exp_i32_f64_e32 v30, v[30:31]
	v_cmp_neq_f32_e32 vcc, s29, v33
	v_frexp_exp_i32_f32_e32 v34, v8
	v_frexp_mant_f32_e32 v8, v8
	v_mul_f32_e32 v8, v8, v32
	v_frexp_exp_i32_f32_e32 v31, v33
	v_sub_u32_e32 v31, v34, v31
	v_ldexp_f32 v31, v8, v31
	v_sub_u32_e32 v35, 0, v30
	v_ldexp_f32 v36, |v2|, v35
	v_ldexp_f32 v35, |v3|, v35
	v_mul_f32_e32 v35, v35, v35
	v_fmac_f32_e32 v35, v36, v36
	v_sqrt_f32_e32 v35, v35
	v_cmp_gt_i32_e64 s[2:3], 0, v2
	v_cmp_class_f32_e64 s[16:17], v3, s31
	v_ldexp_f32 v30, v35, v30
	v_cndmask_b32_e32 v30, v20, v30, vcc
	v_cmp_gt_f32_e32 vcc, s35, v30
	v_cndmask_b32_e64 v32, 0, 32, vcc
	v_ldexp_f32 v30, v30, v32
	v_log_f32_e32 v30, v30
	v_cndmask_b32_e32 v8, 0, v26, vcc
	v_mul_f32_e32 v32, v31, v31
	v_mul_f32_e32 v33, 0x3f317217, v30
	v_fma_f32 v33, v30, s36, -v33
	v_fmac_f32_e32 v33, 0x3377d1cf, v30
	v_fmac_f32_e32 v33, 0x3f317217, v30
	v_cmp_lt_f32_e64 vcc, |v30|, s29
	v_cndmask_b32_e32 v30, v30, v33, vcc
	v_sub_f32_e32 v8, v30, v8
	v_mov_b32_e32 v30, 0xbc7a590c
	v_fmac_f32_e32 v30, 0x3b2d2a58, v32
	v_fma_f32 v30, v32, v30, v14
	v_fma_f32 v30, v32, v30, v15
	;; [unrolled: 1-line block ×6, first 2 shown]
	v_mul_f32_e32 v30, v32, v30
	v_fmac_f32_e32 v31, v31, v30
	v_sub_f32_e32 v30, 0x3fc90fdb, v31
	v_cndmask_b32_e64 v30, v31, v30, s[0:1]
	v_sub_f32_e32 v31, 0x40490fdb, v30
	v_cmp_gt_f32_e32 vcc, 0, v2
	v_cndmask_b32_e32 v30, v30, v31, vcc
	v_cndmask_b32_e64 v31, 0, v23, s[2:3]
	v_cmp_eq_f32_e64 s[2:3], 0, v3
	v_cndmask_b32_e64 v30, v30, v31, s[2:3]
	v_cmp_class_f32_e64 s[2:3], v2, s31
	v_cndmask_b32_e32 v31, v24, v25, vcc
	s_and_b64 vcc, s[2:3], s[16:17]
	v_cndmask_b32_e32 v30, v30, v31, vcc
.LBB186_247:                            ;   in Loop: Header=BB186_162 Depth=1
	s_or_b64 exec, exec, s[14:15]
                                        ; implicit-def: $vgpr31
.LBB186_248:                            ;   in Loop: Header=BB186_162 Depth=1
	s_andn2_saveexec_b64 s[12:13], s[12:13]
	s_cbranch_execz .LBB186_254
; %bb.249:                              ;   in Loop: Header=BB186_162 Depth=1
	v_cmp_ngt_f32_e32 vcc, s37, v31
                                        ; implicit-def: $vgpr8
                                        ; implicit-def: $vgpr30
	s_and_saveexec_b64 s[2:3], vcc
	s_xor_b64 s[14:15], exec, s[2:3]
	s_cbranch_execz .LBB186_251
; %bb.250:                              ;   in Loop: Header=BB186_162 Depth=1
	v_mul_f32_e32 v8, v31, v31
	v_add_f32_e32 v32, 1.0, v8
	v_cvt_f64_f32_e32 v[30:31], v32
	v_add_f32_e32 v33, -1.0, v32
	v_sub_f32_e32 v34, v33, v32
	v_sub_f32_e32 v33, v8, v33
	v_frexp_exp_i32_f64_e32 v30, v[30:31]
	v_frexp_mant_f32_e32 v31, v32
	v_cmp_gt_f32_e32 vcc, s27, v31
	v_add_f32_e32 v34, 1.0, v34
	v_add_f32_e32 v33, v33, v34
	v_cmp_gt_i32_e64 s[2:3], 0, v2
	v_cmp_class_f32_e64 s[16:17], v3, s31
	v_subbrev_co_u32_e32 v30, vcc, 0, v30, vcc
	v_sub_u32_e32 v31, 0, v30
	v_ldexp_f32 v32, v32, v31
	v_ldexp_f32 v31, v33, v31
	v_add_f32_e32 v33, -1.0, v32
	v_add_f32_e32 v34, 1.0, v32
	v_add_f32_e32 v35, 1.0, v33
	v_add_f32_e32 v37, -1.0, v34
	v_sub_f32_e32 v35, v32, v35
	v_sub_f32_e32 v32, v32, v37
	v_add_f32_e32 v35, v31, v35
	v_add_f32_e32 v31, v31, v32
	;; [unrolled: 1-line block ×3, first 2 shown]
	v_rcp_f32_e32 v37, v32
	v_add_f32_e32 v36, v33, v35
	v_sub_f32_e32 v34, v34, v32
	v_sub_f32_e32 v33, v33, v36
	v_add_f32_e32 v31, v31, v34
	v_mul_f32_e32 v34, v36, v37
	v_add_f32_e32 v33, v35, v33
	v_mul_f32_e32 v35, v32, v34
	v_fma_f32 v38, v34, v32, -v35
	v_fmac_f32_e32 v38, v34, v31
	v_add_f32_e32 v39, v35, v38
	v_sub_f32_e32 v40, v36, v39
	v_sub_f32_e32 v36, v36, v40
	;; [unrolled: 1-line block ×4, first 2 shown]
	v_add_f32_e32 v33, v33, v36
	v_sub_f32_e32 v35, v35, v38
	v_add_f32_e32 v33, v35, v33
	v_add_f32_e32 v35, v40, v33
	v_mul_f32_e32 v36, v37, v35
	v_mul_f32_e32 v38, v32, v36
	v_fma_f32 v32, v36, v32, -v38
	v_fmac_f32_e32 v32, v36, v31
	v_sub_f32_e32 v31, v40, v35
	v_add_f32_e32 v31, v33, v31
	v_add_f32_e32 v33, v38, v32
	v_sub_f32_e32 v39, v35, v33
	v_sub_f32_e32 v35, v35, v39
	;; [unrolled: 1-line block ×4, first 2 shown]
	v_add_f32_e32 v31, v31, v33
	v_sub_f32_e32 v32, v38, v32
	v_cvt_f32_i32_e32 v30, v30
	v_add_f32_e32 v31, v32, v31
	v_add_f32_e32 v32, v34, v36
	;; [unrolled: 1-line block ×3, first 2 shown]
	v_sub_f32_e32 v33, v32, v34
	v_mul_f32_e32 v31, v37, v31
	v_sub_f32_e32 v33, v36, v33
	v_add_f32_e32 v31, v33, v31
	v_mul_f32_e32 v36, 0x3f317218, v30
	v_add_f32_e32 v33, v32, v31
	v_fma_f32 v37, v30, s28, -v36
	v_mul_f32_e32 v34, v33, v33
	v_mov_b32_e32 v35, 0x3ecc95a3
	v_fmac_f32_e32 v37, 0xb102e308, v30
	v_sub_f32_e32 v30, v33, v32
	v_fmac_f32_e32 v35, 0x3e9b6dac, v34
	v_sub_f32_e32 v30, v31, v30
	v_add_f32_e32 v31, v36, v37
	v_fma_f32 v35, v34, v35, v13
	v_sub_f32_e32 v32, v31, v36
	v_ldexp_f32 v36, v33, 1
	v_mul_f32_e32 v33, v33, v34
	v_mul_f32_e32 v33, v33, v35
	v_add_f32_e32 v34, v36, v33
	v_sub_f32_e32 v35, v34, v36
	v_ldexp_f32 v30, v30, 1
	v_sub_f32_e32 v33, v33, v35
	v_add_f32_e32 v30, v30, v33
	v_add_f32_e32 v33, v34, v30
	v_sub_f32_e32 v34, v33, v34
	v_sub_f32_e32 v30, v30, v34
	v_add_f32_e32 v34, v31, v33
	v_sub_f32_e32 v35, v34, v31
	v_sub_f32_e32 v36, v34, v35
	;; [unrolled: 1-line block ×5, first 2 shown]
	v_add_f32_e32 v31, v33, v31
	v_add_f32_e32 v33, v32, v30
	v_sub_f32_e32 v35, v33, v32
	v_sub_f32_e32 v36, v33, v35
	;; [unrolled: 1-line block ×4, first 2 shown]
	v_add_f32_e32 v31, v33, v31
	v_add_f32_e32 v30, v30, v32
	;; [unrolled: 1-line block ×3, first 2 shown]
	v_sub_f32_e32 v33, v32, v34
	v_sub_f32_e32 v31, v31, v33
	v_add_f32_e32 v30, v30, v31
	v_add_f32_e32 v30, v32, v30
	v_cmp_neq_f32_e32 vcc, s29, v8
	v_cndmask_b32_e32 v30, v20, v30, vcc
	v_cmp_lt_f32_e64 vcc, |v8|, s30
	v_cndmask_b32_e32 v8, v30, v8, vcc
	v_max_f32_e64 v30, |v3|, |v3|
	v_max_f32_e64 v31, |v2|, |v2|
	v_min_f32_e32 v32, v31, v30
	v_max_f32_e32 v30, v31, v30
	v_frexp_mant_f32_e32 v31, v30
	v_rcp_f32_e32 v31, v31
	v_frexp_exp_i32_f32_e32 v30, v30
	v_frexp_exp_i32_f32_e32 v33, v32
	v_frexp_mant_f32_e32 v32, v32
	v_mul_f32_e32 v31, v32, v31
	v_sub_u32_e32 v30, v33, v30
	v_ldexp_f32 v30, v31, v30
	v_mul_f32_e32 v31, v30, v30
	v_mov_b32_e32 v32, 0xbc7a590c
	v_fmac_f32_e32 v32, 0x3b2d2a58, v31
	v_fma_f32 v32, v31, v32, v14
	v_fma_f32 v32, v31, v32, v15
	;; [unrolled: 1-line block ×6, first 2 shown]
	v_mul_f32_e32 v31, v31, v32
	v_fmac_f32_e32 v30, v30, v31
	v_sub_f32_e32 v31, 0x3fc90fdb, v30
	v_cndmask_b32_e64 v30, v30, v31, s[0:1]
	v_sub_f32_e32 v31, 0x40490fdb, v30
	v_cmp_gt_f32_e32 vcc, 0, v2
	v_cndmask_b32_e32 v30, v30, v31, vcc
	v_cndmask_b32_e64 v31, 0, v23, s[2:3]
	v_cmp_eq_f32_e64 s[2:3], 0, v3
	v_cndmask_b32_e64 v30, v30, v31, s[2:3]
	v_cmp_class_f32_e64 s[2:3], v2, s31
	v_cndmask_b32_e32 v31, v24, v25, vcc
	s_and_b64 vcc, s[2:3], s[16:17]
	v_mul_f32_e32 v8, 0.5, v8
	v_cndmask_b32_e32 v30, v30, v31, vcc
                                        ; implicit-def: $vgpr31
.LBB186_251:                            ;   in Loop: Header=BB186_162 Depth=1
	s_andn2_saveexec_b64 s[14:15], s[14:15]
	s_cbranch_execz .LBB186_253
; %bb.252:                              ;   in Loop: Header=BB186_162 Depth=1
	v_mul_f32_e32 v8, 0.5, v31
	v_mul_f32_e32 v8, v31, v8
	v_max_f32_e64 v30, |v3|, |v3|
	v_max_f32_e64 v31, |v2|, |v2|
	v_min_f32_e32 v32, v31, v30
	v_max_f32_e32 v30, v31, v30
	v_frexp_mant_f32_e32 v31, v30
	v_rcp_f32_e32 v31, v31
	v_frexp_exp_i32_f32_e32 v30, v30
	v_frexp_exp_i32_f32_e32 v33, v32
	v_frexp_mant_f32_e32 v32, v32
	v_mul_f32_e32 v31, v32, v31
	v_sub_u32_e32 v30, v33, v30
	v_ldexp_f32 v30, v31, v30
	v_mul_f32_e32 v31, v30, v30
	v_mov_b32_e32 v32, 0xbc7a590c
	v_fmac_f32_e32 v32, 0x3b2d2a58, v31
	v_fma_f32 v32, v31, v32, v14
	v_fma_f32 v32, v31, v32, v15
	;; [unrolled: 1-line block ×6, first 2 shown]
	v_mul_f32_e32 v31, v31, v32
	v_fmac_f32_e32 v30, v30, v31
	v_sub_f32_e32 v31, 0x3fc90fdb, v30
	v_cndmask_b32_e64 v30, v30, v31, s[0:1]
	v_sub_f32_e32 v31, 0x40490fdb, v30
	v_cmp_gt_f32_e32 vcc, 0, v2
	v_cmp_gt_i32_e64 s[2:3], 0, v2
	v_cndmask_b32_e32 v30, v30, v31, vcc
	v_cndmask_b32_e64 v31, 0, v23, s[2:3]
	v_cmp_eq_f32_e64 s[2:3], 0, v3
	v_cndmask_b32_e64 v30, v30, v31, s[2:3]
	v_cmp_class_f32_e64 s[2:3], v2, s31
	v_cmp_class_f32_e64 s[16:17], v3, s31
	v_cndmask_b32_e32 v31, v24, v25, vcc
	s_and_b64 vcc, s[2:3], s[16:17]
	v_cndmask_b32_e32 v30, v30, v31, vcc
.LBB186_253:                            ;   in Loop: Header=BB186_162 Depth=1
	s_or_b64 exec, exec, s[14:15]
.LBB186_254:                            ;   in Loop: Header=BB186_162 Depth=1
	s_or_b64 exec, exec, s[12:13]
.LBB186_255:                            ;   in Loop: Header=BB186_162 Depth=1
	s_andn2_saveexec_b64 s[10:11], s[10:11]
	s_cbranch_execz .LBB186_257
; %bb.256:                              ;   in Loop: Header=BB186_162 Depth=1
	v_div_scale_f32 v8, s[2:3], s38, s38, v2
	v_div_scale_f32 v30, s[2:3], s38, s38, v3
	v_div_scale_f32 v31, vcc, v2, s38, v2
	v_div_scale_f32 v32, s[2:3], v3, s38, v3
	v_rcp_f32_e32 v33, v8
	v_rcp_f32_e32 v34, v30
	v_fma_f32 v35, -v8, v33, 1.0
	v_fmac_f32_e32 v33, v35, v33
	v_fma_f32 v36, -v30, v34, 1.0
	v_fmac_f32_e32 v34, v36, v34
	v_mul_f32_e32 v35, v31, v33
	v_mul_f32_e32 v36, v32, v34
	v_fma_f32 v37, -v8, v35, v31
	v_fma_f32 v38, -v30, v36, v32
	v_fmac_f32_e32 v35, v37, v33
	v_fmac_f32_e32 v36, v38, v34
	v_fma_f32 v8, -v8, v35, v31
	v_fma_f32 v30, -v30, v36, v32
	v_div_fmas_f32 v8, v8, v33, v35
	s_mov_b64 vcc, s[2:3]
	v_div_fmas_f32 v30, v30, v34, v36
	v_max_f32_e64 v31, |v3|, |v3|
	v_max_f32_e64 v32, |v2|, |v2|
	v_min_f32_e32 v34, v32, v31
	v_max_f32_e32 v31, v32, v31
	v_frexp_exp_i32_f32_e32 v32, v31
	v_frexp_exp_i32_f32_e32 v35, v34
	v_sub_u32_e32 v32, v35, v32
	v_frexp_mant_f32_e32 v31, v31
	v_rcp_f32_e32 v36, v31
	v_frexp_mant_f32_e32 v34, v34
	v_mov_b32_e32 v33, 0xbc7a590c
	v_cmp_class_f32_e64 s[2:3], v3, s31
	v_mul_f32_e32 v34, v34, v36
	v_div_fixup_f32 v8, v8, s38, v2
	v_ldexp_f32 v32, v34, v32
	v_div_fixup_f32 v35, v30, s38, v3
	v_max_f32_e64 v37, |v8|, |v35|
	v_cvt_f64_f32_e32 v[30:31], v37
	v_mul_f32_e32 v34, v32, v32
	v_fmac_f32_e32 v33, 0x3b2d2a58, v34
	v_cmp_neq_f32_e32 vcc, s29, v37
	v_frexp_exp_i32_f64_e32 v30, v[30:31]
	v_fma_f32 v31, v34, v33, v14
	v_fma_f32 v31, v34, v31, v15
	;; [unrolled: 1-line block ×6, first 2 shown]
	v_mul_f32_e32 v31, v34, v31
	v_sub_u32_e32 v33, 0, v30
	v_ldexp_f32 v8, |v8|, v33
	v_ldexp_f32 v33, |v35|, v33
	v_mul_f32_e32 v33, v33, v33
	v_fmac_f32_e32 v33, v8, v8
	v_sqrt_f32_e32 v8, v33
	v_fmac_f32_e32 v32, v32, v31
	v_sub_f32_e32 v31, 0x3fc90fdb, v32
	v_ldexp_f32 v8, v8, v30
	v_cndmask_b32_e32 v8, v20, v8, vcc
	v_cmp_gt_f32_e32 vcc, s35, v8
	v_cndmask_b32_e64 v30, 0, 32, vcc
	v_ldexp_f32 v8, v8, v30
	v_log_f32_e32 v8, v8
	v_cndmask_b32_e64 v30, v32, v31, s[0:1]
	v_cndmask_b32_e32 v32, 0, v26, vcc
	v_sub_f32_e32 v31, 0x40490fdb, v30
	v_mul_f32_e32 v33, 0x3f317217, v8
	v_fma_f32 v33, v8, s36, -v33
	v_fmac_f32_e32 v33, 0x3377d1cf, v8
	v_fmac_f32_e32 v33, 0x3f317217, v8
	v_cmp_lt_f32_e64 vcc, |v8|, s29
	v_cndmask_b32_e32 v8, v8, v33, vcc
	v_cmp_gt_f32_e32 vcc, 0, v2
	v_cmp_gt_i32_e64 s[0:1], 0, v2
	v_cndmask_b32_e32 v30, v30, v31, vcc
	v_cndmask_b32_e64 v31, 0, v23, s[0:1]
	v_cmp_eq_f32_e64 s[0:1], 0, v3
	v_cndmask_b32_e64 v30, v30, v31, s[0:1]
	v_cmp_class_f32_e64 s[0:1], v2, s31
	v_sub_f32_e32 v8, v8, v32
	v_cndmask_b32_e32 v31, v24, v25, vcc
	s_and_b64 vcc, s[0:1], s[2:3]
	v_add_f32_e32 v8, 1.0, v8
	v_cndmask_b32_e32 v30, v30, v31, vcc
.LBB186_257:                            ;   in Loop: Header=BB186_162 Depth=1
	s_or_b64 exec, exec, s[10:11]
.LBB186_258:                            ;   in Loop: Header=BB186_162 Depth=1
	s_andn2_saveexec_b64 s[0:1], s[4:5]
	s_cbranch_execz .LBB186_264
; %bb.259:                              ;   in Loop: Header=BB186_162 Depth=1
	v_cmp_nlt_f32_e64 s[2:3], |v2|, s39
	v_cmp_nlt_f32_e64 s[4:5], |v3|, s39
	s_or_b64 s[2:3], s[2:3], s[4:5]
                                        ; implicit-def: $vgpr8
	s_and_saveexec_b64 s[4:5], s[2:3]
	s_xor_b64 s[2:3], exec, s[4:5]
; %bb.260:                              ;   in Loop: Header=BB186_162 Depth=1
	v_mul_f32_e32 v8, v3, v3
	v_fmac_f32_e32 v8, v2, v2
; %bb.261:                              ;   in Loop: Header=BB186_162 Depth=1
	s_andn2_saveexec_b64 s[2:3], s[2:3]
; %bb.262:                              ;   in Loop: Header=BB186_162 Depth=1
	v_mul_f32_e32 v8, 4.0, v3
	v_mul_f32_e32 v2, 4.0, v2
	v_mul_f32_e32 v8, v8, v8
	v_fmac_f32_e32 v8, v2, v2
	v_mul_f32_e32 v8, 0x3d800000, v8
; %bb.263:                              ;   in Loop: Header=BB186_162 Depth=1
	s_or_b64 exec, exec, s[2:3]
	v_cmp_gt_f32_e32 vcc, s35, v8
	v_cndmask_b32_e64 v2, 0, 32, vcc
	v_ldexp_f32 v2, v8, v2
	v_log_f32_e32 v2, v2
	v_cndmask_b32_e32 v8, 0, v26, vcc
	v_mul_f32_e32 v30, 0x3f317217, v2
	v_fma_f32 v30, v2, s36, -v30
	v_fmac_f32_e32 v30, 0x3377d1cf, v2
	v_fmac_f32_e32 v30, 0x3f317217, v2
	v_cmp_lt_f32_e64 vcc, |v2|, s29
	v_cndmask_b32_e32 v2, v2, v30, vcc
	v_sub_f32_e32 v8, v2, v8
	v_mov_b32_e32 v30, 0x7fc00000
.LBB186_264:                            ;   in Loop: Header=BB186_162 Depth=1
	s_or_b64 exec, exec, s[0:1]
	v_cmp_o_f32_e32 vcc, v5, v4
                                        ; implicit-def: $vgpr2
                                        ; implicit-def: $vgpr31
	s_and_saveexec_b64 s[0:1], vcc
	s_xor_b64 s[4:5], exec, s[0:1]
	s_cbranch_execz .LBB186_292
; %bb.265:                              ;   in Loop: Header=BB186_162 Depth=1
	v_cmp_lt_f32_e64 s[0:1], |v4|, |v5|
	v_cndmask_b32_e64 v32, |v5|, |v4|, s[0:1]
	v_cmp_nlt_f32_e32 vcc, s24, v32
                                        ; implicit-def: $vgpr2
                                        ; implicit-def: $vgpr31
	s_and_saveexec_b64 s[2:3], vcc
	s_xor_b64 s[10:11], exec, s[2:3]
	s_cbranch_execz .LBB186_289
; %bb.266:                              ;   in Loop: Header=BB186_162 Depth=1
	v_and_b32_e32 v2, 0x7fffffff, v5
	v_cndmask_b32_e64 v33, |v4|, v2, s[0:1]
	v_cmp_neq_f32_e32 vcc, 1.0, v33
                                        ; implicit-def: $vgpr2
                                        ; implicit-def: $vgpr31
	s_and_saveexec_b64 s[2:3], vcc
	s_xor_b64 s[12:13], exec, s[2:3]
	s_cbranch_execz .LBB186_282
; %bb.267:                              ;   in Loop: Header=BB186_162 Depth=1
	v_max_f32_e32 v2, v32, v32
	v_max_f32_e32 v31, v33, v33
	v_min_f32_e32 v34, v31, v2
	v_max_f32_e32 v2, v31, v2
	v_cmp_ngt_f32_e32 vcc, s25, v34
	v_cmp_nlt_f32_e64 s[2:3], s26, v2
	s_and_b64 s[2:3], s[2:3], vcc
                                        ; implicit-def: $vgpr2
                                        ; implicit-def: $vgpr31
	s_and_saveexec_b64 s[14:15], s[2:3]
	s_xor_b64 s[14:15], exec, s[14:15]
	s_cbranch_execz .LBB186_279
; %bb.268:                              ;   in Loop: Header=BB186_162 Depth=1
	v_cmp_le_f32_e32 vcc, 1.0, v33
                                        ; implicit-def: $vgpr2
                                        ; implicit-def: $vgpr31
	s_and_saveexec_b64 s[2:3], vcc
	s_xor_b64 s[16:17], exec, s[2:3]
	s_cbranch_execz .LBB186_270
; %bb.269:                              ;   in Loop: Header=BB186_162 Depth=1
	v_add_f32_e32 v2, -1.0, v33
	v_add_f32_e32 v31, 1.0, v33
	v_mul_f32_e32 v2, v2, v31
	v_fmac_f32_e32 v2, v32, v32
	v_add_f32_e32 v33, 1.0, v2
	v_cvt_f64_f32_e32 v[31:32], v33
	v_add_f32_e32 v34, -1.0, v33
	v_sub_f32_e32 v35, v34, v33
	v_sub_f32_e32 v34, v2, v34
	v_frexp_exp_i32_f64_e32 v31, v[31:32]
	v_frexp_mant_f32_e32 v32, v33
	v_cmp_gt_f32_e32 vcc, s27, v32
	v_add_f32_e32 v35, 1.0, v35
	v_add_f32_e32 v34, v34, v35
	v_cmp_gt_i32_e64 s[2:3], 0, v4
	v_cmp_class_f32_e64 s[18:19], v5, s31
	v_subbrev_co_u32_e32 v31, vcc, 0, v31, vcc
	v_sub_u32_e32 v32, 0, v31
	v_ldexp_f32 v33, v33, v32
	v_ldexp_f32 v32, v34, v32
	v_add_f32_e32 v34, -1.0, v33
	v_add_f32_e32 v37, 1.0, v33
	v_add_f32_e32 v35, 1.0, v34
	v_add_f32_e32 v38, -1.0, v37
	v_sub_f32_e32 v35, v33, v35
	v_sub_f32_e32 v33, v33, v38
	v_add_f32_e32 v35, v32, v35
	v_add_f32_e32 v32, v32, v33
	;; [unrolled: 1-line block ×3, first 2 shown]
	v_rcp_f32_e32 v38, v33
	v_add_f32_e32 v36, v34, v35
	v_sub_f32_e32 v34, v36, v34
	v_sub_f32_e32 v34, v35, v34
	;; [unrolled: 1-line block ×4, first 2 shown]
	v_mul_f32_e32 v35, v36, v38
	v_mul_f32_e32 v37, v33, v35
	v_fma_f32 v39, v35, v33, -v37
	v_fmac_f32_e32 v39, v35, v32
	v_add_f32_e32 v40, v37, v39
	v_sub_f32_e32 v41, v36, v40
	v_sub_f32_e32 v36, v36, v41
	;; [unrolled: 1-line block ×4, first 2 shown]
	v_add_f32_e32 v34, v34, v36
	v_sub_f32_e32 v36, v37, v39
	v_add_f32_e32 v34, v36, v34
	v_add_f32_e32 v36, v41, v34
	v_mul_f32_e32 v37, v38, v36
	v_mul_f32_e32 v39, v33, v37
	v_fma_f32 v33, v37, v33, -v39
	v_fmac_f32_e32 v33, v37, v32
	v_sub_f32_e32 v32, v41, v36
	v_add_f32_e32 v32, v34, v32
	v_add_f32_e32 v34, v39, v33
	v_sub_f32_e32 v40, v36, v34
	v_sub_f32_e32 v36, v36, v40
	;; [unrolled: 1-line block ×4, first 2 shown]
	v_add_f32_e32 v32, v32, v34
	v_sub_f32_e32 v33, v39, v33
	v_cvt_f32_i32_e32 v31, v31
	v_add_f32_e32 v32, v33, v32
	v_add_f32_e32 v33, v35, v37
	;; [unrolled: 1-line block ×3, first 2 shown]
	v_sub_f32_e32 v34, v33, v35
	v_mul_f32_e32 v32, v38, v32
	v_sub_f32_e32 v34, v37, v34
	v_add_f32_e32 v32, v34, v32
	v_mul_f32_e32 v37, 0x3f317218, v31
	v_add_f32_e32 v34, v33, v32
	v_fma_f32 v38, v31, s28, -v37
	v_mul_f32_e32 v35, v34, v34
	v_mov_b32_e32 v36, 0x3ecc95a3
	v_fmac_f32_e32 v38, 0xb102e308, v31
	v_sub_f32_e32 v31, v34, v33
	v_fmac_f32_e32 v36, 0x3e9b6dac, v35
	v_sub_f32_e32 v31, v32, v31
	v_add_f32_e32 v32, v37, v38
	v_fma_f32 v36, v35, v36, v13
	v_sub_f32_e32 v33, v32, v37
	v_ldexp_f32 v37, v34, 1
	v_mul_f32_e32 v34, v34, v35
	v_mul_f32_e32 v34, v34, v36
	v_add_f32_e32 v35, v37, v34
	v_sub_f32_e32 v36, v35, v37
	v_ldexp_f32 v31, v31, 1
	v_sub_f32_e32 v34, v34, v36
	v_add_f32_e32 v31, v31, v34
	v_add_f32_e32 v34, v35, v31
	v_sub_f32_e32 v35, v34, v35
	v_sub_f32_e32 v31, v31, v35
	v_add_f32_e32 v35, v32, v34
	v_sub_f32_e32 v36, v35, v32
	v_sub_f32_e32 v37, v35, v36
	;; [unrolled: 1-line block ×5, first 2 shown]
	v_add_f32_e32 v32, v34, v32
	v_add_f32_e32 v34, v33, v31
	v_sub_f32_e32 v36, v34, v33
	v_sub_f32_e32 v37, v34, v36
	;; [unrolled: 1-line block ×4, first 2 shown]
	v_add_f32_e32 v32, v34, v32
	v_add_f32_e32 v31, v31, v33
	;; [unrolled: 1-line block ×3, first 2 shown]
	v_sub_f32_e32 v34, v33, v35
	v_sub_f32_e32 v32, v32, v34
	v_add_f32_e32 v31, v31, v32
	v_add_f32_e32 v31, v33, v31
	v_cmp_neq_f32_e32 vcc, s29, v2
	v_cndmask_b32_e32 v31, v20, v31, vcc
	v_cmp_ngt_f32_e32 vcc, -1.0, v2
	v_cndmask_b32_e32 v31, v21, v31, vcc
	v_cmp_neq_f32_e32 vcc, -1.0, v2
	v_cndmask_b32_e32 v31, v22, v31, vcc
	v_cmp_lt_f32_e64 vcc, |v2|, s30
	v_cndmask_b32_e32 v2, v31, v2, vcc
	v_max_f32_e64 v31, |v5|, |v5|
	v_max_f32_e64 v32, |v4|, |v4|
	v_min_f32_e32 v33, v32, v31
	v_max_f32_e32 v31, v32, v31
	v_frexp_mant_f32_e32 v32, v31
	v_rcp_f32_e32 v32, v32
	v_frexp_exp_i32_f32_e32 v31, v31
	v_frexp_exp_i32_f32_e32 v34, v33
	v_frexp_mant_f32_e32 v33, v33
	v_mul_f32_e32 v32, v33, v32
	v_sub_u32_e32 v31, v34, v31
	v_ldexp_f32 v31, v32, v31
	v_mul_f32_e32 v32, v31, v31
	v_mov_b32_e32 v33, 0xbc7a590c
	v_fmac_f32_e32 v33, 0x3b2d2a58, v32
	v_fma_f32 v33, v32, v33, v14
	v_fma_f32 v33, v32, v33, v15
	;; [unrolled: 1-line block ×6, first 2 shown]
	v_mul_f32_e32 v32, v32, v33
	v_fmac_f32_e32 v31, v31, v32
	v_sub_f32_e32 v32, 0x3fc90fdb, v31
	v_cndmask_b32_e64 v31, v31, v32, s[0:1]
	v_sub_f32_e32 v32, 0x40490fdb, v31
	v_cmp_gt_f32_e32 vcc, 0, v4
	v_cndmask_b32_e32 v31, v31, v32, vcc
	v_cndmask_b32_e64 v32, 0, v23, s[2:3]
	v_cmp_eq_f32_e64 s[2:3], 0, v5
	v_cndmask_b32_e64 v31, v31, v32, s[2:3]
	v_cmp_class_f32_e64 s[2:3], v4, s31
	v_cndmask_b32_e32 v32, v24, v25, vcc
	s_and_b64 vcc, s[2:3], s[18:19]
	v_mul_f32_e32 v2, 0.5, v2
	v_cndmask_b32_e32 v31, v31, v32, vcc
                                        ; implicit-def: $vgpr32
                                        ; implicit-def: $vgpr33
.LBB186_270:                            ;   in Loop: Header=BB186_162 Depth=1
	s_andn2_saveexec_b64 s[16:17], s[16:17]
	s_cbranch_execz .LBB186_278
; %bb.271:                              ;   in Loop: Header=BB186_162 Depth=1
	v_mul_f32_e32 v34, v32, v32
	v_fmac_f32_e32 v34, v33, v33
	v_cmp_ge_f32_e32 vcc, s34, v34
                                        ; implicit-def: $vgpr2
                                        ; implicit-def: $vgpr31
	s_and_saveexec_b64 s[2:3], vcc
	s_xor_b64 s[18:19], exec, s[2:3]
	s_cbranch_execz .LBB186_273
; %bb.272:                              ;   in Loop: Header=BB186_162 Depth=1
	v_cmp_gt_f32_e32 vcc, s35, v34
	v_cndmask_b32_e64 v2, 0, 32, vcc
	v_ldexp_f32 v2, v34, v2
	v_log_f32_e32 v2, v2
	v_cndmask_b32_e32 v31, 0, v26, vcc
	v_cmp_gt_i32_e64 s[2:3], 0, v4
	v_cmp_class_f32_e64 s[20:21], v5, s31
	v_mul_f32_e32 v32, 0x3f317217, v2
	v_fma_f32 v32, v2, s36, -v32
	v_fmac_f32_e32 v32, 0x3377d1cf, v2
	v_fmac_f32_e32 v32, 0x3f317217, v2
	v_cmp_lt_f32_e64 vcc, |v2|, s29
	v_cndmask_b32_e32 v2, v2, v32, vcc
	v_sub_f32_e32 v2, v2, v31
	v_max_f32_e64 v31, |v5|, |v5|
	v_max_f32_e64 v32, |v4|, |v4|
	v_min_f32_e32 v33, v32, v31
	v_max_f32_e32 v31, v32, v31
	v_frexp_mant_f32_e32 v32, v31
	v_rcp_f32_e32 v32, v32
	v_frexp_exp_i32_f32_e32 v31, v31
	v_frexp_exp_i32_f32_e32 v34, v33
	v_frexp_mant_f32_e32 v33, v33
	v_mul_f32_e32 v32, v33, v32
	v_sub_u32_e32 v31, v34, v31
	v_ldexp_f32 v31, v32, v31
	v_mul_f32_e32 v32, v31, v31
	v_mov_b32_e32 v33, 0xbc7a590c
	v_fmac_f32_e32 v33, 0x3b2d2a58, v32
	v_fma_f32 v33, v32, v33, v14
	v_fma_f32 v33, v32, v33, v15
	;; [unrolled: 1-line block ×6, first 2 shown]
	v_mul_f32_e32 v32, v32, v33
	v_fmac_f32_e32 v31, v31, v32
	v_sub_f32_e32 v32, 0x3fc90fdb, v31
	v_cndmask_b32_e64 v31, v31, v32, s[0:1]
	v_sub_f32_e32 v32, 0x40490fdb, v31
	v_cmp_gt_f32_e32 vcc, 0, v4
	v_cndmask_b32_e32 v31, v31, v32, vcc
	v_cndmask_b32_e64 v32, 0, v23, s[2:3]
	v_cmp_eq_f32_e64 s[2:3], 0, v5
	v_cndmask_b32_e64 v31, v31, v32, s[2:3]
	v_cmp_class_f32_e64 s[2:3], v4, s31
	v_cndmask_b32_e32 v32, v24, v25, vcc
	s_and_b64 vcc, s[2:3], s[20:21]
	v_mul_f32_e32 v2, 0.5, v2
	v_cndmask_b32_e32 v31, v31, v32, vcc
                                        ; implicit-def: $vgpr33
                                        ; implicit-def: $vgpr32
.LBB186_273:                            ;   in Loop: Header=BB186_162 Depth=1
	s_andn2_saveexec_b64 s[18:19], s[18:19]
	s_cbranch_execz .LBB186_277
; %bb.274:                              ;   in Loop: Header=BB186_162 Depth=1
	v_and_b32_e32 v34, 0x7fff0000, v33
	v_sub_f32_e32 v2, v33, v34
	v_and_b32_e32 v38, 0xffff0000, v2
	v_and_b32_e32 v33, 0x7fff0000, v32
	v_sub_f32_e32 v40, v2, v38
	v_sub_f32_e32 v2, v32, v33
	v_and_b32_e32 v39, 0xffff0000, v2
	v_add_f32_e32 v35, v34, v34
	v_add_f32_e32 v42, v33, v33
	v_sub_f32_e32 v41, v2, v39
	v_mul_f32_e32 v2, v34, v34
	v_mul_f32_e32 v31, v33, v33
	;; [unrolled: 1-line block ×6, first 2 shown]
	v_add_f32_e32 v38, v38, v38
	v_add_f32_e32 v39, v39, v39
	v_mul_f32_e32 v36, v35, v40
	v_mul_f32_e32 v35, v42, v41
	;; [unrolled: 1-line block ×6, first 2 shown]
	s_mov_b64 s[20:21], 0
.LBB186_275:                            ;   Parent Loop BB186_162 Depth=1
                                        ; =>  This Inner Loop Header: Depth=2
	v_cmp_nlt_f32_e32 vcc, v2, v31
	v_mov_b32_e32 v42, v41
	v_cndmask_b32_e32 v41, v2, v31, vcc
	v_cmp_nlt_f32_e64 s[2:3], v41, v34
	v_cndmask_b32_e64 v43, v41, v34, s[2:3]
	v_cndmask_b32_e32 v2, v31, v2, vcc
	s_and_b64 s[42:43], vcc, s[2:3]
	v_cmp_nlt_f32_e32 vcc, v43, v33
	v_cndmask_b32_e64 v31, v34, v41, s[2:3]
	v_cndmask_b32_e32 v41, v43, v33, vcc
	v_cmp_nlt_f32_e64 s[2:3], v41, v37
	v_cndmask_b32_e32 v34, v33, v43, vcc
	v_cndmask_b32_e64 v43, v41, v37, s[2:3]
	s_and_b64 s[44:45], vcc, s[2:3]
	v_cmp_nlt_f32_e32 vcc, v43, v32
	v_cndmask_b32_e64 v33, v37, v41, s[2:3]
	v_cndmask_b32_e32 v41, v43, v32, vcc
	v_cmp_nlt_f32_e64 s[2:3], v41, v36
	v_cndmask_b32_e32 v37, v32, v43, vcc
	v_cndmask_b32_e64 v43, v41, v36, s[2:3]
	v_cndmask_b32_e64 v32, v36, v41, s[2:3]
	s_and_b64 s[2:3], vcc, s[2:3]
	v_cmp_nlt_f32_e32 vcc, v43, v35
	v_cndmask_b32_e32 v41, v43, v35, vcc
	v_cndmask_b32_e32 v36, v35, v43, vcc
	s_and_b64 s[2:3], s[2:3], vcc
	v_cmp_nlt_f32_e32 vcc, v41, v38
	v_cndmask_b32_e32 v43, v41, v38, vcc
	v_cndmask_b32_e32 v35, v38, v41, vcc
	s_and_b64 s[2:3], s[2:3], vcc
	;; [unrolled: 4-line block ×4, first 2 shown]
	v_cmp_nlt_f32_e32 vcc, v43, v42
	s_and_b64 s[2:3], s[2:3], vcc
	s_and_b64 s[2:3], s[2:3], s[44:45]
	s_and_b64 s[2:3], s[2:3], s[42:43]
	s_and_b64 s[2:3], exec, s[2:3]
	v_cndmask_b32_e32 v41, v43, v42, vcc
	s_or_b64 s[20:21], s[2:3], s[20:21]
	v_cndmask_b32_e32 v40, v42, v43, vcc
	s_andn2_b64 exec, exec, s[20:21]
	s_cbranch_execnz .LBB186_275
; %bb.276:                              ;   in Loop: Header=BB186_162 Depth=1
	s_or_b64 exec, exec, s[20:21]
	v_add_f32_e32 v2, -1.0, v2
	v_add_f32_e32 v2, v2, v31
	v_add_f32_e32 v2, v2, v34
	v_add_f32_e32 v2, v2, v33
	v_add_f32_e32 v2, v2, v37
	v_add_f32_e32 v2, v2, v32
	v_add_f32_e32 v2, v2, v36
	v_add_f32_e32 v2, v2, v35
	v_add_f32_e32 v2, v2, v38
	v_add_f32_e32 v2, v2, v39
	v_add_f32_e32 v2, v2, v40
	v_add_f32_e32 v2, v41, v2
	v_add_f32_e32 v33, 1.0, v2
	v_cvt_f64_f32_e32 v[31:32], v33
	v_add_f32_e32 v34, -1.0, v33
	v_sub_f32_e32 v35, v34, v33
	v_sub_f32_e32 v34, v2, v34
	v_frexp_exp_i32_f64_e32 v31, v[31:32]
	v_frexp_mant_f32_e32 v32, v33
	v_cmp_gt_f32_e32 vcc, s27, v32
	v_add_f32_e32 v35, 1.0, v35
	v_add_f32_e32 v34, v34, v35
	v_cmp_gt_i32_e64 s[2:3], 0, v4
	v_cmp_class_f32_e64 s[20:21], v5, s31
	v_subbrev_co_u32_e32 v31, vcc, 0, v31, vcc
	v_sub_u32_e32 v32, 0, v31
	v_ldexp_f32 v33, v33, v32
	v_ldexp_f32 v32, v34, v32
	v_add_f32_e32 v34, -1.0, v33
	v_add_f32_e32 v35, 1.0, v33
	v_add_f32_e32 v36, 1.0, v34
	v_add_f32_e32 v38, -1.0, v35
	v_sub_f32_e32 v36, v33, v36
	v_sub_f32_e32 v33, v33, v38
	v_add_f32_e32 v36, v32, v36
	v_add_f32_e32 v32, v32, v33
	;; [unrolled: 1-line block ×3, first 2 shown]
	v_rcp_f32_e32 v38, v33
	v_add_f32_e32 v37, v34, v36
	v_sub_f32_e32 v35, v33, v35
	v_sub_f32_e32 v34, v37, v34
	;; [unrolled: 1-line block ×3, first 2 shown]
	v_mul_f32_e32 v35, v37, v38
	v_sub_f32_e32 v34, v36, v34
	v_mul_f32_e32 v36, v33, v35
	v_fma_f32 v39, v35, v33, -v36
	v_fmac_f32_e32 v39, v35, v32
	v_add_f32_e32 v40, v36, v39
	v_sub_f32_e32 v41, v37, v40
	v_sub_f32_e32 v37, v37, v41
	;; [unrolled: 1-line block ×4, first 2 shown]
	v_add_f32_e32 v34, v34, v37
	v_sub_f32_e32 v36, v36, v39
	v_add_f32_e32 v34, v36, v34
	v_add_f32_e32 v36, v41, v34
	v_mul_f32_e32 v37, v38, v36
	v_mul_f32_e32 v39, v33, v37
	v_fma_f32 v33, v37, v33, -v39
	v_fmac_f32_e32 v33, v37, v32
	v_sub_f32_e32 v32, v41, v36
	v_add_f32_e32 v32, v34, v32
	v_add_f32_e32 v34, v39, v33
	v_sub_f32_e32 v40, v36, v34
	v_sub_f32_e32 v36, v36, v40
	;; [unrolled: 1-line block ×4, first 2 shown]
	v_add_f32_e32 v32, v32, v34
	v_sub_f32_e32 v33, v39, v33
	v_cvt_f32_i32_e32 v31, v31
	v_add_f32_e32 v32, v33, v32
	v_add_f32_e32 v33, v35, v37
	v_add_f32_e32 v32, v40, v32
	v_sub_f32_e32 v34, v33, v35
	v_mul_f32_e32 v32, v38, v32
	v_sub_f32_e32 v34, v37, v34
	v_add_f32_e32 v32, v34, v32
	v_mul_f32_e32 v37, 0x3f317218, v31
	v_add_f32_e32 v34, v33, v32
	v_fma_f32 v38, v31, s28, -v37
	v_mul_f32_e32 v35, v34, v34
	v_mov_b32_e32 v36, 0x3ecc95a3
	v_fmac_f32_e32 v38, 0xb102e308, v31
	v_sub_f32_e32 v31, v34, v33
	v_fmac_f32_e32 v36, 0x3e9b6dac, v35
	v_sub_f32_e32 v31, v32, v31
	v_add_f32_e32 v32, v37, v38
	v_fma_f32 v36, v35, v36, v13
	v_sub_f32_e32 v33, v32, v37
	v_ldexp_f32 v37, v34, 1
	v_mul_f32_e32 v34, v34, v35
	v_mul_f32_e32 v34, v34, v36
	v_add_f32_e32 v35, v37, v34
	v_sub_f32_e32 v36, v35, v37
	v_ldexp_f32 v31, v31, 1
	v_sub_f32_e32 v34, v34, v36
	v_add_f32_e32 v31, v31, v34
	v_add_f32_e32 v34, v35, v31
	v_sub_f32_e32 v35, v34, v35
	v_sub_f32_e32 v31, v31, v35
	v_add_f32_e32 v35, v32, v34
	v_sub_f32_e32 v36, v35, v32
	v_sub_f32_e32 v37, v35, v36
	;; [unrolled: 1-line block ×5, first 2 shown]
	v_add_f32_e32 v32, v34, v32
	v_add_f32_e32 v34, v33, v31
	v_sub_f32_e32 v36, v34, v33
	v_sub_f32_e32 v37, v34, v36
	;; [unrolled: 1-line block ×4, first 2 shown]
	v_add_f32_e32 v32, v34, v32
	v_add_f32_e32 v31, v31, v33
	;; [unrolled: 1-line block ×3, first 2 shown]
	v_sub_f32_e32 v34, v33, v35
	v_sub_f32_e32 v32, v32, v34
	v_add_f32_e32 v31, v31, v32
	v_add_f32_e32 v31, v33, v31
	v_cmp_neq_f32_e32 vcc, s29, v2
	v_cndmask_b32_e32 v31, v20, v31, vcc
	v_cmp_ngt_f32_e32 vcc, -1.0, v2
	v_cndmask_b32_e32 v31, v21, v31, vcc
	v_cmp_neq_f32_e32 vcc, -1.0, v2
	v_cndmask_b32_e32 v31, v22, v31, vcc
	v_cmp_lt_f32_e64 vcc, |v2|, s30
	v_cndmask_b32_e32 v2, v31, v2, vcc
	v_max_f32_e64 v31, |v5|, |v5|
	v_max_f32_e64 v32, |v4|, |v4|
	v_min_f32_e32 v33, v32, v31
	v_max_f32_e32 v31, v32, v31
	v_frexp_mant_f32_e32 v32, v31
	v_rcp_f32_e32 v32, v32
	v_frexp_exp_i32_f32_e32 v31, v31
	v_frexp_exp_i32_f32_e32 v34, v33
	v_frexp_mant_f32_e32 v33, v33
	v_mul_f32_e32 v32, v33, v32
	v_sub_u32_e32 v31, v34, v31
	v_ldexp_f32 v31, v32, v31
	v_mul_f32_e32 v32, v31, v31
	v_mov_b32_e32 v33, 0xbc7a590c
	v_fmac_f32_e32 v33, 0x3b2d2a58, v32
	v_fma_f32 v33, v32, v33, v14
	v_fma_f32 v33, v32, v33, v15
	;; [unrolled: 1-line block ×6, first 2 shown]
	v_mul_f32_e32 v32, v32, v33
	v_fmac_f32_e32 v31, v31, v32
	v_sub_f32_e32 v32, 0x3fc90fdb, v31
	v_cndmask_b32_e64 v31, v31, v32, s[0:1]
	v_sub_f32_e32 v32, 0x40490fdb, v31
	v_cmp_gt_f32_e32 vcc, 0, v4
	v_cndmask_b32_e32 v31, v31, v32, vcc
	v_cndmask_b32_e64 v32, 0, v23, s[2:3]
	v_cmp_eq_f32_e64 s[2:3], 0, v5
	v_cndmask_b32_e64 v31, v31, v32, s[2:3]
	v_cmp_class_f32_e64 s[2:3], v4, s31
	v_cndmask_b32_e32 v32, v24, v25, vcc
	s_and_b64 vcc, s[2:3], s[20:21]
	v_mul_f32_e32 v2, 0.5, v2
	v_cndmask_b32_e32 v31, v31, v32, vcc
.LBB186_277:                            ;   in Loop: Header=BB186_162 Depth=1
	s_or_b64 exec, exec, s[18:19]
.LBB186_278:                            ;   in Loop: Header=BB186_162 Depth=1
	s_or_b64 exec, exec, s[16:17]
.LBB186_279:                            ;   in Loop: Header=BB186_162 Depth=1
	s_andn2_saveexec_b64 s[14:15], s[14:15]
	s_cbranch_execz .LBB186_281
; %bb.280:                              ;   in Loop: Header=BB186_162 Depth=1
	v_max_f32_e64 v2, |v5|, |v5|
	v_max_f32_e64 v33, |v4|, |v4|
	v_max_f32_e32 v34, v33, v2
	v_cvt_f64_f32_e32 v[31:32], v34
	v_min_f32_e32 v2, v33, v2
	v_frexp_mant_f32_e32 v33, v34
	v_rcp_f32_e32 v33, v33
	v_frexp_exp_i32_f64_e32 v31, v[31:32]
	v_cmp_neq_f32_e32 vcc, s29, v34
	v_frexp_exp_i32_f32_e32 v35, v2
	v_frexp_mant_f32_e32 v2, v2
	v_mul_f32_e32 v2, v2, v33
	v_frexp_exp_i32_f32_e32 v32, v34
	v_sub_u32_e32 v32, v35, v32
	v_ldexp_f32 v32, v2, v32
	v_sub_u32_e32 v36, 0, v31
	v_ldexp_f32 v37, |v4|, v36
	v_ldexp_f32 v36, |v5|, v36
	v_mul_f32_e32 v36, v36, v36
	v_fmac_f32_e32 v36, v37, v37
	v_sqrt_f32_e32 v36, v36
	v_cmp_gt_i32_e64 s[2:3], 0, v4
	v_cmp_class_f32_e64 s[16:17], v5, s31
	v_ldexp_f32 v31, v36, v31
	v_cndmask_b32_e32 v31, v20, v31, vcc
	v_cmp_gt_f32_e32 vcc, s35, v31
	v_cndmask_b32_e64 v33, 0, 32, vcc
	v_ldexp_f32 v31, v31, v33
	v_log_f32_e32 v31, v31
	v_cndmask_b32_e32 v2, 0, v26, vcc
	v_mul_f32_e32 v33, v32, v32
	v_mul_f32_e32 v34, 0x3f317217, v31
	v_fma_f32 v34, v31, s36, -v34
	v_fmac_f32_e32 v34, 0x3377d1cf, v31
	v_fmac_f32_e32 v34, 0x3f317217, v31
	v_cmp_lt_f32_e64 vcc, |v31|, s29
	v_cndmask_b32_e32 v31, v31, v34, vcc
	v_sub_f32_e32 v2, v31, v2
	v_mov_b32_e32 v31, 0xbc7a590c
	v_fmac_f32_e32 v31, 0x3b2d2a58, v33
	v_fma_f32 v31, v33, v31, v14
	v_fma_f32 v31, v33, v31, v15
	;; [unrolled: 1-line block ×6, first 2 shown]
	v_mul_f32_e32 v31, v33, v31
	v_fmac_f32_e32 v32, v32, v31
	v_sub_f32_e32 v31, 0x3fc90fdb, v32
	v_cndmask_b32_e64 v31, v32, v31, s[0:1]
	v_sub_f32_e32 v32, 0x40490fdb, v31
	v_cmp_gt_f32_e32 vcc, 0, v4
	v_cndmask_b32_e32 v31, v31, v32, vcc
	v_cndmask_b32_e64 v32, 0, v23, s[2:3]
	v_cmp_eq_f32_e64 s[2:3], 0, v5
	v_cndmask_b32_e64 v31, v31, v32, s[2:3]
	v_cmp_class_f32_e64 s[2:3], v4, s31
	v_cndmask_b32_e32 v32, v24, v25, vcc
	s_and_b64 vcc, s[2:3], s[16:17]
	v_cndmask_b32_e32 v31, v31, v32, vcc
.LBB186_281:                            ;   in Loop: Header=BB186_162 Depth=1
	s_or_b64 exec, exec, s[14:15]
                                        ; implicit-def: $vgpr32
.LBB186_282:                            ;   in Loop: Header=BB186_162 Depth=1
	s_andn2_saveexec_b64 s[12:13], s[12:13]
	s_cbranch_execz .LBB186_288
; %bb.283:                              ;   in Loop: Header=BB186_162 Depth=1
	v_cmp_ngt_f32_e32 vcc, s37, v32
                                        ; implicit-def: $vgpr2
                                        ; implicit-def: $vgpr31
	s_and_saveexec_b64 s[2:3], vcc
	s_xor_b64 s[14:15], exec, s[2:3]
	s_cbranch_execz .LBB186_285
; %bb.284:                              ;   in Loop: Header=BB186_162 Depth=1
	v_mul_f32_e32 v2, v32, v32
	v_add_f32_e32 v33, 1.0, v2
	v_cvt_f64_f32_e32 v[31:32], v33
	v_add_f32_e32 v34, -1.0, v33
	v_sub_f32_e32 v35, v34, v33
	v_sub_f32_e32 v34, v2, v34
	v_frexp_exp_i32_f64_e32 v31, v[31:32]
	v_frexp_mant_f32_e32 v32, v33
	v_cmp_gt_f32_e32 vcc, s27, v32
	v_add_f32_e32 v35, 1.0, v35
	v_add_f32_e32 v34, v34, v35
	v_cmp_gt_i32_e64 s[2:3], 0, v4
	v_cmp_class_f32_e64 s[16:17], v5, s31
	v_subbrev_co_u32_e32 v31, vcc, 0, v31, vcc
	v_sub_u32_e32 v32, 0, v31
	v_ldexp_f32 v33, v33, v32
	v_ldexp_f32 v32, v34, v32
	v_add_f32_e32 v34, -1.0, v33
	v_add_f32_e32 v35, 1.0, v33
	v_add_f32_e32 v36, 1.0, v34
	v_add_f32_e32 v38, -1.0, v35
	v_sub_f32_e32 v36, v33, v36
	v_sub_f32_e32 v33, v33, v38
	v_add_f32_e32 v36, v32, v36
	v_add_f32_e32 v32, v32, v33
	;; [unrolled: 1-line block ×3, first 2 shown]
	v_rcp_f32_e32 v38, v33
	v_add_f32_e32 v37, v34, v36
	v_sub_f32_e32 v35, v35, v33
	v_sub_f32_e32 v34, v34, v37
	v_add_f32_e32 v32, v32, v35
	v_mul_f32_e32 v35, v37, v38
	v_add_f32_e32 v34, v36, v34
	v_mul_f32_e32 v36, v33, v35
	v_fma_f32 v39, v35, v33, -v36
	v_fmac_f32_e32 v39, v35, v32
	v_add_f32_e32 v40, v36, v39
	v_sub_f32_e32 v41, v37, v40
	v_sub_f32_e32 v37, v37, v41
	;; [unrolled: 1-line block ×4, first 2 shown]
	v_add_f32_e32 v34, v34, v37
	v_sub_f32_e32 v36, v36, v39
	v_add_f32_e32 v34, v36, v34
	v_add_f32_e32 v36, v41, v34
	v_mul_f32_e32 v37, v38, v36
	v_mul_f32_e32 v39, v33, v37
	v_fma_f32 v33, v37, v33, -v39
	v_fmac_f32_e32 v33, v37, v32
	v_sub_f32_e32 v32, v41, v36
	v_add_f32_e32 v32, v34, v32
	v_add_f32_e32 v34, v39, v33
	v_sub_f32_e32 v40, v36, v34
	v_sub_f32_e32 v36, v36, v40
	v_sub_f32_e32 v39, v34, v39
	v_sub_f32_e32 v34, v36, v34
	v_add_f32_e32 v32, v32, v34
	v_sub_f32_e32 v33, v39, v33
	v_cvt_f32_i32_e32 v31, v31
	v_add_f32_e32 v32, v33, v32
	v_add_f32_e32 v33, v35, v37
	v_add_f32_e32 v32, v40, v32
	v_sub_f32_e32 v34, v33, v35
	v_mul_f32_e32 v32, v38, v32
	v_sub_f32_e32 v34, v37, v34
	v_add_f32_e32 v32, v34, v32
	v_mul_f32_e32 v37, 0x3f317218, v31
	v_add_f32_e32 v34, v33, v32
	v_fma_f32 v38, v31, s28, -v37
	v_mul_f32_e32 v35, v34, v34
	v_mov_b32_e32 v36, 0x3ecc95a3
	v_fmac_f32_e32 v38, 0xb102e308, v31
	v_sub_f32_e32 v31, v34, v33
	v_fmac_f32_e32 v36, 0x3e9b6dac, v35
	v_sub_f32_e32 v31, v32, v31
	v_add_f32_e32 v32, v37, v38
	v_fma_f32 v36, v35, v36, v13
	v_sub_f32_e32 v33, v32, v37
	v_ldexp_f32 v37, v34, 1
	v_mul_f32_e32 v34, v34, v35
	v_mul_f32_e32 v34, v34, v36
	v_add_f32_e32 v35, v37, v34
	v_sub_f32_e32 v36, v35, v37
	v_ldexp_f32 v31, v31, 1
	v_sub_f32_e32 v34, v34, v36
	v_add_f32_e32 v31, v31, v34
	v_add_f32_e32 v34, v35, v31
	v_sub_f32_e32 v35, v34, v35
	v_sub_f32_e32 v31, v31, v35
	v_add_f32_e32 v35, v32, v34
	v_sub_f32_e32 v36, v35, v32
	v_sub_f32_e32 v37, v35, v36
	;; [unrolled: 1-line block ×5, first 2 shown]
	v_add_f32_e32 v32, v34, v32
	v_add_f32_e32 v34, v33, v31
	v_sub_f32_e32 v36, v34, v33
	v_sub_f32_e32 v37, v34, v36
	v_sub_f32_e32 v33, v33, v37
	v_sub_f32_e32 v31, v31, v36
	v_add_f32_e32 v32, v34, v32
	v_add_f32_e32 v31, v31, v33
	;; [unrolled: 1-line block ×3, first 2 shown]
	v_sub_f32_e32 v34, v33, v35
	v_sub_f32_e32 v32, v32, v34
	v_add_f32_e32 v31, v31, v32
	v_add_f32_e32 v31, v33, v31
	v_cmp_neq_f32_e32 vcc, s29, v2
	v_cndmask_b32_e32 v31, v20, v31, vcc
	v_cmp_lt_f32_e64 vcc, |v2|, s30
	v_cndmask_b32_e32 v2, v31, v2, vcc
	v_max_f32_e64 v31, |v5|, |v5|
	v_max_f32_e64 v32, |v4|, |v4|
	v_min_f32_e32 v33, v32, v31
	v_max_f32_e32 v31, v32, v31
	v_frexp_mant_f32_e32 v32, v31
	v_rcp_f32_e32 v32, v32
	v_frexp_exp_i32_f32_e32 v31, v31
	v_frexp_exp_i32_f32_e32 v34, v33
	v_frexp_mant_f32_e32 v33, v33
	v_mul_f32_e32 v32, v33, v32
	v_sub_u32_e32 v31, v34, v31
	v_ldexp_f32 v31, v32, v31
	v_mul_f32_e32 v32, v31, v31
	v_mov_b32_e32 v33, 0xbc7a590c
	v_fmac_f32_e32 v33, 0x3b2d2a58, v32
	v_fma_f32 v33, v32, v33, v14
	v_fma_f32 v33, v32, v33, v15
	;; [unrolled: 1-line block ×6, first 2 shown]
	v_mul_f32_e32 v32, v32, v33
	v_fmac_f32_e32 v31, v31, v32
	v_sub_f32_e32 v32, 0x3fc90fdb, v31
	v_cndmask_b32_e64 v31, v31, v32, s[0:1]
	v_sub_f32_e32 v32, 0x40490fdb, v31
	v_cmp_gt_f32_e32 vcc, 0, v4
	v_cndmask_b32_e32 v31, v31, v32, vcc
	v_cndmask_b32_e64 v32, 0, v23, s[2:3]
	v_cmp_eq_f32_e64 s[2:3], 0, v5
	v_cndmask_b32_e64 v31, v31, v32, s[2:3]
	v_cmp_class_f32_e64 s[2:3], v4, s31
	v_cndmask_b32_e32 v32, v24, v25, vcc
	s_and_b64 vcc, s[2:3], s[16:17]
	v_mul_f32_e32 v2, 0.5, v2
	v_cndmask_b32_e32 v31, v31, v32, vcc
                                        ; implicit-def: $vgpr32
.LBB186_285:                            ;   in Loop: Header=BB186_162 Depth=1
	s_andn2_saveexec_b64 s[14:15], s[14:15]
	s_cbranch_execz .LBB186_287
; %bb.286:                              ;   in Loop: Header=BB186_162 Depth=1
	v_mul_f32_e32 v2, 0.5, v32
	v_mul_f32_e32 v2, v32, v2
	v_max_f32_e64 v31, |v5|, |v5|
	v_max_f32_e64 v32, |v4|, |v4|
	v_min_f32_e32 v33, v32, v31
	v_max_f32_e32 v31, v32, v31
	v_frexp_mant_f32_e32 v32, v31
	v_rcp_f32_e32 v32, v32
	v_frexp_exp_i32_f32_e32 v31, v31
	v_frexp_exp_i32_f32_e32 v34, v33
	v_frexp_mant_f32_e32 v33, v33
	v_mul_f32_e32 v32, v33, v32
	v_sub_u32_e32 v31, v34, v31
	v_ldexp_f32 v31, v32, v31
	v_mul_f32_e32 v32, v31, v31
	v_mov_b32_e32 v33, 0xbc7a590c
	v_fmac_f32_e32 v33, 0x3b2d2a58, v32
	v_fma_f32 v33, v32, v33, v14
	v_fma_f32 v33, v32, v33, v15
	;; [unrolled: 1-line block ×6, first 2 shown]
	v_mul_f32_e32 v32, v32, v33
	v_fmac_f32_e32 v31, v31, v32
	v_sub_f32_e32 v32, 0x3fc90fdb, v31
	v_cndmask_b32_e64 v31, v31, v32, s[0:1]
	v_sub_f32_e32 v32, 0x40490fdb, v31
	v_cmp_gt_f32_e32 vcc, 0, v4
	v_cmp_gt_i32_e64 s[2:3], 0, v4
	v_cndmask_b32_e32 v31, v31, v32, vcc
	v_cndmask_b32_e64 v32, 0, v23, s[2:3]
	v_cmp_eq_f32_e64 s[2:3], 0, v5
	v_cndmask_b32_e64 v31, v31, v32, s[2:3]
	v_cmp_class_f32_e64 s[2:3], v4, s31
	v_cmp_class_f32_e64 s[16:17], v5, s31
	v_cndmask_b32_e32 v32, v24, v25, vcc
	s_and_b64 vcc, s[2:3], s[16:17]
	v_cndmask_b32_e32 v31, v31, v32, vcc
.LBB186_287:                            ;   in Loop: Header=BB186_162 Depth=1
	s_or_b64 exec, exec, s[14:15]
.LBB186_288:                            ;   in Loop: Header=BB186_162 Depth=1
	s_or_b64 exec, exec, s[12:13]
.LBB186_289:                            ;   in Loop: Header=BB186_162 Depth=1
	s_andn2_saveexec_b64 s[10:11], s[10:11]
	s_cbranch_execz .LBB186_291
; %bb.290:                              ;   in Loop: Header=BB186_162 Depth=1
	v_div_scale_f32 v2, s[2:3], s38, s38, v4
	v_div_scale_f32 v31, s[2:3], s38, s38, v5
	v_div_scale_f32 v32, vcc, v4, s38, v4
	v_div_scale_f32 v33, s[2:3], v5, s38, v5
	v_rcp_f32_e32 v34, v2
	v_rcp_f32_e32 v35, v31
	v_fma_f32 v36, -v2, v34, 1.0
	v_fmac_f32_e32 v34, v36, v34
	v_fma_f32 v37, -v31, v35, 1.0
	v_fmac_f32_e32 v35, v37, v35
	v_mul_f32_e32 v36, v32, v34
	v_mul_f32_e32 v37, v33, v35
	v_fma_f32 v38, -v2, v36, v32
	v_fma_f32 v39, -v31, v37, v33
	v_fmac_f32_e32 v36, v38, v34
	v_fmac_f32_e32 v37, v39, v35
	v_fma_f32 v2, -v2, v36, v32
	v_fma_f32 v31, -v31, v37, v33
	v_div_fmas_f32 v2, v2, v34, v36
	s_mov_b64 vcc, s[2:3]
	v_div_fmas_f32 v31, v31, v35, v37
	v_max_f32_e64 v32, |v5|, |v5|
	v_max_f32_e64 v33, |v4|, |v4|
	v_min_f32_e32 v35, v33, v32
	v_max_f32_e32 v32, v33, v32
	v_frexp_exp_i32_f32_e32 v33, v32
	v_frexp_exp_i32_f32_e32 v36, v35
	v_sub_u32_e32 v33, v36, v33
	v_frexp_mant_f32_e32 v32, v32
	v_rcp_f32_e32 v37, v32
	v_frexp_mant_f32_e32 v35, v35
	v_mov_b32_e32 v34, 0xbc7a590c
	v_cmp_class_f32_e64 s[2:3], v5, s31
	v_mul_f32_e32 v35, v35, v37
	v_div_fixup_f32 v2, v2, s38, v4
	v_ldexp_f32 v33, v35, v33
	v_div_fixup_f32 v36, v31, s38, v5
	v_max_f32_e64 v38, |v2|, |v36|
	v_cvt_f64_f32_e32 v[31:32], v38
	v_mul_f32_e32 v35, v33, v33
	v_fmac_f32_e32 v34, 0x3b2d2a58, v35
	v_cmp_neq_f32_e32 vcc, s29, v38
	v_frexp_exp_i32_f64_e32 v31, v[31:32]
	v_fma_f32 v32, v35, v34, v14
	v_fma_f32 v32, v35, v32, v15
	;; [unrolled: 1-line block ×6, first 2 shown]
	v_mul_f32_e32 v32, v35, v32
	v_sub_u32_e32 v34, 0, v31
	v_ldexp_f32 v2, |v2|, v34
	v_ldexp_f32 v34, |v36|, v34
	v_mul_f32_e32 v34, v34, v34
	v_fmac_f32_e32 v34, v2, v2
	v_sqrt_f32_e32 v2, v34
	v_fmac_f32_e32 v33, v33, v32
	v_sub_f32_e32 v32, 0x3fc90fdb, v33
	v_ldexp_f32 v2, v2, v31
	v_cndmask_b32_e32 v2, v20, v2, vcc
	v_cmp_gt_f32_e32 vcc, s35, v2
	v_cndmask_b32_e64 v31, 0, 32, vcc
	v_ldexp_f32 v2, v2, v31
	v_log_f32_e32 v2, v2
	v_cndmask_b32_e64 v31, v33, v32, s[0:1]
	v_cndmask_b32_e32 v33, 0, v26, vcc
	v_sub_f32_e32 v32, 0x40490fdb, v31
	v_mul_f32_e32 v34, 0x3f317217, v2
	v_fma_f32 v34, v2, s36, -v34
	v_fmac_f32_e32 v34, 0x3377d1cf, v2
	v_fmac_f32_e32 v34, 0x3f317217, v2
	v_cmp_lt_f32_e64 vcc, |v2|, s29
	v_cndmask_b32_e32 v2, v2, v34, vcc
	v_cmp_gt_f32_e32 vcc, 0, v4
	v_cmp_gt_i32_e64 s[0:1], 0, v4
	v_cndmask_b32_e32 v31, v31, v32, vcc
	v_cndmask_b32_e64 v32, 0, v23, s[0:1]
	v_cmp_eq_f32_e64 s[0:1], 0, v5
	v_cndmask_b32_e64 v31, v31, v32, s[0:1]
	v_cmp_class_f32_e64 s[0:1], v4, s31
	v_sub_f32_e32 v2, v2, v33
	v_cndmask_b32_e32 v32, v24, v25, vcc
	s_and_b64 vcc, s[0:1], s[2:3]
	v_add_f32_e32 v2, 1.0, v2
	v_cndmask_b32_e32 v31, v31, v32, vcc
.LBB186_291:                            ;   in Loop: Header=BB186_162 Depth=1
	s_or_b64 exec, exec, s[10:11]
.LBB186_292:                            ;   in Loop: Header=BB186_162 Depth=1
	s_andn2_saveexec_b64 s[0:1], s[4:5]
	s_cbranch_execz .LBB186_161
; %bb.293:                              ;   in Loop: Header=BB186_162 Depth=1
	v_cmp_nlt_f32_e64 s[2:3], |v4|, s39
	v_cmp_nlt_f32_e64 s[4:5], |v5|, s39
	s_or_b64 s[2:3], s[2:3], s[4:5]
                                        ; implicit-def: $vgpr2
	s_and_saveexec_b64 s[4:5], s[2:3]
	s_xor_b64 s[2:3], exec, s[4:5]
; %bb.294:                              ;   in Loop: Header=BB186_162 Depth=1
	v_mul_f32_e32 v2, v5, v5
	v_fmac_f32_e32 v2, v4, v4
; %bb.295:                              ;   in Loop: Header=BB186_162 Depth=1
	s_andn2_saveexec_b64 s[2:3], s[2:3]
	s_cbranch_execz .LBB186_160
; %bb.296:                              ;   in Loop: Header=BB186_162 Depth=1
	v_mul_f32_e32 v2, 4.0, v4
	v_mul_f32_e32 v4, 4.0, v5
	v_mul_f32_e32 v4, v4, v4
	v_fmac_f32_e32 v4, v2, v2
	v_mul_f32_e32 v2, 0x3d800000, v4
	s_branch .LBB186_160
.LBB186_297:
	s_endpgm
	.section	.rodata,"a",@progbits
	.p2align	6, 0x0
	.amdhsa_kernel _ZN2at6native12_GLOBAL__N_125multi_tensor_apply_kernelINS1_18TensorListMetadataILi1EEENS1_14UnaryOpFunctorIN3c107complexIfEELi1ELi1ELi0EEEJNS0_5Log10IS8_EEEEEvT_T0_DpT1_
		.amdhsa_group_segment_fixed_size 0
		.amdhsa_private_segment_fixed_size 0
		.amdhsa_kernarg_size 3632
		.amdhsa_user_sgpr_count 6
		.amdhsa_user_sgpr_private_segment_buffer 1
		.amdhsa_user_sgpr_dispatch_ptr 0
		.amdhsa_user_sgpr_queue_ptr 0
		.amdhsa_user_sgpr_kernarg_segment_ptr 1
		.amdhsa_user_sgpr_dispatch_id 0
		.amdhsa_user_sgpr_flat_scratch_init 0
		.amdhsa_user_sgpr_private_segment_size 0
		.amdhsa_uses_dynamic_stack 0
		.amdhsa_system_sgpr_private_segment_wavefront_offset 0
		.amdhsa_system_sgpr_workgroup_id_x 1
		.amdhsa_system_sgpr_workgroup_id_y 0
		.amdhsa_system_sgpr_workgroup_id_z 0
		.amdhsa_system_sgpr_workgroup_info 0
		.amdhsa_system_vgpr_workitem_id 0
		.amdhsa_next_free_vgpr 48
		.amdhsa_next_free_sgpr 64
		.amdhsa_reserve_vcc 1
		.amdhsa_reserve_flat_scratch 0
		.amdhsa_float_round_mode_32 0
		.amdhsa_float_round_mode_16_64 0
		.amdhsa_float_denorm_mode_32 3
		.amdhsa_float_denorm_mode_16_64 3
		.amdhsa_dx10_clamp 1
		.amdhsa_ieee_mode 1
		.amdhsa_fp16_overflow 0
		.amdhsa_exception_fp_ieee_invalid_op 0
		.amdhsa_exception_fp_denorm_src 0
		.amdhsa_exception_fp_ieee_div_zero 0
		.amdhsa_exception_fp_ieee_overflow 0
		.amdhsa_exception_fp_ieee_underflow 0
		.amdhsa_exception_fp_ieee_inexact 0
		.amdhsa_exception_int_div_zero 0
	.end_amdhsa_kernel
	.section	.text._ZN2at6native12_GLOBAL__N_125multi_tensor_apply_kernelINS1_18TensorListMetadataILi1EEENS1_14UnaryOpFunctorIN3c107complexIfEELi1ELi1ELi0EEEJNS0_5Log10IS8_EEEEEvT_T0_DpT1_,"axG",@progbits,_ZN2at6native12_GLOBAL__N_125multi_tensor_apply_kernelINS1_18TensorListMetadataILi1EEENS1_14UnaryOpFunctorIN3c107complexIfEELi1ELi1ELi0EEEJNS0_5Log10IS8_EEEEEvT_T0_DpT1_,comdat
.Lfunc_end186:
	.size	_ZN2at6native12_GLOBAL__N_125multi_tensor_apply_kernelINS1_18TensorListMetadataILi1EEENS1_14UnaryOpFunctorIN3c107complexIfEELi1ELi1ELi0EEEJNS0_5Log10IS8_EEEEEvT_T0_DpT1_, .Lfunc_end186-_ZN2at6native12_GLOBAL__N_125multi_tensor_apply_kernelINS1_18TensorListMetadataILi1EEENS1_14UnaryOpFunctorIN3c107complexIfEELi1ELi1ELi0EEEJNS0_5Log10IS8_EEEEEvT_T0_DpT1_
                                        ; -- End function
	.set _ZN2at6native12_GLOBAL__N_125multi_tensor_apply_kernelINS1_18TensorListMetadataILi1EEENS1_14UnaryOpFunctorIN3c107complexIfEELi1ELi1ELi0EEEJNS0_5Log10IS8_EEEEEvT_T0_DpT1_.num_vgpr, 48
	.set _ZN2at6native12_GLOBAL__N_125multi_tensor_apply_kernelINS1_18TensorListMetadataILi1EEENS1_14UnaryOpFunctorIN3c107complexIfEELi1ELi1ELi0EEEJNS0_5Log10IS8_EEEEEvT_T0_DpT1_.num_agpr, 0
	.set _ZN2at6native12_GLOBAL__N_125multi_tensor_apply_kernelINS1_18TensorListMetadataILi1EEENS1_14UnaryOpFunctorIN3c107complexIfEELi1ELi1ELi0EEEJNS0_5Log10IS8_EEEEEvT_T0_DpT1_.numbered_sgpr, 64
	.set _ZN2at6native12_GLOBAL__N_125multi_tensor_apply_kernelINS1_18TensorListMetadataILi1EEENS1_14UnaryOpFunctorIN3c107complexIfEELi1ELi1ELi0EEEJNS0_5Log10IS8_EEEEEvT_T0_DpT1_.num_named_barrier, 0
	.set _ZN2at6native12_GLOBAL__N_125multi_tensor_apply_kernelINS1_18TensorListMetadataILi1EEENS1_14UnaryOpFunctorIN3c107complexIfEELi1ELi1ELi0EEEJNS0_5Log10IS8_EEEEEvT_T0_DpT1_.private_seg_size, 0
	.set _ZN2at6native12_GLOBAL__N_125multi_tensor_apply_kernelINS1_18TensorListMetadataILi1EEENS1_14UnaryOpFunctorIN3c107complexIfEELi1ELi1ELi0EEEJNS0_5Log10IS8_EEEEEvT_T0_DpT1_.uses_vcc, 1
	.set _ZN2at6native12_GLOBAL__N_125multi_tensor_apply_kernelINS1_18TensorListMetadataILi1EEENS1_14UnaryOpFunctorIN3c107complexIfEELi1ELi1ELi0EEEJNS0_5Log10IS8_EEEEEvT_T0_DpT1_.uses_flat_scratch, 0
	.set _ZN2at6native12_GLOBAL__N_125multi_tensor_apply_kernelINS1_18TensorListMetadataILi1EEENS1_14UnaryOpFunctorIN3c107complexIfEELi1ELi1ELi0EEEJNS0_5Log10IS8_EEEEEvT_T0_DpT1_.has_dyn_sized_stack, 0
	.set _ZN2at6native12_GLOBAL__N_125multi_tensor_apply_kernelINS1_18TensorListMetadataILi1EEENS1_14UnaryOpFunctorIN3c107complexIfEELi1ELi1ELi0EEEJNS0_5Log10IS8_EEEEEvT_T0_DpT1_.has_recursion, 0
	.set _ZN2at6native12_GLOBAL__N_125multi_tensor_apply_kernelINS1_18TensorListMetadataILi1EEENS1_14UnaryOpFunctorIN3c107complexIfEELi1ELi1ELi0EEEJNS0_5Log10IS8_EEEEEvT_T0_DpT1_.has_indirect_call, 0
	.section	.AMDGPU.csdata,"",@progbits
; Kernel info:
; codeLenInByte = 38224
; TotalNumSgprs: 68
; NumVgprs: 48
; ScratchSize: 0
; MemoryBound: 1
; FloatMode: 240
; IeeeMode: 1
; LDSByteSize: 0 bytes/workgroup (compile time only)
; SGPRBlocks: 8
; VGPRBlocks: 11
; NumSGPRsForWavesPerEU: 68
; NumVGPRsForWavesPerEU: 48
; Occupancy: 5
; WaveLimiterHint : 0
; COMPUTE_PGM_RSRC2:SCRATCH_EN: 0
; COMPUTE_PGM_RSRC2:USER_SGPR: 6
; COMPUTE_PGM_RSRC2:TRAP_HANDLER: 0
; COMPUTE_PGM_RSRC2:TGID_X_EN: 1
; COMPUTE_PGM_RSRC2:TGID_Y_EN: 0
; COMPUTE_PGM_RSRC2:TGID_Z_EN: 0
; COMPUTE_PGM_RSRC2:TIDIG_COMP_CNT: 0
	.section	.text._ZN2at6native12_GLOBAL__N_125multi_tensor_apply_kernelINS1_18TensorListMetadataILi1EEENS1_14UnaryOpFunctorIN3c104HalfELi1ELi1ELi0EEEJNS0_5Log10IfEEEEEvT_T0_DpT1_,"axG",@progbits,_ZN2at6native12_GLOBAL__N_125multi_tensor_apply_kernelINS1_18TensorListMetadataILi1EEENS1_14UnaryOpFunctorIN3c104HalfELi1ELi1ELi0EEEJNS0_5Log10IfEEEEEvT_T0_DpT1_,comdat
	.globl	_ZN2at6native12_GLOBAL__N_125multi_tensor_apply_kernelINS1_18TensorListMetadataILi1EEENS1_14UnaryOpFunctorIN3c104HalfELi1ELi1ELi0EEEJNS0_5Log10IfEEEEEvT_T0_DpT1_ ; -- Begin function _ZN2at6native12_GLOBAL__N_125multi_tensor_apply_kernelINS1_18TensorListMetadataILi1EEENS1_14UnaryOpFunctorIN3c104HalfELi1ELi1ELi0EEEJNS0_5Log10IfEEEEEvT_T0_DpT1_
	.p2align	8
	.type	_ZN2at6native12_GLOBAL__N_125multi_tensor_apply_kernelINS1_18TensorListMetadataILi1EEENS1_14UnaryOpFunctorIN3c104HalfELi1ELi1ELi0EEEJNS0_5Log10IfEEEEEvT_T0_DpT1_,@function
_ZN2at6native12_GLOBAL__N_125multi_tensor_apply_kernelINS1_18TensorListMetadataILi1EEENS1_14UnaryOpFunctorIN3c104HalfELi1ELi1ELi0EEEJNS0_5Log10IfEEEEEvT_T0_DpT1_: ; @_ZN2at6native12_GLOBAL__N_125multi_tensor_apply_kernelINS1_18TensorListMetadataILi1EEENS1_14UnaryOpFunctorIN3c104HalfELi1ELi1ELi0EEEJNS0_5Log10IfEEEEEvT_T0_DpT1_
; %bb.0:
	v_mov_b32_e32 v1, s6
	global_load_ubyte v1, v1, s[4:5] offset:1760
	s_add_u32 s0, s4, s6
	s_mul_hi_u32 s1, s6, 3
	s_mul_i32 s6, s6, 3
	s_addc_u32 s2, s5, 0
	s_add_u32 s0, s0, s6
	s_addc_u32 s1, s2, s1
	s_load_dword s0, s[0:1], 0x820
	s_mov_b32 s7, 0
	s_waitcnt vmcnt(0)
	v_readfirstlane_b32 s1, v1
	s_lshl_b32 s1, s1, 3
	s_load_dwordx2 s[2:3], s[4:5], s1 offset:0x370
	s_load_dwordx2 s[10:11], s[4:5], s1 offset:0x0
	s_waitcnt lgkmcnt(0)
	s_ashr_i32 s1, s0, 31
	s_lshl_b64 s[12:13], s[0:1], 17
	s_lshl_b64 s[0:1], s[0:1], 16
	s_and_b32 s6, s10, 7
	s_sub_u32 s14, s2, s0
	s_subb_u32 s15, s3, s1
	s_and_b32 s0, s2, 3
	s_mov_b32 s1, s7
	s_or_b64 s[0:1], s[6:7], s[0:1]
	s_cmp_eq_u64 s[0:1], 0
	s_cbranch_scc1 .LBB187_21
; %bb.1:
	v_cmp_lt_i64_e64 s[0:1], s[14:15], 1
	s_and_b64 vcc, exec, s[0:1]
	s_cbranch_vccnz .LBB187_20
; %bb.2:
	v_mov_b32_e32 v1, 0x10000
	s_load_dword s2, s[4:5], 0xd3c
	v_mov_b32_e32 v2, 0
	v_cmp_lt_i64_e32 vcc, s[14:15], v[1:2]
	s_mov_b64 s[20:21], 0
	s_and_b64 s[0:1], vcc, exec
	v_cmp_lt_u64_e32 vcc, s[14:15], v[1:2]
	s_cselect_b32 s17, s15, 0
	s_cselect_b32 s16, s14, 0x10000
	s_waitcnt lgkmcnt(0)
	s_and_b32 s2, s2, 0xffff
	s_and_b64 s[0:1], vcc, exec
	s_cselect_b32 s19, s15, 0
	s_cselect_b32 s18, s14, 0x10000
	s_lshl_b32 s3, s2, 1
	s_lshl_b32 s24, s2, 2
	s_add_u32 s6, s10, s12
	v_lshlrev_b32_e32 v1, 1, v0
	s_addc_u32 s7, s11, s13
	v_mov_b32_e32 v2, s7
	v_add_co_u32_e32 v1, vcc, s6, v1
	s_mul_i32 s0, s2, 3
	v_addc_co_u32_e32 v2, vcc, 0, v2, vcc
	v_add_co_u32_e32 v5, vcc, s0, v0
	v_addc_co_u32_e64 v6, s[0:1], 0, 0, vcc
	v_add_co_u32_e32 v7, vcc, s3, v0
	v_addc_co_u32_e64 v8, s[0:1], 0, 0, vcc
	v_add_co_u32_e32 v9, vcc, s2, v0
	v_lshlrev_b32_e32 v3, 1, v9
	v_addc_co_u32_e64 v10, s[0:1], 0, 0, vcc
	v_mov_b32_e32 v4, s7
	v_add_co_u32_e32 v3, vcc, s6, v3
	s_lshl_b32 s25, s2, 3
	s_mul_i32 s26, s2, 6
	v_addc_co_u32_e32 v4, vcc, 0, v4, vcc
	s_mov_b32 s27, 0x800000
	s_mov_b32 s28, 0x3e9a209a
	;; [unrolled: 1-line block ×3, first 2 shown]
	v_mov_b32_e32 v11, 0x411a209b
	s_branch .LBB187_4
.LBB187_3:                              ;   in Loop: Header=BB187_4 Depth=1
	s_or_b64 exec, exec, s[0:1]
	s_add_u32 s20, s20, s24
	v_add_co_u32_e32 v1, vcc, s25, v1
	v_mov_b32_e32 v12, s16
	s_addc_u32 s21, s21, 0
	v_addc_co_u32_e32 v2, vcc, 0, v2, vcc
	v_mov_b32_e32 v13, s17
	v_cmp_lt_i64_e32 vcc, s[20:21], v[12:13]
	v_add_co_u32_e64 v3, s[0:1], s25, v3
	v_addc_co_u32_e64 v4, s[0:1], 0, v4, s[0:1]
	s_cbranch_vccz .LBB187_20
.LBB187_4:                              ; =>This Inner Loop Header: Depth=1
	v_mov_b32_e32 v13, s21
	v_add_co_u32_e32 v12, vcc, s20, v0
	v_addc_co_u32_e32 v13, vcc, 0, v13, vcc
	v_cmp_gt_u64_e64 s[6:7], s[18:19], v[12:13]
	v_mov_b32_e32 v15, 0
	s_and_saveexec_b64 s[0:1], s[6:7]
	s_cbranch_execz .LBB187_6
; %bb.5:                                ;   in Loop: Header=BB187_4 Depth=1
	global_load_ushort v12, v[1:2], off
	s_waitcnt vmcnt(0)
	v_cvt_f32_f16_e32 v15, v12
.LBB187_6:                              ;   in Loop: Header=BB187_4 Depth=1
	s_or_b64 exec, exec, s[0:1]
	v_mov_b32_e32 v13, s21
	v_add_co_u32_e32 v12, vcc, s20, v9
	v_addc_co_u32_e32 v13, vcc, v10, v13, vcc
	v_cmp_gt_u64_e64 s[2:3], s[18:19], v[12:13]
	v_mov_b32_e32 v12, 0
	v_mov_b32_e32 v14, 0
	s_and_saveexec_b64 s[0:1], s[2:3]
	s_cbranch_execz .LBB187_8
; %bb.7:                                ;   in Loop: Header=BB187_4 Depth=1
	global_load_ushort v13, v[3:4], off
	s_waitcnt vmcnt(0)
	v_cvt_f32_f16_e32 v14, v13
.LBB187_8:                              ;   in Loop: Header=BB187_4 Depth=1
	s_or_b64 exec, exec, s[0:1]
	v_mov_b32_e32 v13, s21
	v_add_co_u32_e32 v16, vcc, s20, v7
	v_addc_co_u32_e32 v17, vcc, v8, v13, vcc
	v_cmp_gt_u64_e64 s[0:1], s[18:19], v[16:17]
	s_and_saveexec_b64 s[8:9], s[0:1]
	s_cbranch_execz .LBB187_10
; %bb.9:                                ;   in Loop: Header=BB187_4 Depth=1
	v_add_co_u32_e32 v12, vcc, s24, v1
	v_addc_co_u32_e32 v13, vcc, 0, v2, vcc
	global_load_ushort v12, v[12:13], off
	s_waitcnt vmcnt(0)
	v_cvt_f32_f16_e32 v12, v12
.LBB187_10:                             ;   in Loop: Header=BB187_4 Depth=1
	s_or_b64 exec, exec, s[8:9]
	v_mov_b32_e32 v13, s21
	v_add_co_u32_e32 v16, vcc, s20, v5
	v_addc_co_u32_e32 v17, vcc, v6, v13, vcc
	v_cmp_gt_u64_e32 vcc, s[18:19], v[16:17]
	v_mov_b32_e32 v13, 0
	s_and_saveexec_b64 s[22:23], vcc
	s_cbranch_execnz .LBB187_15
; %bb.11:                               ;   in Loop: Header=BB187_4 Depth=1
	s_or_b64 exec, exec, s[22:23]
	s_and_saveexec_b64 s[22:23], s[6:7]
	s_cbranch_execnz .LBB187_16
.LBB187_12:                             ;   in Loop: Header=BB187_4 Depth=1
	s_or_b64 exec, exec, s[22:23]
	s_and_saveexec_b64 s[8:9], s[2:3]
	s_cbranch_execnz .LBB187_17
.LBB187_13:                             ;   in Loop: Header=BB187_4 Depth=1
	s_or_b64 exec, exec, s[8:9]
	s_and_saveexec_b64 s[2:3], s[0:1]
	s_cbranch_execnz .LBB187_18
.LBB187_14:                             ;   in Loop: Header=BB187_4 Depth=1
	s_or_b64 exec, exec, s[2:3]
	s_and_saveexec_b64 s[0:1], vcc
	s_cbranch_execz .LBB187_3
	s_branch .LBB187_19
.LBB187_15:                             ;   in Loop: Header=BB187_4 Depth=1
	v_add_co_u32_e64 v16, s[8:9], s26, v1
	v_addc_co_u32_e64 v17, s[8:9], 0, v2, s[8:9]
	global_load_ushort v13, v[16:17], off
	s_waitcnt vmcnt(0)
	v_cvt_f32_f16_e32 v13, v13
	s_or_b64 exec, exec, s[22:23]
	s_and_saveexec_b64 s[22:23], s[6:7]
	s_cbranch_execz .LBB187_12
.LBB187_16:                             ;   in Loop: Header=BB187_4 Depth=1
	v_cmp_gt_f32_e64 s[6:7], s27, v15
	v_cndmask_b32_e64 v16, 0, 32, s[6:7]
	v_ldexp_f32 v15, v15, v16
	v_log_f32_e32 v15, v15
	v_mul_f32_e32 v16, 0x3e9a209a, v15
	v_fma_f32 v16, v15, s28, -v16
	v_fmac_f32_e32 v16, 0x3284fbcf, v15
	v_fmac_f32_e32 v16, 0x3e9a209a, v15
	v_cmp_lt_f32_e64 s[8:9], |v15|, s29
	v_cndmask_b32_e64 v15, v15, v16, s[8:9]
	v_cndmask_b32_e64 v16, 0, v11, s[6:7]
	v_sub_f32_e32 v15, v15, v16
	v_cvt_f16_f32_e32 v15, v15
	global_store_short v[1:2], v15, off
	s_or_b64 exec, exec, s[22:23]
	s_and_saveexec_b64 s[8:9], s[2:3]
	s_cbranch_execz .LBB187_13
.LBB187_17:                             ;   in Loop: Header=BB187_4 Depth=1
	v_cmp_gt_f32_e64 s[2:3], s27, v14
	v_cndmask_b32_e64 v15, 0, 32, s[2:3]
	v_ldexp_f32 v14, v14, v15
	v_log_f32_e32 v14, v14
	v_mul_f32_e32 v15, 0x3e9a209a, v14
	v_fma_f32 v15, v14, s28, -v15
	v_fmac_f32_e32 v15, 0x3284fbcf, v14
	v_fmac_f32_e32 v15, 0x3e9a209a, v14
	v_cmp_lt_f32_e64 s[6:7], |v14|, s29
	v_cndmask_b32_e64 v14, v14, v15, s[6:7]
	v_cndmask_b32_e64 v15, 0, v11, s[2:3]
	v_sub_f32_e32 v14, v14, v15
	v_cvt_f16_f32_e32 v14, v14
	global_store_short v[3:4], v14, off
	s_or_b64 exec, exec, s[8:9]
	s_and_saveexec_b64 s[2:3], s[0:1]
	s_cbranch_execz .LBB187_14
.LBB187_18:                             ;   in Loop: Header=BB187_4 Depth=1
	v_cmp_gt_f32_e64 s[0:1], s27, v12
	v_cndmask_b32_e64 v14, 0, 32, s[0:1]
	v_ldexp_f32 v12, v12, v14
	v_log_f32_e32 v12, v12
	v_cndmask_b32_e64 v14, 0, v11, s[0:1]
	v_mul_f32_e32 v15, 0x3e9a209a, v12
	v_fma_f32 v15, v12, s28, -v15
	v_fmac_f32_e32 v15, 0x3284fbcf, v12
	v_fmac_f32_e32 v15, 0x3e9a209a, v12
	v_cmp_lt_f32_e64 s[0:1], |v12|, s29
	v_cndmask_b32_e64 v12, v12, v15, s[0:1]
	v_sub_f32_e32 v12, v12, v14
	v_cvt_f16_f32_e32 v12, v12
	v_add_co_u32_e64 v14, s[0:1], s24, v1
	v_addc_co_u32_e64 v15, s[0:1], 0, v2, s[0:1]
	global_store_short v[14:15], v12, off
	s_or_b64 exec, exec, s[2:3]
	s_and_saveexec_b64 s[0:1], vcc
	s_cbranch_execz .LBB187_3
.LBB187_19:                             ;   in Loop: Header=BB187_4 Depth=1
	v_cmp_gt_f32_e32 vcc, s27, v13
	v_cndmask_b32_e64 v12, 0, 32, vcc
	v_ldexp_f32 v12, v13, v12
	v_log_f32_e32 v12, v12
	v_cndmask_b32_e32 v13, 0, v11, vcc
	v_mul_f32_e32 v14, 0x3e9a209a, v12
	v_fma_f32 v14, v12, s28, -v14
	v_fmac_f32_e32 v14, 0x3284fbcf, v12
	v_fmac_f32_e32 v14, 0x3e9a209a, v12
	v_cmp_lt_f32_e64 vcc, |v12|, s29
	v_cndmask_b32_e32 v12, v12, v14, vcc
	v_sub_f32_e32 v12, v12, v13
	v_cvt_f16_f32_e32 v14, v12
	v_add_co_u32_e32 v12, vcc, s26, v1
	v_addc_co_u32_e32 v13, vcc, 0, v2, vcc
	global_store_short v[12:13], v14, off
	s_branch .LBB187_3
.LBB187_20:
	s_cbranch_execz .LBB187_22
	s_branch .LBB187_25
.LBB187_21:
.LBB187_22:
	v_mov_b32_e32 v1, 0x10000
	v_mov_b32_e32 v2, 0
	v_cmp_lt_i64_e32 vcc, s[14:15], v[1:2]
	v_mov_b32_e32 v2, 0
	s_and_b64 s[0:1], vcc, exec
	s_cselect_b32 s3, s15, 0
	s_cselect_b32 s2, s14, 0x10000
	v_lshlrev_b32_e32 v1, 2, v0
	v_cmp_gt_i64_e32 vcc, s[2:3], v[1:2]
	s_and_saveexec_b64 s[0:1], vcc
	s_cbranch_execz .LBB187_25
; %bb.23:
	s_load_dword s0, s[4:5], 0xd3c
	v_mov_b32_e32 v1, v2
	v_lshlrev_b32_e32 v2, 3, v0
	s_mov_b64 s[4:5], 0
	s_mov_b32 s8, 0x3e9a209a
	s_waitcnt lgkmcnt(0)
	s_and_b32 s6, s0, 0xffff
	s_add_u32 s0, s10, s12
	s_addc_u32 s1, s11, s13
	v_mov_b32_e32 v3, s1
	v_add_co_u32_e32 v2, vcc, s0, v2
	v_addc_co_u32_e32 v3, vcc, 0, v3, vcc
	v_add_co_u32_e32 v2, vcc, 4, v2
	v_addc_co_u32_e32 v3, vcc, 0, v3, vcc
	s_lshl_b32 s7, s6, 3
	s_mov_b32 s9, 0x7f800000
.LBB187_24:                             ; =>This Inner Loop Header: Depth=1
	global_load_dwordx2 v[4:5], v[2:3], off offset:-4
	v_add_co_u32_e32 v0, vcc, s6, v0
	v_addc_co_u32_e32 v1, vcc, 0, v1, vcc
	v_lshlrev_b64 v[6:7], 2, v[0:1]
	v_cmp_le_i64_e32 vcc, s[2:3], v[6:7]
	s_or_b64 s[4:5], vcc, s[4:5]
	s_waitcnt vmcnt(0)
	v_cvt_f32_f16_e32 v6, v4
	v_cvt_f32_f16_sdwa v4, v4 dst_sel:DWORD dst_unused:UNUSED_PAD src0_sel:WORD_1
	v_cvt_f32_f16_e32 v7, v5
	v_cvt_f32_f16_sdwa v5, v5 dst_sel:DWORD dst_unused:UNUSED_PAD src0_sel:WORD_1
	v_log_f32_e32 v6, v6
	v_log_f32_e32 v4, v4
	;; [unrolled: 1-line block ×4, first 2 shown]
	v_mul_f32_e32 v8, 0x3e9a209a, v6
	v_mul_f32_e32 v9, 0x3e9a209a, v4
	v_fma_f32 v8, v6, s8, -v8
	v_mul_f32_e32 v10, 0x3e9a209a, v7
	v_fma_f32 v9, v4, s8, -v9
	v_fmac_f32_e32 v8, 0x3284fbcf, v6
	v_mul_f32_e32 v11, 0x3e9a209a, v5
	v_fma_f32 v10, v7, s8, -v10
	v_fmac_f32_e32 v9, 0x3284fbcf, v4
	v_fmac_f32_e32 v8, 0x3e9a209a, v6
	v_cmp_lt_f32_e64 s[0:1], |v6|, s9
	v_fma_f32 v11, v5, s8, -v11
	v_fmac_f32_e32 v10, 0x3284fbcf, v7
	v_fmac_f32_e32 v9, 0x3e9a209a, v4
	v_cndmask_b32_e64 v6, v6, v8, s[0:1]
	v_cmp_lt_f32_e64 s[0:1], |v4|, s9
	v_fmac_f32_e32 v11, 0x3284fbcf, v5
	v_fmac_f32_e32 v10, 0x3e9a209a, v7
	v_cndmask_b32_e64 v4, v4, v9, s[0:1]
	v_cmp_lt_f32_e64 s[0:1], |v7|, s9
	v_fmac_f32_e32 v11, 0x3e9a209a, v5
	v_cndmask_b32_e64 v7, v7, v10, s[0:1]
	v_cmp_lt_f32_e64 s[0:1], |v5|, s9
	v_cndmask_b32_e64 v5, v5, v11, s[0:1]
	v_cvt_f16_f32_e32 v6, v6
	v_cvt_f16_f32_e32 v7, v7
	v_cvt_f16_f32_e32 v5, v5
	v_cvt_f16_f32_e32 v4, v4
	v_pack_b32_f16 v5, v7, v5
	v_pack_b32_f16 v4, v6, v4
	global_store_dwordx2 v[2:3], v[4:5], off offset:-4
	v_add_co_u32_e32 v2, vcc, s7, v2
	v_addc_co_u32_e32 v3, vcc, 0, v3, vcc
	s_andn2_b64 exec, exec, s[4:5]
	s_cbranch_execnz .LBB187_24
.LBB187_25:
	s_endpgm
	.section	.rodata,"a",@progbits
	.p2align	6, 0x0
	.amdhsa_kernel _ZN2at6native12_GLOBAL__N_125multi_tensor_apply_kernelINS1_18TensorListMetadataILi1EEENS1_14UnaryOpFunctorIN3c104HalfELi1ELi1ELi0EEEJNS0_5Log10IfEEEEEvT_T0_DpT1_
		.amdhsa_group_segment_fixed_size 0
		.amdhsa_private_segment_fixed_size 0
		.amdhsa_kernarg_size 3632
		.amdhsa_user_sgpr_count 6
		.amdhsa_user_sgpr_private_segment_buffer 1
		.amdhsa_user_sgpr_dispatch_ptr 0
		.amdhsa_user_sgpr_queue_ptr 0
		.amdhsa_user_sgpr_kernarg_segment_ptr 1
		.amdhsa_user_sgpr_dispatch_id 0
		.amdhsa_user_sgpr_flat_scratch_init 0
		.amdhsa_user_sgpr_private_segment_size 0
		.amdhsa_uses_dynamic_stack 0
		.amdhsa_system_sgpr_private_segment_wavefront_offset 0
		.amdhsa_system_sgpr_workgroup_id_x 1
		.amdhsa_system_sgpr_workgroup_id_y 0
		.amdhsa_system_sgpr_workgroup_id_z 0
		.amdhsa_system_sgpr_workgroup_info 0
		.amdhsa_system_vgpr_workitem_id 0
		.amdhsa_next_free_vgpr 18
		.amdhsa_next_free_sgpr 30
		.amdhsa_reserve_vcc 1
		.amdhsa_reserve_flat_scratch 0
		.amdhsa_float_round_mode_32 0
		.amdhsa_float_round_mode_16_64 0
		.amdhsa_float_denorm_mode_32 3
		.amdhsa_float_denorm_mode_16_64 3
		.amdhsa_dx10_clamp 1
		.amdhsa_ieee_mode 1
		.amdhsa_fp16_overflow 0
		.amdhsa_exception_fp_ieee_invalid_op 0
		.amdhsa_exception_fp_denorm_src 0
		.amdhsa_exception_fp_ieee_div_zero 0
		.amdhsa_exception_fp_ieee_overflow 0
		.amdhsa_exception_fp_ieee_underflow 0
		.amdhsa_exception_fp_ieee_inexact 0
		.amdhsa_exception_int_div_zero 0
	.end_amdhsa_kernel
	.section	.text._ZN2at6native12_GLOBAL__N_125multi_tensor_apply_kernelINS1_18TensorListMetadataILi1EEENS1_14UnaryOpFunctorIN3c104HalfELi1ELi1ELi0EEEJNS0_5Log10IfEEEEEvT_T0_DpT1_,"axG",@progbits,_ZN2at6native12_GLOBAL__N_125multi_tensor_apply_kernelINS1_18TensorListMetadataILi1EEENS1_14UnaryOpFunctorIN3c104HalfELi1ELi1ELi0EEEJNS0_5Log10IfEEEEEvT_T0_DpT1_,comdat
.Lfunc_end187:
	.size	_ZN2at6native12_GLOBAL__N_125multi_tensor_apply_kernelINS1_18TensorListMetadataILi1EEENS1_14UnaryOpFunctorIN3c104HalfELi1ELi1ELi0EEEJNS0_5Log10IfEEEEEvT_T0_DpT1_, .Lfunc_end187-_ZN2at6native12_GLOBAL__N_125multi_tensor_apply_kernelINS1_18TensorListMetadataILi1EEENS1_14UnaryOpFunctorIN3c104HalfELi1ELi1ELi0EEEJNS0_5Log10IfEEEEEvT_T0_DpT1_
                                        ; -- End function
	.set _ZN2at6native12_GLOBAL__N_125multi_tensor_apply_kernelINS1_18TensorListMetadataILi1EEENS1_14UnaryOpFunctorIN3c104HalfELi1ELi1ELi0EEEJNS0_5Log10IfEEEEEvT_T0_DpT1_.num_vgpr, 18
	.set _ZN2at6native12_GLOBAL__N_125multi_tensor_apply_kernelINS1_18TensorListMetadataILi1EEENS1_14UnaryOpFunctorIN3c104HalfELi1ELi1ELi0EEEJNS0_5Log10IfEEEEEvT_T0_DpT1_.num_agpr, 0
	.set _ZN2at6native12_GLOBAL__N_125multi_tensor_apply_kernelINS1_18TensorListMetadataILi1EEENS1_14UnaryOpFunctorIN3c104HalfELi1ELi1ELi0EEEJNS0_5Log10IfEEEEEvT_T0_DpT1_.numbered_sgpr, 30
	.set _ZN2at6native12_GLOBAL__N_125multi_tensor_apply_kernelINS1_18TensorListMetadataILi1EEENS1_14UnaryOpFunctorIN3c104HalfELi1ELi1ELi0EEEJNS0_5Log10IfEEEEEvT_T0_DpT1_.num_named_barrier, 0
	.set _ZN2at6native12_GLOBAL__N_125multi_tensor_apply_kernelINS1_18TensorListMetadataILi1EEENS1_14UnaryOpFunctorIN3c104HalfELi1ELi1ELi0EEEJNS0_5Log10IfEEEEEvT_T0_DpT1_.private_seg_size, 0
	.set _ZN2at6native12_GLOBAL__N_125multi_tensor_apply_kernelINS1_18TensorListMetadataILi1EEENS1_14UnaryOpFunctorIN3c104HalfELi1ELi1ELi0EEEJNS0_5Log10IfEEEEEvT_T0_DpT1_.uses_vcc, 1
	.set _ZN2at6native12_GLOBAL__N_125multi_tensor_apply_kernelINS1_18TensorListMetadataILi1EEENS1_14UnaryOpFunctorIN3c104HalfELi1ELi1ELi0EEEJNS0_5Log10IfEEEEEvT_T0_DpT1_.uses_flat_scratch, 0
	.set _ZN2at6native12_GLOBAL__N_125multi_tensor_apply_kernelINS1_18TensorListMetadataILi1EEENS1_14UnaryOpFunctorIN3c104HalfELi1ELi1ELi0EEEJNS0_5Log10IfEEEEEvT_T0_DpT1_.has_dyn_sized_stack, 0
	.set _ZN2at6native12_GLOBAL__N_125multi_tensor_apply_kernelINS1_18TensorListMetadataILi1EEENS1_14UnaryOpFunctorIN3c104HalfELi1ELi1ELi0EEEJNS0_5Log10IfEEEEEvT_T0_DpT1_.has_recursion, 0
	.set _ZN2at6native12_GLOBAL__N_125multi_tensor_apply_kernelINS1_18TensorListMetadataILi1EEENS1_14UnaryOpFunctorIN3c104HalfELi1ELi1ELi0EEEJNS0_5Log10IfEEEEEvT_T0_DpT1_.has_indirect_call, 0
	.section	.AMDGPU.csdata,"",@progbits
; Kernel info:
; codeLenInByte = 1608
; TotalNumSgprs: 34
; NumVgprs: 18
; ScratchSize: 0
; MemoryBound: 0
; FloatMode: 240
; IeeeMode: 1
; LDSByteSize: 0 bytes/workgroup (compile time only)
; SGPRBlocks: 4
; VGPRBlocks: 4
; NumSGPRsForWavesPerEU: 34
; NumVGPRsForWavesPerEU: 18
; Occupancy: 10
; WaveLimiterHint : 0
; COMPUTE_PGM_RSRC2:SCRATCH_EN: 0
; COMPUTE_PGM_RSRC2:USER_SGPR: 6
; COMPUTE_PGM_RSRC2:TRAP_HANDLER: 0
; COMPUTE_PGM_RSRC2:TGID_X_EN: 1
; COMPUTE_PGM_RSRC2:TGID_Y_EN: 0
; COMPUTE_PGM_RSRC2:TGID_Z_EN: 0
; COMPUTE_PGM_RSRC2:TIDIG_COMP_CNT: 0
	.section	.text._ZN2at6native12_GLOBAL__N_125multi_tensor_apply_kernelINS1_18TensorListMetadataILi1EEENS1_14UnaryOpFunctorIN3c108BFloat16ELi1ELi1ELi0EEEJNS0_5Log10IfEEEEEvT_T0_DpT1_,"axG",@progbits,_ZN2at6native12_GLOBAL__N_125multi_tensor_apply_kernelINS1_18TensorListMetadataILi1EEENS1_14UnaryOpFunctorIN3c108BFloat16ELi1ELi1ELi0EEEJNS0_5Log10IfEEEEEvT_T0_DpT1_,comdat
	.globl	_ZN2at6native12_GLOBAL__N_125multi_tensor_apply_kernelINS1_18TensorListMetadataILi1EEENS1_14UnaryOpFunctorIN3c108BFloat16ELi1ELi1ELi0EEEJNS0_5Log10IfEEEEEvT_T0_DpT1_ ; -- Begin function _ZN2at6native12_GLOBAL__N_125multi_tensor_apply_kernelINS1_18TensorListMetadataILi1EEENS1_14UnaryOpFunctorIN3c108BFloat16ELi1ELi1ELi0EEEJNS0_5Log10IfEEEEEvT_T0_DpT1_
	.p2align	8
	.type	_ZN2at6native12_GLOBAL__N_125multi_tensor_apply_kernelINS1_18TensorListMetadataILi1EEENS1_14UnaryOpFunctorIN3c108BFloat16ELi1ELi1ELi0EEEJNS0_5Log10IfEEEEEvT_T0_DpT1_,@function
_ZN2at6native12_GLOBAL__N_125multi_tensor_apply_kernelINS1_18TensorListMetadataILi1EEENS1_14UnaryOpFunctorIN3c108BFloat16ELi1ELi1ELi0EEEJNS0_5Log10IfEEEEEvT_T0_DpT1_: ; @_ZN2at6native12_GLOBAL__N_125multi_tensor_apply_kernelINS1_18TensorListMetadataILi1EEENS1_14UnaryOpFunctorIN3c108BFloat16ELi1ELi1ELi0EEEJNS0_5Log10IfEEEEEvT_T0_DpT1_
; %bb.0:
	v_mov_b32_e32 v1, s6
	global_load_ubyte v1, v1, s[4:5] offset:1760
	s_add_u32 s0, s4, s6
	s_mul_hi_u32 s1, s6, 3
	s_mul_i32 s6, s6, 3
	s_addc_u32 s2, s5, 0
	s_add_u32 s0, s0, s6
	s_addc_u32 s1, s2, s1
	s_load_dword s0, s[0:1], 0x820
	s_mov_b32 s7, 0
	s_waitcnt vmcnt(0)
	v_readfirstlane_b32 s1, v1
	s_lshl_b32 s1, s1, 3
	s_load_dwordx2 s[2:3], s[4:5], s1 offset:0x370
	s_load_dwordx2 s[10:11], s[4:5], s1 offset:0x0
	s_waitcnt lgkmcnt(0)
	s_ashr_i32 s1, s0, 31
	s_lshl_b64 s[12:13], s[0:1], 17
	s_lshl_b64 s[0:1], s[0:1], 16
	s_and_b32 s6, s10, 7
	s_sub_u32 s14, s2, s0
	s_subb_u32 s15, s3, s1
	s_and_b32 s0, s2, 3
	s_mov_b32 s1, s7
	s_or_b64 s[0:1], s[6:7], s[0:1]
	s_cmp_eq_u64 s[0:1], 0
	s_cbranch_scc1 .LBB188_21
; %bb.1:
	v_cmp_lt_i64_e64 s[0:1], s[14:15], 1
	s_and_b64 vcc, exec, s[0:1]
	s_cbranch_vccnz .LBB188_20
; %bb.2:
	v_mov_b32_e32 v1, 0x10000
	s_load_dword s2, s[4:5], 0xd3c
	v_mov_b32_e32 v2, 0
	v_cmp_lt_i64_e32 vcc, s[14:15], v[1:2]
	s_mov_b64 s[20:21], 0
	s_and_b64 s[0:1], vcc, exec
	v_cmp_lt_u64_e32 vcc, s[14:15], v[1:2]
	s_cselect_b32 s17, s15, 0
	s_cselect_b32 s16, s14, 0x10000
	s_waitcnt lgkmcnt(0)
	s_and_b32 s2, s2, 0xffff
	s_and_b64 s[0:1], vcc, exec
	s_cselect_b32 s19, s15, 0
	s_cselect_b32 s18, s14, 0x10000
	s_lshl_b32 s3, s2, 1
	s_lshl_b32 s24, s2, 2
	s_add_u32 s6, s10, s12
	v_lshlrev_b32_e32 v1, 1, v0
	s_addc_u32 s7, s11, s13
	v_mov_b32_e32 v2, s7
	v_add_co_u32_e32 v1, vcc, s6, v1
	s_mul_i32 s0, s2, 3
	v_addc_co_u32_e32 v2, vcc, 0, v2, vcc
	v_add_co_u32_e32 v5, vcc, s0, v0
	v_addc_co_u32_e64 v6, s[0:1], 0, 0, vcc
	v_add_co_u32_e32 v7, vcc, s3, v0
	v_addc_co_u32_e64 v8, s[0:1], 0, 0, vcc
	v_add_co_u32_e32 v9, vcc, s2, v0
	v_lshlrev_b32_e32 v3, 1, v9
	v_addc_co_u32_e64 v10, s[0:1], 0, 0, vcc
	v_mov_b32_e32 v4, s7
	v_add_co_u32_e32 v3, vcc, s6, v3
	s_lshl_b32 s25, s2, 3
	s_mul_i32 s26, s2, 6
	v_addc_co_u32_e32 v4, vcc, 0, v4, vcc
	s_mov_b32 s27, 0x800000
	s_mov_b32 s28, 0x3e9a209a
	;; [unrolled: 1-line block ×3, first 2 shown]
	s_movk_i32 s30, 0x7fff
	v_mov_b32_e32 v11, 0x411a209b
	v_mov_b32_e32 v12, 0x7fc0
	s_branch .LBB188_4
.LBB188_3:                              ;   in Loop: Header=BB188_4 Depth=1
	s_or_b64 exec, exec, s[2:3]
	s_add_u32 s20, s20, s24
	v_add_co_u32_e32 v1, vcc, s25, v1
	v_mov_b32_e32 v13, s16
	s_addc_u32 s21, s21, 0
	v_addc_co_u32_e32 v2, vcc, 0, v2, vcc
	v_mov_b32_e32 v14, s17
	v_cmp_lt_i64_e32 vcc, s[20:21], v[13:14]
	v_add_co_u32_e64 v3, s[0:1], s25, v3
	v_addc_co_u32_e64 v4, s[0:1], 0, v4, s[0:1]
	s_cbranch_vccz .LBB188_20
.LBB188_4:                              ; =>This Inner Loop Header: Depth=1
	v_mov_b32_e32 v14, s21
	v_add_co_u32_e32 v13, vcc, s20, v0
	v_addc_co_u32_e32 v14, vcc, 0, v14, vcc
	v_cmp_gt_u64_e32 vcc, s[18:19], v[13:14]
	v_mov_b32_e32 v16, 0
	s_and_saveexec_b64 s[0:1], vcc
	s_cbranch_execz .LBB188_6
; %bb.5:                                ;   in Loop: Header=BB188_4 Depth=1
	global_load_ushort v13, v[1:2], off
	s_waitcnt vmcnt(0)
	v_lshlrev_b32_e32 v16, 16, v13
.LBB188_6:                              ;   in Loop: Header=BB188_4 Depth=1
	s_or_b64 exec, exec, s[0:1]
	v_mov_b32_e32 v14, s21
	v_add_co_u32_e64 v13, s[0:1], s20, v9
	v_addc_co_u32_e64 v14, s[0:1], v10, v14, s[0:1]
	v_cmp_gt_u64_e64 s[6:7], s[18:19], v[13:14]
	v_mov_b32_e32 v13, 0
	v_mov_b32_e32 v15, 0
	s_and_saveexec_b64 s[0:1], s[6:7]
	s_cbranch_execz .LBB188_8
; %bb.7:                                ;   in Loop: Header=BB188_4 Depth=1
	global_load_ushort v14, v[3:4], off
	s_waitcnt vmcnt(0)
	v_lshlrev_b32_e32 v15, 16, v14
.LBB188_8:                              ;   in Loop: Header=BB188_4 Depth=1
	s_or_b64 exec, exec, s[0:1]
	v_mov_b32_e32 v14, s21
	v_add_co_u32_e64 v17, s[0:1], s20, v7
	v_addc_co_u32_e64 v18, s[0:1], v8, v14, s[0:1]
	v_cmp_gt_u64_e64 s[2:3], s[18:19], v[17:18]
	s_and_saveexec_b64 s[8:9], s[2:3]
	s_cbranch_execz .LBB188_10
; %bb.9:                                ;   in Loop: Header=BB188_4 Depth=1
	v_add_co_u32_e64 v13, s[0:1], s24, v1
	v_addc_co_u32_e64 v14, s[0:1], 0, v2, s[0:1]
	global_load_ushort v13, v[13:14], off
	s_waitcnt vmcnt(0)
	v_lshlrev_b32_e32 v13, 16, v13
.LBB188_10:                             ;   in Loop: Header=BB188_4 Depth=1
	s_or_b64 exec, exec, s[8:9]
	v_mov_b32_e32 v14, s21
	v_add_co_u32_e64 v17, s[0:1], s20, v5
	v_addc_co_u32_e64 v18, s[0:1], v6, v14, s[0:1]
	v_cmp_gt_u64_e64 s[0:1], s[18:19], v[17:18]
	v_mov_b32_e32 v14, 0
	s_and_saveexec_b64 s[22:23], s[0:1]
	s_cbranch_execnz .LBB188_15
; %bb.11:                               ;   in Loop: Header=BB188_4 Depth=1
	s_or_b64 exec, exec, s[22:23]
	s_and_saveexec_b64 s[8:9], vcc
	s_cbranch_execnz .LBB188_16
.LBB188_12:                             ;   in Loop: Header=BB188_4 Depth=1
	s_or_b64 exec, exec, s[8:9]
	s_and_saveexec_b64 s[8:9], s[6:7]
	s_cbranch_execnz .LBB188_17
.LBB188_13:                             ;   in Loop: Header=BB188_4 Depth=1
	s_or_b64 exec, exec, s[8:9]
	s_and_saveexec_b64 s[6:7], s[2:3]
	s_cbranch_execnz .LBB188_18
.LBB188_14:                             ;   in Loop: Header=BB188_4 Depth=1
	s_or_b64 exec, exec, s[6:7]
	s_and_saveexec_b64 s[2:3], s[0:1]
	s_cbranch_execz .LBB188_3
	s_branch .LBB188_19
.LBB188_15:                             ;   in Loop: Header=BB188_4 Depth=1
	v_add_co_u32_e64 v17, s[8:9], s26, v1
	v_addc_co_u32_e64 v18, s[8:9], 0, v2, s[8:9]
	global_load_ushort v14, v[17:18], off
	s_waitcnt vmcnt(0)
	v_lshlrev_b32_e32 v14, 16, v14
	s_or_b64 exec, exec, s[22:23]
	s_and_saveexec_b64 s[8:9], vcc
	s_cbranch_execz .LBB188_12
.LBB188_16:                             ;   in Loop: Header=BB188_4 Depth=1
	v_cmp_gt_f32_e32 vcc, s27, v16
	v_cndmask_b32_e64 v17, 0, 32, vcc
	v_ldexp_f32 v16, v16, v17
	v_log_f32_e32 v16, v16
	v_cndmask_b32_e32 v17, 0, v11, vcc
	v_mul_f32_e32 v18, 0x3e9a209a, v16
	v_fma_f32 v18, v16, s28, -v18
	v_fmac_f32_e32 v18, 0x3284fbcf, v16
	v_fmac_f32_e32 v18, 0x3e9a209a, v16
	v_cmp_lt_f32_e64 vcc, |v16|, s29
	v_cndmask_b32_e32 v16, v16, v18, vcc
	v_sub_f32_e32 v16, v16, v17
	v_bfe_u32 v17, v16, 16, 1
	v_add3_u32 v17, v16, v17, s30
	v_cmp_o_f32_e32 vcc, v16, v16
	v_cndmask_b32_sdwa v16, v12, v17, vcc dst_sel:DWORD dst_unused:UNUSED_PAD src0_sel:DWORD src1_sel:WORD_1
	global_store_short v[1:2], v16, off
	s_or_b64 exec, exec, s[8:9]
	s_and_saveexec_b64 s[8:9], s[6:7]
	s_cbranch_execz .LBB188_13
.LBB188_17:                             ;   in Loop: Header=BB188_4 Depth=1
	v_cmp_gt_f32_e32 vcc, s27, v15
	v_cndmask_b32_e64 v16, 0, 32, vcc
	v_ldexp_f32 v15, v15, v16
	v_log_f32_e32 v15, v15
	v_cndmask_b32_e32 v16, 0, v11, vcc
	v_mul_f32_e32 v17, 0x3e9a209a, v15
	v_fma_f32 v17, v15, s28, -v17
	v_fmac_f32_e32 v17, 0x3284fbcf, v15
	v_fmac_f32_e32 v17, 0x3e9a209a, v15
	v_cmp_lt_f32_e64 vcc, |v15|, s29
	v_cndmask_b32_e32 v15, v15, v17, vcc
	v_sub_f32_e32 v15, v15, v16
	v_bfe_u32 v16, v15, 16, 1
	v_add3_u32 v16, v15, v16, s30
	v_cmp_o_f32_e32 vcc, v15, v15
	v_cndmask_b32_sdwa v15, v12, v16, vcc dst_sel:DWORD dst_unused:UNUSED_PAD src0_sel:DWORD src1_sel:WORD_1
	global_store_short v[3:4], v15, off
	s_or_b64 exec, exec, s[8:9]
	s_and_saveexec_b64 s[6:7], s[2:3]
	s_cbranch_execz .LBB188_14
.LBB188_18:                             ;   in Loop: Header=BB188_4 Depth=1
	v_cmp_gt_f32_e32 vcc, s27, v13
	v_cndmask_b32_e64 v15, 0, 32, vcc
	v_ldexp_f32 v13, v13, v15
	v_log_f32_e32 v13, v13
	v_cndmask_b32_e32 v15, 0, v11, vcc
	v_mul_f32_e32 v16, 0x3e9a209a, v13
	v_fma_f32 v16, v13, s28, -v16
	v_fmac_f32_e32 v16, 0x3284fbcf, v13
	v_fmac_f32_e32 v16, 0x3e9a209a, v13
	v_cmp_lt_f32_e64 vcc, |v13|, s29
	v_cndmask_b32_e32 v13, v13, v16, vcc
	v_sub_f32_e32 v13, v13, v15
	v_bfe_u32 v15, v13, 16, 1
	v_add3_u32 v15, v13, v15, s30
	v_cmp_o_f32_e32 vcc, v13, v13
	v_cndmask_b32_sdwa v13, v12, v15, vcc dst_sel:DWORD dst_unused:UNUSED_PAD src0_sel:DWORD src1_sel:WORD_1
	v_add_co_u32_e32 v15, vcc, s24, v1
	v_addc_co_u32_e32 v16, vcc, 0, v2, vcc
	global_store_short v[15:16], v13, off
	s_or_b64 exec, exec, s[6:7]
	s_and_saveexec_b64 s[2:3], s[0:1]
	s_cbranch_execz .LBB188_3
.LBB188_19:                             ;   in Loop: Header=BB188_4 Depth=1
	v_cmp_gt_f32_e32 vcc, s27, v14
	v_cndmask_b32_e64 v13, 0, 32, vcc
	v_ldexp_f32 v13, v14, v13
	v_log_f32_e32 v13, v13
	v_cndmask_b32_e32 v14, 0, v11, vcc
	v_mul_f32_e32 v15, 0x3e9a209a, v13
	v_fma_f32 v15, v13, s28, -v15
	v_fmac_f32_e32 v15, 0x3284fbcf, v13
	v_fmac_f32_e32 v15, 0x3e9a209a, v13
	v_cmp_lt_f32_e64 vcc, |v13|, s29
	v_cndmask_b32_e32 v13, v13, v15, vcc
	v_sub_f32_e32 v13, v13, v14
	v_bfe_u32 v14, v13, 16, 1
	v_add3_u32 v14, v13, v14, s30
	v_cmp_o_f32_e32 vcc, v13, v13
	v_cndmask_b32_sdwa v15, v12, v14, vcc dst_sel:DWORD dst_unused:UNUSED_PAD src0_sel:DWORD src1_sel:WORD_1
	v_add_co_u32_e32 v13, vcc, s26, v1
	v_addc_co_u32_e32 v14, vcc, 0, v2, vcc
	global_store_short v[13:14], v15, off
	s_branch .LBB188_3
.LBB188_20:
	s_cbranch_execz .LBB188_22
	s_branch .LBB188_25
.LBB188_21:
.LBB188_22:
	v_mov_b32_e32 v1, 0x10000
	v_mov_b32_e32 v2, 0
	v_cmp_lt_i64_e32 vcc, s[14:15], v[1:2]
	v_mov_b32_e32 v2, 0
	s_and_b64 s[0:1], vcc, exec
	s_cselect_b32 s7, s15, 0
	s_cselect_b32 s6, s14, 0x10000
	v_lshlrev_b32_e32 v1, 2, v0
	v_cmp_gt_i64_e32 vcc, s[6:7], v[1:2]
	s_and_saveexec_b64 s[0:1], vcc
	s_cbranch_execz .LBB188_25
; %bb.23:
	s_load_dword s0, s[4:5], 0xd3c
	v_mov_b32_e32 v1, v2
	v_lshlrev_b32_e32 v2, 3, v0
	s_mov_b64 s[4:5], 0
	v_mov_b32_e32 v4, 0x411a209b
	s_waitcnt lgkmcnt(0)
	s_and_b32 s8, s0, 0xffff
	s_add_u32 s0, s10, s12
	s_addc_u32 s1, s11, s13
	v_mov_b32_e32 v3, s1
	v_add_co_u32_e32 v2, vcc, s0, v2
	v_addc_co_u32_e32 v3, vcc, 0, v3, vcc
	s_lshl_b32 s9, s8, 3
	s_mov_b32 s10, 0x800000
	s_mov_b32 s11, 0x3e9a209a
	;; [unrolled: 1-line block ×3, first 2 shown]
	s_movk_i32 s13, 0x7fff
	v_mov_b32_e32 v5, 0x7fc00000
	v_mov_b32_e32 v6, 0x7fc0
.LBB188_24:                             ; =>This Inner Loop Header: Depth=1
	global_load_dwordx2 v[7:8], v[2:3], off
	v_add_co_u32_e32 v0, vcc, s8, v0
	v_addc_co_u32_e32 v1, vcc, 0, v1, vcc
	v_lshlrev_b64 v[9:10], 2, v[0:1]
	v_cmp_le_i64_e32 vcc, s[6:7], v[9:10]
	s_or_b64 s[4:5], vcc, s[4:5]
	s_waitcnt vmcnt(0)
	v_lshlrev_b32_e32 v10, 16, v7
	v_and_b32_e32 v9, 0xffff0000, v7
	v_cmp_gt_f32_e32 vcc, s10, v10
	v_alignbit_b32 v7, v8, v7, 16
	v_and_b32_e32 v8, 0xffff0000, v8
	v_cndmask_b32_e64 v11, 0, 32, vcc
	v_cmp_gt_f32_e64 s[0:1], s10, v9
	v_cndmask_b32_e64 v12, 0, 32, s[0:1]
	v_cmp_gt_f32_e64 s[2:3], s10, v8
	v_ldexp_f32 v10, v10, v11
	v_cndmask_b32_e64 v13, 0, 32, s[2:3]
	v_ldexp_f32 v9, v9, v12
	v_log_f32_e32 v10, v10
	v_and_b32_e32 v7, 0xffff0000, v7
	v_ldexp_f32 v8, v8, v13
	v_log_f32_e32 v9, v9
	v_cndmask_b32_e32 v11, 0, v4, vcc
	v_cmp_gt_f32_e32 vcc, s10, v7
	v_log_f32_e32 v8, v8
	v_cndmask_b32_e64 v14, 0, 32, vcc
	v_ldexp_f32 v7, v7, v14
	v_mul_f32_e32 v15, 0x3e9a209a, v10
	v_log_f32_e32 v7, v7
	v_mul_f32_e32 v16, 0x3e9a209a, v9
	v_fma_f32 v15, v10, s11, -v15
	v_mul_f32_e32 v17, 0x3e9a209a, v8
	v_fma_f32 v16, v9, s11, -v16
	v_fmac_f32_e32 v15, 0x3284fbcf, v10
	v_cndmask_b32_e32 v14, 0, v4, vcc
	v_fma_f32 v17, v8, s11, -v17
	v_fmac_f32_e32 v16, 0x3284fbcf, v9
	v_fmac_f32_e32 v15, 0x3e9a209a, v10
	v_cmp_lt_f32_e64 vcc, |v10|, s12
	v_fmac_f32_e32 v17, 0x3284fbcf, v8
	v_fmac_f32_e32 v16, 0x3e9a209a, v9
	v_cndmask_b32_e32 v10, v10, v15, vcc
	v_cmp_lt_f32_e64 vcc, |v9|, s12
	v_mul_f32_e32 v18, 0x3e9a209a, v7
	v_fmac_f32_e32 v17, 0x3e9a209a, v8
	v_cndmask_b32_e32 v9, v9, v16, vcc
	v_cmp_lt_f32_e64 vcc, |v8|, s12
	v_cndmask_b32_e64 v13, 0, v4, s[2:3]
	v_fma_f32 v18, v7, s11, -v18
	v_cndmask_b32_e32 v8, v8, v17, vcc
	v_cndmask_b32_e64 v12, 0, v4, s[0:1]
	v_fmac_f32_e32 v18, 0x3284fbcf, v7
	v_sub_f32_e32 v8, v8, v13
	v_fmac_f32_e32 v18, 0x3e9a209a, v7
	v_sub_f32_e32 v9, v9, v12
	v_cmp_lt_f32_e64 vcc, |v7|, s12
	v_bfe_u32 v13, v8, 16, 1
	v_sub_f32_e32 v10, v10, v11
	v_cndmask_b32_e32 v7, v7, v18, vcc
	v_bfe_u32 v12, v9, 16, 1
	v_add3_u32 v13, v8, v13, s13
	v_bfe_u32 v11, v10, 16, 1
	v_sub_f32_e32 v7, v7, v14
	v_add3_u32 v12, v9, v12, s13
	v_and_b32_e32 v13, 0xffff0000, v13
	v_cmp_o_f32_e32 vcc, v8, v8
	v_add3_u32 v11, v10, v11, s13
	v_bfe_u32 v14, v7, 16, 1
	v_and_b32_e32 v12, 0xffff0000, v12
	v_cndmask_b32_e32 v8, v5, v13, vcc
	v_cmp_o_f32_e32 vcc, v9, v9
	v_lshrrev_b32_e32 v11, 16, v11
	v_add3_u32 v14, v7, v14, s13
	v_cndmask_b32_e32 v9, v5, v12, vcc
	v_cmp_o_f32_e32 vcc, v10, v10
	v_lshrrev_b32_e32 v14, 16, v14
	v_cndmask_b32_e32 v10, v6, v11, vcc
	v_cmp_o_f32_e32 vcc, v7, v7
	v_cndmask_b32_e32 v7, v6, v14, vcc
	v_or_b32_e32 v9, v10, v9
	v_or3_b32 v8, 0, v7, v8
	v_or3_b32 v7, v9, 0, 0
	global_store_dwordx2 v[2:3], v[7:8], off
	v_add_co_u32_e32 v2, vcc, s9, v2
	v_addc_co_u32_e32 v3, vcc, 0, v3, vcc
	s_andn2_b64 exec, exec, s[4:5]
	s_cbranch_execnz .LBB188_24
.LBB188_25:
	s_endpgm
	.section	.rodata,"a",@progbits
	.p2align	6, 0x0
	.amdhsa_kernel _ZN2at6native12_GLOBAL__N_125multi_tensor_apply_kernelINS1_18TensorListMetadataILi1EEENS1_14UnaryOpFunctorIN3c108BFloat16ELi1ELi1ELi0EEEJNS0_5Log10IfEEEEEvT_T0_DpT1_
		.amdhsa_group_segment_fixed_size 0
		.amdhsa_private_segment_fixed_size 0
		.amdhsa_kernarg_size 3632
		.amdhsa_user_sgpr_count 6
		.amdhsa_user_sgpr_private_segment_buffer 1
		.amdhsa_user_sgpr_dispatch_ptr 0
		.amdhsa_user_sgpr_queue_ptr 0
		.amdhsa_user_sgpr_kernarg_segment_ptr 1
		.amdhsa_user_sgpr_dispatch_id 0
		.amdhsa_user_sgpr_flat_scratch_init 0
		.amdhsa_user_sgpr_private_segment_size 0
		.amdhsa_uses_dynamic_stack 0
		.amdhsa_system_sgpr_private_segment_wavefront_offset 0
		.amdhsa_system_sgpr_workgroup_id_x 1
		.amdhsa_system_sgpr_workgroup_id_y 0
		.amdhsa_system_sgpr_workgroup_id_z 0
		.amdhsa_system_sgpr_workgroup_info 0
		.amdhsa_system_vgpr_workitem_id 0
		.amdhsa_next_free_vgpr 19
		.amdhsa_next_free_sgpr 31
		.amdhsa_reserve_vcc 1
		.amdhsa_reserve_flat_scratch 0
		.amdhsa_float_round_mode_32 0
		.amdhsa_float_round_mode_16_64 0
		.amdhsa_float_denorm_mode_32 3
		.amdhsa_float_denorm_mode_16_64 3
		.amdhsa_dx10_clamp 1
		.amdhsa_ieee_mode 1
		.amdhsa_fp16_overflow 0
		.amdhsa_exception_fp_ieee_invalid_op 0
		.amdhsa_exception_fp_denorm_src 0
		.amdhsa_exception_fp_ieee_div_zero 0
		.amdhsa_exception_fp_ieee_overflow 0
		.amdhsa_exception_fp_ieee_underflow 0
		.amdhsa_exception_fp_ieee_inexact 0
		.amdhsa_exception_int_div_zero 0
	.end_amdhsa_kernel
	.section	.text._ZN2at6native12_GLOBAL__N_125multi_tensor_apply_kernelINS1_18TensorListMetadataILi1EEENS1_14UnaryOpFunctorIN3c108BFloat16ELi1ELi1ELi0EEEJNS0_5Log10IfEEEEEvT_T0_DpT1_,"axG",@progbits,_ZN2at6native12_GLOBAL__N_125multi_tensor_apply_kernelINS1_18TensorListMetadataILi1EEENS1_14UnaryOpFunctorIN3c108BFloat16ELi1ELi1ELi0EEEJNS0_5Log10IfEEEEEvT_T0_DpT1_,comdat
.Lfunc_end188:
	.size	_ZN2at6native12_GLOBAL__N_125multi_tensor_apply_kernelINS1_18TensorListMetadataILi1EEENS1_14UnaryOpFunctorIN3c108BFloat16ELi1ELi1ELi0EEEJNS0_5Log10IfEEEEEvT_T0_DpT1_, .Lfunc_end188-_ZN2at6native12_GLOBAL__N_125multi_tensor_apply_kernelINS1_18TensorListMetadataILi1EEENS1_14UnaryOpFunctorIN3c108BFloat16ELi1ELi1ELi0EEEJNS0_5Log10IfEEEEEvT_T0_DpT1_
                                        ; -- End function
	.set _ZN2at6native12_GLOBAL__N_125multi_tensor_apply_kernelINS1_18TensorListMetadataILi1EEENS1_14UnaryOpFunctorIN3c108BFloat16ELi1ELi1ELi0EEEJNS0_5Log10IfEEEEEvT_T0_DpT1_.num_vgpr, 19
	.set _ZN2at6native12_GLOBAL__N_125multi_tensor_apply_kernelINS1_18TensorListMetadataILi1EEENS1_14UnaryOpFunctorIN3c108BFloat16ELi1ELi1ELi0EEEJNS0_5Log10IfEEEEEvT_T0_DpT1_.num_agpr, 0
	.set _ZN2at6native12_GLOBAL__N_125multi_tensor_apply_kernelINS1_18TensorListMetadataILi1EEENS1_14UnaryOpFunctorIN3c108BFloat16ELi1ELi1ELi0EEEJNS0_5Log10IfEEEEEvT_T0_DpT1_.numbered_sgpr, 31
	.set _ZN2at6native12_GLOBAL__N_125multi_tensor_apply_kernelINS1_18TensorListMetadataILi1EEENS1_14UnaryOpFunctorIN3c108BFloat16ELi1ELi1ELi0EEEJNS0_5Log10IfEEEEEvT_T0_DpT1_.num_named_barrier, 0
	.set _ZN2at6native12_GLOBAL__N_125multi_tensor_apply_kernelINS1_18TensorListMetadataILi1EEENS1_14UnaryOpFunctorIN3c108BFloat16ELi1ELi1ELi0EEEJNS0_5Log10IfEEEEEvT_T0_DpT1_.private_seg_size, 0
	.set _ZN2at6native12_GLOBAL__N_125multi_tensor_apply_kernelINS1_18TensorListMetadataILi1EEENS1_14UnaryOpFunctorIN3c108BFloat16ELi1ELi1ELi0EEEJNS0_5Log10IfEEEEEvT_T0_DpT1_.uses_vcc, 1
	.set _ZN2at6native12_GLOBAL__N_125multi_tensor_apply_kernelINS1_18TensorListMetadataILi1EEENS1_14UnaryOpFunctorIN3c108BFloat16ELi1ELi1ELi0EEEJNS0_5Log10IfEEEEEvT_T0_DpT1_.uses_flat_scratch, 0
	.set _ZN2at6native12_GLOBAL__N_125multi_tensor_apply_kernelINS1_18TensorListMetadataILi1EEENS1_14UnaryOpFunctorIN3c108BFloat16ELi1ELi1ELi0EEEJNS0_5Log10IfEEEEEvT_T0_DpT1_.has_dyn_sized_stack, 0
	.set _ZN2at6native12_GLOBAL__N_125multi_tensor_apply_kernelINS1_18TensorListMetadataILi1EEENS1_14UnaryOpFunctorIN3c108BFloat16ELi1ELi1ELi0EEEJNS0_5Log10IfEEEEEvT_T0_DpT1_.has_recursion, 0
	.set _ZN2at6native12_GLOBAL__N_125multi_tensor_apply_kernelINS1_18TensorListMetadataILi1EEENS1_14UnaryOpFunctorIN3c108BFloat16ELi1ELi1ELi0EEEJNS0_5Log10IfEEEEEvT_T0_DpT1_.has_indirect_call, 0
	.section	.AMDGPU.csdata,"",@progbits
; Kernel info:
; codeLenInByte = 1964
; TotalNumSgprs: 35
; NumVgprs: 19
; ScratchSize: 0
; MemoryBound: 0
; FloatMode: 240
; IeeeMode: 1
; LDSByteSize: 0 bytes/workgroup (compile time only)
; SGPRBlocks: 4
; VGPRBlocks: 4
; NumSGPRsForWavesPerEU: 35
; NumVGPRsForWavesPerEU: 19
; Occupancy: 10
; WaveLimiterHint : 0
; COMPUTE_PGM_RSRC2:SCRATCH_EN: 0
; COMPUTE_PGM_RSRC2:USER_SGPR: 6
; COMPUTE_PGM_RSRC2:TRAP_HANDLER: 0
; COMPUTE_PGM_RSRC2:TGID_X_EN: 1
; COMPUTE_PGM_RSRC2:TGID_Y_EN: 0
; COMPUTE_PGM_RSRC2:TGID_Z_EN: 0
; COMPUTE_PGM_RSRC2:TIDIG_COMP_CNT: 0
	.section	.text._ZN2at6native12_GLOBAL__N_125multi_tensor_apply_kernelINS1_18TensorListMetadataILi2EEENS1_14UnaryOpFunctorIdLi2ELi1ELi1EEEJNS0_4Log2IdEEEEEvT_T0_DpT1_,"axG",@progbits,_ZN2at6native12_GLOBAL__N_125multi_tensor_apply_kernelINS1_18TensorListMetadataILi2EEENS1_14UnaryOpFunctorIdLi2ELi1ELi1EEEJNS0_4Log2IdEEEEEvT_T0_DpT1_,comdat
	.globl	_ZN2at6native12_GLOBAL__N_125multi_tensor_apply_kernelINS1_18TensorListMetadataILi2EEENS1_14UnaryOpFunctorIdLi2ELi1ELi1EEEJNS0_4Log2IdEEEEEvT_T0_DpT1_ ; -- Begin function _ZN2at6native12_GLOBAL__N_125multi_tensor_apply_kernelINS1_18TensorListMetadataILi2EEENS1_14UnaryOpFunctorIdLi2ELi1ELi1EEEJNS0_4Log2IdEEEEEvT_T0_DpT1_
	.p2align	8
	.type	_ZN2at6native12_GLOBAL__N_125multi_tensor_apply_kernelINS1_18TensorListMetadataILi2EEENS1_14UnaryOpFunctorIdLi2ELi1ELi1EEEJNS0_4Log2IdEEEEEvT_T0_DpT1_,@function
_ZN2at6native12_GLOBAL__N_125multi_tensor_apply_kernelINS1_18TensorListMetadataILi2EEENS1_14UnaryOpFunctorIdLi2ELi1ELi1EEEJNS0_4Log2IdEEEEEvT_T0_DpT1_: ; @_ZN2at6native12_GLOBAL__N_125multi_tensor_apply_kernelINS1_18TensorListMetadataILi2EEENS1_14UnaryOpFunctorIdLi2ELi1ELi1EEEJNS0_4Log2IdEEEEEvT_T0_DpT1_
; %bb.0:
	v_mov_b32_e32 v1, s6
	global_load_ubyte v1, v1, s[4:5] offset:1536
	s_add_u32 s0, s4, s6
	s_mul_hi_u32 s2, s6, 3
	s_mul_i32 s6, s6, 3
	s_addc_u32 s7, s5, 0
	s_add_u32 s6, s0, s6
	s_addc_u32 s7, s7, s2
	s_load_dword s6, s[6:7], 0x740
	s_mov_b32 s1, 0
	s_mov_b32 s3, s1
	s_waitcnt lgkmcnt(0)
	s_ashr_i32 s7, s6, 31
	s_lshl_b64 s[16:17], s[6:7], 19
	s_lshl_b64 s[6:7], s[6:7], 16
	s_waitcnt vmcnt(0)
	v_readfirstlane_b32 s0, v1
	s_lshl_b32 s0, s0, 3
	s_load_dwordx2 s[8:9], s[4:5], s0 offset:0x400
	s_load_dwordx2 s[20:21], s[4:5], s0 offset:0x0
	;; [unrolled: 1-line block ×3, first 2 shown]
	s_waitcnt lgkmcnt(0)
	s_add_u32 s0, s20, s16
	s_and_b32 s2, s18, 31
	s_and_b32 s0, s0, 31
	s_sub_u32 s22, s8, s6
	s_subb_u32 s23, s9, s7
	s_and_b32 s6, s8, 3
	s_mov_b32 s7, s1
	s_or_b64 s[2:3], s[2:3], s[6:7]
	s_or_b64 s[0:1], s[2:3], s[0:1]
	s_cmp_eq_u64 s[0:1], 0
	s_mov_b64 s[0:1], -1
	s_cbranch_scc0 .LBB189_5
; %bb.1:
	v_mov_b32_e32 v1, 0x10000
	v_mov_b32_e32 v2, 0
	v_cmp_lt_i64_e32 vcc, s[22:23], v[1:2]
	v_mov_b32_e32 v2, 0
	s_and_b64 s[0:1], vcc, exec
	s_cselect_b32 s25, s23, 0
	s_cselect_b32 s24, s22, 0x10000
	v_lshlrev_b32_e32 v1, 2, v0
	v_cmp_gt_i64_e32 vcc, s[24:25], v[1:2]
	s_and_saveexec_b64 s[26:27], vcc
	s_cbranch_execz .LBB189_4
; %bb.2:
	s_load_dword s0, s[4:5], 0xc5c
	v_mov_b32_e32 v1, v2
	v_lshlrev_b32_e32 v2, 5, v0
	s_mov_b32 s30, 0x55555555
	v_mov_b32_e32 v3, s17
	s_waitcnt lgkmcnt(0)
	s_and_b32 s33, s0, 0xffff
	s_mov_b32 s0, 0x6b47b09a
	s_mov_b32 s1, 0x3fc38538
	v_add_co_u32_e32 v55, vcc, s16, v2
	s_mov_b32 s31, 0x3fe55555
	s_mov_b32 s34, 0xbf559e2b
	v_mov_b32_e32 v10, s1
	s_mov_b32 s36, 0xd7f4df2e
	s_mov_b32 s38, 0x16291751
	;; [unrolled: 1-line block ×6, first 2 shown]
	v_mov_b32_e32 v12, v1
	v_addc_co_u32_e32 v56, vcc, 0, v3, vcc
	s_lshl_b32 s50, s33, 5
	s_mov_b64 s[28:29], 0
	v_mov_b32_e32 v57, s21
	s_mov_b32 s35, 0x3fc3ab76
	v_mov_b32_e32 v9, s0
	s_mov_b32 s37, 0x3fc7474d
	s_mov_b32 s39, 0x3fcc71c0
	;; [unrolled: 1-line block ×8, first 2 shown]
	s_movk_i32 s51, 0x204
	v_mov_b32_e32 v58, 0x7ff80000
	v_mov_b32_e32 v59, 0xfff00000
	;; [unrolled: 1-line block ×4, first 2 shown]
.LBB189_3:                              ; =>This Inner Loop Header: Depth=1
	v_add_co_u32_e32 v13, vcc, s20, v55
	v_addc_co_u32_e32 v14, vcc, v57, v56, vcc
	global_load_dwordx4 v[1:4], v[13:14], off
	global_load_dwordx4 v[5:8], v[13:14], off offset:16
	v_add_co_u32_e32 v11, vcc, s33, v11
	v_addc_co_u32_e32 v12, vcc, 0, v12, vcc
	v_lshlrev_b64 v[13:14], 2, v[11:12]
	v_cmp_le_i64_e64 s[6:7], s[24:25], v[13:14]
	s_or_b64 s[28:29], s[6:7], s[28:29]
	s_waitcnt vmcnt(1)
	v_frexp_mant_f64_e32 v[13:14], v[1:2]
	v_frexp_mant_f64_e32 v[15:16], v[3:4]
	s_waitcnt vmcnt(0)
	v_frexp_mant_f64_e32 v[19:20], v[7:8]
	v_frexp_mant_f64_e32 v[17:18], v[5:6]
	v_cmp_class_f64_e64 s[6:7], v[7:8], s51
	v_cmp_ngt_f64_e64 s[14:15], 0, v[1:2]
	v_cmp_nge_f64_e64 s[12:13], 0, v[7:8]
	v_cmp_gt_f64_e32 vcc, s[30:31], v[13:14]
	v_cmp_gt_f64_e64 s[0:1], s[30:31], v[15:16]
	v_cmp_gt_f64_e64 s[8:9], s[30:31], v[19:20]
	;; [unrolled: 1-line block ×3, first 2 shown]
	v_cndmask_b32_e64 v21, 0, 1, vcc
	v_ldexp_f64 v[13:14], v[13:14], v21
	v_cndmask_b32_e64 v22, 0, 1, s[0:1]
	v_cndmask_b32_e64 v24, 0, 1, s[8:9]
	v_ldexp_f64 v[15:16], v[15:16], v22
	v_ldexp_f64 v[19:20], v[19:20], v24
	v_cndmask_b32_e64 v23, 0, 1, s[2:3]
	v_ldexp_f64 v[17:18], v[17:18], v23
	v_add_f64 v[31:32], v[13:14], 1.0
	v_add_f64 v[33:34], v[13:14], -1.0
	v_add_f64 v[35:36], v[15:16], 1.0
	v_add_f64 v[41:42], v[19:20], 1.0
	v_add_f64 v[39:40], v[15:16], -1.0
	v_add_f64 v[37:38], v[17:18], 1.0
	v_add_f64 v[45:46], v[17:18], -1.0
	v_rcp_f64_e32 v[21:22], v[31:32]
	v_add_f64 v[23:24], v[31:32], -1.0
	v_add_f64 v[49:50], v[19:20], -1.0
	;; [unrolled: 1-line block ×3, first 2 shown]
	v_rcp_f64_e32 v[51:52], v[41:42]
	v_rcp_f64_e32 v[27:28], v[35:36]
	v_add_f64 v[29:30], v[37:38], -1.0
	v_rcp_f64_e32 v[43:44], v[37:38]
	v_add_f64 v[47:48], v[41:42], -1.0
	v_add_f64 v[13:14], v[13:14], -v[23:24]
	v_add_f64 v[53:54], v[15:16], -v[25:26]
	;; [unrolled: 1-line block ×3, first 2 shown]
	v_fma_f64 v[15:16], -v[31:32], v[21:22], 1.0
	v_add_f64 v[47:48], v[19:20], -v[47:48]
	v_fma_f64 v[23:24], -v[41:42], v[51:52], 1.0
	v_fma_f64 v[17:18], -v[35:36], v[27:28], 1.0
	;; [unrolled: 1-line block ×3, first 2 shown]
	v_fma_f64 v[15:16], v[15:16], v[21:22], v[21:22]
	v_fma_f64 v[21:22], v[23:24], v[51:52], v[51:52]
	;; [unrolled: 1-line block ×4, first 2 shown]
	v_fma_f64 v[23:24], -v[31:32], v[15:16], 1.0
	v_fma_f64 v[29:30], -v[41:42], v[21:22], 1.0
	;; [unrolled: 1-line block ×4, first 2 shown]
	v_fma_f64 v[23:24], v[23:24], v[15:16], v[15:16]
	v_fma_f64 v[29:30], v[29:30], v[21:22], v[21:22]
	;; [unrolled: 1-line block ×4, first 2 shown]
	v_mul_f64 v[21:22], v[33:34], v[23:24]
	v_mul_f64 v[15:16], v[49:50], v[29:30]
	;; [unrolled: 1-line block ×6, first 2 shown]
	v_fma_f64 v[31:32], v[21:22], v[31:32], -v[43:44]
	v_fma_f64 v[37:38], v[17:18], v[37:38], -v[51:52]
	v_fma_f64 v[13:14], v[21:22], v[13:14], v[31:32]
	v_mul_f64 v[31:32], v[35:36], v[19:20]
	v_fma_f64 v[37:38], v[17:18], v[61:62], v[37:38]
	v_add_f64 v[61:62], v[43:44], v[13:14]
	v_fma_f64 v[35:36], v[19:20], v[35:36], -v[31:32]
	v_add_f64 v[63:64], v[51:52], v[37:38]
	v_fma_f64 v[35:36], v[19:20], v[53:54], v[35:36]
	v_mul_f64 v[53:54], v[41:42], v[15:16]
	v_fma_f64 v[41:42], v[15:16], v[41:42], -v[53:54]
	v_fma_f64 v[47:48], v[15:16], v[47:48], v[41:42]
	v_add_f64 v[41:42], v[61:62], -v[43:44]
	v_add_f64 v[65:66], v[53:54], v[47:48]
	v_add_f64 v[41:42], v[41:42], -v[13:14]
	v_add_f64 v[13:14], v[31:32], v[35:36]
	v_add_f64 v[31:32], v[13:14], -v[31:32]
	v_add_f64 v[43:44], v[31:32], -v[35:36]
	;; [unrolled: 1-line block ×10, first 2 shown]
	v_add_f64 v[41:42], v[41:42], v[51:52]
	v_add_f64 v[39:40], v[39:40], -v[33:34]
	v_frexp_exp_i32_f64_e32 v51, v[1:2]
	v_frexp_exp_i32_f64_e32 v52, v[3:4]
	v_add_f64 v[31:32], v[31:32], v[41:42]
	v_add_f64 v[53:54], v[39:40], -v[13:14]
	v_add_f64 v[39:40], v[45:46], -v[63:64]
	v_subbrev_co_u32_e32 v51, vcc, 0, v51, vcc
	v_subbrev_co_u32_e64 v52, vcc, 0, v52, s[0:1]
	v_cmp_class_f64_e64 s[0:1], v[3:4], s51
	v_mul_f64 v[23:24], v[23:24], v[31:32]
	v_add_f64 v[43:44], v[43:44], v[53:54]
	v_add_f64 v[13:14], v[45:46], -v[39:40]
	v_add_f64 v[45:46], v[49:50], -v[65:66]
	v_frexp_exp_i32_f64_e32 v53, v[5:6]
	v_frexp_exp_i32_f64_e32 v54, v[7:8]
	v_add_f64 v[31:32], v[21:22], v[23:24]
	v_add_f64 v[33:34], v[33:34], v[43:44]
	v_add_f64 v[47:48], v[13:14], -v[63:64]
	v_add_f64 v[13:14], v[49:50], -v[45:46]
	v_subbrev_co_u32_e64 v53, vcc, 0, v53, s[2:3]
	v_subbrev_co_u32_e64 v54, vcc, 0, v54, s[8:9]
	v_add_f64 v[21:22], v[31:32], -v[21:22]
	v_mul_f64 v[25:26], v[25:26], v[33:34]
	v_add_f64 v[35:36], v[35:36], v[47:48]
	v_add_f64 v[49:50], v[13:14], -v[65:66]
	v_ldexp_f64 v[41:42], v[31:32], 1
	v_cvt_f64_i32_e32 v[47:48], v51
	v_cvt_f64_i32_e32 v[51:52], v52
	v_cmp_class_f64_e64 vcc, v[1:2], s51
	v_add_f64 v[21:22], v[23:24], -v[21:22]
	v_add_f64 v[33:34], v[19:20], v[25:26]
	v_add_f64 v[35:36], v[39:40], v[35:36]
	;; [unrolled: 1-line block ×3, first 2 shown]
	v_mul_f64 v[39:40], v[31:32], v[31:32]
	v_cvt_f64_i32_e32 v[49:50], v53
	v_cvt_f64_i32_e32 v[53:54], v54
	v_cmp_class_f64_e64 s[2:3], v[5:6], s51
	v_ldexp_f64 v[21:22], v[21:22], 1
	v_mul_f64 v[43:44], v[33:34], v[33:34]
	v_mul_f64 v[27:28], v[27:28], v[35:36]
	v_add_f64 v[37:38], v[45:46], v[37:38]
	v_mul_f64 v[31:32], v[31:32], v[39:40]
	v_add_f64 v[19:20], v[33:34], -v[19:20]
	v_ldexp_f64 v[45:46], v[33:34], 1
	v_add_co_u32_e64 v13, s[10:11], s18, v55
	v_mul_f64 v[33:34], v[33:34], v[43:44]
	v_add_f64 v[35:36], v[17:18], v[27:28]
	v_mul_f64 v[29:30], v[29:30], v[37:38]
	v_addc_co_u32_e64 v14, s[10:11], v60, v56, s[10:11]
	v_add_f64 v[19:20], v[25:26], -v[19:20]
	v_add_co_u32_e64 v55, s[10:11], s50, v55
	v_addc_co_u32_e64 v56, s[10:11], 0, v56, s[10:11]
	v_add_f64 v[37:38], v[15:16], v[29:30]
	v_mul_f64 v[23:24], v[35:36], v[35:36]
	v_add_f64 v[17:18], v[35:36], -v[17:18]
	v_ldexp_f64 v[25:26], v[35:36], 1
	v_ldexp_f64 v[19:20], v[19:20], 1
	v_cmp_nge_f64_e64 s[8:9], 0, v[3:4]
	v_cmp_nge_f64_e64 s[10:11], 0, v[5:6]
	v_add_f64 v[15:16], v[37:38], -v[15:16]
	v_mul_f64 v[35:36], v[35:36], v[23:24]
	v_add_f64 v[17:18], v[27:28], -v[17:18]
	v_mul_f64 v[27:28], v[37:38], v[37:38]
	v_add_f64 v[15:16], v[29:30], -v[15:16]
	v_fma_f64 v[29:30], v[39:40], s[34:35], v[9:10]
	v_ldexp_f64 v[17:18], v[17:18], 1
	v_ldexp_f64 v[15:16], v[15:16], 1
	v_fma_f64 v[29:30], v[39:40], v[29:30], s[36:37]
	v_fma_f64 v[29:30], v[39:40], v[29:30], s[38:39]
	;; [unrolled: 1-line block ×6, first 2 shown]
	v_mul_f64 v[29:30], v[31:32], v[29:30]
	v_fma_f64 v[39:40], v[43:44], v[39:40], s[36:37]
	v_fma_f64 v[39:40], v[43:44], v[39:40], s[38:39]
	;; [unrolled: 1-line block ×6, first 2 shown]
	v_mul_f64 v[31:32], v[33:34], v[39:40]
	v_fma_f64 v[43:44], v[23:24], v[43:44], s[36:37]
	v_add_f64 v[33:34], v[41:42], v[29:30]
	v_fma_f64 v[43:44], v[23:24], v[43:44], s[38:39]
	v_add_f64 v[41:42], v[33:34], -v[41:42]
	v_fma_f64 v[43:44], v[23:24], v[43:44], s[40:41]
	v_add_f64 v[29:30], v[29:30], -v[41:42]
	v_fma_f64 v[43:44], v[23:24], v[43:44], s[42:43]
	v_add_f64 v[21:22], v[21:22], v[29:30]
	v_fma_f64 v[23:24], v[23:24], v[43:44], s[44:45]
	v_fma_f64 v[43:44], v[27:28], s[34:35], v[9:10]
	v_mul_f64 v[23:24], v[35:36], v[23:24]
	v_fma_f64 v[43:44], v[27:28], v[43:44], s[36:37]
	v_add_f64 v[35:36], v[45:46], v[31:32]
	v_add_f64 v[39:40], v[25:26], v[23:24]
	v_fma_f64 v[43:44], v[27:28], v[43:44], s[38:39]
	v_add_f64 v[45:46], v[35:36], -v[45:46]
	v_add_f64 v[25:26], v[39:40], -v[25:26]
	v_fma_f64 v[43:44], v[27:28], v[43:44], s[40:41]
	v_add_f64 v[31:32], v[31:32], -v[45:46]
	v_add_f64 v[23:24], v[23:24], -v[25:26]
	v_fma_f64 v[43:44], v[27:28], v[43:44], s[42:43]
	v_add_f64 v[19:20], v[19:20], v[31:32]
	v_add_f64 v[17:18], v[17:18], v[23:24]
	v_fma_f64 v[43:44], v[27:28], v[43:44], s[44:45]
	v_mul_f64 v[27:28], v[37:38], v[27:28]
	v_ldexp_f64 v[37:38], v[37:38], 1
	v_add_f64 v[23:24], v[33:34], v[21:22]
	v_mul_f64 v[27:28], v[27:28], v[43:44]
	v_add_f64 v[31:32], v[23:24], -v[33:34]
	v_mul_f64 v[33:34], v[23:24], s[46:47]
	v_add_f64 v[43:44], v[37:38], v[27:28]
	v_add_f64 v[21:22], v[21:22], -v[31:32]
	v_fma_f64 v[31:32], v[23:24], s[46:47], -v[33:34]
	v_add_f64 v[37:38], v[43:44], -v[37:38]
	v_fma_f64 v[21:22], v[21:22], s[46:47], v[31:32]
	v_add_f64 v[25:26], v[27:28], -v[37:38]
	v_add_f64 v[27:28], v[39:40], v[17:18]
	v_fma_f64 v[21:22], v[23:24], s[48:49], v[21:22]
	v_add_f64 v[15:16], v[15:16], v[25:26]
	v_add_f64 v[25:26], v[35:36], v[19:20]
	v_add_f64 v[39:40], v[27:28], -v[39:40]
	v_mul_f64 v[41:42], v[27:28], s[46:47]
	v_add_f64 v[23:24], v[33:34], v[21:22]
	v_add_f64 v[29:30], v[43:44], v[15:16]
	v_add_f64 v[35:36], v[25:26], -v[35:36]
	v_mul_f64 v[37:38], v[25:26], s[46:47]
	v_add_f64 v[17:18], v[17:18], -v[39:40]
	v_fma_f64 v[39:40], v[27:28], s[46:47], -v[41:42]
	v_add_f64 v[31:32], v[23:24], -v[33:34]
	v_add_f64 v[33:34], v[23:24], v[47:48]
	v_add_f64 v[43:44], v[29:30], -v[43:44]
	v_mul_f64 v[45:46], v[29:30], s[46:47]
	v_add_f64 v[19:20], v[19:20], -v[35:36]
	v_fma_f64 v[35:36], v[25:26], s[46:47], -v[37:38]
	v_fma_f64 v[17:18], v[17:18], s[46:47], v[39:40]
	v_add_f64 v[21:22], v[21:22], -v[31:32]
	v_add_f64 v[31:32], v[33:34], -v[47:48]
	;; [unrolled: 1-line block ×3, first 2 shown]
	v_fma_f64 v[43:44], v[29:30], s[46:47], -v[45:46]
	v_fma_f64 v[19:20], v[19:20], s[46:47], v[35:36]
	v_fma_f64 v[17:18], v[27:28], s[48:49], v[17:18]
	v_add_f64 v[23:24], v[23:24], -v[31:32]
	v_add_f64 v[31:32], v[31:32], -v[33:34]
	v_fma_f64 v[15:16], v[15:16], s[46:47], v[43:44]
	v_fma_f64 v[19:20], v[25:26], s[48:49], v[19:20]
	v_add_f64 v[27:28], v[41:42], v[17:18]
	v_add_f64 v[31:32], v[31:32], v[47:48]
	v_fma_f64 v[15:16], v[29:30], s[48:49], v[15:16]
	v_add_f64 v[25:26], v[37:38], v[19:20]
	v_add_f64 v[39:40], v[27:28], -v[41:42]
	v_add_f64 v[41:42], v[27:28], v[49:50]
	v_add_f64 v[23:24], v[23:24], v[31:32]
	;; [unrolled: 1-line block ×3, first 2 shown]
	v_add_f64 v[35:36], v[25:26], -v[37:38]
	v_add_f64 v[37:38], v[25:26], v[51:52]
	v_add_f64 v[17:18], v[17:18], -v[39:40]
	v_add_f64 v[39:40], v[41:42], -v[49:50]
	v_add_f64 v[21:22], v[21:22], v[23:24]
	v_add_f64 v[43:44], v[29:30], -v[45:46]
	v_add_f64 v[45:46], v[29:30], v[53:54]
	v_add_f64 v[19:20], v[19:20], -v[35:36]
	v_add_f64 v[35:36], v[37:38], -v[51:52]
	;; [unrolled: 1-line block ×4, first 2 shown]
	v_add_f64 v[21:22], v[33:34], v[21:22]
	v_add_f64 v[15:16], v[15:16], -v[43:44]
	v_add_f64 v[43:44], v[45:46], -v[53:54]
	;; [unrolled: 1-line block ×4, first 2 shown]
	v_add_f64 v[39:40], v[39:40], v[49:50]
	v_cndmask_b32_e32 v21, v21, v1, vcc
	v_cndmask_b32_e32 v22, v22, v2, vcc
	v_add_f64 v[29:30], v[29:30], -v[43:44]
	v_add_f64 v[43:44], v[43:44], -v[45:46]
	v_cmp_nge_f64_e32 vcc, 0, v[1:2]
	v_add_f64 v[35:36], v[35:36], v[51:52]
	v_cndmask_b32_e64 v22, v58, v22, s[14:15]
	v_add_f64 v[27:28], v[27:28], v[39:40]
	v_add_f64 v[43:44], v[43:44], v[53:54]
	;; [unrolled: 1-line block ×9, first 2 shown]
	v_cndmask_b32_e64 v23, v17, v5, s[2:3]
	v_cndmask_b32_e64 v18, v18, v6, s[2:3]
	v_cmp_ngt_f64_e64 s[2:3], 0, v[5:6]
	v_add_f64 v[15:16], v[45:46], v[15:16]
	v_cndmask_b32_e64 v19, v19, v3, s[0:1]
	v_cndmask_b32_e64 v20, v20, v4, s[0:1]
	v_cmp_ngt_f64_e64 s[0:1], 0, v[3:4]
	v_cndmask_b32_e64 v17, 0, v19, s[8:9]
	v_cndmask_b32_e64 v24, v15, v7, s[6:7]
	;; [unrolled: 1-line block ×3, first 2 shown]
	v_cmp_ngt_f64_e64 s[6:7], 0, v[7:8]
	v_cndmask_b32_e32 v15, 0, v21, vcc
	v_cndmask_b32_e64 v20, v58, v20, s[0:1]
	v_cmp_neq_f64_e32 vcc, 0, v[3:4]
	v_cmp_neq_f64_e64 s[0:1], 0, v[5:6]
	v_cndmask_b32_e64 v4, v58, v18, s[2:3]
	v_cmp_neq_f64_e64 s[2:3], 0, v[7:8]
	v_cndmask_b32_e64 v3, 0, v23, s[10:11]
	v_cndmask_b32_e64 v6, v58, v16, s[6:7]
	v_cmp_neq_f64_e64 s[6:7], 0, v[1:2]
	v_cndmask_b32_e64 v5, 0, v24, s[12:13]
	v_cndmask_b32_e32 v18, v59, v20, vcc
	v_cndmask_b32_e64 v4, v59, v4, s[0:1]
	v_cndmask_b32_e64 v6, v59, v6, s[2:3]
	;; [unrolled: 1-line block ×3, first 2 shown]
	global_store_dwordx4 v[13:14], v[15:18], off
	global_store_dwordx4 v[13:14], v[3:6], off offset:16
	s_andn2_b64 exec, exec, s[28:29]
	s_cbranch_execnz .LBB189_3
.LBB189_4:
	s_or_b64 exec, exec, s[26:27]
	s_mov_b64 s[0:1], 0
.LBB189_5:
	s_andn2_b64 vcc, exec, s[0:1]
	s_cbranch_vccnz .LBB189_25
; %bb.6:
	v_cmp_lt_i64_e64 s[0:1], s[22:23], 1
	s_and_b64 vcc, exec, s[0:1]
	s_cbranch_vccnz .LBB189_25
; %bb.7:
	v_mov_b32_e32 v1, 0x10000
	s_load_dword s2, s[4:5], 0xc5c
	v_mov_b32_e32 v2, 0
	v_cmp_lt_i64_e32 vcc, s[22:23], v[1:2]
	v_mov_b32_e32 v3, 0
	s_and_b64 s[0:1], vcc, exec
	v_cmp_lt_u64_e32 vcc, s[22:23], v[1:2]
	s_cselect_b32 s15, s23, 0
	s_cselect_b32 s14, s22, 0x10000
	s_waitcnt lgkmcnt(0)
	s_and_b32 s2, s2, 0xffff
	v_lshlrev_b32_e32 v2, 3, v0
	s_and_b64 s[0:1], vcc, exec
	v_mov_b32_e32 v1, s21
	v_add_co_u32_e32 v11, vcc, s20, v2
	v_mad_u64_u32 v[3:4], s[0:1], s2, 24, v[2:3]
	v_addc_co_u32_e32 v12, vcc, 0, v1, vcc
	v_mov_b32_e32 v1, s19
	v_add_co_u32_e32 v13, vcc, s18, v2
	v_addc_co_u32_e32 v14, vcc, 0, v1, vcc
	v_mov_b32_e32 v1, s21
	v_add_co_u32_e32 v15, vcc, s20, v3
	;; [unrolled: 3-line block ×3, first 2 shown]
	s_cselect_b32 s23, s23, 0
	s_cselect_b32 s22, s22, 0x10000
	v_addc_co_u32_e32 v18, vcc, v1, v4, vcc
	s_lshl_b32 s0, s2, 4
	v_add_co_u32_e32 v1, vcc, s0, v2
	v_addc_co_u32_e64 v2, s[0:1], 0, 0, vcc
	v_mov_b32_e32 v3, s21
	v_add_co_u32_e32 v19, vcc, s20, v1
	v_addc_co_u32_e32 v20, vcc, v3, v2, vcc
	v_mov_b32_e32 v3, s19
	v_add_co_u32_e32 v21, vcc, s18, v1
	v_addc_co_u32_e32 v22, vcc, v3, v2, vcc
	v_add_co_u32_e32 v23, vcc, s2, v0
	v_lshlrev_b32_e32 v1, 3, v23
	v_addc_co_u32_e64 v24, s[0:1], 0, 0, vcc
	v_mov_b32_e32 v2, s21
	v_add_co_u32_e32 v25, vcc, s20, v1
	v_addc_co_u32_e32 v26, vcc, 0, v2, vcc
	v_mov_b32_e32 v2, s19
	v_add_co_u32_e32 v27, vcc, s18, v1
	s_mul_i32 s4, s2, 3
	v_addc_co_u32_e32 v28, vcc, 0, v2, vcc
	s_lshl_b32 s3, s2, 1
	v_add_co_u32_e32 v29, vcc, s4, v0
	s_mov_b32 s20, 0x55555555
	s_mov_b32 s24, 0xbf559e2b
	;; [unrolled: 1-line block ×8, first 2 shown]
	v_addc_co_u32_e64 v30, s[0:1], 0, 0, vcc
	v_add_co_u32_e32 v31, vcc, s3, v0
	s_lshl_b32 s33, s2, 2
	s_lshl_b32 s44, s2, 5
	s_mov_b64 s[18:19], 0
	s_movk_i32 s45, 0x204
	s_mov_b32 s21, 0x3fe55555
	s_mov_b32 s25, 0x3fc3ab76
	;; [unrolled: 1-line block ×9, first 2 shown]
	v_mov_b32_e32 v1, 0x6b47b09a
	v_mov_b32_e32 v2, 0x3fc38538
	v_addc_co_u32_e64 v32, s[0:1], 0, 0, vcc
	v_mov_b32_e32 v33, 0x7ff80000
	v_mov_b32_e32 v34, 0xfff00000
	s_branch .LBB189_9
.LBB189_8:                              ;   in Loop: Header=BB189_9 Depth=1
	s_or_b64 exec, exec, s[0:1]
	v_add_co_u32_e32 v11, vcc, s44, v11
	v_addc_co_u32_e32 v12, vcc, 0, v12, vcc
	v_add_co_u32_e32 v13, vcc, s44, v13
	v_addc_co_u32_e32 v14, vcc, 0, v14, vcc
	;; [unrolled: 2-line block ×6, first 2 shown]
	s_add_u32 s18, s18, s33
	v_add_co_u32_e32 v25, vcc, s44, v25
	s_waitcnt vmcnt(0)
	v_mov_b32_e32 v3, s14
	s_addc_u32 s19, s19, 0
	v_addc_co_u32_e32 v26, vcc, 0, v26, vcc
	v_mov_b32_e32 v4, s15
	v_cmp_ge_i64_e32 vcc, s[18:19], v[3:4]
	v_add_co_u32_e64 v27, s[0:1], s44, v27
	v_addc_co_u32_e64 v28, s[0:1], 0, v28, s[0:1]
	s_cbranch_vccnz .LBB189_25
.LBB189_9:                              ; =>This Inner Loop Header: Depth=1
	v_mov_b32_e32 v4, s19
	v_add_co_u32_e32 v3, vcc, s18, v0
	v_addc_co_u32_e32 v4, vcc, 0, v4, vcc
	v_cmp_gt_u64_e64 s[4:5], s[22:23], v[3:4]
	v_mov_b32_e32 v7, 0
	v_mov_b32_e32 v9, 0
	;; [unrolled: 1-line block ×4, first 2 shown]
	s_and_saveexec_b64 s[0:1], s[4:5]
	s_cbranch_execz .LBB189_11
; %bb.10:                               ;   in Loop: Header=BB189_9 Depth=1
	v_mov_b32_e32 v4, s17
	v_add_co_u32_e32 v3, vcc, s16, v11
	v_addc_co_u32_e32 v4, vcc, v12, v4, vcc
	global_load_dwordx2 v[9:10], v[3:4], off
.LBB189_11:                             ;   in Loop: Header=BB189_9 Depth=1
	s_or_b64 exec, exec, s[0:1]
	v_mov_b32_e32 v4, s19
	v_add_co_u32_e32 v3, vcc, s18, v23
	v_addc_co_u32_e32 v4, vcc, v24, v4, vcc
	v_cmp_gt_u64_e64 s[2:3], s[22:23], v[3:4]
	s_and_saveexec_b64 s[0:1], s[2:3]
	s_cbranch_execz .LBB189_13
; %bb.12:                               ;   in Loop: Header=BB189_9 Depth=1
	v_mov_b32_e32 v4, s17
	v_add_co_u32_e32 v3, vcc, s16, v25
	v_addc_co_u32_e32 v4, vcc, v26, v4, vcc
	global_load_dwordx2 v[7:8], v[3:4], off
.LBB189_13:                             ;   in Loop: Header=BB189_9 Depth=1
	s_or_b64 exec, exec, s[0:1]
	v_mov_b32_e32 v4, s19
	v_add_co_u32_e32 v3, vcc, s18, v31
	v_addc_co_u32_e32 v4, vcc, v32, v4, vcc
	v_cmp_gt_u64_e64 s[0:1], s[22:23], v[3:4]
	v_mov_b32_e32 v3, 0
	v_mov_b32_e32 v5, 0
	;; [unrolled: 1-line block ×4, first 2 shown]
	s_and_saveexec_b64 s[6:7], s[0:1]
	s_cbranch_execz .LBB189_15
; %bb.14:                               ;   in Loop: Header=BB189_9 Depth=1
	v_mov_b32_e32 v6, s17
	v_add_co_u32_e32 v5, vcc, s16, v19
	v_addc_co_u32_e32 v6, vcc, v20, v6, vcc
	global_load_dwordx2 v[5:6], v[5:6], off
.LBB189_15:                             ;   in Loop: Header=BB189_9 Depth=1
	s_or_b64 exec, exec, s[6:7]
	v_mov_b32_e32 v36, s19
	v_add_co_u32_e32 v35, vcc, s18, v29
	v_addc_co_u32_e32 v36, vcc, v30, v36, vcc
	v_cmp_gt_u64_e32 vcc, s[22:23], v[35:36]
	s_and_saveexec_b64 s[8:9], vcc
	s_cbranch_execnz .LBB189_20
; %bb.16:                               ;   in Loop: Header=BB189_9 Depth=1
	s_or_b64 exec, exec, s[8:9]
	s_and_saveexec_b64 s[42:43], s[4:5]
	s_cbranch_execnz .LBB189_21
.LBB189_17:                             ;   in Loop: Header=BB189_9 Depth=1
	s_or_b64 exec, exec, s[42:43]
	s_and_saveexec_b64 s[4:5], s[2:3]
	s_cbranch_execnz .LBB189_22
.LBB189_18:                             ;   in Loop: Header=BB189_9 Depth=1
	s_or_b64 exec, exec, s[4:5]
	s_and_saveexec_b64 s[2:3], s[0:1]
	s_cbranch_execnz .LBB189_23
.LBB189_19:                             ;   in Loop: Header=BB189_9 Depth=1
	s_or_b64 exec, exec, s[2:3]
	s_and_saveexec_b64 s[0:1], vcc
	s_cbranch_execz .LBB189_8
	s_branch .LBB189_24
.LBB189_20:                             ;   in Loop: Header=BB189_9 Depth=1
	v_mov_b32_e32 v4, s17
	v_add_co_u32_e64 v3, s[6:7], s16, v15
	v_addc_co_u32_e64 v4, s[6:7], v16, v4, s[6:7]
	global_load_dwordx2 v[3:4], v[3:4], off
	s_or_b64 exec, exec, s[8:9]
	s_and_saveexec_b64 s[42:43], s[4:5]
	s_cbranch_execz .LBB189_17
.LBB189_21:                             ;   in Loop: Header=BB189_9 Depth=1
	s_waitcnt vmcnt(0)
	v_frexp_mant_f64_e32 v[35:36], v[9:10]
	s_mov_b32 s37, s21
	v_cmp_ngt_f64_e64 s[6:7], 0, v[9:10]
	v_cmp_nge_f64_e64 s[8:9], 0, v[9:10]
	v_cmp_neq_f64_e64 s[10:11], 0, v[9:10]
	v_cmp_gt_f64_e64 s[4:5], s[20:21], v[35:36]
	v_cndmask_b32_e64 v37, 0, 1, s[4:5]
	v_ldexp_f64 v[35:36], v[35:36], v37
	v_add_f64 v[37:38], v[35:36], 1.0
	v_add_f64 v[43:44], v[35:36], -1.0
	v_rcp_f64_e32 v[39:40], v[37:38]
	v_add_f64 v[45:46], v[37:38], -1.0
	v_add_f64 v[35:36], v[35:36], -v[45:46]
	v_fma_f64 v[41:42], -v[37:38], v[39:40], 1.0
	v_fma_f64 v[39:40], v[41:42], v[39:40], v[39:40]
	v_fma_f64 v[41:42], -v[37:38], v[39:40], 1.0
	v_fma_f64 v[39:40], v[41:42], v[39:40], v[39:40]
	v_mul_f64 v[41:42], v[43:44], v[39:40]
	v_mul_f64 v[47:48], v[37:38], v[41:42]
	v_fma_f64 v[37:38], v[41:42], v[37:38], -v[47:48]
	v_fma_f64 v[35:36], v[41:42], v[35:36], v[37:38]
	v_add_f64 v[37:38], v[47:48], v[35:36]
	v_add_f64 v[45:46], v[43:44], -v[37:38]
	v_add_f64 v[47:48], v[37:38], -v[47:48]
	;; [unrolled: 1-line block ×5, first 2 shown]
	v_add_f64 v[35:36], v[35:36], v[37:38]
	v_add_f64 v[35:36], v[45:46], v[35:36]
	v_mul_f64 v[35:36], v[39:40], v[35:36]
	v_add_f64 v[37:38], v[41:42], v[35:36]
	v_mul_f64 v[39:40], v[37:38], v[37:38]
	v_fma_f64 v[43:44], v[39:40], s[24:25], v[1:2]
	v_mul_f64 v[45:46], v[37:38], v[39:40]
	v_fma_f64 v[43:44], v[39:40], v[43:44], s[26:27]
	v_fma_f64 v[43:44], v[39:40], v[43:44], s[28:29]
	;; [unrolled: 1-line block ×5, first 2 shown]
	v_ldexp_f64 v[43:44], v[37:38], 1
	v_add_f64 v[37:38], v[37:38], -v[41:42]
	v_mul_f64 v[39:40], v[45:46], v[39:40]
	v_add_f64 v[35:36], v[35:36], -v[37:38]
	v_add_f64 v[41:42], v[43:44], v[39:40]
	v_ldexp_f64 v[35:36], v[35:36], 1
	v_add_f64 v[37:38], v[41:42], -v[43:44]
	v_add_f64 v[37:38], v[39:40], -v[37:38]
	v_add_f64 v[35:36], v[35:36], v[37:38]
	v_add_f64 v[37:38], v[41:42], v[35:36]
	v_add_f64 v[39:40], v[37:38], -v[41:42]
	v_mul_f64 v[41:42], v[37:38], s[38:39]
	v_add_f64 v[35:36], v[35:36], -v[39:40]
	v_fma_f64 v[39:40], v[37:38], s[38:39], -v[41:42]
	v_fma_f64 v[35:36], v[35:36], s[38:39], v[39:40]
	v_frexp_exp_i32_f64_e32 v39, v[9:10]
	v_fma_f64 v[35:36], v[37:38], s[40:41], v[35:36]
	v_subbrev_co_u32_e64 v39, s[4:5], 0, v39, s[4:5]
	v_cvt_f64_i32_e32 v[39:40], v39
	v_cmp_class_f64_e64 s[4:5], v[9:10], s45
	v_add_f64 v[37:38], v[41:42], v[35:36]
	v_add_f64 v[43:44], v[37:38], v[39:40]
	v_add_f64 v[41:42], v[37:38], -v[41:42]
	v_add_f64 v[45:46], v[43:44], -v[39:40]
	;; [unrolled: 1-line block ×5, first 2 shown]
	v_add_f64 v[39:40], v[47:48], v[39:40]
	v_add_f64 v[37:38], v[37:38], v[39:40]
	;; [unrolled: 1-line block ×3, first 2 shown]
	v_mov_b32_e32 v38, s17
	v_add_co_u32_e64 v37, s[12:13], s16, v13
	v_add_f64 v[35:36], v[43:44], v[35:36]
	v_cndmask_b32_e64 v10, v36, v10, s[4:5]
	v_cndmask_b32_e64 v9, v35, v9, s[4:5]
	;; [unrolled: 1-line block ×5, first 2 shown]
	v_addc_co_u32_e64 v38, s[4:5], v14, v38, s[12:13]
	global_store_dwordx2 v[37:38], v[9:10], off
	s_or_b64 exec, exec, s[42:43]
	s_and_saveexec_b64 s[4:5], s[2:3]
	s_cbranch_execz .LBB189_18
.LBB189_22:                             ;   in Loop: Header=BB189_9 Depth=1
	s_waitcnt vmcnt(0)
	v_frexp_mant_f64_e32 v[9:10], v[7:8]
	s_mov_b32 s37, s21
	v_cmp_gt_f64_e64 s[2:3], s[20:21], v[9:10]
	v_cndmask_b32_e64 v35, 0, 1, s[2:3]
	v_ldexp_f64 v[9:10], v[9:10], v35
	v_add_f64 v[35:36], v[9:10], 1.0
	v_add_f64 v[41:42], v[9:10], -1.0
	v_rcp_f64_e32 v[37:38], v[35:36]
	v_add_f64 v[43:44], v[35:36], -1.0
	v_add_f64 v[9:10], v[9:10], -v[43:44]
	v_fma_f64 v[39:40], -v[35:36], v[37:38], 1.0
	v_fma_f64 v[37:38], v[39:40], v[37:38], v[37:38]
	v_fma_f64 v[39:40], -v[35:36], v[37:38], 1.0
	v_fma_f64 v[37:38], v[39:40], v[37:38], v[37:38]
	v_mul_f64 v[39:40], v[41:42], v[37:38]
	v_mul_f64 v[45:46], v[35:36], v[39:40]
	v_fma_f64 v[35:36], v[39:40], v[35:36], -v[45:46]
	v_fma_f64 v[9:10], v[39:40], v[9:10], v[35:36]
	v_add_f64 v[35:36], v[45:46], v[9:10]
	v_add_f64 v[43:44], v[41:42], -v[35:36]
	v_add_f64 v[45:46], v[35:36], -v[45:46]
	;; [unrolled: 1-line block ×5, first 2 shown]
	v_add_f64 v[9:10], v[9:10], v[35:36]
	v_add_f64 v[9:10], v[43:44], v[9:10]
	v_mul_f64 v[9:10], v[37:38], v[9:10]
	v_add_f64 v[35:36], v[39:40], v[9:10]
	v_mul_f64 v[37:38], v[35:36], v[35:36]
	v_fma_f64 v[41:42], v[37:38], s[24:25], v[1:2]
	v_mul_f64 v[43:44], v[35:36], v[37:38]
	v_fma_f64 v[41:42], v[37:38], v[41:42], s[26:27]
	v_fma_f64 v[41:42], v[37:38], v[41:42], s[28:29]
	;; [unrolled: 1-line block ×5, first 2 shown]
	v_ldexp_f64 v[41:42], v[35:36], 1
	v_add_f64 v[35:36], v[35:36], -v[39:40]
	v_mul_f64 v[37:38], v[43:44], v[37:38]
	v_add_f64 v[9:10], v[9:10], -v[35:36]
	v_add_f64 v[39:40], v[41:42], v[37:38]
	v_ldexp_f64 v[9:10], v[9:10], 1
	v_add_f64 v[35:36], v[39:40], -v[41:42]
	v_add_f64 v[35:36], v[37:38], -v[35:36]
	v_add_f64 v[9:10], v[9:10], v[35:36]
	v_add_f64 v[35:36], v[39:40], v[9:10]
	v_add_f64 v[37:38], v[35:36], -v[39:40]
	v_mul_f64 v[39:40], v[35:36], s[38:39]
	v_add_f64 v[9:10], v[9:10], -v[37:38]
	v_fma_f64 v[37:38], v[35:36], s[38:39], -v[39:40]
	v_fma_f64 v[9:10], v[9:10], s[38:39], v[37:38]
	v_frexp_exp_i32_f64_e32 v37, v[7:8]
	v_fma_f64 v[9:10], v[35:36], s[40:41], v[9:10]
	v_subbrev_co_u32_e64 v37, s[2:3], 0, v37, s[2:3]
	v_cvt_f64_i32_e32 v[37:38], v37
	v_cmp_class_f64_e64 s[2:3], v[7:8], s45
	v_add_f64 v[35:36], v[39:40], v[9:10]
	v_add_f64 v[41:42], v[35:36], v[37:38]
	v_add_f64 v[39:40], v[35:36], -v[39:40]
	v_add_f64 v[43:44], v[41:42], -v[37:38]
	;; [unrolled: 1-line block ×5, first 2 shown]
	v_add_f64 v[37:38], v[45:46], v[37:38]
	v_add_f64 v[35:36], v[35:36], v[37:38]
	;; [unrolled: 1-line block ×3, first 2 shown]
	v_mov_b32_e32 v35, s17
	v_add_f64 v[9:10], v[41:42], v[9:10]
	v_cndmask_b32_e64 v9, v9, v7, s[2:3]
	v_cndmask_b32_e64 v10, v10, v8, s[2:3]
	v_cmp_ngt_f64_e64 s[2:3], 0, v[7:8]
	v_cndmask_b32_e64 v10, v33, v10, s[2:3]
	v_cmp_nge_f64_e64 s[2:3], 0, v[7:8]
	v_cndmask_b32_e64 v9, 0, v9, s[2:3]
	v_cmp_neq_f64_e64 s[2:3], 0, v[7:8]
	v_cndmask_b32_e64 v10, v34, v10, s[2:3]
	v_add_co_u32_e64 v7, s[2:3], s16, v27
	v_addc_co_u32_e64 v8, s[2:3], v28, v35, s[2:3]
	global_store_dwordx2 v[7:8], v[9:10], off
	s_or_b64 exec, exec, s[4:5]
	s_and_saveexec_b64 s[2:3], s[0:1]
	s_cbranch_execz .LBB189_19
.LBB189_23:                             ;   in Loop: Header=BB189_9 Depth=1
	s_waitcnt vmcnt(0)
	v_frexp_mant_f64_e32 v[7:8], v[5:6]
	s_mov_b32 s37, s21
	v_cmp_gt_f64_e64 s[0:1], s[20:21], v[7:8]
	v_cndmask_b32_e64 v9, 0, 1, s[0:1]
	v_ldexp_f64 v[7:8], v[7:8], v9
	v_add_f64 v[9:10], v[7:8], 1.0
	v_add_f64 v[39:40], v[7:8], -1.0
	v_rcp_f64_e32 v[35:36], v[9:10]
	v_add_f64 v[41:42], v[9:10], -1.0
	v_add_f64 v[7:8], v[7:8], -v[41:42]
	v_fma_f64 v[37:38], -v[9:10], v[35:36], 1.0
	v_fma_f64 v[35:36], v[37:38], v[35:36], v[35:36]
	v_fma_f64 v[37:38], -v[9:10], v[35:36], 1.0
	v_fma_f64 v[35:36], v[37:38], v[35:36], v[35:36]
	v_mul_f64 v[37:38], v[39:40], v[35:36]
	v_mul_f64 v[43:44], v[9:10], v[37:38]
	v_fma_f64 v[9:10], v[37:38], v[9:10], -v[43:44]
	v_fma_f64 v[7:8], v[37:38], v[7:8], v[9:10]
	v_add_f64 v[9:10], v[43:44], v[7:8]
	v_add_f64 v[41:42], v[39:40], -v[9:10]
	v_add_f64 v[43:44], v[9:10], -v[43:44]
	;; [unrolled: 1-line block ×5, first 2 shown]
	v_add_f64 v[7:8], v[7:8], v[9:10]
	v_add_f64 v[7:8], v[41:42], v[7:8]
	v_mul_f64 v[7:8], v[35:36], v[7:8]
	v_add_f64 v[9:10], v[37:38], v[7:8]
	v_mul_f64 v[35:36], v[9:10], v[9:10]
	v_fma_f64 v[39:40], v[35:36], s[24:25], v[1:2]
	v_mul_f64 v[41:42], v[9:10], v[35:36]
	v_fma_f64 v[39:40], v[35:36], v[39:40], s[26:27]
	v_fma_f64 v[39:40], v[35:36], v[39:40], s[28:29]
	;; [unrolled: 1-line block ×5, first 2 shown]
	v_ldexp_f64 v[39:40], v[9:10], 1
	v_add_f64 v[9:10], v[9:10], -v[37:38]
	v_mul_f64 v[35:36], v[41:42], v[35:36]
	v_add_f64 v[7:8], v[7:8], -v[9:10]
	v_add_f64 v[37:38], v[39:40], v[35:36]
	v_ldexp_f64 v[7:8], v[7:8], 1
	v_add_f64 v[9:10], v[37:38], -v[39:40]
	v_add_f64 v[9:10], v[35:36], -v[9:10]
	v_add_f64 v[7:8], v[7:8], v[9:10]
	v_add_f64 v[9:10], v[37:38], v[7:8]
	v_add_f64 v[35:36], v[9:10], -v[37:38]
	v_mul_f64 v[37:38], v[9:10], s[38:39]
	v_add_f64 v[7:8], v[7:8], -v[35:36]
	v_fma_f64 v[35:36], v[9:10], s[38:39], -v[37:38]
	v_fma_f64 v[7:8], v[7:8], s[38:39], v[35:36]
	v_frexp_exp_i32_f64_e32 v35, v[5:6]
	v_fma_f64 v[7:8], v[9:10], s[40:41], v[7:8]
	v_subbrev_co_u32_e64 v35, s[0:1], 0, v35, s[0:1]
	v_cvt_f64_i32_e32 v[35:36], v35
	v_cmp_class_f64_e64 s[0:1], v[5:6], s45
	v_add_f64 v[9:10], v[37:38], v[7:8]
	v_add_f64 v[39:40], v[9:10], v[35:36]
	v_add_f64 v[37:38], v[9:10], -v[37:38]
	v_add_f64 v[41:42], v[39:40], -v[35:36]
	;; [unrolled: 1-line block ×5, first 2 shown]
	v_add_f64 v[35:36], v[43:44], v[35:36]
	v_add_f64 v[9:10], v[9:10], v[35:36]
	;; [unrolled: 1-line block ×3, first 2 shown]
	v_mov_b32_e32 v9, s17
	v_add_f64 v[7:8], v[39:40], v[7:8]
	v_cndmask_b32_e64 v7, v7, v5, s[0:1]
	v_cndmask_b32_e64 v8, v8, v6, s[0:1]
	v_cmp_ngt_f64_e64 s[0:1], 0, v[5:6]
	v_cndmask_b32_e64 v8, v33, v8, s[0:1]
	v_cmp_nge_f64_e64 s[0:1], 0, v[5:6]
	v_cndmask_b32_e64 v7, 0, v7, s[0:1]
	v_cmp_neq_f64_e64 s[0:1], 0, v[5:6]
	v_cndmask_b32_e64 v8, v34, v8, s[0:1]
	v_add_co_u32_e64 v5, s[0:1], s16, v21
	v_addc_co_u32_e64 v6, s[0:1], v22, v9, s[0:1]
	global_store_dwordx2 v[5:6], v[7:8], off
	s_or_b64 exec, exec, s[2:3]
	s_and_saveexec_b64 s[0:1], vcc
	s_cbranch_execz .LBB189_8
.LBB189_24:                             ;   in Loop: Header=BB189_9 Depth=1
	s_waitcnt vmcnt(0)
	v_frexp_mant_f64_e32 v[5:6], v[3:4]
	s_mov_b32 s37, s21
	v_cmp_gt_f64_e32 vcc, s[20:21], v[5:6]
	v_cndmask_b32_e64 v7, 0, 1, vcc
	v_ldexp_f64 v[5:6], v[5:6], v7
	v_add_f64 v[7:8], v[5:6], 1.0
	v_add_f64 v[37:38], v[5:6], -1.0
	v_rcp_f64_e32 v[9:10], v[7:8]
	v_add_f64 v[39:40], v[7:8], -1.0
	v_add_f64 v[5:6], v[5:6], -v[39:40]
	v_fma_f64 v[35:36], -v[7:8], v[9:10], 1.0
	v_fma_f64 v[9:10], v[35:36], v[9:10], v[9:10]
	v_fma_f64 v[35:36], -v[7:8], v[9:10], 1.0
	v_fma_f64 v[9:10], v[35:36], v[9:10], v[9:10]
	v_mul_f64 v[35:36], v[37:38], v[9:10]
	v_mul_f64 v[41:42], v[7:8], v[35:36]
	v_fma_f64 v[7:8], v[35:36], v[7:8], -v[41:42]
	v_fma_f64 v[5:6], v[35:36], v[5:6], v[7:8]
	v_add_f64 v[7:8], v[41:42], v[5:6]
	v_add_f64 v[39:40], v[37:38], -v[7:8]
	v_add_f64 v[41:42], v[7:8], -v[41:42]
	;; [unrolled: 1-line block ×5, first 2 shown]
	v_add_f64 v[5:6], v[5:6], v[7:8]
	v_add_f64 v[5:6], v[39:40], v[5:6]
	v_mul_f64 v[5:6], v[9:10], v[5:6]
	v_add_f64 v[7:8], v[35:36], v[5:6]
	v_mul_f64 v[9:10], v[7:8], v[7:8]
	v_fma_f64 v[37:38], v[9:10], s[24:25], v[1:2]
	v_mul_f64 v[39:40], v[7:8], v[9:10]
	v_fma_f64 v[37:38], v[9:10], v[37:38], s[26:27]
	v_fma_f64 v[37:38], v[9:10], v[37:38], s[28:29]
	;; [unrolled: 1-line block ×5, first 2 shown]
	v_ldexp_f64 v[37:38], v[7:8], 1
	v_add_f64 v[7:8], v[7:8], -v[35:36]
	v_mul_f64 v[9:10], v[39:40], v[9:10]
	v_add_f64 v[5:6], v[5:6], -v[7:8]
	v_add_f64 v[35:36], v[37:38], v[9:10]
	v_ldexp_f64 v[5:6], v[5:6], 1
	v_add_f64 v[7:8], v[35:36], -v[37:38]
	v_add_f64 v[7:8], v[9:10], -v[7:8]
	v_add_f64 v[5:6], v[5:6], v[7:8]
	v_add_f64 v[7:8], v[35:36], v[5:6]
	v_add_f64 v[9:10], v[7:8], -v[35:36]
	v_mul_f64 v[35:36], v[7:8], s[38:39]
	v_add_f64 v[5:6], v[5:6], -v[9:10]
	v_fma_f64 v[9:10], v[7:8], s[38:39], -v[35:36]
	v_fma_f64 v[5:6], v[5:6], s[38:39], v[9:10]
	v_frexp_exp_i32_f64_e32 v9, v[3:4]
	v_fma_f64 v[5:6], v[7:8], s[40:41], v[5:6]
	v_subbrev_co_u32_e32 v9, vcc, 0, v9, vcc
	v_cvt_f64_i32_e32 v[9:10], v9
	v_cmp_class_f64_e64 vcc, v[3:4], s45
	v_add_f64 v[7:8], v[35:36], v[5:6]
	v_add_f64 v[37:38], v[7:8], v[9:10]
	v_add_f64 v[35:36], v[7:8], -v[35:36]
	v_add_f64 v[39:40], v[37:38], -v[9:10]
	;; [unrolled: 1-line block ×5, first 2 shown]
	v_add_f64 v[9:10], v[41:42], v[9:10]
	v_add_f64 v[7:8], v[7:8], v[9:10]
	v_add_f64 v[5:6], v[5:6], v[7:8]
	v_mov_b32_e32 v7, s17
	v_add_f64 v[5:6], v[37:38], v[5:6]
	v_cndmask_b32_e32 v5, v5, v3, vcc
	v_cndmask_b32_e32 v6, v6, v4, vcc
	v_cmp_ngt_f64_e32 vcc, 0, v[3:4]
	v_cndmask_b32_e32 v6, v33, v6, vcc
	v_cmp_nge_f64_e32 vcc, 0, v[3:4]
	v_cndmask_b32_e32 v5, 0, v5, vcc
	v_cmp_neq_f64_e32 vcc, 0, v[3:4]
	v_cndmask_b32_e32 v6, v34, v6, vcc
	v_add_co_u32_e32 v3, vcc, s16, v17
	v_addc_co_u32_e32 v4, vcc, v18, v7, vcc
	global_store_dwordx2 v[3:4], v[5:6], off
	s_branch .LBB189_8
.LBB189_25:
	s_endpgm
	.section	.rodata,"a",@progbits
	.p2align	6, 0x0
	.amdhsa_kernel _ZN2at6native12_GLOBAL__N_125multi_tensor_apply_kernelINS1_18TensorListMetadataILi2EEENS1_14UnaryOpFunctorIdLi2ELi1ELi1EEEJNS0_4Log2IdEEEEEvT_T0_DpT1_
		.amdhsa_group_segment_fixed_size 0
		.amdhsa_private_segment_fixed_size 0
		.amdhsa_kernarg_size 3408
		.amdhsa_user_sgpr_count 6
		.amdhsa_user_sgpr_private_segment_buffer 1
		.amdhsa_user_sgpr_dispatch_ptr 0
		.amdhsa_user_sgpr_queue_ptr 0
		.amdhsa_user_sgpr_kernarg_segment_ptr 1
		.amdhsa_user_sgpr_dispatch_id 0
		.amdhsa_user_sgpr_flat_scratch_init 0
		.amdhsa_user_sgpr_private_segment_size 0
		.amdhsa_uses_dynamic_stack 0
		.amdhsa_system_sgpr_private_segment_wavefront_offset 0
		.amdhsa_system_sgpr_workgroup_id_x 1
		.amdhsa_system_sgpr_workgroup_id_y 0
		.amdhsa_system_sgpr_workgroup_id_z 0
		.amdhsa_system_sgpr_workgroup_info 0
		.amdhsa_system_vgpr_workitem_id 0
		.amdhsa_next_free_vgpr 67
		.amdhsa_next_free_sgpr 52
		.amdhsa_reserve_vcc 1
		.amdhsa_reserve_flat_scratch 0
		.amdhsa_float_round_mode_32 0
		.amdhsa_float_round_mode_16_64 0
		.amdhsa_float_denorm_mode_32 3
		.amdhsa_float_denorm_mode_16_64 3
		.amdhsa_dx10_clamp 1
		.amdhsa_ieee_mode 1
		.amdhsa_fp16_overflow 0
		.amdhsa_exception_fp_ieee_invalid_op 0
		.amdhsa_exception_fp_denorm_src 0
		.amdhsa_exception_fp_ieee_div_zero 0
		.amdhsa_exception_fp_ieee_overflow 0
		.amdhsa_exception_fp_ieee_underflow 0
		.amdhsa_exception_fp_ieee_inexact 0
		.amdhsa_exception_int_div_zero 0
	.end_amdhsa_kernel
	.section	.text._ZN2at6native12_GLOBAL__N_125multi_tensor_apply_kernelINS1_18TensorListMetadataILi2EEENS1_14UnaryOpFunctorIdLi2ELi1ELi1EEEJNS0_4Log2IdEEEEEvT_T0_DpT1_,"axG",@progbits,_ZN2at6native12_GLOBAL__N_125multi_tensor_apply_kernelINS1_18TensorListMetadataILi2EEENS1_14UnaryOpFunctorIdLi2ELi1ELi1EEEJNS0_4Log2IdEEEEEvT_T0_DpT1_,comdat
.Lfunc_end189:
	.size	_ZN2at6native12_GLOBAL__N_125multi_tensor_apply_kernelINS1_18TensorListMetadataILi2EEENS1_14UnaryOpFunctorIdLi2ELi1ELi1EEEJNS0_4Log2IdEEEEEvT_T0_DpT1_, .Lfunc_end189-_ZN2at6native12_GLOBAL__N_125multi_tensor_apply_kernelINS1_18TensorListMetadataILi2EEENS1_14UnaryOpFunctorIdLi2ELi1ELi1EEEJNS0_4Log2IdEEEEEvT_T0_DpT1_
                                        ; -- End function
	.set _ZN2at6native12_GLOBAL__N_125multi_tensor_apply_kernelINS1_18TensorListMetadataILi2EEENS1_14UnaryOpFunctorIdLi2ELi1ELi1EEEJNS0_4Log2IdEEEEEvT_T0_DpT1_.num_vgpr, 67
	.set _ZN2at6native12_GLOBAL__N_125multi_tensor_apply_kernelINS1_18TensorListMetadataILi2EEENS1_14UnaryOpFunctorIdLi2ELi1ELi1EEEJNS0_4Log2IdEEEEEvT_T0_DpT1_.num_agpr, 0
	.set _ZN2at6native12_GLOBAL__N_125multi_tensor_apply_kernelINS1_18TensorListMetadataILi2EEENS1_14UnaryOpFunctorIdLi2ELi1ELi1EEEJNS0_4Log2IdEEEEEvT_T0_DpT1_.numbered_sgpr, 52
	.set _ZN2at6native12_GLOBAL__N_125multi_tensor_apply_kernelINS1_18TensorListMetadataILi2EEENS1_14UnaryOpFunctorIdLi2ELi1ELi1EEEJNS0_4Log2IdEEEEEvT_T0_DpT1_.num_named_barrier, 0
	.set _ZN2at6native12_GLOBAL__N_125multi_tensor_apply_kernelINS1_18TensorListMetadataILi2EEENS1_14UnaryOpFunctorIdLi2ELi1ELi1EEEJNS0_4Log2IdEEEEEvT_T0_DpT1_.private_seg_size, 0
	.set _ZN2at6native12_GLOBAL__N_125multi_tensor_apply_kernelINS1_18TensorListMetadataILi2EEENS1_14UnaryOpFunctorIdLi2ELi1ELi1EEEJNS0_4Log2IdEEEEEvT_T0_DpT1_.uses_vcc, 1
	.set _ZN2at6native12_GLOBAL__N_125multi_tensor_apply_kernelINS1_18TensorListMetadataILi2EEENS1_14UnaryOpFunctorIdLi2ELi1ELi1EEEJNS0_4Log2IdEEEEEvT_T0_DpT1_.uses_flat_scratch, 0
	.set _ZN2at6native12_GLOBAL__N_125multi_tensor_apply_kernelINS1_18TensorListMetadataILi2EEENS1_14UnaryOpFunctorIdLi2ELi1ELi1EEEJNS0_4Log2IdEEEEEvT_T0_DpT1_.has_dyn_sized_stack, 0
	.set _ZN2at6native12_GLOBAL__N_125multi_tensor_apply_kernelINS1_18TensorListMetadataILi2EEENS1_14UnaryOpFunctorIdLi2ELi1ELi1EEEJNS0_4Log2IdEEEEEvT_T0_DpT1_.has_recursion, 0
	.set _ZN2at6native12_GLOBAL__N_125multi_tensor_apply_kernelINS1_18TensorListMetadataILi2EEENS1_14UnaryOpFunctorIdLi2ELi1ELi1EEEJNS0_4Log2IdEEEEEvT_T0_DpT1_.has_indirect_call, 0
	.section	.AMDGPU.csdata,"",@progbits
; Kernel info:
; codeLenInByte = 6164
; TotalNumSgprs: 56
; NumVgprs: 67
; ScratchSize: 0
; MemoryBound: 0
; FloatMode: 240
; IeeeMode: 1
; LDSByteSize: 0 bytes/workgroup (compile time only)
; SGPRBlocks: 6
; VGPRBlocks: 16
; NumSGPRsForWavesPerEU: 56
; NumVGPRsForWavesPerEU: 67
; Occupancy: 3
; WaveLimiterHint : 0
; COMPUTE_PGM_RSRC2:SCRATCH_EN: 0
; COMPUTE_PGM_RSRC2:USER_SGPR: 6
; COMPUTE_PGM_RSRC2:TRAP_HANDLER: 0
; COMPUTE_PGM_RSRC2:TGID_X_EN: 1
; COMPUTE_PGM_RSRC2:TGID_Y_EN: 0
; COMPUTE_PGM_RSRC2:TGID_Z_EN: 0
; COMPUTE_PGM_RSRC2:TIDIG_COMP_CNT: 0
	.section	.text._ZN2at6native12_GLOBAL__N_125multi_tensor_apply_kernelINS1_18TensorListMetadataILi2EEENS1_14UnaryOpFunctorIfLi2ELi1ELi1EEEJNS0_4Log2IfEEEEEvT_T0_DpT1_,"axG",@progbits,_ZN2at6native12_GLOBAL__N_125multi_tensor_apply_kernelINS1_18TensorListMetadataILi2EEENS1_14UnaryOpFunctorIfLi2ELi1ELi1EEEJNS0_4Log2IfEEEEEvT_T0_DpT1_,comdat
	.globl	_ZN2at6native12_GLOBAL__N_125multi_tensor_apply_kernelINS1_18TensorListMetadataILi2EEENS1_14UnaryOpFunctorIfLi2ELi1ELi1EEEJNS0_4Log2IfEEEEEvT_T0_DpT1_ ; -- Begin function _ZN2at6native12_GLOBAL__N_125multi_tensor_apply_kernelINS1_18TensorListMetadataILi2EEENS1_14UnaryOpFunctorIfLi2ELi1ELi1EEEJNS0_4Log2IfEEEEEvT_T0_DpT1_
	.p2align	8
	.type	_ZN2at6native12_GLOBAL__N_125multi_tensor_apply_kernelINS1_18TensorListMetadataILi2EEENS1_14UnaryOpFunctorIfLi2ELi1ELi1EEEJNS0_4Log2IfEEEEEvT_T0_DpT1_,@function
_ZN2at6native12_GLOBAL__N_125multi_tensor_apply_kernelINS1_18TensorListMetadataILi2EEENS1_14UnaryOpFunctorIfLi2ELi1ELi1EEEJNS0_4Log2IfEEEEEvT_T0_DpT1_: ; @_ZN2at6native12_GLOBAL__N_125multi_tensor_apply_kernelINS1_18TensorListMetadataILi2EEENS1_14UnaryOpFunctorIfLi2ELi1ELi1EEEJNS0_4Log2IfEEEEEvT_T0_DpT1_
; %bb.0:
	v_mov_b32_e32 v1, s6
	global_load_ubyte v1, v1, s[4:5] offset:1536
	s_add_u32 s0, s4, s6
	s_mul_hi_u32 s2, s6, 3
	s_mul_i32 s6, s6, 3
	s_addc_u32 s7, s5, 0
	s_add_u32 s6, s0, s6
	s_addc_u32 s7, s7, s2
	s_load_dword s6, s[6:7], 0x740
	s_mov_b32 s1, 0
	s_mov_b32 s3, s1
	s_waitcnt lgkmcnt(0)
	s_ashr_i32 s7, s6, 31
	s_lshl_b64 s[8:9], s[6:7], 18
	s_lshl_b64 s[6:7], s[6:7], 16
	s_waitcnt vmcnt(0)
	v_readfirstlane_b32 s0, v1
	s_lshl_b32 s0, s0, 3
	s_load_dwordx2 s[10:11], s[4:5], s0 offset:0x400
	s_load_dwordx2 s[16:17], s[4:5], s0 offset:0x0
	;; [unrolled: 1-line block ×3, first 2 shown]
	s_waitcnt lgkmcnt(0)
	s_add_u32 s0, s16, s8
	s_and_b32 s2, s14, 15
	s_and_b32 s0, s0, 15
	s_sub_u32 s12, s10, s6
	s_subb_u32 s13, s11, s7
	s_and_b32 s6, s10, 3
	s_mov_b32 s7, s1
	s_or_b64 s[2:3], s[2:3], s[6:7]
	s_or_b64 s[0:1], s[2:3], s[0:1]
	s_cmp_eq_u64 s[0:1], 0
	s_mov_b64 s[0:1], -1
	s_cbranch_scc0 .LBB190_5
; %bb.1:
	v_mov_b32_e32 v1, 0x10000
	v_mov_b32_e32 v2, 0
	v_cmp_lt_i64_e32 vcc, s[12:13], v[1:2]
	v_mov_b32_e32 v2, 0
	s_and_b64 s[0:1], vcc, exec
	s_cselect_b32 s11, s13, 0
	s_cselect_b32 s10, s12, 0x10000
	v_lshlrev_b32_e32 v1, 2, v0
	v_cmp_gt_i64_e32 vcc, s[10:11], v[1:2]
	s_and_saveexec_b64 s[18:19], vcc
	s_cbranch_execz .LBB190_4
; %bb.2:
	s_load_dword s0, s[4:5], 0xc5c
	v_mov_b32_e32 v1, v2
	v_lshlrev_b32_e32 v2, 4, v0
	v_mov_b32_e32 v4, s9
	v_add_co_u32_e32 v3, vcc, s8, v2
	s_waitcnt lgkmcnt(0)
	s_and_b32 s22, s0, 0xffff
	v_mov_b32_e32 v2, v1
	v_addc_co_u32_e32 v4, vcc, 0, v4, vcc
	s_lshl_b32 s23, s22, 4
	s_mov_b64 s[20:21], 0
	v_mov_b32_e32 v5, s17
	s_mov_b32 s24, 0x800000
	v_mov_b32_e32 v6, 0x42000000
	v_mov_b32_e32 v7, s15
	;; [unrolled: 1-line block ×3, first 2 shown]
.LBB190_3:                              ; =>This Inner Loop Header: Depth=1
	v_add_co_u32_e32 v8, vcc, s16, v3
	v_addc_co_u32_e32 v9, vcc, v5, v4, vcc
	global_load_dwordx4 v[8:11], v[8:9], off
	v_add_co_u32_e32 v12, vcc, s14, v3
	v_addc_co_u32_e32 v13, vcc, v7, v4, vcc
	v_add_co_u32_e32 v1, vcc, s22, v1
	v_addc_co_u32_e32 v2, vcc, 0, v2, vcc
	v_add_co_u32_e32 v3, vcc, s23, v3
	v_lshlrev_b64 v[14:15], 2, v[1:2]
	v_addc_co_u32_e32 v4, vcc, 0, v4, vcc
	v_cmp_le_i64_e32 vcc, s[10:11], v[14:15]
	s_or_b64 s[20:21], vcc, s[20:21]
	s_waitcnt vmcnt(0)
	v_cmp_gt_f32_e32 vcc, s24, v8
	v_cmp_gt_f32_e64 s[0:1], s24, v9
	v_cmp_gt_f32_e64 s[2:3], s24, v10
	;; [unrolled: 1-line block ×3, first 2 shown]
	v_cndmask_b32_e64 v14, 0, 32, vcc
	v_cndmask_b32_e64 v15, 0, 32, s[0:1]
	v_cndmask_b32_e64 v16, 0, 32, s[2:3]
	;; [unrolled: 1-line block ×3, first 2 shown]
	v_ldexp_f32 v8, v8, v14
	v_ldexp_f32 v9, v9, v15
	;; [unrolled: 1-line block ×4, first 2 shown]
	v_log_f32_e32 v8, v8
	v_log_f32_e32 v9, v9
	;; [unrolled: 1-line block ×4, first 2 shown]
	v_cndmask_b32_e32 v14, 0, v6, vcc
	v_cndmask_b32_e64 v15, 0, v6, s[0:1]
	v_cndmask_b32_e64 v16, 0, v6, s[2:3]
	;; [unrolled: 1-line block ×3, first 2 shown]
	v_sub_f32_e32 v8, v8, v14
	v_sub_f32_e32 v9, v9, v15
	;; [unrolled: 1-line block ×4, first 2 shown]
	global_store_dwordx4 v[12:13], v[8:11], off
	s_andn2_b64 exec, exec, s[20:21]
	s_cbranch_execnz .LBB190_3
.LBB190_4:
	s_or_b64 exec, exec, s[18:19]
	s_mov_b64 s[0:1], 0
.LBB190_5:
	s_andn2_b64 vcc, exec, s[0:1]
	s_cbranch_vccnz .LBB190_25
; %bb.6:
	v_cmp_lt_i64_e64 s[0:1], s[12:13], 1
	s_and_b64 vcc, exec, s[0:1]
	s_cbranch_vccnz .LBB190_25
; %bb.7:
	v_mov_b32_e32 v1, 0x10000
	s_load_dword s2, s[4:5], 0xc5c
	v_mov_b32_e32 v2, 0
	v_cmp_lt_i64_e32 vcc, s[12:13], v[1:2]
	v_mov_b32_e32 v10, 0
	s_and_b64 s[0:1], vcc, exec
	v_cmp_lt_u64_e32 vcc, s[12:13], v[1:2]
	s_cselect_b32 s11, s13, 0
	s_cselect_b32 s10, s12, 0x10000
	s_waitcnt lgkmcnt(0)
	s_and_b32 s2, s2, 0xffff
	v_lshlrev_b32_e32 v9, 2, v0
	s_and_b64 s[0:1], vcc, exec
	v_mov_b32_e32 v2, s17
	v_add_co_u32_e32 v1, vcc, s16, v9
	v_mad_u64_u32 v[7:8], s[0:1], s2, 12, v[9:10]
	v_addc_co_u32_e32 v2, vcc, 0, v2, vcc
	v_mov_b32_e32 v4, s15
	v_add_co_u32_e32 v3, vcc, s14, v9
	v_addc_co_u32_e32 v4, vcc, 0, v4, vcc
	v_mov_b32_e32 v6, s17
	v_add_co_u32_e32 v5, vcc, s16, v7
	;; [unrolled: 3-line block ×3, first 2 shown]
	s_cselect_b32 s13, s13, 0
	s_cselect_b32 s12, s12, 0x10000
	v_addc_co_u32_e32 v8, vcc, v10, v8, vcc
	s_lshl_b32 s0, s2, 3
	v_add_co_u32_e32 v11, vcc, s0, v9
	v_addc_co_u32_e64 v12, s[0:1], 0, 0, vcc
	v_mov_b32_e32 v10, s17
	v_add_co_u32_e32 v9, vcc, s16, v11
	v_addc_co_u32_e32 v10, vcc, v10, v12, vcc
	v_mov_b32_e32 v13, s15
	v_add_co_u32_e32 v11, vcc, s14, v11
	v_addc_co_u32_e32 v12, vcc, v13, v12, vcc
	v_add_co_u32_e32 v13, vcc, s2, v0
	v_lshlrev_b32_e32 v17, 2, v13
	v_addc_co_u32_e64 v14, s[0:1], 0, 0, vcc
	v_mov_b32_e32 v16, s17
	v_add_co_u32_e32 v15, vcc, s16, v17
	v_addc_co_u32_e32 v16, vcc, 0, v16, vcc
	v_mov_b32_e32 v18, s15
	v_add_co_u32_e32 v17, vcc, s14, v17
	s_mul_i32 s4, s2, 3
	v_addc_co_u32_e32 v18, vcc, 0, v18, vcc
	s_lshl_b32 s3, s2, 1
	v_add_co_u32_e32 v19, vcc, s4, v0
	v_addc_co_u32_e64 v20, s[0:1], 0, 0, vcc
	v_add_co_u32_e32 v21, vcc, s3, v0
	s_lshl_b32 s18, s2, 2
	s_lshl_b32 s19, s2, 4
	s_mov_b64 s[14:15], 0
	s_mov_b32 s20, 0x800000
	v_addc_co_u32_e64 v22, s[0:1], 0, 0, vcc
	v_mov_b32_e32 v23, 0x42000000
	s_branch .LBB190_9
.LBB190_8:                              ;   in Loop: Header=BB190_9 Depth=1
	s_or_b64 exec, exec, s[0:1]
	v_add_co_u32_e32 v1, vcc, s19, v1
	v_addc_co_u32_e32 v2, vcc, 0, v2, vcc
	v_add_co_u32_e32 v3, vcc, s19, v3
	v_addc_co_u32_e32 v4, vcc, 0, v4, vcc
	;; [unrolled: 2-line block ×6, first 2 shown]
	s_add_u32 s14, s14, s18
	v_add_co_u32_e32 v15, vcc, s19, v15
	s_waitcnt vmcnt(0)
	v_mov_b32_e32 v25, s11
	s_addc_u32 s15, s15, 0
	v_addc_co_u32_e32 v16, vcc, 0, v16, vcc
	v_mov_b32_e32 v24, s10
	v_cmp_ge_i64_e32 vcc, s[14:15], v[24:25]
	v_add_co_u32_e64 v17, s[0:1], s19, v17
	v_addc_co_u32_e64 v18, s[0:1], 0, v18, s[0:1]
	s_cbranch_vccnz .LBB190_25
.LBB190_9:                              ; =>This Inner Loop Header: Depth=1
	v_mov_b32_e32 v25, s15
	v_add_co_u32_e32 v24, vcc, s14, v0
	v_addc_co_u32_e32 v25, vcc, 0, v25, vcc
	v_cmp_gt_u64_e32 vcc, s[12:13], v[24:25]
	v_mov_b32_e32 v25, 0
	s_and_saveexec_b64 s[2:3], vcc
	s_cbranch_execz .LBB190_11
; %bb.10:                               ;   in Loop: Header=BB190_9 Depth=1
	v_mov_b32_e32 v25, s9
	v_add_co_u32_e64 v24, s[0:1], s8, v1
	v_addc_co_u32_e64 v25, s[0:1], v2, v25, s[0:1]
	global_load_dword v25, v[24:25], off
.LBB190_11:                             ;   in Loop: Header=BB190_9 Depth=1
	s_or_b64 exec, exec, s[2:3]
	v_mov_b32_e32 v24, s15
	v_add_co_u32_e64 v26, s[0:1], s14, v13
	v_addc_co_u32_e64 v27, s[0:1], v14, v24, s[0:1]
	v_cmp_gt_u64_e64 s[0:1], s[12:13], v[26:27]
	v_mov_b32_e32 v24, 0
	v_mov_b32_e32 v26, 0
	s_and_saveexec_b64 s[4:5], s[0:1]
	s_cbranch_execz .LBB190_13
; %bb.12:                               ;   in Loop: Header=BB190_9 Depth=1
	v_mov_b32_e32 v27, s9
	v_add_co_u32_e64 v26, s[2:3], s8, v15
	v_addc_co_u32_e64 v27, s[2:3], v16, v27, s[2:3]
	global_load_dword v26, v[26:27], off
.LBB190_13:                             ;   in Loop: Header=BB190_9 Depth=1
	s_or_b64 exec, exec, s[4:5]
	v_mov_b32_e32 v28, s15
	v_add_co_u32_e64 v27, s[2:3], s14, v21
	v_addc_co_u32_e64 v28, s[2:3], v22, v28, s[2:3]
	v_cmp_gt_u64_e64 s[2:3], s[12:13], v[27:28]
	s_and_saveexec_b64 s[6:7], s[2:3]
	s_cbranch_execz .LBB190_15
; %bb.14:                               ;   in Loop: Header=BB190_9 Depth=1
	v_mov_b32_e32 v24, s9
	v_add_co_u32_e64 v27, s[4:5], s8, v9
	v_addc_co_u32_e64 v28, s[4:5], v10, v24, s[4:5]
	global_load_dword v24, v[27:28], off
.LBB190_15:                             ;   in Loop: Header=BB190_9 Depth=1
	s_or_b64 exec, exec, s[6:7]
	v_mov_b32_e32 v28, s15
	v_add_co_u32_e64 v27, s[4:5], s14, v19
	v_addc_co_u32_e64 v28, s[4:5], v20, v28, s[4:5]
	v_cmp_gt_u64_e64 s[4:5], s[12:13], v[27:28]
	v_mov_b32_e32 v27, 0
	s_and_saveexec_b64 s[16:17], s[4:5]
	s_cbranch_execnz .LBB190_20
; %bb.16:                               ;   in Loop: Header=BB190_9 Depth=1
	s_or_b64 exec, exec, s[16:17]
	s_and_saveexec_b64 s[6:7], vcc
	s_cbranch_execnz .LBB190_21
.LBB190_17:                             ;   in Loop: Header=BB190_9 Depth=1
	s_or_b64 exec, exec, s[6:7]
	s_and_saveexec_b64 s[6:7], s[0:1]
	s_cbranch_execnz .LBB190_22
.LBB190_18:                             ;   in Loop: Header=BB190_9 Depth=1
	s_or_b64 exec, exec, s[6:7]
	s_and_saveexec_b64 s[0:1], s[2:3]
	s_cbranch_execnz .LBB190_23
.LBB190_19:                             ;   in Loop: Header=BB190_9 Depth=1
	s_or_b64 exec, exec, s[0:1]
	s_and_saveexec_b64 s[0:1], s[4:5]
	s_cbranch_execz .LBB190_8
	s_branch .LBB190_24
.LBB190_20:                             ;   in Loop: Header=BB190_9 Depth=1
	v_mov_b32_e32 v28, s9
	v_add_co_u32_e64 v27, s[6:7], s8, v5
	v_addc_co_u32_e64 v28, s[6:7], v6, v28, s[6:7]
	global_load_dword v27, v[27:28], off
	s_or_b64 exec, exec, s[16:17]
	s_and_saveexec_b64 s[6:7], vcc
	s_cbranch_execz .LBB190_17
.LBB190_21:                             ;   in Loop: Header=BB190_9 Depth=1
	s_waitcnt vmcnt(0)
	v_cmp_gt_f32_e32 vcc, s20, v25
	v_cndmask_b32_e64 v28, 0, 32, vcc
	v_ldexp_f32 v25, v25, v28
	v_log_f32_e32 v25, v25
	v_mov_b32_e32 v29, s9
	v_cndmask_b32_e32 v30, 0, v23, vcc
	v_add_co_u32_e32 v28, vcc, s8, v3
	v_addc_co_u32_e32 v29, vcc, v4, v29, vcc
	v_sub_f32_e32 v25, v25, v30
	global_store_dword v[28:29], v25, off
	s_or_b64 exec, exec, s[6:7]
	s_and_saveexec_b64 s[6:7], s[0:1]
	s_cbranch_execz .LBB190_18
.LBB190_22:                             ;   in Loop: Header=BB190_9 Depth=1
	s_waitcnt vmcnt(0)
	v_cmp_gt_f32_e32 vcc, s20, v26
	v_cndmask_b32_e64 v28, 0, 32, vcc
	v_ldexp_f32 v26, v26, v28
	v_log_f32_e32 v26, v26
	v_cndmask_b32_e32 v25, 0, v23, vcc
	v_mov_b32_e32 v28, s9
	v_sub_f32_e32 v29, v26, v25
	v_add_co_u32_e32 v25, vcc, s8, v17
	v_addc_co_u32_e32 v26, vcc, v18, v28, vcc
	global_store_dword v[25:26], v29, off
	s_or_b64 exec, exec, s[6:7]
	s_and_saveexec_b64 s[0:1], s[2:3]
	s_cbranch_execz .LBB190_19
.LBB190_23:                             ;   in Loop: Header=BB190_9 Depth=1
	s_waitcnt vmcnt(0)
	v_cmp_gt_f32_e32 vcc, s20, v24
	v_cndmask_b32_e64 v26, 0, 32, vcc
	v_ldexp_f32 v24, v24, v26
	v_log_f32_e32 v24, v24
	v_cndmask_b32_e32 v25, 0, v23, vcc
	v_mov_b32_e32 v26, s9
	v_sub_f32_e32 v28, v24, v25
	v_add_co_u32_e32 v24, vcc, s8, v11
	v_addc_co_u32_e32 v25, vcc, v12, v26, vcc
	global_store_dword v[24:25], v28, off
	s_or_b64 exec, exec, s[0:1]
	s_and_saveexec_b64 s[0:1], s[4:5]
	s_cbranch_execz .LBB190_8
.LBB190_24:                             ;   in Loop: Header=BB190_9 Depth=1
	s_waitcnt vmcnt(0)
	v_cmp_gt_f32_e32 vcc, s20, v27
	v_cndmask_b32_e64 v25, 0, 32, vcc
	v_ldexp_f32 v25, v27, v25
	v_log_f32_e32 v25, v25
	v_cndmask_b32_e32 v24, 0, v23, vcc
	v_mov_b32_e32 v26, s9
	v_sub_f32_e32 v27, v25, v24
	v_add_co_u32_e32 v24, vcc, s8, v7
	v_addc_co_u32_e32 v25, vcc, v8, v26, vcc
	global_store_dword v[24:25], v27, off
	s_branch .LBB190_8
.LBB190_25:
	s_endpgm
	.section	.rodata,"a",@progbits
	.p2align	6, 0x0
	.amdhsa_kernel _ZN2at6native12_GLOBAL__N_125multi_tensor_apply_kernelINS1_18TensorListMetadataILi2EEENS1_14UnaryOpFunctorIfLi2ELi1ELi1EEEJNS0_4Log2IfEEEEEvT_T0_DpT1_
		.amdhsa_group_segment_fixed_size 0
		.amdhsa_private_segment_fixed_size 0
		.amdhsa_kernarg_size 3408
		.amdhsa_user_sgpr_count 6
		.amdhsa_user_sgpr_private_segment_buffer 1
		.amdhsa_user_sgpr_dispatch_ptr 0
		.amdhsa_user_sgpr_queue_ptr 0
		.amdhsa_user_sgpr_kernarg_segment_ptr 1
		.amdhsa_user_sgpr_dispatch_id 0
		.amdhsa_user_sgpr_flat_scratch_init 0
		.amdhsa_user_sgpr_private_segment_size 0
		.amdhsa_uses_dynamic_stack 0
		.amdhsa_system_sgpr_private_segment_wavefront_offset 0
		.amdhsa_system_sgpr_workgroup_id_x 1
		.amdhsa_system_sgpr_workgroup_id_y 0
		.amdhsa_system_sgpr_workgroup_id_z 0
		.amdhsa_system_sgpr_workgroup_info 0
		.amdhsa_system_vgpr_workitem_id 0
		.amdhsa_next_free_vgpr 31
		.amdhsa_next_free_sgpr 25
		.amdhsa_reserve_vcc 1
		.amdhsa_reserve_flat_scratch 0
		.amdhsa_float_round_mode_32 0
		.amdhsa_float_round_mode_16_64 0
		.amdhsa_float_denorm_mode_32 3
		.amdhsa_float_denorm_mode_16_64 3
		.amdhsa_dx10_clamp 1
		.amdhsa_ieee_mode 1
		.amdhsa_fp16_overflow 0
		.amdhsa_exception_fp_ieee_invalid_op 0
		.amdhsa_exception_fp_denorm_src 0
		.amdhsa_exception_fp_ieee_div_zero 0
		.amdhsa_exception_fp_ieee_overflow 0
		.amdhsa_exception_fp_ieee_underflow 0
		.amdhsa_exception_fp_ieee_inexact 0
		.amdhsa_exception_int_div_zero 0
	.end_amdhsa_kernel
	.section	.text._ZN2at6native12_GLOBAL__N_125multi_tensor_apply_kernelINS1_18TensorListMetadataILi2EEENS1_14UnaryOpFunctorIfLi2ELi1ELi1EEEJNS0_4Log2IfEEEEEvT_T0_DpT1_,"axG",@progbits,_ZN2at6native12_GLOBAL__N_125multi_tensor_apply_kernelINS1_18TensorListMetadataILi2EEENS1_14UnaryOpFunctorIfLi2ELi1ELi1EEEJNS0_4Log2IfEEEEEvT_T0_DpT1_,comdat
.Lfunc_end190:
	.size	_ZN2at6native12_GLOBAL__N_125multi_tensor_apply_kernelINS1_18TensorListMetadataILi2EEENS1_14UnaryOpFunctorIfLi2ELi1ELi1EEEJNS0_4Log2IfEEEEEvT_T0_DpT1_, .Lfunc_end190-_ZN2at6native12_GLOBAL__N_125multi_tensor_apply_kernelINS1_18TensorListMetadataILi2EEENS1_14UnaryOpFunctorIfLi2ELi1ELi1EEEJNS0_4Log2IfEEEEEvT_T0_DpT1_
                                        ; -- End function
	.set _ZN2at6native12_GLOBAL__N_125multi_tensor_apply_kernelINS1_18TensorListMetadataILi2EEENS1_14UnaryOpFunctorIfLi2ELi1ELi1EEEJNS0_4Log2IfEEEEEvT_T0_DpT1_.num_vgpr, 31
	.set _ZN2at6native12_GLOBAL__N_125multi_tensor_apply_kernelINS1_18TensorListMetadataILi2EEENS1_14UnaryOpFunctorIfLi2ELi1ELi1EEEJNS0_4Log2IfEEEEEvT_T0_DpT1_.num_agpr, 0
	.set _ZN2at6native12_GLOBAL__N_125multi_tensor_apply_kernelINS1_18TensorListMetadataILi2EEENS1_14UnaryOpFunctorIfLi2ELi1ELi1EEEJNS0_4Log2IfEEEEEvT_T0_DpT1_.numbered_sgpr, 25
	.set _ZN2at6native12_GLOBAL__N_125multi_tensor_apply_kernelINS1_18TensorListMetadataILi2EEENS1_14UnaryOpFunctorIfLi2ELi1ELi1EEEJNS0_4Log2IfEEEEEvT_T0_DpT1_.num_named_barrier, 0
	.set _ZN2at6native12_GLOBAL__N_125multi_tensor_apply_kernelINS1_18TensorListMetadataILi2EEENS1_14UnaryOpFunctorIfLi2ELi1ELi1EEEJNS0_4Log2IfEEEEEvT_T0_DpT1_.private_seg_size, 0
	.set _ZN2at6native12_GLOBAL__N_125multi_tensor_apply_kernelINS1_18TensorListMetadataILi2EEENS1_14UnaryOpFunctorIfLi2ELi1ELi1EEEJNS0_4Log2IfEEEEEvT_T0_DpT1_.uses_vcc, 1
	.set _ZN2at6native12_GLOBAL__N_125multi_tensor_apply_kernelINS1_18TensorListMetadataILi2EEENS1_14UnaryOpFunctorIfLi2ELi1ELi1EEEJNS0_4Log2IfEEEEEvT_T0_DpT1_.uses_flat_scratch, 0
	.set _ZN2at6native12_GLOBAL__N_125multi_tensor_apply_kernelINS1_18TensorListMetadataILi2EEENS1_14UnaryOpFunctorIfLi2ELi1ELi1EEEJNS0_4Log2IfEEEEEvT_T0_DpT1_.has_dyn_sized_stack, 0
	.set _ZN2at6native12_GLOBAL__N_125multi_tensor_apply_kernelINS1_18TensorListMetadataILi2EEENS1_14UnaryOpFunctorIfLi2ELi1ELi1EEEJNS0_4Log2IfEEEEEvT_T0_DpT1_.has_recursion, 0
	.set _ZN2at6native12_GLOBAL__N_125multi_tensor_apply_kernelINS1_18TensorListMetadataILi2EEENS1_14UnaryOpFunctorIfLi2ELi1ELi1EEEJNS0_4Log2IfEEEEEvT_T0_DpT1_.has_indirect_call, 0
	.section	.AMDGPU.csdata,"",@progbits
; Kernel info:
; codeLenInByte = 1536
; TotalNumSgprs: 29
; NumVgprs: 31
; ScratchSize: 0
; MemoryBound: 0
; FloatMode: 240
; IeeeMode: 1
; LDSByteSize: 0 bytes/workgroup (compile time only)
; SGPRBlocks: 3
; VGPRBlocks: 7
; NumSGPRsForWavesPerEU: 29
; NumVGPRsForWavesPerEU: 31
; Occupancy: 8
; WaveLimiterHint : 0
; COMPUTE_PGM_RSRC2:SCRATCH_EN: 0
; COMPUTE_PGM_RSRC2:USER_SGPR: 6
; COMPUTE_PGM_RSRC2:TRAP_HANDLER: 0
; COMPUTE_PGM_RSRC2:TGID_X_EN: 1
; COMPUTE_PGM_RSRC2:TGID_Y_EN: 0
; COMPUTE_PGM_RSRC2:TGID_Z_EN: 0
; COMPUTE_PGM_RSRC2:TIDIG_COMP_CNT: 0
	.section	.text._ZN2at6native12_GLOBAL__N_125multi_tensor_apply_kernelINS1_18TensorListMetadataILi2EEENS1_14UnaryOpFunctorIN3c107complexIdEELi2ELi1ELi1EEEJNS0_4Log2IS8_EEEEEvT_T0_DpT1_,"axG",@progbits,_ZN2at6native12_GLOBAL__N_125multi_tensor_apply_kernelINS1_18TensorListMetadataILi2EEENS1_14UnaryOpFunctorIN3c107complexIdEELi2ELi1ELi1EEEJNS0_4Log2IS8_EEEEEvT_T0_DpT1_,comdat
	.globl	_ZN2at6native12_GLOBAL__N_125multi_tensor_apply_kernelINS1_18TensorListMetadataILi2EEENS1_14UnaryOpFunctorIN3c107complexIdEELi2ELi1ELi1EEEJNS0_4Log2IS8_EEEEEvT_T0_DpT1_ ; -- Begin function _ZN2at6native12_GLOBAL__N_125multi_tensor_apply_kernelINS1_18TensorListMetadataILi2EEENS1_14UnaryOpFunctorIN3c107complexIdEELi2ELi1ELi1EEEJNS0_4Log2IS8_EEEEEvT_T0_DpT1_
	.p2align	8
	.type	_ZN2at6native12_GLOBAL__N_125multi_tensor_apply_kernelINS1_18TensorListMetadataILi2EEENS1_14UnaryOpFunctorIN3c107complexIdEELi2ELi1ELi1EEEJNS0_4Log2IS8_EEEEEvT_T0_DpT1_,@function
_ZN2at6native12_GLOBAL__N_125multi_tensor_apply_kernelINS1_18TensorListMetadataILi2EEENS1_14UnaryOpFunctorIN3c107complexIdEELi2ELi1ELi1EEEJNS0_4Log2IS8_EEEEEvT_T0_DpT1_: ; @_ZN2at6native12_GLOBAL__N_125multi_tensor_apply_kernelINS1_18TensorListMetadataILi2EEENS1_14UnaryOpFunctorIN3c107complexIdEELi2ELi1ELi1EEEJNS0_4Log2IS8_EEEEEvT_T0_DpT1_
; %bb.0:
	v_mov_b32_e32 v1, s6
	global_load_ubyte v1, v1, s[4:5] offset:1536
	s_add_u32 s0, s4, s6
	s_mul_hi_u32 s2, s6, 3
	s_mul_i32 s6, s6, 3
	s_addc_u32 s7, s5, 0
	s_add_u32 s6, s0, s6
	s_addc_u32 s7, s7, s2
	s_load_dword s14, s[6:7], 0x740
	s_mov_b32 s1, 0
	s_mov_b32 s3, s1
	s_waitcnt lgkmcnt(0)
	s_ashr_i32 s15, s14, 31
	s_lshl_b64 s[12:13], s[14:15], 20
	s_waitcnt vmcnt(0)
	v_readfirstlane_b32 s0, v1
	s_lshl_b32 s0, s0, 3
	s_load_dwordx2 s[6:7], s[4:5], s0 offset:0x0
	s_load_dwordx2 s[8:9], s[4:5], s0 offset:0x400
	;; [unrolled: 1-line block ×3, first 2 shown]
	s_waitcnt lgkmcnt(0)
	s_add_u32 s33, s6, s12
	s_addc_u32 s63, s7, s13
	s_and_b32 s0, s33, 63
	s_add_u32 s56, s10, s12
	s_addc_u32 s57, s11, s13
	s_lshl_b64 s[6:7], s[14:15], 16
	s_and_b32 s2, s56, 63
	s_sub_u32 s10, s8, s6
	s_subb_u32 s11, s9, s7
	s_and_b32 s6, s8, 3
	s_mov_b32 s7, s1
	s_or_b64 s[2:3], s[2:3], s[6:7]
	s_or_b64 s[0:1], s[2:3], s[0:1]
	s_cmp_eq_u64 s[0:1], 0
	s_mov_b64 s[0:1], -1
	s_cbranch_scc0 .LBB191_141
; %bb.1:
	v_mov_b32_e32 v1, 0x10000
	v_mov_b32_e32 v2, 0
                                        ; implicit-def: $vgpr78 : SGPR spill to VGPR lane
	v_cmp_lt_i64_e32 vcc, s[10:11], v[1:2]
	v_writelane_b32 v78, s4, 0
	v_writelane_b32 v78, s5, 1
	v_mov_b32_e32 v17, 0
	s_and_b64 s[0:1], vcc, exec
	s_mov_b32 s47, s63
	s_cselect_b32 s13, s11, 0
	v_writelane_b32 v78, s10, 2
	s_cselect_b32 s12, s10, 0x10000
	v_lshlrev_b32_e32 v1, 2, v0
	v_mov_b32_e32 v2, v17
	v_writelane_b32 v78, s11, 3
	v_cmp_gt_i64_e32 vcc, s[12:13], v[1:2]
	s_mov_b64 s[0:1], exec
	v_writelane_b32 v78, s0, 4
	v_writelane_b32 v78, s1, 5
	s_and_b64 s[0:1], s[0:1], vcc
	s_mov_b64 exec, s[0:1]
	s_cbranch_execz .LBB191_140
; %bb.2:
	v_readlane_b32 s0, v78, 0
	v_readlane_b32 s1, v78, 1
	s_load_dword s0, s[0:1], 0xc5c
	v_mov_b32_e32 v1, v17
	s_mov_b32 s22, 0x55555555
	s_mov_b32 s24, 0xbf559e2b
	;; [unrolled: 1-line block ×27, first 2 shown]
	v_mov_b32_e32 v24, v1
	s_mov_b32 s94, 0
	s_mov_b32 s80, 0
	v_mov_b32_e32 v59, s47
	s_brev_b32 s44, -2
	s_waitcnt lgkmcnt(0)
	s_and_b32 s45, s0, 0xffff
	s_mov_b32 s23, 0x3fe55555
	s_mov_b32 s25, 0x3fc3ab76
	s_mov_b32 s27, 0x3fc7474d
	s_mov_b32 s29, 0x3fcc71c0
	s_mov_b32 s31, 0x3fd24924
	s_mov_b32 s35, 0x3fd99999
	s_mov_b32 s37, 0x3fe62e42
	s_mov_b32 s39, 0x3c7abc9e
	s_mov_b32 s41, 0x3eeba404
	s_mov_b32 s49, 0xbf8c6ea4
	s_mov_b32 s51, 0x3f967e29
	s_mov_b32 s53, 0xbf9e9ae6
	s_mov_b32 s55, 0x3fa2c15b
	s_mov_b32 s43, 0xbfa59976
	s_mov_b32 s59, 0x3fa82d5d
	s_mov_b32 s61, 0xbfaae5ce
	s_mov_b32 s63, 0x3fae1bb4
	s_mov_b32 s65, 0xbfb110e4
	s_mov_b32 s67, 0x3fb3b136
	s_mov_b32 s69, 0xbfb745d1
	s_mov_b32 s71, 0x3fbc71c7
	s_mov_b32 s73, 0xbfc24924
	s_mov_b32 s75, 0x3fc99999
	s_mov_b32 s77, 0xbfd55555
	s_movk_i32 s46, 0x204
	s_mov_b32 s15, 0x3ff921fb
	s_mov_b32 s85, 0x4005bf0a
	;; [unrolled: 1-line block ×3, first 2 shown]
	v_mov_b32_e32 v19, 0x6b47b09a
	v_mov_b32_e32 v20, 0x3fc38538
	;; [unrolled: 1-line block ×12, first 2 shown]
	s_mov_b64 s[88:89], 0
	s_mov_b32 s90, 0x55555780
	s_brev_b32 s95, 4
	s_brev_b32 s81, 1
	s_mov_b32 s79, 0x400921fb
	s_branch .LBB191_5
.LBB191_3:                              ;   in Loop: Header=BB191_5 Depth=1
	s_or_b64 exec, exec, s[2:3]
	v_frexp_mant_f64_e32 v[1:2], v[13:14]
	s_mov_b32 s91, s23
	v_cmp_gt_f64_e32 vcc, s[22:23], v[1:2]
	v_cndmask_b32_e64 v3, 0, 1, vcc
	v_ldexp_f64 v[1:2], v[1:2], v3
	v_frexp_exp_i32_f64_e32 v3, v[13:14]
	v_add_f64 v[35:36], v[1:2], 1.0
	v_add_f64 v[41:42], v[1:2], -1.0
	v_subbrev_co_u32_e32 v3, vcc, 0, v3, vcc
	v_cmp_class_f64_e64 vcc, v[13:14], s46
	v_rcp_f64_e32 v[37:38], v[35:36]
	v_add_f64 v[43:44], v[35:36], -1.0
	v_add_f64 v[1:2], v[1:2], -v[43:44]
	v_fma_f64 v[39:40], -v[35:36], v[37:38], 1.0
	v_fma_f64 v[37:38], v[39:40], v[37:38], v[37:38]
	v_fma_f64 v[39:40], -v[35:36], v[37:38], 1.0
	v_fma_f64 v[37:38], v[39:40], v[37:38], v[37:38]
	v_mul_f64 v[39:40], v[41:42], v[37:38]
	v_mul_f64 v[45:46], v[35:36], v[39:40]
	v_fma_f64 v[35:36], v[39:40], v[35:36], -v[45:46]
	v_fma_f64 v[1:2], v[39:40], v[1:2], v[35:36]
	v_add_f64 v[35:36], v[45:46], v[1:2]
	v_add_f64 v[43:44], v[41:42], -v[35:36]
	v_add_f64 v[45:46], v[35:36], -v[45:46]
	;; [unrolled: 1-line block ×5, first 2 shown]
	v_add_f64 v[1:2], v[1:2], v[35:36]
	v_add_f64 v[1:2], v[43:44], v[1:2]
	v_mul_f64 v[1:2], v[37:38], v[1:2]
	v_add_f64 v[35:36], v[39:40], v[1:2]
	v_mul_f64 v[37:38], v[35:36], v[35:36]
	v_fma_f64 v[41:42], v[37:38], s[24:25], v[19:20]
	v_mul_f64 v[43:44], v[35:36], v[37:38]
	v_fma_f64 v[41:42], v[37:38], v[41:42], s[26:27]
	v_fma_f64 v[41:42], v[37:38], v[41:42], s[28:29]
	;; [unrolled: 1-line block ×5, first 2 shown]
	v_ldexp_f64 v[41:42], v[35:36], 1
	v_add_f64 v[35:36], v[35:36], -v[39:40]
	v_mul_f64 v[37:38], v[43:44], v[37:38]
	v_cvt_f64_i32_e32 v[43:44], v3
	v_add_f64 v[1:2], v[1:2], -v[35:36]
	v_mul_f64 v[45:46], v[43:44], s[36:37]
	v_add_f64 v[39:40], v[41:42], v[37:38]
	v_ldexp_f64 v[1:2], v[1:2], 1
	v_add_f64 v[35:36], v[39:40], -v[41:42]
	v_fma_f64 v[41:42], v[43:44], s[36:37], -v[45:46]
	v_add_f64 v[35:36], v[37:38], -v[35:36]
	v_fma_f64 v[37:38], v[43:44], s[38:39], v[41:42]
	v_add_f64 v[1:2], v[1:2], v[35:36]
	v_add_f64 v[35:36], v[45:46], v[37:38]
	;; [unrolled: 1-line block ×3, first 2 shown]
	v_add_f64 v[45:46], v[35:36], -v[45:46]
	v_add_f64 v[43:44], v[35:36], v[41:42]
	v_add_f64 v[39:40], v[41:42], -v[39:40]
	v_add_f64 v[37:38], v[37:38], -v[45:46]
	;; [unrolled: 1-line block ×6, first 2 shown]
	v_add_f64 v[41:42], v[37:38], v[1:2]
	v_add_f64 v[35:36], v[35:36], -v[49:50]
	v_add_f64 v[35:36], v[39:40], v[35:36]
	v_add_f64 v[39:40], v[41:42], -v[37:38]
	;; [unrolled: 2-line block ×3, first 2 shown]
	v_add_f64 v[1:2], v[1:2], -v[39:40]
	v_add_f64 v[45:46], v[43:44], v[35:36]
	v_add_f64 v[37:38], v[37:38], -v[41:42]
	v_add_f64 v[39:40], v[45:46], -v[43:44]
	v_add_f64 v[1:2], v[1:2], v[37:38]
	v_add_f64 v[35:36], v[35:36], -v[39:40]
	v_add_f64 v[1:2], v[1:2], v[35:36]
	v_mov_b32_e32 v35, 0
	v_mov_b32_e32 v36, 0x7ff80000
	v_add_f64 v[1:2], v[45:46], v[1:2]
	v_cndmask_b32_e32 v1, v1, v13, vcc
	v_cndmask_b32_e32 v2, v2, v14, vcc
	v_cmp_ngt_f64_e32 vcc, 0, v[13:14]
	v_cndmask_b32_e32 v2, v61, v2, vcc
	v_cmp_nge_f64_e32 vcc, 0, v[13:14]
	v_cndmask_b32_e32 v37, 0, v1, vcc
	v_cmp_neq_f64_e32 vcc, 0, v[13:14]
	v_cndmask_b32_e32 v38, v62, v2, vcc
.LBB191_4:                              ;   in Loop: Header=BB191_5 Depth=1
	s_or_b64 exec, exec, s[0:1]
	v_bfi_b32 v10, s44, v10, v16
	v_bfi_b32 v6, s44, v6, v12
	;; [unrolled: 1-line block ×3, first 2 shown]
	v_fma_f64 v[1:2], v[9:10], 0, v[33:34]
	v_fma_f64 v[9:10], v[33:34], s[80:81], v[9:10]
	;; [unrolled: 1-line block ×5, first 2 shown]
	v_bfi_b32 v36, s44, v36, v4
	v_fma_f64 v[13:14], v[31:32], s[80:81], v[5:6]
	v_fma_f64 v[29:30], v[35:36], 0, v[37:38]
	;; [unrolled: 1-line block ×3, first 2 shown]
	v_mul_f64 v[3:4], v[9:10], s[86:87]
	v_mul_f64 v[5:6], v[11:12], s[86:87]
	;; [unrolled: 1-line block ×4, first 2 shown]
	v_mov_b32_e32 v18, s57
	v_add_co_u32_e32 v25, vcc, s56, v25
	v_mul_f64 v[1:2], v[1:2], s[86:87]
	v_mul_f64 v[7:8], v[13:14], s[86:87]
	;; [unrolled: 1-line block ×4, first 2 shown]
	v_addc_co_u32_e32 v26, vcc, v18, v26, vcc
	v_add_co_u32_e32 v23, vcc, s45, v23
	v_addc_co_u32_e32 v24, vcc, 0, v24, vcc
	global_store_dwordx4 v[25:26], v[9:12], off
	global_store_dwordx4 v[25:26], v[5:8], off offset:16
	v_lshlrev_b64 v[9:10], 2, v[23:24]
	global_store_dwordx4 v[25:26], v[1:4], off offset:32
	v_cmp_le_i64_e32 vcc, s[12:13], v[9:10]
	global_store_dwordx4 v[25:26], v[13:16], off offset:48
	s_or_b64 s[88:89], vcc, s[88:89]
	s_andn2_b64 exec, exec, s[88:89]
	s_cbranch_execz .LBB191_140
.LBB191_5:                              ; =>This Loop Header: Depth=1
                                        ;     Child Loop BB191_16 Depth 2
                                        ;     Child Loop BB191_50 Depth 2
	;; [unrolled: 1-line block ×4, first 2 shown]
	v_lshlrev_b64 v[25:26], 6, v[23:24]
                                        ; implicit-def: $vgpr29_vgpr30
                                        ; implicit-def: $vgpr27_vgpr28
	v_add_co_u32_e32 v13, vcc, s33, v25
	v_addc_co_u32_e32 v14, vcc, v59, v26, vcc
	global_load_dwordx4 v[5:8], v[13:14], off
	global_load_dwordx4 v[9:12], v[13:14], off offset:16
	global_load_dwordx4 v[1:4], v[13:14], off offset:48
	s_nop 0
	global_load_dwordx4 v[13:16], v[13:14], off offset:32
	s_waitcnt vmcnt(3)
	v_cmp_o_f64_e32 vcc, v[5:6], v[7:8]
	s_and_saveexec_b64 s[0:1], vcc
	s_xor_b64 s[92:93], exec, s[0:1]
	s_cbranch_execz .LBB191_33
; %bb.6:                                ;   in Loop: Header=BB191_5 Depth=1
	v_cmp_lt_f64_e64 s[0:1], |v[5:6]|, |v[7:8]|
	v_and_b32_e32 v18, 0x7fffffff, v6
	v_and_b32_e32 v31, 0x7fffffff, v8
	s_mov_b32 s2, 0x85ebc8a0
	s_mov_b32 s3, 0x7fd1ccf3
	v_mov_b32_e32 v32, v7
                                        ; implicit-def: $vgpr29_vgpr30
                                        ; implicit-def: $vgpr27_vgpr28
	v_cndmask_b32_e64 v34, v31, v18, s[0:1]
	v_cndmask_b32_e64 v33, v7, v5, s[0:1]
	v_cmp_nlt_f64_e32 vcc, s[2:3], v[33:34]
	s_and_saveexec_b64 s[2:3], vcc
	s_xor_b64 s[18:19], exec, s[2:3]
	s_cbranch_execz .LBB191_30
; %bb.7:                                ;   in Loop: Header=BB191_5 Depth=1
	v_cndmask_b32_e64 v36, v18, v31, s[0:1]
	v_cndmask_b32_e64 v35, v5, v32, s[0:1]
	v_cmp_neq_f64_e32 vcc, 1.0, v[35:36]
                                        ; implicit-def: $vgpr29_vgpr30
                                        ; implicit-def: $vgpr27_vgpr28
	s_and_saveexec_b64 s[2:3], vcc
	s_xor_b64 s[20:21], exec, s[2:3]
	s_cbranch_execz .LBB191_23
; %bb.8:                                ;   in Loop: Header=BB191_5 Depth=1
	v_max_f64 v[27:28], v[33:34], v[33:34]
	v_max_f64 v[29:30], v[35:36], v[35:36]
	s_mov_b32 s2, 0x4ad4b81f
	s_mov_b32 s3, 0x358dee7a
	v_min_f64 v[31:32], v[29:30], v[27:28]
	v_max_f64 v[27:28], v[29:30], v[27:28]
                                        ; implicit-def: $vgpr29_vgpr30
	v_cmp_ngt_f64_e32 vcc, s[2:3], v[31:32]
	s_mov_b32 s2, 0xc57e649a
	s_mov_b32 s3, 0x4a511b0e
	v_cmp_nlt_f64_e64 s[2:3], s[2:3], v[27:28]
                                        ; implicit-def: $vgpr27_vgpr28
	s_and_b64 s[2:3], s[2:3], vcc
	s_and_saveexec_b64 s[4:5], s[2:3]
	s_xor_b64 s[82:83], exec, s[4:5]
	s_cbranch_execz .LBB191_20
; %bb.9:                                ;   in Loop: Header=BB191_5 Depth=1
	v_cmp_le_f64_e32 vcc, 1.0, v[35:36]
                                        ; implicit-def: $vgpr29_vgpr30
                                        ; implicit-def: $vgpr27_vgpr28
	s_and_saveexec_b64 s[2:3], vcc
	s_xor_b64 s[10:11], exec, s[2:3]
	s_cbranch_execz .LBB191_11
; %bb.10:                               ;   in Loop: Header=BB191_5 Depth=1
	v_add_f64 v[27:28], v[35:36], -1.0
	v_add_f64 v[29:30], v[35:36], 1.0
	s_mov_b32 s91, s23
	s_mov_b32 s78, s14
	;; [unrolled: 1-line block ×4, first 2 shown]
	v_cmp_class_f64_e64 s[16:17], v[5:6], s46
	v_cmp_class_f64_e64 s[4:5], v[7:8], s46
	v_mul_f64 v[27:28], v[27:28], v[29:30]
	v_fma_f64 v[30:31], v[33:34], v[33:34], v[27:28]
	v_add_f64 v[27:28], v[30:31], 1.0
	v_cmp_nge_f64_e64 s[6:7], -1.0, v[30:31]
	v_cmp_neq_f64_e64 s[8:9], s[8:9], v[30:31]
	v_frexp_mant_f64_e32 v[34:35], v[27:28]
	v_frexp_exp_i32_f64_e32 v18, v[27:28]
	v_add_f64 v[32:33], v[27:28], -1.0
	v_cmp_gt_f64_e32 vcc, s[22:23], v[34:35]
	v_add_f64 v[36:37], v[32:33], -v[27:28]
	v_add_f64 v[32:33], v[30:31], -v[32:33]
	v_subbrev_co_u32_e32 v18, vcc, 0, v18, vcc
	v_sub_u32_e32 v29, 0, v18
	v_ldexp_f64 v[27:28], v[27:28], v29
	v_add_f64 v[34:35], v[36:37], 1.0
	v_add_f64 v[36:37], v[27:28], 1.0
	v_add_f64 v[32:33], v[32:33], v[34:35]
	v_add_f64 v[42:43], v[27:28], -1.0
	v_add_f64 v[34:35], v[36:37], -1.0
	v_ldexp_f64 v[32:33], v[32:33], v29
	v_add_f64 v[44:45], v[42:43], 1.0
	v_add_f64 v[34:35], v[27:28], -v[34:35]
	v_add_f64 v[27:28], v[27:28], -v[44:45]
	v_add_f64 v[38:39], v[32:33], v[34:35]
	v_add_f64 v[44:45], v[32:33], v[27:28]
	;; [unrolled: 1-line block ×3, first 2 shown]
	v_rcp_f64_e32 v[40:41], v[34:35]
	v_add_f64 v[36:37], v[34:35], -v[36:37]
	v_add_f64 v[38:39], v[38:39], -v[36:37]
	v_fma_f64 v[46:47], -v[34:35], v[40:41], 1.0
	v_fma_f64 v[40:41], v[46:47], v[40:41], v[40:41]
	v_add_f64 v[46:47], v[42:43], v[44:45]
	v_fma_f64 v[27:28], -v[34:35], v[40:41], 1.0
	v_add_f64 v[42:43], v[46:47], -v[42:43]
	v_fma_f64 v[27:28], v[27:28], v[40:41], v[40:41]
	v_add_f64 v[42:43], v[44:45], -v[42:43]
	v_mul_f64 v[32:33], v[46:47], v[27:28]
	v_mul_f64 v[40:41], v[34:35], v[32:33]
	v_fma_f64 v[36:37], v[32:33], v[34:35], -v[40:41]
	v_fma_f64 v[48:49], v[32:33], v[38:39], v[36:37]
	v_add_f64 v[50:51], v[40:41], v[48:49]
	v_add_f64 v[36:37], v[46:47], -v[50:51]
	v_add_f64 v[40:41], v[50:51], -v[40:41]
	;; [unrolled: 1-line block ×5, first 2 shown]
	v_add_f64 v[42:43], v[42:43], v[44:45]
	v_max_f64 v[44:45], |v[5:6]|, |v[5:6]|
	v_ashrrev_i32_e32 v5, 31, v6
	v_add_f64 v[40:41], v[40:41], v[42:43]
	v_max_f64 v[42:43], |v[7:8]|, |v[7:8]|
	v_add_f64 v[46:47], v[36:37], v[40:41]
	v_max_f64 v[48:49], v[44:45], v[42:43]
	v_min_f64 v[42:43], v[44:45], v[42:43]
	v_mul_f64 v[44:45], v[27:28], v[46:47]
	v_add_f64 v[36:37], v[36:37], -v[46:47]
	v_div_scale_f64 v[50:51], s[2:3], v[48:49], v[48:49], v[42:43]
	s_mov_b32 s2, 0x69efb384
	s_mov_b32 s3, 0x3f4b2bb0
	v_mul_f64 v[52:53], v[34:35], v[44:45]
	v_add_f64 v[36:37], v[40:41], v[36:37]
	v_fma_f64 v[34:35], v[44:45], v[34:35], -v[52:53]
	v_rcp_f64_e32 v[54:55], v[50:51]
	v_fma_f64 v[34:35], v[44:45], v[38:39], v[34:35]
	v_add_f64 v[38:39], v[52:53], v[34:35]
	v_fma_f64 v[56:57], -v[50:51], v[54:55], 1.0
	v_add_f64 v[67:68], v[46:47], -v[38:39]
	v_add_f64 v[40:41], v[38:39], -v[52:53]
	v_fma_f64 v[54:55], v[54:55], v[56:57], v[54:55]
	v_div_scale_f64 v[56:57], vcc, v[42:43], v[48:49], v[42:43]
	v_add_f64 v[46:47], v[46:47], -v[67:68]
	v_add_f64 v[34:35], v[40:41], -v[34:35]
	v_fma_f64 v[69:70], -v[50:51], v[54:55], 1.0
	v_add_f64 v[40:41], v[32:33], v[44:45]
	v_add_f64 v[38:39], v[46:47], -v[38:39]
	v_fma_f64 v[46:47], v[54:55], v[69:70], v[54:55]
	v_add_f64 v[32:33], v[40:41], -v[32:33]
	v_add_f64 v[36:37], v[36:37], v[38:39]
	v_mul_f64 v[38:39], v[56:57], v[46:47]
	v_add_f64 v[32:33], v[44:45], -v[32:33]
	v_add_f64 v[34:35], v[34:35], v[36:37]
	v_fma_f64 v[36:37], -v[50:51], v[38:39], v[56:57]
	v_add_f64 v[34:35], v[67:68], v[34:35]
	v_div_fmas_f64 v[36:37], v[36:37], v[46:47], v[38:39]
	v_cmp_gt_i32_e32 vcc, 0, v6
	v_cndmask_b32_e32 v29, v65, v66, vcc
	v_mul_f64 v[27:28], v[27:28], v[34:35]
	v_add_f64 v[27:28], v[32:33], v[27:28]
	v_div_fixup_f64 v[32:33], v[36:37], v[48:49], v[42:43]
	v_add_f64 v[34:35], v[40:41], v[27:28]
	v_mul_f64 v[36:37], v[32:33], v[32:33]
	v_mul_f64 v[38:39], v[34:35], v[34:35]
	v_fma_f64 v[42:43], v[36:37], s[40:41], v[21:22]
	v_fma_f64 v[44:45], v[38:39], s[24:25], v[19:20]
	v_mul_f64 v[46:47], v[34:35], v[38:39]
	v_fma_f64 v[42:43], v[36:37], v[42:43], s[2:3]
	s_mov_b32 s2, 0xaf56de9b
	s_mov_b32 s3, 0xbf67952d
	v_fma_f64 v[44:45], v[38:39], v[44:45], s[26:27]
	v_fma_f64 v[42:43], v[36:37], v[42:43], s[2:3]
	s_mov_b32 s2, 0xa595c56f
	s_mov_b32 s3, 0x3f7d6d43
	v_fma_f64 v[44:45], v[38:39], v[44:45], s[28:29]
	v_fma_f64 v[42:43], v[36:37], v[42:43], s[2:3]
	v_cmp_eq_f64_e64 s[2:3], 0, v[7:8]
	v_fma_f64 v[44:45], v[38:39], v[44:45], s[30:31]
	v_fma_f64 v[42:43], v[36:37], v[42:43], s[48:49]
	;; [unrolled: 1-line block ×5, first 2 shown]
	v_ldexp_f64 v[44:45], v[34:35], 1
	v_fma_f64 v[42:43], v[36:37], v[42:43], s[52:53]
	v_add_f64 v[34:35], v[34:35], -v[40:41]
	v_mul_f64 v[38:39], v[46:47], v[38:39]
	v_cvt_f64_i32_e32 v[46:47], v18
	v_fma_f64 v[42:43], v[36:37], v[42:43], s[54:55]
	v_add_f64 v[27:28], v[27:28], -v[34:35]
	v_cndmask_b32_e32 v18, v63, v64, vcc
	v_mul_f64 v[48:49], v[46:47], s[36:37]
	v_add_f64 v[40:41], v[44:45], v[38:39]
	v_fma_f64 v[42:43], v[36:37], v[42:43], s[42:43]
	v_ldexp_f64 v[27:28], v[27:28], 1
	v_add_f64 v[34:35], v[40:41], -v[44:45]
	v_fma_f64 v[44:45], v[46:47], s[36:37], -v[48:49]
	v_fma_f64 v[42:43], v[36:37], v[42:43], s[58:59]
	v_add_f64 v[34:35], v[38:39], -v[34:35]
	v_fma_f64 v[38:39], v[36:37], v[42:43], s[60:61]
	v_fma_f64 v[42:43], v[46:47], s[38:39], v[44:45]
	v_add_f64 v[27:28], v[27:28], v[34:35]
	v_fma_f64 v[34:35], v[36:37], v[38:39], s[62:63]
	v_add_f64 v[38:39], v[48:49], v[42:43]
	v_add_f64 v[44:45], v[40:41], v[27:28]
	v_fma_f64 v[34:35], v[36:37], v[34:35], s[64:65]
	v_add_f64 v[48:49], v[38:39], -v[48:49]
	v_add_f64 v[46:47], v[38:39], v[44:45]
	v_add_f64 v[40:41], v[44:45], -v[40:41]
	v_fma_f64 v[34:35], v[36:37], v[34:35], s[66:67]
	v_add_f64 v[42:43], v[42:43], -v[48:49]
	v_add_f64 v[50:51], v[46:47], -v[38:39]
	;; [unrolled: 1-line block ×3, first 2 shown]
	v_fma_f64 v[34:35], v[36:37], v[34:35], s[68:69]
	v_add_f64 v[52:53], v[46:47], -v[50:51]
	v_add_f64 v[40:41], v[44:45], -v[50:51]
	v_fma_f64 v[34:35], v[36:37], v[34:35], s[70:71]
	v_add_f64 v[44:45], v[42:43], v[27:28]
	v_add_f64 v[38:39], v[38:39], -v[52:53]
	v_fma_f64 v[34:35], v[36:37], v[34:35], s[72:73]
	v_add_f64 v[38:39], v[40:41], v[38:39]
	;; [unrolled: 3-line block ×3, first 2 shown]
	v_add_f64 v[44:45], v[44:45], -v[40:41]
	v_fma_f64 v[34:35], v[36:37], v[34:35], s[76:77]
	v_add_f64 v[27:28], v[27:28], -v[40:41]
	v_add_f64 v[48:49], v[46:47], v[38:39]
	v_mul_f64 v[34:35], v[36:37], v[34:35]
	v_add_f64 v[36:37], v[42:43], -v[44:45]
	v_add_f64 v[40:41], v[48:49], -v[46:47]
	v_fma_f64 v[32:33], v[32:33], v[34:35], v[32:33]
	v_add_f64 v[27:28], v[27:28], v[36:37]
	v_add_f64 v[34:35], v[38:39], -v[40:41]
	v_add_f64 v[36:37], -v[32:33], s[14:15]
	v_add_f64 v[27:28], v[27:28], v[34:35]
	v_cndmask_b32_e64 v33, v33, v37, s[0:1]
	v_cndmask_b32_e64 v32, v32, v36, s[0:1]
	v_add_f64 v[34:35], -v[32:33], s[78:79]
	v_and_b32_e32 v36, 0x54442d18, v5
	v_add_f64 v[27:28], v[48:49], v[27:28]
	v_cndmask_b32_e32 v32, v32, v34, vcc
	v_and_b32_e32 v34, 0x400921fb, v5
	v_cndmask_b32_e64 v32, v32, v36, s[2:3]
	v_mul_f64 v[5:6], v[27:28], 0.5
	v_cndmask_b32_e32 v28, v33, v35, vcc
	v_cndmask_b32_e64 v28, v28, v34, s[2:3]
	s_and_b64 s[2:3], s[6:7], s[8:9]
	v_bfi_b32 v27, s44, v29, v8
	s_and_b64 vcc, s[16:17], s[4:5]
	v_cndmask_b32_e32 v28, v28, v27, vcc
	v_cndmask_b32_e32 v27, v32, v18, vcc
	v_cndmask_b32_e64 v29, 0, v5, s[2:3]
	v_cmp_ngt_f64_e64 s[2:3], -1.0, v[30:31]
	v_cndmask_b32_e64 v6, v60, v6, s[8:9]
                                        ; implicit-def: $vgpr33_vgpr34
                                        ; implicit-def: $vgpr35_vgpr36
	v_cndmask_b32_e64 v5, v61, v6, s[2:3]
	v_cmp_neq_f64_e64 s[2:3], -1.0, v[30:31]
	v_cndmask_b32_e64 v30, v62, v5, s[2:3]
.LBB191_11:                             ;   in Loop: Header=BB191_5 Depth=1
	s_andn2_saveexec_b64 s[10:11], s[10:11]
	s_cbranch_execz .LBB191_19
; %bb.12:                               ;   in Loop: Header=BB191_5 Depth=1
	v_mul_f64 v[27:28], v[33:34], v[33:34]
	s_mov_b32 s2, 0x66666666
	s_mov_b32 s3, 0x3fe66666
                                        ; implicit-def: $vgpr29_vgpr30
	v_fma_f64 v[31:32], v[35:36], v[35:36], v[27:28]
                                        ; implicit-def: $vgpr27_vgpr28
	v_cmp_ge_f64_e32 vcc, s[2:3], v[31:32]
	s_and_saveexec_b64 s[2:3], vcc
	s_xor_b64 s[8:9], exec, s[2:3]
	s_cbranch_execz .LBB191_14
; %bb.13:                               ;   in Loop: Header=BB191_5 Depth=1
	v_frexp_mant_f64_e32 v[27:28], v[31:32]
	v_max_f64 v[37:38], |v[7:8]|, |v[7:8]|
	v_max_f64 v[39:40], |v[5:6]|, |v[5:6]|
	s_mov_b32 s91, s23
	s_mov_b32 s78, s14
	v_cmp_class_f64_e64 s[16:17], v[5:6], s46
	v_ashrrev_i32_e32 v5, 31, v6
	v_cmp_neq_f64_e64 s[6:7], 0, v[31:32]
	v_cmp_gt_f64_e64 s[2:3], s[22:23], v[27:28]
	v_cndmask_b32_e64 v18, 0, 1, s[2:3]
	v_ldexp_f64 v[27:28], v[27:28], v18
	v_frexp_exp_i32_f64_e32 v18, v[31:32]
	v_add_f64 v[29:30], v[27:28], 1.0
	v_add_f64 v[43:44], v[27:28], -1.0
	v_rcp_f64_e32 v[33:34], v[29:30]
	v_add_f64 v[47:48], v[29:30], -1.0
	v_add_f64 v[27:28], v[27:28], -v[47:48]
	v_fma_f64 v[35:36], -v[29:30], v[33:34], 1.0
	v_fma_f64 v[33:34], v[35:36], v[33:34], v[33:34]
	v_max_f64 v[35:36], v[39:40], v[37:38]
	v_min_f64 v[37:38], v[39:40], v[37:38]
	v_fma_f64 v[39:40], -v[29:30], v[33:34], 1.0
	v_div_scale_f64 v[41:42], s[4:5], v[35:36], v[35:36], v[37:38]
	s_mov_b32 s4, 0x69efb384
	s_mov_b32 s5, 0x3f4b2bb0
	v_fma_f64 v[33:34], v[39:40], v[33:34], v[33:34]
	v_mul_f64 v[39:40], v[43:44], v[33:34]
	v_rcp_f64_e32 v[45:46], v[41:42]
	v_mul_f64 v[49:50], v[29:30], v[39:40]
	v_fma_f64 v[29:30], v[39:40], v[29:30], -v[49:50]
	v_fma_f64 v[47:48], -v[41:42], v[45:46], 1.0
	v_fma_f64 v[27:28], v[39:40], v[27:28], v[29:30]
	v_fma_f64 v[29:30], v[45:46], v[47:48], v[45:46]
	v_div_scale_f64 v[47:48], vcc, v[37:38], v[35:36], v[37:38]
	v_add_f64 v[45:46], v[49:50], v[27:28]
	v_fma_f64 v[51:52], -v[41:42], v[29:30], 1.0
	v_add_f64 v[53:54], v[43:44], -v[45:46]
	v_add_f64 v[49:50], v[45:46], -v[49:50]
	v_fma_f64 v[29:30], v[29:30], v[51:52], v[29:30]
	v_add_f64 v[43:44], v[43:44], -v[53:54]
	v_add_f64 v[27:28], v[49:50], -v[27:28]
	v_mul_f64 v[51:52], v[47:48], v[29:30]
	v_add_f64 v[43:44], v[43:44], -v[45:46]
	v_fma_f64 v[41:42], -v[41:42], v[51:52], v[47:48]
	v_add_f64 v[27:28], v[27:28], v[43:44]
	v_div_fmas_f64 v[29:30], v[41:42], v[29:30], v[51:52]
	v_subbrev_co_u32_e64 v18, vcc, 0, v18, s[2:3]
	v_cmp_eq_f64_e64 s[2:3], 0, v[7:8]
	v_cmp_gt_i32_e32 vcc, 0, v6
	v_add_f64 v[27:28], v[53:54], v[27:28]
	v_mul_f64 v[27:28], v[33:34], v[27:28]
	v_div_fixup_f64 v[29:30], v[29:30], v[35:36], v[37:38]
	v_add_f64 v[33:34], v[39:40], v[27:28]
	v_mul_f64 v[35:36], v[29:30], v[29:30]
	v_mul_f64 v[37:38], v[33:34], v[33:34]
	v_fma_f64 v[41:42], v[35:36], s[40:41], v[21:22]
	v_fma_f64 v[43:44], v[37:38], s[24:25], v[19:20]
	v_mul_f64 v[45:46], v[33:34], v[37:38]
	v_fma_f64 v[41:42], v[35:36], v[41:42], s[4:5]
	s_mov_b32 s4, 0xaf56de9b
	s_mov_b32 s5, 0xbf67952d
	v_fma_f64 v[43:44], v[37:38], v[43:44], s[26:27]
	v_fma_f64 v[41:42], v[35:36], v[41:42], s[4:5]
	s_mov_b32 s4, 0xa595c56f
	s_mov_b32 s5, 0x3f7d6d43
	v_fma_f64 v[43:44], v[37:38], v[43:44], s[28:29]
	v_fma_f64 v[41:42], v[35:36], v[41:42], s[4:5]
	v_cmp_class_f64_e64 s[4:5], v[7:8], s46
	v_fma_f64 v[43:44], v[37:38], v[43:44], s[30:31]
	v_fma_f64 v[41:42], v[35:36], v[41:42], s[48:49]
	;; [unrolled: 1-line block ×5, first 2 shown]
	v_ldexp_f64 v[43:44], v[33:34], 1
	v_fma_f64 v[41:42], v[35:36], v[41:42], s[52:53]
	v_add_f64 v[33:34], v[33:34], -v[39:40]
	v_mul_f64 v[37:38], v[45:46], v[37:38]
	v_cvt_f64_i32_e32 v[45:46], v18
	v_fma_f64 v[41:42], v[35:36], v[41:42], s[54:55]
	v_add_f64 v[27:28], v[27:28], -v[33:34]
	v_cndmask_b32_e32 v18, v63, v64, vcc
	v_mul_f64 v[47:48], v[45:46], s[36:37]
	v_add_f64 v[39:40], v[43:44], v[37:38]
	v_fma_f64 v[41:42], v[35:36], v[41:42], s[42:43]
	v_ldexp_f64 v[27:28], v[27:28], 1
	v_add_f64 v[33:34], v[39:40], -v[43:44]
	v_fma_f64 v[43:44], v[45:46], s[36:37], -v[47:48]
	v_fma_f64 v[41:42], v[35:36], v[41:42], s[58:59]
	v_add_f64 v[33:34], v[37:38], -v[33:34]
	v_fma_f64 v[37:38], v[35:36], v[41:42], s[60:61]
	v_fma_f64 v[41:42], v[45:46], s[38:39], v[43:44]
	v_add_f64 v[27:28], v[27:28], v[33:34]
	v_fma_f64 v[33:34], v[35:36], v[37:38], s[62:63]
	v_add_f64 v[37:38], v[47:48], v[41:42]
	v_add_f64 v[43:44], v[39:40], v[27:28]
	v_fma_f64 v[33:34], v[35:36], v[33:34], s[64:65]
	v_add_f64 v[47:48], v[37:38], -v[47:48]
	v_add_f64 v[45:46], v[37:38], v[43:44]
	v_add_f64 v[39:40], v[43:44], -v[39:40]
	v_fma_f64 v[33:34], v[35:36], v[33:34], s[66:67]
	v_add_f64 v[41:42], v[41:42], -v[47:48]
	v_add_f64 v[49:50], v[45:46], -v[37:38]
	;; [unrolled: 1-line block ×3, first 2 shown]
	v_fma_f64 v[33:34], v[35:36], v[33:34], s[68:69]
	v_add_f64 v[51:52], v[45:46], -v[49:50]
	v_add_f64 v[39:40], v[43:44], -v[49:50]
	v_fma_f64 v[33:34], v[35:36], v[33:34], s[70:71]
	v_add_f64 v[43:44], v[41:42], v[27:28]
	v_add_f64 v[37:38], v[37:38], -v[51:52]
	v_fma_f64 v[33:34], v[35:36], v[33:34], s[72:73]
	v_add_f64 v[37:38], v[39:40], v[37:38]
	;; [unrolled: 3-line block ×3, first 2 shown]
	v_add_f64 v[43:44], v[43:44], -v[39:40]
	v_fma_f64 v[33:34], v[35:36], v[33:34], s[76:77]
	v_add_f64 v[27:28], v[27:28], -v[39:40]
	v_add_f64 v[47:48], v[45:46], v[37:38]
	v_mul_f64 v[33:34], v[35:36], v[33:34]
	v_add_f64 v[35:36], v[41:42], -v[43:44]
	v_add_f64 v[39:40], v[47:48], -v[45:46]
	v_fma_f64 v[29:30], v[29:30], v[33:34], v[29:30]
	v_add_f64 v[27:28], v[27:28], v[35:36]
	v_add_f64 v[33:34], v[37:38], -v[39:40]
	v_add_f64 v[35:36], -v[29:30], s[14:15]
	v_add_f64 v[27:28], v[27:28], v[33:34]
	v_cndmask_b32_e64 v30, v30, v36, s[0:1]
	v_cndmask_b32_e64 v29, v29, v35, s[0:1]
	v_add_f64 v[33:34], -v[29:30], s[78:79]
	v_and_b32_e32 v35, 0x54442d18, v5
	v_and_b32_e32 v36, 0x400921fb, v5
	v_add_f64 v[27:28], v[47:48], v[27:28]
	v_cndmask_b32_e32 v29, v29, v33, vcc
	v_cndmask_b32_e32 v33, v65, v66, vcc
	v_cndmask_b32_e64 v31, v29, v35, s[2:3]
	v_mul_f64 v[5:6], v[27:28], 0.5
	v_cndmask_b32_e32 v28, v30, v34, vcc
	v_bfi_b32 v27, s44, v33, v8
	v_cndmask_b32_e64 v28, v28, v36, s[2:3]
	s_and_b64 vcc, s[16:17], s[4:5]
	v_cndmask_b32_e32 v28, v28, v27, vcc
	v_cndmask_b32_e32 v27, v31, v18, vcc
                                        ; implicit-def: $vgpr35_vgpr36
                                        ; implicit-def: $vgpr33_vgpr34
	v_cndmask_b32_e64 v30, v62, v6, s[6:7]
	v_cndmask_b32_e64 v29, 0, v5, s[6:7]
.LBB191_14:                             ;   in Loop: Header=BB191_5 Depth=1
	s_andn2_saveexec_b64 s[16:17], s[8:9]
	s_cbranch_execz .LBB191_18
; %bb.15:                               ;   in Loop: Header=BB191_5 Depth=1
	v_and_b32_e32 v18, 0x7ffffff8, v36
	v_and_b32_e32 v30, 0x7ffffff8, v34
	v_mov_b32_e32 v29, v17
	v_add_f64 v[27:28], v[35:36], -v[17:18]
	v_add_f64 v[31:32], v[33:34], -v[29:30]
	v_mov_b32_e32 v35, v17
	v_mov_b32_e32 v43, v17
	v_add_f64 v[39:40], v[17:18], v[17:18]
	v_add_f64 v[41:42], v[29:30], v[29:30]
	v_mul_f64 v[29:30], v[29:30], v[29:30]
	s_mov_b64 s[4:5], 0
	v_and_b32_e32 v36, -8, v28
	v_and_b32_e32 v44, -8, v32
	v_add_f64 v[49:50], v[27:28], -v[35:36]
	v_add_f64 v[51:52], v[31:32], -v[43:44]
	v_add_f64 v[53:54], v[35:36], v[35:36]
	v_add_f64 v[55:56], v[43:44], v[43:44]
	v_mul_f64 v[27:28], v[17:18], v[17:18]
	v_mul_f64 v[33:34], v[39:40], v[35:36]
	;; [unrolled: 1-line block ×11, first 2 shown]
.LBB191_16:                             ;   Parent Loop BB191_5 Depth=1
                                        ; =>  This Inner Loop Header: Depth=2
	v_cmp_nlt_f64_e32 vcc, v[27:28], v[29:30]
	v_cndmask_b32_e32 v52, v28, v30, vcc
	v_cndmask_b32_e32 v51, v27, v29, vcc
	v_cmp_nlt_f64_e64 s[2:3], v[51:52], v[33:34]
	v_cndmask_b32_e32 v28, v30, v28, vcc
	v_cndmask_b32_e32 v27, v29, v27, vcc
	v_cndmask_b32_e64 v54, v52, v34, s[2:3]
	v_cndmask_b32_e64 v53, v51, v33, s[2:3]
	v_cmp_nlt_f64_e64 s[6:7], v[53:54], v[31:32]
	v_cndmask_b32_e64 v30, v34, v52, s[2:3]
	v_cndmask_b32_e64 v29, v33, v51, s[2:3]
	s_and_b64 s[40:41], vcc, s[2:3]
	v_cndmask_b32_e64 v56, v54, v32, s[6:7]
	v_cndmask_b32_e64 v55, v53, v31, s[6:7]
	v_cmp_nlt_f64_e64 s[8:9], v[55:56], v[37:38]
	v_cndmask_b32_e64 v34, v32, v54, s[6:7]
	v_cndmask_b32_e64 v33, v31, v53, s[6:7]
	;; [unrolled: 1-line block ×4, first 2 shown]
	v_cmp_nlt_f64_e32 vcc, v[51:52], v[43:44]
	v_cndmask_b32_e64 v32, v38, v56, s[8:9]
	v_cndmask_b32_e64 v31, v37, v55, s[8:9]
	s_and_b64 s[8:9], s[6:7], s[8:9]
	v_cndmask_b32_e32 v54, v52, v44, vcc
	v_cndmask_b32_e32 v53, v51, v43, vcc
	v_cmp_nlt_f64_e64 s[2:3], v[53:54], v[47:48]
	v_cndmask_b32_e32 v38, v44, v52, vcc
	v_cndmask_b32_e32 v37, v43, v51, vcc
	v_cndmask_b32_e64 v52, v54, v48, s[2:3]
	v_cndmask_b32_e64 v51, v53, v47, s[2:3]
	v_cmp_nlt_f64_e64 s[6:7], v[51:52], v[45:46]
	v_cndmask_b32_e64 v44, v48, v54, s[2:3]
	v_cndmask_b32_e64 v43, v47, v53, s[2:3]
	s_and_b64 s[2:3], vcc, s[2:3]
	v_cndmask_b32_e64 v54, v52, v46, s[6:7]
	v_cndmask_b32_e64 v53, v51, v45, s[6:7]
	v_cmp_nlt_f64_e32 vcc, v[53:54], v[41:42]
	v_cndmask_b32_e64 v48, v46, v52, s[6:7]
	v_cndmask_b32_e64 v47, v45, v51, s[6:7]
	s_and_b64 s[6:7], s[2:3], s[6:7]
	v_cndmask_b32_e32 v52, v54, v42, vcc
	v_cndmask_b32_e32 v51, v53, v41, vcc
	v_cmp_nlt_f64_e64 s[2:3], v[51:52], v[39:40]
	v_cndmask_b32_e32 v46, v42, v54, vcc
	v_cndmask_b32_e32 v45, v41, v53, vcc
	s_and_b64 s[6:7], s[6:7], vcc
	v_cndmask_b32_e64 v54, v52, v40, s[2:3]
	v_cndmask_b32_e64 v53, v51, v39, s[2:3]
	v_cmp_nlt_f64_e32 vcc, v[53:54], v[35:36]
	v_cndmask_b32_e64 v42, v40, v52, s[2:3]
	v_cndmask_b32_e64 v41, v39, v51, s[2:3]
	s_and_b64 s[6:7], s[6:7], s[2:3]
	v_cndmask_b32_e32 v56, v54, v36, vcc
	v_cndmask_b32_e32 v55, v53, v35, vcc
	v_cmp_nlt_f64_e64 s[2:3], v[55:56], v[49:50]
	s_and_b64 s[6:7], s[6:7], vcc
	v_cndmask_b32_e32 v40, v36, v54, vcc
	v_cndmask_b32_e32 v39, v35, v53, vcc
	v_cndmask_b32_e64 v52, v56, v50, s[2:3]
	v_cndmask_b32_e64 v51, v55, v49, s[2:3]
	;; [unrolled: 1-line block ×4, first 2 shown]
	s_and_b64 s[2:3], s[6:7], s[2:3]
	s_and_b64 s[2:3], s[2:3], s[8:9]
	s_and_b64 s[2:3], s[2:3], s[40:41]
	s_and_b64 s[2:3], exec, s[2:3]
	v_mov_b32_e32 v49, v51
	s_or_b64 s[4:5], s[2:3], s[4:5]
	v_mov_b32_e32 v50, v52
	s_andn2_b64 exec, exec, s[4:5]
	s_cbranch_execnz .LBB191_16
; %bb.17:                               ;   in Loop: Header=BB191_5 Depth=1
	s_or_b64 exec, exec, s[4:5]
	v_add_f64 v[27:28], v[27:28], -1.0
	s_mov_b32 s91, s23
	s_mov_b32 s78, s14
	;; [unrolled: 1-line block ×4, first 2 shown]
	v_cmp_class_f64_e64 s[40:41], v[5:6], s46
	v_cmp_class_f64_e64 s[4:5], v[7:8], s46
	v_add_f64 v[27:28], v[27:28], v[29:30]
	v_add_f64 v[27:28], v[27:28], v[33:34]
	;; [unrolled: 1-line block ×11, first 2 shown]
	v_add_f64 v[27:28], v[30:31], 1.0
	v_cmp_nge_f64_e64 s[6:7], -1.0, v[30:31]
	v_cmp_neq_f64_e64 s[8:9], s[8:9], v[30:31]
	v_frexp_mant_f64_e32 v[34:35], v[27:28]
	v_frexp_exp_i32_f64_e32 v18, v[27:28]
	v_add_f64 v[32:33], v[27:28], -1.0
	v_cmp_gt_f64_e32 vcc, s[22:23], v[34:35]
	v_add_f64 v[36:37], v[32:33], -v[27:28]
	v_add_f64 v[32:33], v[30:31], -v[32:33]
	v_subbrev_co_u32_e32 v18, vcc, 0, v18, vcc
	v_sub_u32_e32 v29, 0, v18
	v_ldexp_f64 v[27:28], v[27:28], v29
	v_add_f64 v[34:35], v[36:37], 1.0
	v_add_f64 v[36:37], v[27:28], 1.0
	v_add_f64 v[32:33], v[32:33], v[34:35]
	v_add_f64 v[42:43], v[27:28], -1.0
	v_add_f64 v[34:35], v[36:37], -1.0
	v_ldexp_f64 v[32:33], v[32:33], v29
	v_add_f64 v[44:45], v[42:43], 1.0
	v_add_f64 v[34:35], v[27:28], -v[34:35]
	v_add_f64 v[27:28], v[27:28], -v[44:45]
	v_add_f64 v[38:39], v[32:33], v[34:35]
	v_add_f64 v[44:45], v[32:33], v[27:28]
	;; [unrolled: 1-line block ×3, first 2 shown]
	v_rcp_f64_e32 v[40:41], v[34:35]
	v_add_f64 v[36:37], v[34:35], -v[36:37]
	v_add_f64 v[38:39], v[38:39], -v[36:37]
	v_fma_f64 v[46:47], -v[34:35], v[40:41], 1.0
	v_fma_f64 v[40:41], v[46:47], v[40:41], v[40:41]
	v_add_f64 v[46:47], v[42:43], v[44:45]
	v_fma_f64 v[27:28], -v[34:35], v[40:41], 1.0
	v_add_f64 v[42:43], v[46:47], -v[42:43]
	v_fma_f64 v[27:28], v[27:28], v[40:41], v[40:41]
	v_add_f64 v[42:43], v[44:45], -v[42:43]
	v_mul_f64 v[32:33], v[46:47], v[27:28]
	v_mul_f64 v[40:41], v[34:35], v[32:33]
	v_fma_f64 v[36:37], v[32:33], v[34:35], -v[40:41]
	v_fma_f64 v[48:49], v[32:33], v[38:39], v[36:37]
	v_add_f64 v[50:51], v[40:41], v[48:49]
	v_add_f64 v[36:37], v[46:47], -v[50:51]
	v_add_f64 v[40:41], v[50:51], -v[40:41]
	;; [unrolled: 1-line block ×5, first 2 shown]
	v_add_f64 v[42:43], v[42:43], v[44:45]
	v_max_f64 v[44:45], |v[5:6]|, |v[5:6]|
	v_ashrrev_i32_e32 v5, 31, v6
	v_add_f64 v[40:41], v[40:41], v[42:43]
	v_max_f64 v[42:43], |v[7:8]|, |v[7:8]|
	v_add_f64 v[46:47], v[36:37], v[40:41]
	v_max_f64 v[48:49], v[44:45], v[42:43]
	v_min_f64 v[42:43], v[44:45], v[42:43]
	v_mul_f64 v[44:45], v[27:28], v[46:47]
	v_add_f64 v[36:37], v[36:37], -v[46:47]
	v_div_scale_f64 v[50:51], s[2:3], v[48:49], v[48:49], v[42:43]
	s_mov_b32 s2, 0xb5e68a13
	s_mov_b32 s3, 0x3eeba404
	v_mul_f64 v[52:53], v[34:35], v[44:45]
	v_add_f64 v[36:37], v[40:41], v[36:37]
	v_fma_f64 v[34:35], v[44:45], v[34:35], -v[52:53]
	v_rcp_f64_e32 v[54:55], v[50:51]
	v_fma_f64 v[34:35], v[44:45], v[38:39], v[34:35]
	v_add_f64 v[38:39], v[52:53], v[34:35]
	v_fma_f64 v[56:57], -v[50:51], v[54:55], 1.0
	v_add_f64 v[67:68], v[46:47], -v[38:39]
	v_add_f64 v[40:41], v[38:39], -v[52:53]
	v_fma_f64 v[54:55], v[54:55], v[56:57], v[54:55]
	v_div_scale_f64 v[56:57], vcc, v[42:43], v[48:49], v[42:43]
	v_add_f64 v[46:47], v[46:47], -v[67:68]
	v_add_f64 v[34:35], v[40:41], -v[34:35]
	v_fma_f64 v[69:70], -v[50:51], v[54:55], 1.0
	v_add_f64 v[40:41], v[32:33], v[44:45]
	v_add_f64 v[38:39], v[46:47], -v[38:39]
	v_fma_f64 v[46:47], v[54:55], v[69:70], v[54:55]
	v_add_f64 v[32:33], v[40:41], -v[32:33]
	v_add_f64 v[36:37], v[36:37], v[38:39]
	v_mul_f64 v[38:39], v[56:57], v[46:47]
	v_add_f64 v[32:33], v[44:45], -v[32:33]
	v_add_f64 v[34:35], v[34:35], v[36:37]
	v_fma_f64 v[36:37], -v[50:51], v[38:39], v[56:57]
	v_add_f64 v[34:35], v[67:68], v[34:35]
	v_div_fmas_f64 v[36:37], v[36:37], v[46:47], v[38:39]
	v_cmp_gt_i32_e32 vcc, 0, v6
	v_cndmask_b32_e32 v29, v65, v66, vcc
	v_mul_f64 v[27:28], v[27:28], v[34:35]
	v_add_f64 v[27:28], v[32:33], v[27:28]
	v_div_fixup_f64 v[32:33], v[36:37], v[48:49], v[42:43]
	v_add_f64 v[34:35], v[40:41], v[27:28]
	v_mul_f64 v[36:37], v[32:33], v[32:33]
	v_mul_f64 v[38:39], v[34:35], v[34:35]
	v_fma_f64 v[42:43], v[36:37], s[2:3], v[21:22]
	s_mov_b32 s2, 0x69efb384
	s_mov_b32 s3, 0x3f4b2bb0
	v_fma_f64 v[44:45], v[38:39], s[24:25], v[19:20]
	v_mul_f64 v[46:47], v[34:35], v[38:39]
	v_fma_f64 v[42:43], v[36:37], v[42:43], s[2:3]
	s_mov_b32 s2, 0xaf56de9b
	s_mov_b32 s3, 0xbf67952d
	v_fma_f64 v[44:45], v[38:39], v[44:45], s[26:27]
	v_fma_f64 v[42:43], v[36:37], v[42:43], s[2:3]
	s_mov_b32 s2, 0xa595c56f
	s_mov_b32 s3, 0x3f7d6d43
	v_fma_f64 v[44:45], v[38:39], v[44:45], s[28:29]
	v_fma_f64 v[42:43], v[36:37], v[42:43], s[2:3]
	v_cmp_eq_f64_e64 s[2:3], 0, v[7:8]
	v_fma_f64 v[44:45], v[38:39], v[44:45], s[30:31]
	v_fma_f64 v[42:43], v[36:37], v[42:43], s[48:49]
	;; [unrolled: 1-line block ×5, first 2 shown]
	v_ldexp_f64 v[44:45], v[34:35], 1
	v_fma_f64 v[42:43], v[36:37], v[42:43], s[52:53]
	v_add_f64 v[34:35], v[34:35], -v[40:41]
	v_mul_f64 v[38:39], v[46:47], v[38:39]
	v_cvt_f64_i32_e32 v[46:47], v18
	v_fma_f64 v[42:43], v[36:37], v[42:43], s[54:55]
	v_add_f64 v[27:28], v[27:28], -v[34:35]
	v_cndmask_b32_e32 v18, v63, v64, vcc
	v_mul_f64 v[48:49], v[46:47], s[36:37]
	v_add_f64 v[40:41], v[44:45], v[38:39]
	v_fma_f64 v[42:43], v[36:37], v[42:43], s[42:43]
	v_ldexp_f64 v[27:28], v[27:28], 1
	v_add_f64 v[34:35], v[40:41], -v[44:45]
	v_fma_f64 v[44:45], v[46:47], s[36:37], -v[48:49]
	v_fma_f64 v[42:43], v[36:37], v[42:43], s[58:59]
	v_add_f64 v[34:35], v[38:39], -v[34:35]
	v_fma_f64 v[38:39], v[36:37], v[42:43], s[60:61]
	v_fma_f64 v[42:43], v[46:47], s[38:39], v[44:45]
	v_add_f64 v[27:28], v[27:28], v[34:35]
	v_fma_f64 v[34:35], v[36:37], v[38:39], s[62:63]
	v_add_f64 v[38:39], v[48:49], v[42:43]
	v_add_f64 v[44:45], v[40:41], v[27:28]
	v_fma_f64 v[34:35], v[36:37], v[34:35], s[64:65]
	v_add_f64 v[48:49], v[38:39], -v[48:49]
	v_add_f64 v[46:47], v[38:39], v[44:45]
	v_add_f64 v[40:41], v[44:45], -v[40:41]
	v_fma_f64 v[34:35], v[36:37], v[34:35], s[66:67]
	v_add_f64 v[42:43], v[42:43], -v[48:49]
	v_add_f64 v[50:51], v[46:47], -v[38:39]
	;; [unrolled: 1-line block ×3, first 2 shown]
	v_fma_f64 v[34:35], v[36:37], v[34:35], s[68:69]
	v_add_f64 v[52:53], v[46:47], -v[50:51]
	v_add_f64 v[40:41], v[44:45], -v[50:51]
	v_fma_f64 v[34:35], v[36:37], v[34:35], s[70:71]
	v_add_f64 v[44:45], v[42:43], v[27:28]
	v_add_f64 v[38:39], v[38:39], -v[52:53]
	v_fma_f64 v[34:35], v[36:37], v[34:35], s[72:73]
	v_add_f64 v[38:39], v[40:41], v[38:39]
	;; [unrolled: 3-line block ×3, first 2 shown]
	v_add_f64 v[44:45], v[44:45], -v[40:41]
	v_fma_f64 v[34:35], v[36:37], v[34:35], s[76:77]
	v_add_f64 v[27:28], v[27:28], -v[40:41]
	v_add_f64 v[48:49], v[46:47], v[38:39]
	v_mul_f64 v[34:35], v[36:37], v[34:35]
	v_add_f64 v[36:37], v[42:43], -v[44:45]
	v_add_f64 v[40:41], v[48:49], -v[46:47]
	v_fma_f64 v[32:33], v[32:33], v[34:35], v[32:33]
	v_add_f64 v[27:28], v[27:28], v[36:37]
	v_add_f64 v[34:35], v[38:39], -v[40:41]
	v_add_f64 v[36:37], -v[32:33], s[14:15]
	v_add_f64 v[27:28], v[27:28], v[34:35]
	v_cndmask_b32_e64 v33, v33, v37, s[0:1]
	v_cndmask_b32_e64 v32, v32, v36, s[0:1]
	v_add_f64 v[34:35], -v[32:33], s[78:79]
	v_and_b32_e32 v36, 0x54442d18, v5
	v_add_f64 v[27:28], v[48:49], v[27:28]
	v_cndmask_b32_e32 v32, v32, v34, vcc
	v_and_b32_e32 v34, 0x400921fb, v5
	v_cndmask_b32_e64 v32, v32, v36, s[2:3]
	v_mul_f64 v[5:6], v[27:28], 0.5
	v_cndmask_b32_e32 v28, v33, v35, vcc
	v_cndmask_b32_e64 v28, v28, v34, s[2:3]
	s_and_b64 s[2:3], s[6:7], s[8:9]
	v_bfi_b32 v27, s44, v29, v8
	s_and_b64 vcc, s[40:41], s[4:5]
	s_mov_b32 s40, 0xb5e68a13
	s_mov_b32 s41, 0x3eeba404
	v_cndmask_b32_e64 v29, 0, v5, s[2:3]
	v_cmp_ngt_f64_e64 s[2:3], -1.0, v[30:31]
	v_cndmask_b32_e64 v6, v60, v6, s[8:9]
	v_cndmask_b32_e32 v28, v28, v27, vcc
	v_cndmask_b32_e32 v27, v32, v18, vcc
	v_cndmask_b32_e64 v5, v61, v6, s[2:3]
	v_cmp_neq_f64_e64 s[2:3], -1.0, v[30:31]
	v_cndmask_b32_e64 v30, v62, v5, s[2:3]
.LBB191_18:                             ;   in Loop: Header=BB191_5 Depth=1
	s_or_b64 exec, exec, s[16:17]
.LBB191_19:                             ;   in Loop: Header=BB191_5 Depth=1
	s_or_b64 exec, exec, s[10:11]
.LBB191_20:                             ;   in Loop: Header=BB191_5 Depth=1
	s_andn2_saveexec_b64 s[8:9], s[82:83]
	s_cbranch_execz .LBB191_22
; %bb.21:                               ;   in Loop: Header=BB191_5 Depth=1
	v_max_f64 v[27:28], |v[7:8]|, |v[7:8]|
	v_max_f64 v[32:33], |v[5:6]|, |v[5:6]|
	v_cmp_class_f64_e64 s[10:11], v[5:6], s46
	v_cmp_class_f64_e64 s[16:17], v[7:8], s46
	s_mov_b32 s91, s23
	s_mov_b32 s78, s14
	v_max_f64 v[34:35], v[32:33], v[27:28]
	v_min_f64 v[27:28], v[32:33], v[27:28]
	v_frexp_exp_i32_f64_e32 v18, v[34:35]
	v_sub_u32_e32 v31, 0, v18
	v_ldexp_f64 v[29:30], |v[7:8]|, v31
	v_ldexp_f64 v[36:37], |v[5:6]|, v31
	v_mul_f64 v[29:30], v[29:30], v[29:30]
	v_fma_f64 v[29:30], v[36:37], v[36:37], v[29:30]
	v_rsq_f64_e32 v[36:37], v[29:30]
	v_cmp_eq_f64_e32 vcc, 0, v[29:30]
	v_mul_f64 v[38:39], v[29:30], v[36:37]
	v_mul_f64 v[36:37], v[36:37], 0.5
	v_fma_f64 v[40:41], -v[36:37], v[38:39], 0.5
	v_fma_f64 v[38:39], v[38:39], v[40:41], v[38:39]
	v_fma_f64 v[36:37], v[36:37], v[40:41], v[36:37]
	v_fma_f64 v[40:41], -v[38:39], v[38:39], v[29:30]
	v_fma_f64 v[36:37], v[40:41], v[36:37], v[38:39]
	v_cndmask_b32_e32 v30, v37, v30, vcc
	v_cndmask_b32_e32 v29, v36, v29, vcc
	v_ldexp_f64 v[29:30], v[29:30], v18
	s_or_b64 vcc, s[10:11], s[16:17]
	v_cndmask_b32_e32 v31, v30, v60, vcc
	v_cndmask_b32_e64 v30, v29, 0, vcc
	v_frexp_mant_f64_e32 v[36:37], v[30:31]
	v_cmp_class_f64_e64 s[6:7], v[30:31], s46
	v_cmp_gt_f64_e64 s[2:3], s[22:23], v[36:37]
	v_cndmask_b32_e64 v5, 0, 1, s[2:3]
	v_ldexp_f64 v[36:37], v[36:37], v5
	v_frexp_exp_i32_f64_e32 v5, v[30:31]
	v_add_f64 v[38:39], v[36:37], 1.0
	v_add_f64 v[44:45], v[36:37], -1.0
	v_rcp_f64_e32 v[40:41], v[38:39]
	v_add_f64 v[48:49], v[38:39], -1.0
	v_add_f64 v[36:37], v[36:37], -v[48:49]
	v_fma_f64 v[42:43], -v[38:39], v[40:41], 1.0
	v_fma_f64 v[32:33], v[42:43], v[40:41], v[40:41]
	v_div_scale_f64 v[40:41], s[4:5], v[34:35], v[34:35], v[27:28]
	s_mov_b32 s4, 0x69efb384
	s_mov_b32 s5, 0x3f4b2bb0
	v_fma_f64 v[42:43], -v[38:39], v[32:33], 1.0
	v_fma_f64 v[32:33], v[42:43], v[32:33], v[32:33]
	v_rcp_f64_e32 v[42:43], v[40:41]
	v_mul_f64 v[46:47], v[44:45], v[32:33]
	v_mul_f64 v[50:51], v[38:39], v[46:47]
	v_fma_f64 v[52:53], -v[40:41], v[42:43], 1.0
	v_fma_f64 v[38:39], v[46:47], v[38:39], -v[50:51]
	v_fma_f64 v[42:43], v[42:43], v[52:53], v[42:43]
	v_fma_f64 v[36:37], v[46:47], v[36:37], v[38:39]
	v_div_scale_f64 v[38:39], vcc, v[27:28], v[34:35], v[27:28]
	v_fma_f64 v[48:49], -v[40:41], v[42:43], 1.0
	v_add_f64 v[52:53], v[50:51], v[36:37]
	v_fma_f64 v[42:43], v[42:43], v[48:49], v[42:43]
	v_add_f64 v[48:49], v[44:45], -v[52:53]
	v_add_f64 v[50:51], v[52:53], -v[50:51]
	v_mul_f64 v[54:55], v[38:39], v[42:43]
	v_add_f64 v[44:45], v[44:45], -v[48:49]
	v_add_f64 v[36:37], v[50:51], -v[36:37]
	v_fma_f64 v[38:39], -v[40:41], v[54:55], v[38:39]
	v_add_f64 v[40:41], v[44:45], -v[52:53]
	v_div_fmas_f64 v[38:39], v[38:39], v[42:43], v[54:55]
	v_subbrev_co_u32_e64 v5, vcc, 0, v5, s[2:3]
	v_cmp_eq_f64_e64 s[2:3], 0, v[7:8]
	v_cmp_gt_i32_e32 vcc, 0, v6
	v_add_f64 v[36:37], v[36:37], v[40:41]
	v_cndmask_b32_e32 v18, v63, v64, vcc
	v_add_f64 v[36:37], v[48:49], v[36:37]
	v_div_fixup_f64 v[27:28], v[38:39], v[34:35], v[27:28]
	v_mul_f64 v[32:33], v[32:33], v[36:37]
	v_mul_f64 v[34:35], v[27:28], v[27:28]
	v_add_f64 v[36:37], v[46:47], v[32:33]
	v_fma_f64 v[38:39], v[34:35], s[40:41], v[21:22]
	v_mul_f64 v[40:41], v[36:37], v[36:37]
	v_fma_f64 v[38:39], v[34:35], v[38:39], s[4:5]
	s_mov_b32 s4, 0xaf56de9b
	s_mov_b32 s5, 0xbf67952d
	v_fma_f64 v[42:43], v[40:41], s[24:25], v[19:20]
	v_mul_f64 v[44:45], v[36:37], v[40:41]
	v_fma_f64 v[38:39], v[34:35], v[38:39], s[4:5]
	s_mov_b32 s4, 0xa595c56f
	s_mov_b32 s5, 0x3f7d6d43
	v_fma_f64 v[42:43], v[40:41], v[42:43], s[26:27]
	v_fma_f64 v[38:39], v[34:35], v[38:39], s[4:5]
	;; [unrolled: 1-line block ×9, first 2 shown]
	v_ldexp_f64 v[42:43], v[36:37], 1
	v_add_f64 v[36:37], v[36:37], -v[46:47]
	v_fma_f64 v[38:39], v[34:35], v[38:39], s[54:55]
	v_cvt_f64_i32_e32 v[46:47], v5
	v_ashrrev_i32_e32 v5, 31, v6
	v_and_b32_e32 v29, 0x54442d18, v5
	v_mul_f64 v[40:41], v[44:45], v[40:41]
	v_mul_f64 v[48:49], v[46:47], s[36:37]
	v_add_f64 v[32:33], v[32:33], -v[36:37]
	v_fma_f64 v[38:39], v[34:35], v[38:39], s[42:43]
	v_add_f64 v[44:45], v[42:43], v[40:41]
	v_ldexp_f64 v[32:33], v[32:33], 1
	v_fma_f64 v[38:39], v[34:35], v[38:39], s[58:59]
	v_add_f64 v[36:37], v[44:45], -v[42:43]
	v_fma_f64 v[42:43], v[46:47], s[36:37], -v[48:49]
	v_fma_f64 v[38:39], v[34:35], v[38:39], s[60:61]
	v_add_f64 v[36:37], v[40:41], -v[36:37]
	v_fma_f64 v[40:41], v[46:47], s[38:39], v[42:43]
	v_fma_f64 v[38:39], v[34:35], v[38:39], s[62:63]
	v_add_f64 v[32:33], v[32:33], v[36:37]
	v_fma_f64 v[36:37], v[34:35], v[38:39], s[64:65]
	v_add_f64 v[38:39], v[48:49], v[40:41]
	v_add_f64 v[42:43], v[44:45], v[32:33]
	v_fma_f64 v[36:37], v[34:35], v[36:37], s[66:67]
	v_add_f64 v[48:49], v[38:39], -v[48:49]
	v_add_f64 v[46:47], v[38:39], v[42:43]
	v_add_f64 v[44:45], v[42:43], -v[44:45]
	v_fma_f64 v[36:37], v[34:35], v[36:37], s[68:69]
	v_add_f64 v[40:41], v[40:41], -v[48:49]
	v_add_f64 v[50:51], v[46:47], -v[38:39]
	;; [unrolled: 1-line block ×3, first 2 shown]
	v_fma_f64 v[36:37], v[34:35], v[36:37], s[70:71]
	v_add_f64 v[52:53], v[46:47], -v[50:51]
	v_add_f64 v[42:43], v[42:43], -v[50:51]
	v_add_f64 v[44:45], v[40:41], v[32:33]
	v_fma_f64 v[36:37], v[34:35], v[36:37], s[72:73]
	v_add_f64 v[38:39], v[38:39], -v[52:53]
	v_fma_f64 v[36:37], v[34:35], v[36:37], s[74:75]
	v_add_f64 v[38:39], v[42:43], v[38:39]
	v_add_f64 v[42:43], v[44:45], -v[40:41]
	v_fma_f64 v[36:37], v[34:35], v[36:37], s[76:77]
	v_add_f64 v[38:39], v[44:45], v[38:39]
	v_add_f64 v[32:33], v[32:33], -v[42:43]
	v_mul_f64 v[34:35], v[34:35], v[36:37]
	v_add_f64 v[36:37], v[44:45], -v[42:43]
	v_add_f64 v[44:45], v[46:47], v[38:39]
	v_fma_f64 v[27:28], v[27:28], v[34:35], v[27:28]
	v_add_f64 v[34:35], v[40:41], -v[36:37]
	v_add_f64 v[36:37], v[44:45], -v[46:47]
	v_add_f64 v[40:41], -v[27:28], s[14:15]
	v_add_f64 v[32:33], v[32:33], v[34:35]
	v_add_f64 v[34:35], v[38:39], -v[36:37]
	v_cndmask_b32_e64 v28, v28, v41, s[0:1]
	v_cndmask_b32_e64 v27, v27, v40, s[0:1]
	v_add_f64 v[36:37], -v[27:28], s[78:79]
	v_add_f64 v[32:33], v[32:33], v[34:35]
	v_and_b32_e32 v35, 0x400921fb, v5
	v_cndmask_b32_e32 v34, v65, v66, vcc
	v_cndmask_b32_e32 v27, v27, v36, vcc
	;; [unrolled: 1-line block ×3, first 2 shown]
	v_cndmask_b32_e64 v27, v27, v29, s[2:3]
	v_add_f64 v[5:6], v[44:45], v[32:33]
	v_cndmask_b32_e64 v28, v28, v35, s[2:3]
	v_cmp_ngt_f64_e64 s[2:3], 0, v[30:31]
	v_bfi_b32 v32, s44, v34, v8
	s_and_b64 vcc, s[10:11], s[16:17]
	v_cndmask_b32_e32 v28, v28, v32, vcc
	v_cndmask_b32_e32 v27, v27, v18, vcc
	v_cndmask_b32_e64 v6, v6, v31, s[6:7]
	v_cndmask_b32_e64 v5, v5, v30, s[6:7]
	;; [unrolled: 1-line block ×3, first 2 shown]
	v_cmp_nge_f64_e64 s[2:3], 0, v[30:31]
	v_cndmask_b32_e64 v29, 0, v5, s[2:3]
	v_cmp_neq_f64_e64 s[2:3], 0, v[30:31]
	v_cndmask_b32_e64 v30, v62, v6, s[2:3]
.LBB191_22:                             ;   in Loop: Header=BB191_5 Depth=1
	s_or_b64 exec, exec, s[8:9]
                                        ; implicit-def: $vgpr33_vgpr34
.LBB191_23:                             ;   in Loop: Header=BB191_5 Depth=1
	s_andn2_saveexec_b64 s[8:9], s[20:21]
	s_cbranch_execz .LBB191_29
; %bb.24:                               ;   in Loop: Header=BB191_5 Depth=1
	s_mov_b32 s2, 0x6a3f9475
	s_mov_b32 s3, 0x20ca2fe7
	v_cmp_ngt_f64_e32 vcc, s[2:3], v[33:34]
                                        ; implicit-def: $vgpr29_vgpr30
                                        ; implicit-def: $vgpr27_vgpr28
	s_and_saveexec_b64 s[2:3], vcc
	s_xor_b64 s[10:11], exec, s[2:3]
	s_cbranch_execz .LBB191_26
; %bb.25:                               ;   in Loop: Header=BB191_5 Depth=1
	v_mul_f64 v[27:28], v[33:34], v[33:34]
	s_mov_b32 s91, s23
	s_mov_b32 s78, s14
	;; [unrolled: 1-line block ×3, first 2 shown]
	v_cmp_class_f64_e64 s[4:5], v[7:8], s46
	v_cmp_class_f64_e64 s[16:17], v[5:6], s46
	s_mov_b32 s7, 0x7ff00000
	v_add_f64 v[29:30], v[27:28], 1.0
	v_cmp_neq_f64_e64 s[6:7], s[6:7], v[27:28]
	v_frexp_mant_f64_e32 v[33:34], v[29:30]
	v_frexp_exp_i32_f64_e32 v18, v[29:30]
	v_add_f64 v[31:32], v[29:30], -1.0
	v_cmp_gt_f64_e32 vcc, s[22:23], v[33:34]
	v_add_f64 v[35:36], v[31:32], -v[29:30]
	v_add_f64 v[31:32], v[27:28], -v[31:32]
	v_subbrev_co_u32_e32 v18, vcc, 0, v18, vcc
	v_sub_u32_e32 v37, 0, v18
	v_ldexp_f64 v[29:30], v[29:30], v37
	v_add_f64 v[33:34], v[35:36], 1.0
	v_add_f64 v[35:36], v[29:30], 1.0
	v_add_f64 v[31:32], v[31:32], v[33:34]
	v_add_f64 v[41:42], v[29:30], -1.0
	v_add_f64 v[33:34], v[35:36], -1.0
	v_ldexp_f64 v[31:32], v[31:32], v37
	v_add_f64 v[43:44], v[41:42], 1.0
	v_add_f64 v[33:34], v[29:30], -v[33:34]
	v_add_f64 v[29:30], v[29:30], -v[43:44]
	v_add_f64 v[37:38], v[31:32], v[33:34]
	v_add_f64 v[43:44], v[31:32], v[29:30]
	;; [unrolled: 1-line block ×3, first 2 shown]
	v_rcp_f64_e32 v[39:40], v[33:34]
	v_add_f64 v[35:36], v[35:36], -v[33:34]
	v_add_f64 v[37:38], v[37:38], v[35:36]
	v_fma_f64 v[45:46], -v[33:34], v[39:40], 1.0
	v_fma_f64 v[39:40], v[45:46], v[39:40], v[39:40]
	v_add_f64 v[45:46], v[41:42], v[43:44]
	v_fma_f64 v[29:30], -v[33:34], v[39:40], 1.0
	v_add_f64 v[41:42], v[41:42], -v[45:46]
	v_fma_f64 v[29:30], v[29:30], v[39:40], v[39:40]
	v_add_f64 v[41:42], v[43:44], v[41:42]
	v_mul_f64 v[31:32], v[45:46], v[29:30]
	v_mul_f64 v[39:40], v[33:34], v[31:32]
	v_fma_f64 v[35:36], v[31:32], v[33:34], -v[39:40]
	v_fma_f64 v[47:48], v[31:32], v[37:38], v[35:36]
	v_add_f64 v[49:50], v[39:40], v[47:48]
	v_add_f64 v[35:36], v[45:46], -v[49:50]
	v_add_f64 v[39:40], v[49:50], -v[39:40]
	;; [unrolled: 1-line block ×5, first 2 shown]
	v_add_f64 v[41:42], v[41:42], v[43:44]
	v_max_f64 v[43:44], |v[5:6]|, |v[5:6]|
	v_ashrrev_i32_e32 v5, 31, v6
	v_add_f64 v[39:40], v[39:40], v[41:42]
	v_max_f64 v[41:42], |v[7:8]|, |v[7:8]|
	v_add_f64 v[45:46], v[35:36], v[39:40]
	v_max_f64 v[47:48], v[43:44], v[41:42]
	v_min_f64 v[41:42], v[43:44], v[41:42]
	v_mul_f64 v[43:44], v[29:30], v[45:46]
	v_add_f64 v[35:36], v[35:36], -v[45:46]
	v_div_scale_f64 v[49:50], s[2:3], v[47:48], v[47:48], v[41:42]
	s_mov_b32 s2, 0x69efb384
	s_mov_b32 s3, 0x3f4b2bb0
	v_mul_f64 v[51:52], v[33:34], v[43:44]
	v_add_f64 v[35:36], v[39:40], v[35:36]
	v_fma_f64 v[33:34], v[43:44], v[33:34], -v[51:52]
	v_rcp_f64_e32 v[53:54], v[49:50]
	v_fma_f64 v[33:34], v[43:44], v[37:38], v[33:34]
	v_add_f64 v[37:38], v[51:52], v[33:34]
	v_fma_f64 v[55:56], -v[49:50], v[53:54], 1.0
	v_add_f64 v[57:58], v[45:46], -v[37:38]
	v_add_f64 v[39:40], v[37:38], -v[51:52]
	v_fma_f64 v[53:54], v[53:54], v[55:56], v[53:54]
	v_div_scale_f64 v[55:56], vcc, v[41:42], v[47:48], v[41:42]
	v_add_f64 v[45:46], v[45:46], -v[57:58]
	v_add_f64 v[33:34], v[39:40], -v[33:34]
	v_fma_f64 v[67:68], -v[49:50], v[53:54], 1.0
	v_add_f64 v[39:40], v[31:32], v[43:44]
	v_add_f64 v[37:38], v[45:46], -v[37:38]
	v_fma_f64 v[45:46], v[53:54], v[67:68], v[53:54]
	v_add_f64 v[31:32], v[39:40], -v[31:32]
	v_add_f64 v[35:36], v[35:36], v[37:38]
	v_mul_f64 v[37:38], v[55:56], v[45:46]
	v_add_f64 v[31:32], v[43:44], -v[31:32]
	v_add_f64 v[33:34], v[33:34], v[35:36]
	v_fma_f64 v[35:36], -v[49:50], v[37:38], v[55:56]
	v_add_f64 v[33:34], v[57:58], v[33:34]
	v_div_fmas_f64 v[35:36], v[35:36], v[45:46], v[37:38]
	v_cmp_gt_i32_e32 vcc, 0, v6
	v_mul_f64 v[29:30], v[29:30], v[33:34]
	v_add_f64 v[29:30], v[31:32], v[29:30]
	v_div_fixup_f64 v[31:32], v[35:36], v[47:48], v[41:42]
	v_add_f64 v[33:34], v[39:40], v[29:30]
	v_mul_f64 v[35:36], v[31:32], v[31:32]
	v_mul_f64 v[37:38], v[33:34], v[33:34]
	v_fma_f64 v[41:42], v[35:36], s[40:41], v[21:22]
	v_fma_f64 v[43:44], v[37:38], s[24:25], v[19:20]
	v_mul_f64 v[45:46], v[33:34], v[37:38]
	v_fma_f64 v[41:42], v[35:36], v[41:42], s[2:3]
	s_mov_b32 s2, 0xaf56de9b
	s_mov_b32 s3, 0xbf67952d
	v_fma_f64 v[43:44], v[37:38], v[43:44], s[26:27]
	v_fma_f64 v[41:42], v[35:36], v[41:42], s[2:3]
	s_mov_b32 s2, 0xa595c56f
	s_mov_b32 s3, 0x3f7d6d43
	v_fma_f64 v[43:44], v[37:38], v[43:44], s[28:29]
	v_fma_f64 v[41:42], v[35:36], v[41:42], s[2:3]
	v_cmp_eq_f64_e64 s[2:3], 0, v[7:8]
	v_fma_f64 v[43:44], v[37:38], v[43:44], s[30:31]
	v_fma_f64 v[41:42], v[35:36], v[41:42], s[48:49]
	;; [unrolled: 1-line block ×5, first 2 shown]
	v_ldexp_f64 v[43:44], v[33:34], 1
	v_fma_f64 v[41:42], v[35:36], v[41:42], s[52:53]
	v_add_f64 v[33:34], v[33:34], -v[39:40]
	v_mul_f64 v[37:38], v[45:46], v[37:38]
	v_cvt_f64_i32_e32 v[45:46], v18
	v_fma_f64 v[41:42], v[35:36], v[41:42], s[54:55]
	v_add_f64 v[29:30], v[29:30], -v[33:34]
	v_cndmask_b32_e32 v18, v63, v64, vcc
	v_mul_f64 v[47:48], v[45:46], s[36:37]
	v_add_f64 v[39:40], v[43:44], v[37:38]
	v_fma_f64 v[41:42], v[35:36], v[41:42], s[42:43]
	v_ldexp_f64 v[29:30], v[29:30], 1
	v_add_f64 v[33:34], v[39:40], -v[43:44]
	v_fma_f64 v[43:44], v[45:46], s[36:37], -v[47:48]
	v_fma_f64 v[41:42], v[35:36], v[41:42], s[58:59]
	v_add_f64 v[33:34], v[37:38], -v[33:34]
	v_fma_f64 v[37:38], v[35:36], v[41:42], s[60:61]
	v_fma_f64 v[41:42], v[45:46], s[38:39], v[43:44]
	v_add_f64 v[29:30], v[29:30], v[33:34]
	v_fma_f64 v[33:34], v[35:36], v[37:38], s[62:63]
	v_add_f64 v[37:38], v[47:48], v[41:42]
	v_add_f64 v[43:44], v[39:40], v[29:30]
	v_fma_f64 v[33:34], v[35:36], v[33:34], s[64:65]
	v_add_f64 v[47:48], v[37:38], -v[47:48]
	v_add_f64 v[45:46], v[37:38], v[43:44]
	v_add_f64 v[39:40], v[43:44], -v[39:40]
	v_fma_f64 v[33:34], v[35:36], v[33:34], s[66:67]
	v_add_f64 v[41:42], v[41:42], -v[47:48]
	v_add_f64 v[49:50], v[45:46], -v[37:38]
	;; [unrolled: 1-line block ×3, first 2 shown]
	v_fma_f64 v[33:34], v[35:36], v[33:34], s[68:69]
	v_add_f64 v[51:52], v[45:46], -v[49:50]
	v_add_f64 v[39:40], v[43:44], -v[49:50]
	v_fma_f64 v[33:34], v[35:36], v[33:34], s[70:71]
	v_add_f64 v[43:44], v[41:42], v[29:30]
	v_add_f64 v[37:38], v[37:38], -v[51:52]
	v_fma_f64 v[33:34], v[35:36], v[33:34], s[72:73]
	v_add_f64 v[37:38], v[39:40], v[37:38]
	;; [unrolled: 3-line block ×3, first 2 shown]
	v_add_f64 v[43:44], v[43:44], -v[39:40]
	v_fma_f64 v[33:34], v[35:36], v[33:34], s[76:77]
	v_add_f64 v[29:30], v[29:30], -v[39:40]
	v_add_f64 v[47:48], v[45:46], v[37:38]
	v_mul_f64 v[33:34], v[35:36], v[33:34]
	v_add_f64 v[35:36], v[41:42], -v[43:44]
	v_add_f64 v[39:40], v[47:48], -v[45:46]
	v_fma_f64 v[31:32], v[31:32], v[33:34], v[31:32]
	v_add_f64 v[29:30], v[29:30], v[35:36]
	v_add_f64 v[33:34], v[37:38], -v[39:40]
	v_add_f64 v[35:36], -v[31:32], s[14:15]
	v_add_f64 v[29:30], v[29:30], v[33:34]
	v_cndmask_b32_e64 v32, v32, v36, s[0:1]
	v_cndmask_b32_e64 v31, v31, v35, s[0:1]
	v_add_f64 v[33:34], -v[31:32], s[78:79]
	v_and_b32_e32 v35, 0x54442d18, v5
	v_and_b32_e32 v36, 0x400921fb, v5
	v_add_f64 v[29:30], v[47:48], v[29:30]
	v_cndmask_b32_e32 v31, v31, v33, vcc
	v_cndmask_b32_e32 v33, v65, v66, vcc
	;; [unrolled: 1-line block ×3, first 2 shown]
	v_bfi_b32 v27, s44, v33, v8
	v_mul_f64 v[5:6], v[29:30], 0.5
	v_cndmask_b32_e64 v31, v31, v35, s[2:3]
	v_cndmask_b32_e64 v28, v28, v36, s[2:3]
	s_and_b64 vcc, s[16:17], s[4:5]
	v_cndmask_b32_e32 v28, v28, v27, vcc
	v_cndmask_b32_e32 v27, v31, v18, vcc
                                        ; implicit-def: $vgpr33_vgpr34
	v_cndmask_b32_e64 v30, v60, v6, s[6:7]
	v_cndmask_b32_e64 v29, 0, v5, s[6:7]
.LBB191_26:                             ;   in Loop: Header=BB191_5 Depth=1
	s_andn2_saveexec_b64 s[4:5], s[10:11]
	s_cbranch_execz .LBB191_28
; %bb.27:                               ;   in Loop: Header=BB191_5 Depth=1
	v_max_f64 v[27:28], |v[7:8]|, |v[7:8]|
	v_max_f64 v[29:30], |v[5:6]|, |v[5:6]|
	s_mov_b32 s78, s14
	v_cmp_class_f64_e64 s[6:7], v[7:8], s46
	v_cmp_class_f64_e64 s[10:11], v[5:6], s46
	v_ashrrev_i32_e32 v18, 31, v6
	v_max_f64 v[31:32], v[29:30], v[27:28]
	v_min_f64 v[27:28], v[29:30], v[27:28]
	v_div_scale_f64 v[29:30], s[2:3], v[31:32], v[31:32], v[27:28]
	s_mov_b32 s2, 0x69efb384
	s_mov_b32 s3, 0x3f4b2bb0
	v_rcp_f64_e32 v[35:36], v[29:30]
	v_fma_f64 v[37:38], -v[29:30], v[35:36], 1.0
	v_fma_f64 v[35:36], v[35:36], v[37:38], v[35:36]
	v_div_scale_f64 v[37:38], vcc, v[27:28], v[31:32], v[27:28]
	v_fma_f64 v[39:40], -v[29:30], v[35:36], 1.0
	v_fma_f64 v[35:36], v[35:36], v[39:40], v[35:36]
	v_mul_f64 v[39:40], v[37:38], v[35:36]
	v_fma_f64 v[29:30], -v[29:30], v[39:40], v[37:38]
	v_and_b32_e32 v37, 0x54442d18, v18
	v_div_fmas_f64 v[29:30], v[29:30], v[35:36], v[39:40]
	v_mul_f64 v[35:36], v[33:34], 0.5
	v_cmp_gt_i32_e32 vcc, 0, v6
	v_cndmask_b32_e32 v5, v65, v66, vcc
	v_and_b32_e32 v6, 0x400921fb, v18
	v_bfi_b32 v5, s44, v5, v8
	v_div_fixup_f64 v[27:28], v[29:30], v[31:32], v[27:28]
	v_mul_f64 v[29:30], v[27:28], v[27:28]
	v_fma_f64 v[31:32], v[29:30], s[40:41], v[21:22]
	v_fma_f64 v[31:32], v[29:30], v[31:32], s[2:3]
	s_mov_b32 s2, 0xaf56de9b
	s_mov_b32 s3, 0xbf67952d
	v_fma_f64 v[31:32], v[29:30], v[31:32], s[2:3]
	s_mov_b32 s2, 0xa595c56f
	s_mov_b32 s3, 0x3f7d6d43
	v_fma_f64 v[31:32], v[29:30], v[31:32], s[2:3]
	v_cmp_eq_f64_e64 s[2:3], 0, v[7:8]
	v_fma_f64 v[31:32], v[29:30], v[31:32], s[48:49]
	v_fma_f64 v[31:32], v[29:30], v[31:32], s[50:51]
	v_fma_f64 v[31:32], v[29:30], v[31:32], s[52:53]
	v_fma_f64 v[31:32], v[29:30], v[31:32], s[54:55]
	v_fma_f64 v[31:32], v[29:30], v[31:32], s[42:43]
	v_fma_f64 v[31:32], v[29:30], v[31:32], s[58:59]
	v_fma_f64 v[31:32], v[29:30], v[31:32], s[60:61]
	v_fma_f64 v[31:32], v[29:30], v[31:32], s[62:63]
	v_fma_f64 v[31:32], v[29:30], v[31:32], s[64:65]
	v_fma_f64 v[31:32], v[29:30], v[31:32], s[66:67]
	v_fma_f64 v[31:32], v[29:30], v[31:32], s[68:69]
	v_fma_f64 v[31:32], v[29:30], v[31:32], s[70:71]
	v_fma_f64 v[31:32], v[29:30], v[31:32], s[72:73]
	v_fma_f64 v[31:32], v[29:30], v[31:32], s[74:75]
	v_fma_f64 v[31:32], v[29:30], v[31:32], s[76:77]
	v_mul_f64 v[29:30], v[29:30], v[31:32]
	v_cndmask_b32_e32 v32, v63, v64, vcc
	v_fma_f64 v[27:28], v[27:28], v[29:30], v[27:28]
	v_add_f64 v[29:30], -v[27:28], s[14:15]
	v_cndmask_b32_e64 v28, v28, v30, s[0:1]
	v_cndmask_b32_e64 v27, v27, v29, s[0:1]
	v_add_f64 v[30:31], -v[27:28], s[78:79]
	v_cndmask_b32_e32 v27, v27, v30, vcc
	v_mul_f64 v[29:30], v[33:34], v[35:36]
	v_cndmask_b32_e32 v18, v28, v31, vcc
	v_cndmask_b32_e64 v27, v27, v37, s[2:3]
	v_cndmask_b32_e64 v6, v18, v6, s[2:3]
	s_and_b64 vcc, s[10:11], s[6:7]
	v_cndmask_b32_e32 v28, v6, v5, vcc
	v_cndmask_b32_e32 v27, v27, v32, vcc
.LBB191_28:                             ;   in Loop: Header=BB191_5 Depth=1
	s_or_b64 exec, exec, s[4:5]
.LBB191_29:                             ;   in Loop: Header=BB191_5 Depth=1
	s_or_b64 exec, exec, s[8:9]
.LBB191_30:                             ;   in Loop: Header=BB191_5 Depth=1
	s_andn2_saveexec_b64 s[6:7], s[18:19]
	s_cbranch_execz .LBB191_32
; %bb.31:                               ;   in Loop: Header=BB191_5 Depth=1
	v_div_scale_f64 v[27:28], s[2:3], s[84:85], s[84:85], v[5:6]
	v_div_scale_f64 v[29:30], s[2:3], s[84:85], s[84:85], v[7:8]
	v_div_scale_f64 v[39:40], s[2:3], v[7:8], s[84:85], v[7:8]
	s_mov_b32 s91, s23
	s_mov_b32 s78, s14
	v_cmp_class_f64_e64 s[8:9], v[5:6], s46
	v_rcp_f64_e32 v[31:32], v[27:28]
	v_rcp_f64_e32 v[33:34], v[29:30]
	v_fma_f64 v[35:36], -v[27:28], v[31:32], 1.0
	v_fma_f64 v[37:38], -v[29:30], v[33:34], 1.0
	v_fma_f64 v[31:32], v[31:32], v[35:36], v[31:32]
	v_div_scale_f64 v[35:36], vcc, v[5:6], s[84:85], v[5:6]
	v_fma_f64 v[33:34], v[33:34], v[37:38], v[33:34]
	v_fma_f64 v[37:38], -v[27:28], v[31:32], 1.0
	v_fma_f64 v[41:42], -v[29:30], v[33:34], 1.0
	v_fma_f64 v[31:32], v[31:32], v[37:38], v[31:32]
	v_fma_f64 v[33:34], v[33:34], v[41:42], v[33:34]
	v_mul_f64 v[37:38], v[35:36], v[31:32]
	v_mul_f64 v[41:42], v[39:40], v[33:34]
	v_fma_f64 v[27:28], -v[27:28], v[37:38], v[35:36]
	v_fma_f64 v[29:30], -v[29:30], v[41:42], v[39:40]
	v_div_fmas_f64 v[27:28], v[27:28], v[31:32], v[37:38]
	s_mov_b64 vcc, s[2:3]
	v_div_fmas_f64 v[29:30], v[29:30], v[33:34], v[41:42]
	v_max_f64 v[40:41], |v[5:6]|, |v[5:6]|
	v_div_fixup_f64 v[27:28], v[27:28], s[84:85], v[5:6]
	v_ashrrev_i32_e32 v5, 31, v6
	v_div_fixup_f64 v[29:30], v[29:30], s[84:85], v[7:8]
	v_cmp_class_f64_e64 s[2:3], v[27:28], s46
	v_max_f64 v[31:32], |v[27:28]|, |v[29:30]|
	v_cmp_class_f64_e64 s[4:5], v[29:30], s46
	v_frexp_exp_i32_f64_e32 v18, v[31:32]
	v_sub_u32_e32 v33, 0, v18
	v_ldexp_f64 v[31:32], |v[29:30]|, v33
	v_ldexp_f64 v[33:34], |v[27:28]|, v33
	v_mul_f64 v[31:32], v[31:32], v[31:32]
	v_fma_f64 v[31:32], v[33:34], v[33:34], v[31:32]
	v_rsq_f64_e32 v[33:34], v[31:32]
	v_cmp_eq_f64_e32 vcc, 0, v[31:32]
	v_mul_f64 v[35:36], v[31:32], v[33:34]
	v_mul_f64 v[33:34], v[33:34], 0.5
	v_fma_f64 v[37:38], -v[33:34], v[35:36], 0.5
	v_fma_f64 v[35:36], v[35:36], v[37:38], v[35:36]
	v_fma_f64 v[33:34], v[33:34], v[37:38], v[33:34]
	v_fma_f64 v[37:38], -v[35:36], v[35:36], v[31:32]
	v_fma_f64 v[33:34], v[37:38], v[33:34], v[35:36]
	v_max_f64 v[38:39], |v[7:8]|, |v[7:8]|
	v_cndmask_b32_e32 v32, v34, v32, vcc
	v_cndmask_b32_e32 v31, v33, v31, vcc
	v_ldexp_f64 v[31:32], v[31:32], v18
	v_cmp_o_f64_e32 vcc, v[27:28], v[29:30]
	v_cndmask_b32_e32 v18, 0, v31, vcc
	v_cndmask_b32_e32 v27, v61, v32, vcc
	s_or_b64 vcc, s[2:3], s[4:5]
	v_cndmask_b32_e32 v31, v27, v60, vcc
	v_cndmask_b32_e64 v30, v18, 0, vcc
	v_frexp_mant_f64_e32 v[27:28], v[30:31]
	v_cmp_gt_f64_e64 s[2:3], s[22:23], v[27:28]
	v_cndmask_b32_e64 v18, 0, 1, s[2:3]
	v_ldexp_f64 v[27:28], v[27:28], v18
	v_frexp_exp_i32_f64_e32 v18, v[30:31]
	v_add_f64 v[32:33], v[27:28], 1.0
	v_add_f64 v[44:45], v[27:28], -1.0
	v_rcp_f64_e32 v[34:35], v[32:33]
	v_add_f64 v[48:49], v[32:33], -1.0
	v_add_f64 v[27:28], v[27:28], -v[48:49]
	v_fma_f64 v[36:37], -v[32:33], v[34:35], 1.0
	v_fma_f64 v[34:35], v[36:37], v[34:35], v[34:35]
	v_max_f64 v[36:37], v[40:41], v[38:39]
	v_min_f64 v[38:39], v[40:41], v[38:39]
	v_fma_f64 v[40:41], -v[32:33], v[34:35], 1.0
	v_div_scale_f64 v[42:43], s[4:5], v[36:37], v[36:37], v[38:39]
	s_mov_b32 s4, 0x69efb384
	s_mov_b32 s5, 0x3f4b2bb0
	v_fma_f64 v[34:35], v[40:41], v[34:35], v[34:35]
	v_mul_f64 v[40:41], v[44:45], v[34:35]
	v_rcp_f64_e32 v[46:47], v[42:43]
	v_mul_f64 v[50:51], v[32:33], v[40:41]
	v_fma_f64 v[32:33], v[40:41], v[32:33], -v[50:51]
	v_fma_f64 v[48:49], -v[42:43], v[46:47], 1.0
	v_fma_f64 v[27:28], v[40:41], v[27:28], v[32:33]
	v_fma_f64 v[32:33], v[46:47], v[48:49], v[46:47]
	v_div_scale_f64 v[48:49], vcc, v[38:39], v[36:37], v[38:39]
	v_add_f64 v[46:47], v[50:51], v[27:28]
	v_fma_f64 v[52:53], -v[42:43], v[32:33], 1.0
	v_add_f64 v[54:55], v[44:45], -v[46:47]
	v_add_f64 v[50:51], v[46:47], -v[50:51]
	v_fma_f64 v[32:33], v[32:33], v[52:53], v[32:33]
	v_add_f64 v[44:45], v[44:45], -v[54:55]
	v_add_f64 v[27:28], v[50:51], -v[27:28]
	v_mul_f64 v[52:53], v[48:49], v[32:33]
	v_add_f64 v[44:45], v[44:45], -v[46:47]
	v_fma_f64 v[42:43], -v[42:43], v[52:53], v[48:49]
	v_add_f64 v[27:28], v[27:28], v[44:45]
	v_div_fmas_f64 v[32:33], v[42:43], v[32:33], v[52:53]
	v_subbrev_co_u32_e64 v18, vcc, 0, v18, s[2:3]
	v_cmp_class_f64_e64 vcc, v[30:31], s46
	v_cmp_eq_f64_e64 s[2:3], 0, v[7:8]
	v_add_f64 v[27:28], v[54:55], v[27:28]
	v_mul_f64 v[27:28], v[34:35], v[27:28]
	v_div_fixup_f64 v[32:33], v[32:33], v[36:37], v[38:39]
	v_add_f64 v[34:35], v[40:41], v[27:28]
	v_mul_f64 v[36:37], v[32:33], v[32:33]
	v_mul_f64 v[38:39], v[34:35], v[34:35]
	v_fma_f64 v[42:43], v[36:37], s[40:41], v[21:22]
	v_fma_f64 v[44:45], v[38:39], s[24:25], v[19:20]
	v_mul_f64 v[46:47], v[34:35], v[38:39]
	v_fma_f64 v[42:43], v[36:37], v[42:43], s[4:5]
	s_mov_b32 s4, 0xaf56de9b
	s_mov_b32 s5, 0xbf67952d
	v_fma_f64 v[44:45], v[38:39], v[44:45], s[26:27]
	v_fma_f64 v[42:43], v[36:37], v[42:43], s[4:5]
	s_mov_b32 s4, 0xa595c56f
	s_mov_b32 s5, 0x3f7d6d43
	v_fma_f64 v[44:45], v[38:39], v[44:45], s[28:29]
	v_fma_f64 v[42:43], v[36:37], v[42:43], s[4:5]
	v_cmp_class_f64_e64 s[4:5], v[7:8], s46
	v_fma_f64 v[44:45], v[38:39], v[44:45], s[30:31]
	v_fma_f64 v[42:43], v[36:37], v[42:43], s[48:49]
	;; [unrolled: 1-line block ×5, first 2 shown]
	v_ldexp_f64 v[44:45], v[34:35], 1
	v_fma_f64 v[42:43], v[36:37], v[42:43], s[52:53]
	v_add_f64 v[34:35], v[34:35], -v[40:41]
	v_mul_f64 v[38:39], v[46:47], v[38:39]
	v_cvt_f64_i32_e32 v[46:47], v18
	v_fma_f64 v[42:43], v[36:37], v[42:43], s[54:55]
	v_add_f64 v[27:28], v[27:28], -v[34:35]
	v_mul_f64 v[48:49], v[46:47], s[36:37]
	v_add_f64 v[40:41], v[44:45], v[38:39]
	v_fma_f64 v[42:43], v[36:37], v[42:43], s[42:43]
	v_ldexp_f64 v[27:28], v[27:28], 1
	v_add_f64 v[34:35], v[40:41], -v[44:45]
	v_fma_f64 v[44:45], v[46:47], s[36:37], -v[48:49]
	v_fma_f64 v[42:43], v[36:37], v[42:43], s[58:59]
	v_add_f64 v[34:35], v[38:39], -v[34:35]
	v_fma_f64 v[38:39], v[36:37], v[42:43], s[60:61]
	v_fma_f64 v[42:43], v[46:47], s[38:39], v[44:45]
	v_add_f64 v[27:28], v[27:28], v[34:35]
	v_fma_f64 v[34:35], v[36:37], v[38:39], s[62:63]
	v_add_f64 v[38:39], v[48:49], v[42:43]
	v_add_f64 v[44:45], v[40:41], v[27:28]
	v_fma_f64 v[34:35], v[36:37], v[34:35], s[64:65]
	v_add_f64 v[48:49], v[38:39], -v[48:49]
	v_add_f64 v[46:47], v[38:39], v[44:45]
	v_add_f64 v[40:41], v[44:45], -v[40:41]
	v_fma_f64 v[34:35], v[36:37], v[34:35], s[66:67]
	v_add_f64 v[42:43], v[42:43], -v[48:49]
	v_add_f64 v[50:51], v[46:47], -v[38:39]
	;; [unrolled: 1-line block ×3, first 2 shown]
	v_fma_f64 v[34:35], v[36:37], v[34:35], s[68:69]
	v_add_f64 v[52:53], v[46:47], -v[50:51]
	v_add_f64 v[40:41], v[44:45], -v[50:51]
	v_fma_f64 v[34:35], v[36:37], v[34:35], s[70:71]
	v_add_f64 v[44:45], v[42:43], v[27:28]
	v_add_f64 v[38:39], v[38:39], -v[52:53]
	v_fma_f64 v[34:35], v[36:37], v[34:35], s[72:73]
	v_add_f64 v[38:39], v[40:41], v[38:39]
	;; [unrolled: 3-line block ×3, first 2 shown]
	v_add_f64 v[44:45], v[44:45], -v[40:41]
	v_fma_f64 v[34:35], v[36:37], v[34:35], s[76:77]
	v_add_f64 v[27:28], v[27:28], -v[40:41]
	v_add_f64 v[48:49], v[46:47], v[38:39]
	v_mul_f64 v[34:35], v[36:37], v[34:35]
	v_add_f64 v[36:37], v[42:43], -v[44:45]
	v_add_f64 v[40:41], v[48:49], -v[46:47]
	v_fma_f64 v[32:33], v[32:33], v[34:35], v[32:33]
	v_add_f64 v[27:28], v[27:28], v[36:37]
	v_add_f64 v[34:35], v[38:39], -v[40:41]
	v_add_f64 v[36:37], -v[32:33], s[14:15]
	v_add_f64 v[27:28], v[27:28], v[34:35]
	v_cndmask_b32_e64 v33, v33, v37, s[0:1]
	v_cndmask_b32_e64 v32, v32, v36, s[0:1]
	v_add_f64 v[34:35], -v[32:33], s[78:79]
	v_cmp_gt_i32_e64 s[0:1], 0, v6
	v_and_b32_e32 v36, 0x54442d18, v5
	v_cndmask_b32_e64 v18, v63, v64, s[0:1]
	v_add_f64 v[27:28], v[48:49], v[27:28]
	v_cndmask_b32_e64 v29, v65, v66, s[0:1]
	v_cndmask_b32_e64 v32, v32, v34, s[0:1]
	v_and_b32_e32 v34, 0x400921fb, v5
	v_cndmask_b32_e64 v32, v32, v36, s[2:3]
	v_cndmask_b32_e32 v6, v28, v31, vcc
	v_cndmask_b32_e32 v5, v27, v30, vcc
	v_add_f64 v[5:6], v[5:6], 1.0
	v_cndmask_b32_e64 v28, v33, v35, s[0:1]
	v_cmp_ngt_f64_e64 s[0:1], 0, v[30:31]
	v_bfi_b32 v27, s44, v29, v8
	v_cndmask_b32_e64 v28, v28, v34, s[2:3]
	s_and_b64 vcc, s[8:9], s[4:5]
	v_cndmask_b32_e32 v28, v28, v27, vcc
	v_cndmask_b32_e32 v27, v32, v18, vcc
	v_cndmask_b32_e64 v6, v61, v6, s[0:1]
	v_cmp_nge_f64_e64 s[0:1], 0, v[30:31]
	v_cndmask_b32_e64 v29, 0, v5, s[0:1]
	v_cmp_neq_f64_e64 s[0:1], 0, v[30:31]
	v_cndmask_b32_e64 v30, v62, v6, s[0:1]
.LBB191_32:                             ;   in Loop: Header=BB191_5 Depth=1
	s_or_b64 exec, exec, s[6:7]
.LBB191_33:                             ;   in Loop: Header=BB191_5 Depth=1
	s_andn2_saveexec_b64 s[0:1], s[92:93]
	s_cbranch_execz .LBB191_39
; %bb.34:                               ;   in Loop: Header=BB191_5 Depth=1
	v_cmp_nlt_f64_e64 s[2:3], |v[5:6]|, s[94:95]
	v_cmp_nlt_f64_e64 s[4:5], |v[7:8]|, s[94:95]
                                        ; implicit-def: $vgpr30_vgpr31
	s_or_b64 s[2:3], s[2:3], s[4:5]
	s_and_saveexec_b64 s[4:5], s[2:3]
	s_xor_b64 s[2:3], exec, s[4:5]
	s_cbranch_execz .LBB191_36
; %bb.35:                               ;   in Loop: Header=BB191_5 Depth=1
	v_mul_f64 v[27:28], v[7:8], v[7:8]
	v_fma_f64 v[30:31], v[5:6], v[5:6], v[27:28]
.LBB191_36:                             ;   in Loop: Header=BB191_5 Depth=1
	s_andn2_saveexec_b64 s[2:3], s[2:3]
	s_cbranch_execz .LBB191_38
; %bb.37:                               ;   in Loop: Header=BB191_5 Depth=1
	v_mul_f64 v[27:28], v[7:8], 4.0
	v_mul_f64 v[5:6], v[5:6], 4.0
	v_mul_f64 v[27:28], v[27:28], v[27:28]
	v_fma_f64 v[5:6], v[5:6], v[5:6], v[27:28]
	v_ldexp_f64 v[30:31], v[5:6], -4
.LBB191_38:                             ;   in Loop: Header=BB191_5 Depth=1
	s_or_b64 exec, exec, s[2:3]
	v_frexp_mant_f64_e32 v[5:6], v[30:31]
	s_mov_b32 s91, s23
	v_cmp_gt_f64_e32 vcc, s[22:23], v[5:6]
	v_cndmask_b32_e64 v7, 0, 1, vcc
	v_ldexp_f64 v[5:6], v[5:6], v7
	v_frexp_exp_i32_f64_e32 v7, v[30:31]
	v_add_f64 v[27:28], v[5:6], 1.0
	v_add_f64 v[36:37], v[5:6], -1.0
	v_subbrev_co_u32_e32 v7, vcc, 0, v7, vcc
	v_cmp_class_f64_e64 vcc, v[30:31], s46
	v_rcp_f64_e32 v[32:33], v[27:28]
	v_add_f64 v[38:39], v[27:28], -1.0
	v_add_f64 v[5:6], v[5:6], -v[38:39]
	v_fma_f64 v[34:35], -v[27:28], v[32:33], 1.0
	v_fma_f64 v[32:33], v[34:35], v[32:33], v[32:33]
	v_fma_f64 v[34:35], -v[27:28], v[32:33], 1.0
	v_fma_f64 v[32:33], v[34:35], v[32:33], v[32:33]
	v_mul_f64 v[34:35], v[36:37], v[32:33]
	v_mul_f64 v[40:41], v[27:28], v[34:35]
	v_fma_f64 v[27:28], v[34:35], v[27:28], -v[40:41]
	v_fma_f64 v[5:6], v[34:35], v[5:6], v[27:28]
	v_add_f64 v[27:28], v[40:41], v[5:6]
	v_add_f64 v[38:39], v[36:37], -v[27:28]
	v_add_f64 v[40:41], v[27:28], -v[40:41]
	;; [unrolled: 1-line block ×5, first 2 shown]
	v_add_f64 v[5:6], v[5:6], v[27:28]
	v_add_f64 v[5:6], v[38:39], v[5:6]
	v_mul_f64 v[5:6], v[32:33], v[5:6]
	v_add_f64 v[27:28], v[34:35], v[5:6]
	v_mul_f64 v[32:33], v[27:28], v[27:28]
	v_fma_f64 v[36:37], v[32:33], s[24:25], v[19:20]
	v_mul_f64 v[38:39], v[27:28], v[32:33]
	v_fma_f64 v[36:37], v[32:33], v[36:37], s[26:27]
	v_fma_f64 v[36:37], v[32:33], v[36:37], s[28:29]
	;; [unrolled: 1-line block ×5, first 2 shown]
	v_ldexp_f64 v[36:37], v[27:28], 1
	v_add_f64 v[27:28], v[27:28], -v[34:35]
	v_mul_f64 v[32:33], v[38:39], v[32:33]
	v_cvt_f64_i32_e32 v[38:39], v7
	v_add_f64 v[5:6], v[5:6], -v[27:28]
	v_mul_f64 v[40:41], v[38:39], s[36:37]
	v_add_f64 v[34:35], v[36:37], v[32:33]
	v_ldexp_f64 v[5:6], v[5:6], 1
	v_add_f64 v[27:28], v[34:35], -v[36:37]
	v_fma_f64 v[36:37], v[38:39], s[36:37], -v[40:41]
	v_add_f64 v[27:28], v[32:33], -v[27:28]
	v_fma_f64 v[32:33], v[38:39], s[38:39], v[36:37]
	v_add_f64 v[5:6], v[5:6], v[27:28]
	v_add_f64 v[27:28], v[40:41], v[32:33]
	;; [unrolled: 1-line block ×3, first 2 shown]
	v_add_f64 v[40:41], v[27:28], -v[40:41]
	v_add_f64 v[38:39], v[27:28], v[36:37]
	v_add_f64 v[34:35], v[36:37], -v[34:35]
	v_add_f64 v[32:33], v[32:33], -v[40:41]
	;; [unrolled: 1-line block ×6, first 2 shown]
	v_add_f64 v[36:37], v[32:33], v[5:6]
	v_add_f64 v[27:28], v[27:28], -v[44:45]
	v_add_f64 v[27:28], v[34:35], v[27:28]
	v_add_f64 v[34:35], v[36:37], -v[32:33]
	;; [unrolled: 2-line block ×3, first 2 shown]
	v_add_f64 v[5:6], v[5:6], -v[34:35]
	v_add_f64 v[40:41], v[38:39], v[27:28]
	v_add_f64 v[32:33], v[32:33], -v[36:37]
	v_add_f64 v[34:35], v[40:41], -v[38:39]
	v_add_f64 v[5:6], v[5:6], v[32:33]
	v_add_f64 v[27:28], v[27:28], -v[34:35]
	v_add_f64 v[5:6], v[5:6], v[27:28]
	v_mov_b32_e32 v27, 0
	v_mov_b32_e32 v28, 0x7ff80000
	v_add_f64 v[5:6], v[40:41], v[5:6]
	v_cndmask_b32_e32 v5, v5, v30, vcc
	v_cndmask_b32_e32 v6, v6, v31, vcc
	v_cmp_ngt_f64_e32 vcc, 0, v[30:31]
	v_cndmask_b32_e32 v6, v61, v6, vcc
	v_cmp_nge_f64_e32 vcc, 0, v[30:31]
	v_cndmask_b32_e32 v29, 0, v5, vcc
	v_cmp_neq_f64_e32 vcc, 0, v[30:31]
	v_cndmask_b32_e32 v30, v62, v6, vcc
.LBB191_39:                             ;   in Loop: Header=BB191_5 Depth=1
	s_or_b64 exec, exec, s[0:1]
	s_waitcnt vmcnt(2)
	v_cmp_o_f64_e32 vcc, v[9:10], v[11:12]
                                        ; implicit-def: $vgpr31_vgpr32
                                        ; implicit-def: $vgpr5_vgpr6
	s_and_saveexec_b64 s[0:1], vcc
	s_xor_b64 s[92:93], exec, s[0:1]
	s_cbranch_execz .LBB191_67
; %bb.40:                               ;   in Loop: Header=BB191_5 Depth=1
	v_cmp_lt_f64_e64 s[0:1], |v[9:10]|, |v[11:12]|
	v_and_b32_e32 v7, 0x7fffffff, v10
	v_and_b32_e32 v18, 0x7fffffff, v12
	s_mov_b32 s2, 0x85ebc8a0
	s_mov_b32 s3, 0x7fd1ccf3
	v_mov_b32_e32 v33, v11
                                        ; implicit-def: $vgpr31_vgpr32
                                        ; implicit-def: $vgpr5_vgpr6
	v_cndmask_b32_e64 v36, v18, v7, s[0:1]
	v_cndmask_b32_e64 v35, v11, v9, s[0:1]
	v_cmp_nlt_f64_e32 vcc, s[2:3], v[35:36]
	s_and_saveexec_b64 s[2:3], vcc
	s_xor_b64 s[18:19], exec, s[2:3]
	s_cbranch_execz .LBB191_64
; %bb.41:                               ;   in Loop: Header=BB191_5 Depth=1
	v_cndmask_b32_e64 v38, v7, v18, s[0:1]
	v_cndmask_b32_e64 v37, v9, v33, s[0:1]
	v_cmp_neq_f64_e32 vcc, 1.0, v[37:38]
                                        ; implicit-def: $vgpr31_vgpr32
                                        ; implicit-def: $vgpr5_vgpr6
	s_and_saveexec_b64 s[2:3], vcc
	s_xor_b64 s[20:21], exec, s[2:3]
	s_cbranch_execz .LBB191_57
; %bb.42:                               ;   in Loop: Header=BB191_5 Depth=1
	v_max_f64 v[5:6], v[35:36], v[35:36]
	v_max_f64 v[31:32], v[37:38], v[37:38]
	s_mov_b32 s2, 0x4ad4b81f
	s_mov_b32 s3, 0x358dee7a
	v_min_f64 v[33:34], v[31:32], v[5:6]
	v_max_f64 v[5:6], v[31:32], v[5:6]
                                        ; implicit-def: $vgpr31_vgpr32
	v_cmp_ngt_f64_e32 vcc, s[2:3], v[33:34]
	s_mov_b32 s2, 0xc57e649a
	s_mov_b32 s3, 0x4a511b0e
	v_cmp_nlt_f64_e64 s[2:3], s[2:3], v[5:6]
                                        ; implicit-def: $vgpr5_vgpr6
	s_and_b64 s[2:3], s[2:3], vcc
	s_and_saveexec_b64 s[4:5], s[2:3]
	s_xor_b64 s[82:83], exec, s[4:5]
	s_cbranch_execz .LBB191_54
; %bb.43:                               ;   in Loop: Header=BB191_5 Depth=1
	v_cmp_le_f64_e32 vcc, 1.0, v[37:38]
                                        ; implicit-def: $vgpr31_vgpr32
                                        ; implicit-def: $vgpr5_vgpr6
	s_and_saveexec_b64 s[2:3], vcc
	s_xor_b64 s[10:11], exec, s[2:3]
	s_cbranch_execz .LBB191_45
; %bb.44:                               ;   in Loop: Header=BB191_5 Depth=1
	v_add_f64 v[5:6], v[37:38], -1.0
	v_add_f64 v[31:32], v[37:38], 1.0
	s_mov_b32 s91, s23
	s_mov_b32 s78, s14
	;; [unrolled: 1-line block ×4, first 2 shown]
	v_cmp_class_f64_e64 s[16:17], v[9:10], s46
	v_cmp_class_f64_e64 s[4:5], v[11:12], s46
	v_mul_f64 v[5:6], v[5:6], v[31:32]
	v_fma_f64 v[32:33], v[35:36], v[35:36], v[5:6]
	v_add_f64 v[5:6], v[32:33], 1.0
	v_cmp_nge_f64_e64 s[6:7], -1.0, v[32:33]
	v_cmp_neq_f64_e64 s[8:9], s[8:9], v[32:33]
	v_frexp_mant_f64_e32 v[36:37], v[5:6]
	v_frexp_exp_i32_f64_e32 v7, v[5:6]
	v_add_f64 v[34:35], v[5:6], -1.0
	v_cmp_gt_f64_e32 vcc, s[22:23], v[36:37]
	v_add_f64 v[38:39], v[34:35], -v[5:6]
	v_add_f64 v[34:35], v[32:33], -v[34:35]
	v_subbrev_co_u32_e32 v7, vcc, 0, v7, vcc
	v_sub_u32_e32 v18, 0, v7
	v_ldexp_f64 v[5:6], v[5:6], v18
	v_add_f64 v[36:37], v[38:39], 1.0
	v_add_f64 v[38:39], v[5:6], 1.0
	v_add_f64 v[34:35], v[34:35], v[36:37]
	v_add_f64 v[44:45], v[5:6], -1.0
	v_add_f64 v[36:37], v[38:39], -1.0
	v_ldexp_f64 v[34:35], v[34:35], v18
	v_add_f64 v[46:47], v[44:45], 1.0
	v_add_f64 v[36:37], v[5:6], -v[36:37]
	v_add_f64 v[5:6], v[5:6], -v[46:47]
	v_add_f64 v[40:41], v[34:35], v[36:37]
	v_add_f64 v[46:47], v[34:35], v[5:6]
	;; [unrolled: 1-line block ×3, first 2 shown]
	v_rcp_f64_e32 v[42:43], v[36:37]
	v_add_f64 v[38:39], v[36:37], -v[38:39]
	v_add_f64 v[40:41], v[40:41], -v[38:39]
	v_fma_f64 v[48:49], -v[36:37], v[42:43], 1.0
	v_fma_f64 v[42:43], v[48:49], v[42:43], v[42:43]
	v_add_f64 v[48:49], v[44:45], v[46:47]
	v_fma_f64 v[5:6], -v[36:37], v[42:43], 1.0
	v_add_f64 v[44:45], v[48:49], -v[44:45]
	v_fma_f64 v[5:6], v[5:6], v[42:43], v[42:43]
	v_add_f64 v[44:45], v[46:47], -v[44:45]
	v_mul_f64 v[34:35], v[48:49], v[5:6]
	v_mul_f64 v[42:43], v[36:37], v[34:35]
	v_fma_f64 v[38:39], v[34:35], v[36:37], -v[42:43]
	v_fma_f64 v[50:51], v[34:35], v[40:41], v[38:39]
	v_add_f64 v[52:53], v[42:43], v[50:51]
	v_add_f64 v[38:39], v[48:49], -v[52:53]
	v_add_f64 v[42:43], v[52:53], -v[42:43]
	;; [unrolled: 1-line block ×5, first 2 shown]
	v_add_f64 v[44:45], v[44:45], v[46:47]
	v_max_f64 v[46:47], |v[9:10]|, |v[9:10]|
	v_ashrrev_i32_e32 v9, 31, v10
	v_and_b32_e32 v31, 0x54442d18, v9
	v_add_f64 v[42:43], v[42:43], v[44:45]
	v_max_f64 v[44:45], |v[11:12]|, |v[11:12]|
	v_add_f64 v[48:49], v[38:39], v[42:43]
	v_max_f64 v[50:51], v[46:47], v[44:45]
	v_min_f64 v[44:45], v[46:47], v[44:45]
	v_mul_f64 v[46:47], v[5:6], v[48:49]
	v_add_f64 v[38:39], v[38:39], -v[48:49]
	v_div_scale_f64 v[52:53], s[2:3], v[50:51], v[50:51], v[44:45]
	s_mov_b32 s2, 0x69efb384
	s_mov_b32 s3, 0x3f4b2bb0
	v_mul_f64 v[54:55], v[36:37], v[46:47]
	v_add_f64 v[38:39], v[42:43], v[38:39]
	v_fma_f64 v[36:37], v[46:47], v[36:37], -v[54:55]
	v_rcp_f64_e32 v[56:57], v[52:53]
	v_fma_f64 v[36:37], v[46:47], v[40:41], v[36:37]
	v_add_f64 v[40:41], v[54:55], v[36:37]
	v_fma_f64 v[67:68], -v[52:53], v[56:57], 1.0
	v_add_f64 v[69:70], v[48:49], -v[40:41]
	v_add_f64 v[42:43], v[40:41], -v[54:55]
	v_fma_f64 v[56:57], v[56:57], v[67:68], v[56:57]
	v_div_scale_f64 v[67:68], vcc, v[44:45], v[50:51], v[44:45]
	v_add_f64 v[48:49], v[48:49], -v[69:70]
	v_add_f64 v[36:37], v[42:43], -v[36:37]
	v_fma_f64 v[71:72], -v[52:53], v[56:57], 1.0
	v_add_f64 v[42:43], v[34:35], v[46:47]
	v_add_f64 v[40:41], v[48:49], -v[40:41]
	v_fma_f64 v[48:49], v[56:57], v[71:72], v[56:57]
	v_add_f64 v[34:35], v[42:43], -v[34:35]
	v_add_f64 v[38:39], v[38:39], v[40:41]
	v_mul_f64 v[40:41], v[67:68], v[48:49]
	v_add_f64 v[34:35], v[46:47], -v[34:35]
	v_add_f64 v[36:37], v[36:37], v[38:39]
	v_fma_f64 v[38:39], -v[52:53], v[40:41], v[67:68]
	v_add_f64 v[36:37], v[69:70], v[36:37]
	v_div_fmas_f64 v[38:39], v[38:39], v[48:49], v[40:41]
	v_cmp_gt_i32_e32 vcc, 0, v10
	v_cndmask_b32_e32 v18, v65, v66, vcc
	v_mul_f64 v[5:6], v[5:6], v[36:37]
	v_add_f64 v[5:6], v[34:35], v[5:6]
	v_div_fixup_f64 v[34:35], v[38:39], v[50:51], v[44:45]
	v_add_f64 v[36:37], v[42:43], v[5:6]
	v_mul_f64 v[38:39], v[34:35], v[34:35]
	v_mul_f64 v[40:41], v[36:37], v[36:37]
	v_fma_f64 v[44:45], v[38:39], s[40:41], v[21:22]
	v_fma_f64 v[46:47], v[40:41], s[24:25], v[19:20]
	v_mul_f64 v[48:49], v[36:37], v[40:41]
	v_fma_f64 v[44:45], v[38:39], v[44:45], s[2:3]
	s_mov_b32 s2, 0xaf56de9b
	s_mov_b32 s3, 0xbf67952d
	v_fma_f64 v[46:47], v[40:41], v[46:47], s[26:27]
	v_fma_f64 v[44:45], v[38:39], v[44:45], s[2:3]
	s_mov_b32 s2, 0xa595c56f
	s_mov_b32 s3, 0x3f7d6d43
	v_fma_f64 v[46:47], v[40:41], v[46:47], s[28:29]
	v_fma_f64 v[44:45], v[38:39], v[44:45], s[2:3]
	v_cmp_eq_f64_e64 s[2:3], 0, v[11:12]
	v_fma_f64 v[46:47], v[40:41], v[46:47], s[30:31]
	v_fma_f64 v[44:45], v[38:39], v[44:45], s[48:49]
	;; [unrolled: 1-line block ×5, first 2 shown]
	v_ldexp_f64 v[46:47], v[36:37], 1
	v_fma_f64 v[44:45], v[38:39], v[44:45], s[52:53]
	v_add_f64 v[36:37], v[36:37], -v[42:43]
	v_mul_f64 v[40:41], v[48:49], v[40:41]
	v_cvt_f64_i32_e32 v[48:49], v7
	v_fma_f64 v[44:45], v[38:39], v[44:45], s[54:55]
	v_add_f64 v[5:6], v[5:6], -v[36:37]
	v_cndmask_b32_e32 v7, v63, v64, vcc
	v_mul_f64 v[50:51], v[48:49], s[36:37]
	v_add_f64 v[42:43], v[46:47], v[40:41]
	v_fma_f64 v[44:45], v[38:39], v[44:45], s[42:43]
	v_ldexp_f64 v[5:6], v[5:6], 1
	v_add_f64 v[36:37], v[42:43], -v[46:47]
	v_fma_f64 v[46:47], v[48:49], s[36:37], -v[50:51]
	v_fma_f64 v[44:45], v[38:39], v[44:45], s[58:59]
	v_add_f64 v[36:37], v[40:41], -v[36:37]
	v_fma_f64 v[40:41], v[38:39], v[44:45], s[60:61]
	v_fma_f64 v[44:45], v[48:49], s[38:39], v[46:47]
	v_add_f64 v[5:6], v[5:6], v[36:37]
	v_fma_f64 v[36:37], v[38:39], v[40:41], s[62:63]
	v_add_f64 v[40:41], v[50:51], v[44:45]
	v_add_f64 v[46:47], v[42:43], v[5:6]
	v_fma_f64 v[36:37], v[38:39], v[36:37], s[64:65]
	v_add_f64 v[50:51], v[40:41], -v[50:51]
	v_add_f64 v[48:49], v[40:41], v[46:47]
	v_add_f64 v[42:43], v[46:47], -v[42:43]
	v_fma_f64 v[36:37], v[38:39], v[36:37], s[66:67]
	v_add_f64 v[44:45], v[44:45], -v[50:51]
	v_add_f64 v[52:53], v[48:49], -v[40:41]
	;; [unrolled: 1-line block ×3, first 2 shown]
	v_fma_f64 v[36:37], v[38:39], v[36:37], s[68:69]
	v_add_f64 v[54:55], v[48:49], -v[52:53]
	v_add_f64 v[42:43], v[46:47], -v[52:53]
	v_fma_f64 v[36:37], v[38:39], v[36:37], s[70:71]
	v_add_f64 v[46:47], v[44:45], v[5:6]
	v_add_f64 v[40:41], v[40:41], -v[54:55]
	v_fma_f64 v[36:37], v[38:39], v[36:37], s[72:73]
	v_add_f64 v[40:41], v[42:43], v[40:41]
	;; [unrolled: 3-line block ×3, first 2 shown]
	v_add_f64 v[46:47], v[46:47], -v[42:43]
	v_fma_f64 v[36:37], v[38:39], v[36:37], s[76:77]
	v_add_f64 v[5:6], v[5:6], -v[42:43]
	v_add_f64 v[50:51], v[48:49], v[40:41]
	v_mul_f64 v[36:37], v[38:39], v[36:37]
	v_add_f64 v[38:39], v[44:45], -v[46:47]
	v_add_f64 v[42:43], v[50:51], -v[48:49]
	v_fma_f64 v[34:35], v[34:35], v[36:37], v[34:35]
	v_add_f64 v[5:6], v[5:6], v[38:39]
	v_add_f64 v[36:37], v[40:41], -v[42:43]
	v_add_f64 v[38:39], -v[34:35], s[14:15]
	v_add_f64 v[5:6], v[5:6], v[36:37]
	v_cndmask_b32_e64 v35, v35, v39, s[0:1]
	v_cndmask_b32_e64 v34, v34, v38, s[0:1]
	v_add_f64 v[36:37], -v[34:35], s[78:79]
	v_add_f64 v[5:6], v[50:51], v[5:6]
	v_cndmask_b32_e32 v34, v34, v36, vcc
	v_and_b32_e32 v36, 0x400921fb, v9
	v_mul_f64 v[9:10], v[5:6], 0.5
	v_cndmask_b32_e32 v6, v35, v37, vcc
	v_bfi_b32 v5, s44, v18, v12
	v_cndmask_b32_e64 v18, v34, v31, s[2:3]
	v_cndmask_b32_e64 v6, v6, v36, s[2:3]
	s_and_b64 s[2:3], s[6:7], s[8:9]
	s_and_b64 vcc, s[16:17], s[4:5]
	v_cndmask_b32_e32 v6, v6, v5, vcc
	v_cndmask_b32_e64 v31, 0, v9, s[2:3]
	v_cmp_ngt_f64_e64 s[2:3], -1.0, v[32:33]
	v_cndmask_b32_e64 v5, v60, v10, s[8:9]
                                        ; implicit-def: $vgpr35_vgpr36
                                        ; implicit-def: $vgpr37_vgpr38
	v_cndmask_b32_e64 v5, v61, v5, s[2:3]
	v_cmp_neq_f64_e64 s[2:3], -1.0, v[32:33]
	v_cndmask_b32_e64 v32, v62, v5, s[2:3]
	v_cndmask_b32_e32 v5, v18, v7, vcc
.LBB191_45:                             ;   in Loop: Header=BB191_5 Depth=1
	s_andn2_saveexec_b64 s[10:11], s[10:11]
	s_cbranch_execz .LBB191_53
; %bb.46:                               ;   in Loop: Header=BB191_5 Depth=1
	v_mul_f64 v[5:6], v[35:36], v[35:36]
	s_mov_b32 s2, 0x66666666
	s_mov_b32 s3, 0x3fe66666
                                        ; implicit-def: $vgpr31_vgpr32
	v_fma_f64 v[33:34], v[37:38], v[37:38], v[5:6]
                                        ; implicit-def: $vgpr5_vgpr6
	v_cmp_ge_f64_e32 vcc, s[2:3], v[33:34]
	s_and_saveexec_b64 s[2:3], vcc
	s_xor_b64 s[8:9], exec, s[2:3]
	s_cbranch_execz .LBB191_48
; %bb.47:                               ;   in Loop: Header=BB191_5 Depth=1
	v_frexp_mant_f64_e32 v[5:6], v[33:34]
	v_max_f64 v[39:40], |v[11:12]|, |v[11:12]|
	v_max_f64 v[41:42], |v[9:10]|, |v[9:10]|
	s_mov_b32 s91, s23
	s_mov_b32 s78, s14
	v_cmp_class_f64_e64 s[16:17], v[9:10], s46
	v_ashrrev_i32_e32 v9, 31, v10
	v_and_b32_e32 v18, 0x54442d18, v9
	v_cmp_gt_f64_e64 s[2:3], s[22:23], v[5:6]
	v_cmp_neq_f64_e64 s[6:7], 0, v[33:34]
	v_cndmask_b32_e64 v7, 0, 1, s[2:3]
	v_ldexp_f64 v[5:6], v[5:6], v7
	v_frexp_exp_i32_f64_e32 v7, v[33:34]
	v_add_f64 v[31:32], v[5:6], 1.0
	v_add_f64 v[45:46], v[5:6], -1.0
	v_rcp_f64_e32 v[35:36], v[31:32]
	v_add_f64 v[49:50], v[31:32], -1.0
	v_add_f64 v[5:6], v[5:6], -v[49:50]
	v_fma_f64 v[37:38], -v[31:32], v[35:36], 1.0
	v_fma_f64 v[35:36], v[37:38], v[35:36], v[35:36]
	v_max_f64 v[37:38], v[41:42], v[39:40]
	v_min_f64 v[39:40], v[41:42], v[39:40]
	v_fma_f64 v[41:42], -v[31:32], v[35:36], 1.0
	v_div_scale_f64 v[43:44], s[4:5], v[37:38], v[37:38], v[39:40]
	s_mov_b32 s4, 0x69efb384
	s_mov_b32 s5, 0x3f4b2bb0
	v_fma_f64 v[35:36], v[41:42], v[35:36], v[35:36]
	v_mul_f64 v[41:42], v[45:46], v[35:36]
	v_rcp_f64_e32 v[47:48], v[43:44]
	v_mul_f64 v[51:52], v[31:32], v[41:42]
	v_fma_f64 v[31:32], v[41:42], v[31:32], -v[51:52]
	v_fma_f64 v[49:50], -v[43:44], v[47:48], 1.0
	v_fma_f64 v[5:6], v[41:42], v[5:6], v[31:32]
	v_fma_f64 v[31:32], v[47:48], v[49:50], v[47:48]
	v_div_scale_f64 v[49:50], vcc, v[39:40], v[37:38], v[39:40]
	v_add_f64 v[47:48], v[51:52], v[5:6]
	v_fma_f64 v[53:54], -v[43:44], v[31:32], 1.0
	v_add_f64 v[55:56], v[45:46], -v[47:48]
	v_add_f64 v[51:52], v[47:48], -v[51:52]
	v_fma_f64 v[31:32], v[31:32], v[53:54], v[31:32]
	v_add_f64 v[45:46], v[45:46], -v[55:56]
	v_add_f64 v[5:6], v[51:52], -v[5:6]
	v_mul_f64 v[53:54], v[49:50], v[31:32]
	v_add_f64 v[45:46], v[45:46], -v[47:48]
	v_fma_f64 v[43:44], -v[43:44], v[53:54], v[49:50]
	v_add_f64 v[5:6], v[5:6], v[45:46]
	v_div_fmas_f64 v[31:32], v[43:44], v[31:32], v[53:54]
	v_subbrev_co_u32_e64 v7, vcc, 0, v7, s[2:3]
	v_cmp_eq_f64_e64 s[2:3], 0, v[11:12]
	v_cmp_gt_i32_e32 vcc, 0, v10
	v_add_f64 v[5:6], v[55:56], v[5:6]
	v_mul_f64 v[5:6], v[35:36], v[5:6]
	v_div_fixup_f64 v[31:32], v[31:32], v[37:38], v[39:40]
	v_add_f64 v[35:36], v[41:42], v[5:6]
	v_mul_f64 v[37:38], v[31:32], v[31:32]
	v_mul_f64 v[39:40], v[35:36], v[35:36]
	v_fma_f64 v[43:44], v[37:38], s[40:41], v[21:22]
	v_fma_f64 v[45:46], v[39:40], s[24:25], v[19:20]
	v_mul_f64 v[47:48], v[35:36], v[39:40]
	v_fma_f64 v[43:44], v[37:38], v[43:44], s[4:5]
	s_mov_b32 s4, 0xaf56de9b
	s_mov_b32 s5, 0xbf67952d
	v_fma_f64 v[45:46], v[39:40], v[45:46], s[26:27]
	v_fma_f64 v[43:44], v[37:38], v[43:44], s[4:5]
	s_mov_b32 s4, 0xa595c56f
	s_mov_b32 s5, 0x3f7d6d43
	v_fma_f64 v[45:46], v[39:40], v[45:46], s[28:29]
	v_fma_f64 v[43:44], v[37:38], v[43:44], s[4:5]
	v_cmp_class_f64_e64 s[4:5], v[11:12], s46
	v_fma_f64 v[45:46], v[39:40], v[45:46], s[30:31]
	v_fma_f64 v[43:44], v[37:38], v[43:44], s[48:49]
	;; [unrolled: 1-line block ×5, first 2 shown]
	v_ldexp_f64 v[45:46], v[35:36], 1
	v_fma_f64 v[43:44], v[37:38], v[43:44], s[52:53]
	v_add_f64 v[35:36], v[35:36], -v[41:42]
	v_mul_f64 v[39:40], v[47:48], v[39:40]
	v_cvt_f64_i32_e32 v[47:48], v7
	v_fma_f64 v[43:44], v[37:38], v[43:44], s[54:55]
	v_add_f64 v[5:6], v[5:6], -v[35:36]
	v_cndmask_b32_e32 v7, v63, v64, vcc
	v_mul_f64 v[49:50], v[47:48], s[36:37]
	v_add_f64 v[41:42], v[45:46], v[39:40]
	v_fma_f64 v[43:44], v[37:38], v[43:44], s[42:43]
	v_ldexp_f64 v[5:6], v[5:6], 1
	v_add_f64 v[35:36], v[41:42], -v[45:46]
	v_fma_f64 v[45:46], v[47:48], s[36:37], -v[49:50]
	v_fma_f64 v[43:44], v[37:38], v[43:44], s[58:59]
	v_add_f64 v[35:36], v[39:40], -v[35:36]
	v_fma_f64 v[39:40], v[37:38], v[43:44], s[60:61]
	v_fma_f64 v[43:44], v[47:48], s[38:39], v[45:46]
	v_add_f64 v[5:6], v[5:6], v[35:36]
	v_fma_f64 v[35:36], v[37:38], v[39:40], s[62:63]
	v_add_f64 v[39:40], v[49:50], v[43:44]
	v_add_f64 v[45:46], v[41:42], v[5:6]
	v_fma_f64 v[35:36], v[37:38], v[35:36], s[64:65]
	v_add_f64 v[49:50], v[39:40], -v[49:50]
	v_add_f64 v[47:48], v[39:40], v[45:46]
	v_add_f64 v[41:42], v[45:46], -v[41:42]
	v_fma_f64 v[35:36], v[37:38], v[35:36], s[66:67]
	v_add_f64 v[43:44], v[43:44], -v[49:50]
	v_add_f64 v[51:52], v[47:48], -v[39:40]
	;; [unrolled: 1-line block ×3, first 2 shown]
	v_fma_f64 v[35:36], v[37:38], v[35:36], s[68:69]
	v_add_f64 v[53:54], v[47:48], -v[51:52]
	v_add_f64 v[41:42], v[45:46], -v[51:52]
	v_fma_f64 v[35:36], v[37:38], v[35:36], s[70:71]
	v_add_f64 v[45:46], v[43:44], v[5:6]
	v_add_f64 v[39:40], v[39:40], -v[53:54]
	v_fma_f64 v[35:36], v[37:38], v[35:36], s[72:73]
	v_add_f64 v[39:40], v[41:42], v[39:40]
	;; [unrolled: 3-line block ×3, first 2 shown]
	v_add_f64 v[45:46], v[45:46], -v[41:42]
	v_fma_f64 v[35:36], v[37:38], v[35:36], s[76:77]
	v_add_f64 v[5:6], v[5:6], -v[41:42]
	v_add_f64 v[49:50], v[47:48], v[39:40]
	v_mul_f64 v[35:36], v[37:38], v[35:36]
	v_add_f64 v[37:38], v[43:44], -v[45:46]
	v_add_f64 v[41:42], v[49:50], -v[47:48]
	v_fma_f64 v[31:32], v[31:32], v[35:36], v[31:32]
	v_add_f64 v[5:6], v[5:6], v[37:38]
	v_add_f64 v[35:36], v[39:40], -v[41:42]
	v_add_f64 v[37:38], -v[31:32], s[14:15]
	v_add_f64 v[5:6], v[5:6], v[35:36]
	v_cndmask_b32_e64 v32, v32, v38, s[0:1]
	v_cndmask_b32_e64 v31, v31, v37, s[0:1]
	v_add_f64 v[35:36], -v[31:32], s[78:79]
	v_and_b32_e32 v37, 0x400921fb, v9
	v_add_f64 v[5:6], v[49:50], v[5:6]
	v_cndmask_b32_e32 v31, v31, v35, vcc
	v_cndmask_b32_e32 v35, v65, v66, vcc
	v_cndmask_b32_e64 v18, v31, v18, s[2:3]
	v_mul_f64 v[9:10], v[5:6], 0.5
	v_cndmask_b32_e32 v6, v32, v36, vcc
	v_bfi_b32 v5, s44, v35, v12
	v_cndmask_b32_e64 v6, v6, v37, s[2:3]
	s_and_b64 vcc, s[16:17], s[4:5]
	v_cndmask_b32_e32 v6, v6, v5, vcc
	v_cndmask_b32_e32 v5, v18, v7, vcc
                                        ; implicit-def: $vgpr37_vgpr38
                                        ; implicit-def: $vgpr35_vgpr36
	v_cndmask_b32_e64 v32, v62, v10, s[6:7]
	v_cndmask_b32_e64 v31, 0, v9, s[6:7]
.LBB191_48:                             ;   in Loop: Header=BB191_5 Depth=1
	s_andn2_saveexec_b64 s[16:17], s[8:9]
	s_cbranch_execz .LBB191_52
; %bb.49:                               ;   in Loop: Header=BB191_5 Depth=1
	v_and_b32_e32 v18, 0x7ffffff8, v38
	v_and_b32_e32 v32, 0x7ffffff8, v36
	v_mov_b32_e32 v31, v17
	v_add_f64 v[5:6], v[37:38], -v[17:18]
	v_add_f64 v[33:34], v[35:36], -v[31:32]
	v_mov_b32_e32 v37, v17
	v_mov_b32_e32 v45, v17
	v_add_f64 v[41:42], v[17:18], v[17:18]
	v_add_f64 v[43:44], v[31:32], v[31:32]
	v_mul_f64 v[31:32], v[31:32], v[31:32]
	s_mov_b64 s[4:5], 0
	v_and_b32_e32 v38, -8, v6
	v_and_b32_e32 v46, -8, v34
	v_add_f64 v[51:52], v[5:6], -v[37:38]
	v_add_f64 v[53:54], v[33:34], -v[45:46]
	v_add_f64 v[55:56], v[37:38], v[37:38]
	v_add_f64 v[57:58], v[45:46], v[45:46]
	v_mul_f64 v[5:6], v[17:18], v[17:18]
	v_mul_f64 v[35:36], v[41:42], v[37:38]
	;; [unrolled: 1-line block ×11, first 2 shown]
.LBB191_50:                             ;   Parent Loop BB191_5 Depth=1
                                        ; =>  This Inner Loop Header: Depth=2
	v_cmp_nlt_f64_e32 vcc, v[5:6], v[31:32]
	v_cndmask_b32_e32 v54, v6, v32, vcc
	v_cndmask_b32_e32 v53, v5, v31, vcc
	v_cmp_nlt_f64_e64 s[2:3], v[53:54], v[35:36]
	v_cndmask_b32_e32 v6, v32, v6, vcc
	v_cndmask_b32_e32 v5, v31, v5, vcc
	v_cndmask_b32_e64 v56, v54, v36, s[2:3]
	v_cndmask_b32_e64 v55, v53, v35, s[2:3]
	v_cmp_nlt_f64_e64 s[6:7], v[55:56], v[33:34]
	v_cndmask_b32_e64 v32, v36, v54, s[2:3]
	v_cndmask_b32_e64 v31, v35, v53, s[2:3]
	s_and_b64 s[40:41], vcc, s[2:3]
	v_cndmask_b32_e64 v58, v56, v34, s[6:7]
	v_cndmask_b32_e64 v57, v55, v33, s[6:7]
	v_cmp_nlt_f64_e64 s[8:9], v[57:58], v[39:40]
	v_cndmask_b32_e64 v36, v34, v56, s[6:7]
	v_cndmask_b32_e64 v35, v33, v55, s[6:7]
	;; [unrolled: 1-line block ×4, first 2 shown]
	v_cmp_nlt_f64_e32 vcc, v[53:54], v[45:46]
	v_cndmask_b32_e64 v34, v40, v58, s[8:9]
	v_cndmask_b32_e64 v33, v39, v57, s[8:9]
	s_and_b64 s[8:9], s[6:7], s[8:9]
	v_cndmask_b32_e32 v56, v54, v46, vcc
	v_cndmask_b32_e32 v55, v53, v45, vcc
	v_cmp_nlt_f64_e64 s[2:3], v[55:56], v[49:50]
	v_cndmask_b32_e32 v40, v46, v54, vcc
	v_cndmask_b32_e32 v39, v45, v53, vcc
	v_cndmask_b32_e64 v54, v56, v50, s[2:3]
	v_cndmask_b32_e64 v53, v55, v49, s[2:3]
	v_cmp_nlt_f64_e64 s[6:7], v[53:54], v[47:48]
	v_cndmask_b32_e64 v46, v50, v56, s[2:3]
	v_cndmask_b32_e64 v45, v49, v55, s[2:3]
	s_and_b64 s[2:3], vcc, s[2:3]
	v_cndmask_b32_e64 v56, v54, v48, s[6:7]
	v_cndmask_b32_e64 v55, v53, v47, s[6:7]
	v_cmp_nlt_f64_e32 vcc, v[55:56], v[43:44]
	v_cndmask_b32_e64 v50, v48, v54, s[6:7]
	v_cndmask_b32_e64 v49, v47, v53, s[6:7]
	s_and_b64 s[6:7], s[2:3], s[6:7]
	v_cndmask_b32_e32 v54, v56, v44, vcc
	v_cndmask_b32_e32 v53, v55, v43, vcc
	v_cmp_nlt_f64_e64 s[2:3], v[53:54], v[41:42]
	v_cndmask_b32_e32 v48, v44, v56, vcc
	v_cndmask_b32_e32 v47, v43, v55, vcc
	s_and_b64 s[6:7], s[6:7], vcc
	v_cndmask_b32_e64 v56, v54, v42, s[2:3]
	v_cndmask_b32_e64 v55, v53, v41, s[2:3]
	v_cmp_nlt_f64_e32 vcc, v[55:56], v[37:38]
	v_cndmask_b32_e64 v44, v42, v54, s[2:3]
	v_cndmask_b32_e64 v43, v41, v53, s[2:3]
	s_and_b64 s[6:7], s[6:7], s[2:3]
	v_cndmask_b32_e32 v58, v56, v38, vcc
	v_cndmask_b32_e32 v57, v55, v37, vcc
	v_cmp_nlt_f64_e64 s[2:3], v[57:58], v[51:52]
	s_and_b64 s[6:7], s[6:7], vcc
	v_cndmask_b32_e32 v42, v38, v56, vcc
	v_cndmask_b32_e32 v41, v37, v55, vcc
	v_cndmask_b32_e64 v54, v58, v52, s[2:3]
	v_cndmask_b32_e64 v53, v57, v51, s[2:3]
	v_cndmask_b32_e64 v38, v52, v58, s[2:3]
	v_cndmask_b32_e64 v37, v51, v57, s[2:3]
	s_and_b64 s[2:3], s[6:7], s[2:3]
	s_and_b64 s[2:3], s[2:3], s[8:9]
	;; [unrolled: 1-line block ×3, first 2 shown]
	s_and_b64 s[2:3], exec, s[2:3]
	v_mov_b32_e32 v51, v53
	s_or_b64 s[4:5], s[2:3], s[4:5]
	v_mov_b32_e32 v52, v54
	s_andn2_b64 exec, exec, s[4:5]
	s_cbranch_execnz .LBB191_50
; %bb.51:                               ;   in Loop: Header=BB191_5 Depth=1
	s_or_b64 exec, exec, s[4:5]
	v_add_f64 v[5:6], v[5:6], -1.0
	s_mov_b32 s91, s23
	s_mov_b32 s78, s14
	;; [unrolled: 1-line block ×4, first 2 shown]
	v_cmp_class_f64_e64 s[40:41], v[9:10], s46
	v_cmp_class_f64_e64 s[4:5], v[11:12], s46
	v_add_f64 v[5:6], v[5:6], v[31:32]
	v_add_f64 v[5:6], v[5:6], v[35:36]
	v_add_f64 v[5:6], v[5:6], v[33:34]
	v_add_f64 v[5:6], v[5:6], v[39:40]
	v_add_f64 v[5:6], v[5:6], v[45:46]
	v_add_f64 v[5:6], v[5:6], v[49:50]
	v_add_f64 v[5:6], v[5:6], v[47:48]
	v_add_f64 v[5:6], v[5:6], v[43:44]
	v_add_f64 v[5:6], v[5:6], v[41:42]
	v_add_f64 v[5:6], v[5:6], v[37:38]
	v_add_f64 v[32:33], v[53:54], v[5:6]
	v_add_f64 v[5:6], v[32:33], 1.0
	v_cmp_nge_f64_e64 s[6:7], -1.0, v[32:33]
	v_cmp_neq_f64_e64 s[8:9], s[8:9], v[32:33]
	v_frexp_mant_f64_e32 v[36:37], v[5:6]
	v_frexp_exp_i32_f64_e32 v7, v[5:6]
	v_add_f64 v[34:35], v[5:6], -1.0
	v_cmp_gt_f64_e32 vcc, s[22:23], v[36:37]
	v_add_f64 v[38:39], v[34:35], -v[5:6]
	v_add_f64 v[34:35], v[32:33], -v[34:35]
	v_subbrev_co_u32_e32 v7, vcc, 0, v7, vcc
	v_sub_u32_e32 v18, 0, v7
	v_ldexp_f64 v[5:6], v[5:6], v18
	v_add_f64 v[36:37], v[38:39], 1.0
	v_add_f64 v[38:39], v[5:6], 1.0
	v_add_f64 v[34:35], v[34:35], v[36:37]
	v_add_f64 v[44:45], v[5:6], -1.0
	v_add_f64 v[36:37], v[38:39], -1.0
	v_ldexp_f64 v[34:35], v[34:35], v18
	v_add_f64 v[46:47], v[44:45], 1.0
	v_add_f64 v[36:37], v[5:6], -v[36:37]
	v_add_f64 v[5:6], v[5:6], -v[46:47]
	v_add_f64 v[40:41], v[34:35], v[36:37]
	v_add_f64 v[46:47], v[34:35], v[5:6]
	;; [unrolled: 1-line block ×3, first 2 shown]
	v_rcp_f64_e32 v[42:43], v[36:37]
	v_add_f64 v[38:39], v[36:37], -v[38:39]
	v_add_f64 v[40:41], v[40:41], -v[38:39]
	v_fma_f64 v[48:49], -v[36:37], v[42:43], 1.0
	v_fma_f64 v[42:43], v[48:49], v[42:43], v[42:43]
	v_add_f64 v[48:49], v[44:45], v[46:47]
	v_fma_f64 v[5:6], -v[36:37], v[42:43], 1.0
	v_add_f64 v[44:45], v[48:49], -v[44:45]
	v_fma_f64 v[5:6], v[5:6], v[42:43], v[42:43]
	v_add_f64 v[44:45], v[46:47], -v[44:45]
	v_mul_f64 v[34:35], v[48:49], v[5:6]
	v_mul_f64 v[42:43], v[36:37], v[34:35]
	v_fma_f64 v[38:39], v[34:35], v[36:37], -v[42:43]
	v_fma_f64 v[50:51], v[34:35], v[40:41], v[38:39]
	v_add_f64 v[52:53], v[42:43], v[50:51]
	v_add_f64 v[38:39], v[48:49], -v[52:53]
	v_add_f64 v[42:43], v[52:53], -v[42:43]
	;; [unrolled: 1-line block ×5, first 2 shown]
	v_add_f64 v[44:45], v[44:45], v[46:47]
	v_max_f64 v[46:47], |v[9:10]|, |v[9:10]|
	v_ashrrev_i32_e32 v9, 31, v10
	v_and_b32_e32 v31, 0x54442d18, v9
	v_add_f64 v[42:43], v[42:43], v[44:45]
	v_max_f64 v[44:45], |v[11:12]|, |v[11:12]|
	v_add_f64 v[48:49], v[38:39], v[42:43]
	v_max_f64 v[50:51], v[46:47], v[44:45]
	v_min_f64 v[44:45], v[46:47], v[44:45]
	v_mul_f64 v[46:47], v[5:6], v[48:49]
	v_add_f64 v[38:39], v[38:39], -v[48:49]
	v_div_scale_f64 v[52:53], s[2:3], v[50:51], v[50:51], v[44:45]
	s_mov_b32 s2, 0xb5e68a13
	s_mov_b32 s3, 0x3eeba404
	v_mul_f64 v[54:55], v[36:37], v[46:47]
	v_add_f64 v[38:39], v[42:43], v[38:39]
	v_fma_f64 v[36:37], v[46:47], v[36:37], -v[54:55]
	v_rcp_f64_e32 v[56:57], v[52:53]
	v_fma_f64 v[36:37], v[46:47], v[40:41], v[36:37]
	v_add_f64 v[40:41], v[54:55], v[36:37]
	v_fma_f64 v[67:68], -v[52:53], v[56:57], 1.0
	v_add_f64 v[69:70], v[48:49], -v[40:41]
	v_add_f64 v[42:43], v[40:41], -v[54:55]
	v_fma_f64 v[56:57], v[56:57], v[67:68], v[56:57]
	v_div_scale_f64 v[67:68], vcc, v[44:45], v[50:51], v[44:45]
	v_add_f64 v[48:49], v[48:49], -v[69:70]
	v_add_f64 v[36:37], v[42:43], -v[36:37]
	v_fma_f64 v[71:72], -v[52:53], v[56:57], 1.0
	v_add_f64 v[42:43], v[34:35], v[46:47]
	v_add_f64 v[40:41], v[48:49], -v[40:41]
	v_fma_f64 v[48:49], v[56:57], v[71:72], v[56:57]
	v_add_f64 v[34:35], v[42:43], -v[34:35]
	v_add_f64 v[38:39], v[38:39], v[40:41]
	v_mul_f64 v[40:41], v[67:68], v[48:49]
	v_add_f64 v[34:35], v[46:47], -v[34:35]
	v_add_f64 v[36:37], v[36:37], v[38:39]
	v_fma_f64 v[38:39], -v[52:53], v[40:41], v[67:68]
	v_add_f64 v[36:37], v[69:70], v[36:37]
	v_div_fmas_f64 v[38:39], v[38:39], v[48:49], v[40:41]
	v_cmp_gt_i32_e32 vcc, 0, v10
	v_cndmask_b32_e32 v18, v65, v66, vcc
	v_mul_f64 v[5:6], v[5:6], v[36:37]
	v_add_f64 v[5:6], v[34:35], v[5:6]
	v_div_fixup_f64 v[34:35], v[38:39], v[50:51], v[44:45]
	v_add_f64 v[36:37], v[42:43], v[5:6]
	v_mul_f64 v[38:39], v[34:35], v[34:35]
	v_mul_f64 v[40:41], v[36:37], v[36:37]
	v_fma_f64 v[44:45], v[38:39], s[2:3], v[21:22]
	s_mov_b32 s2, 0x69efb384
	s_mov_b32 s3, 0x3f4b2bb0
	v_fma_f64 v[46:47], v[40:41], s[24:25], v[19:20]
	v_mul_f64 v[48:49], v[36:37], v[40:41]
	v_fma_f64 v[44:45], v[38:39], v[44:45], s[2:3]
	s_mov_b32 s2, 0xaf56de9b
	s_mov_b32 s3, 0xbf67952d
	v_fma_f64 v[46:47], v[40:41], v[46:47], s[26:27]
	v_fma_f64 v[44:45], v[38:39], v[44:45], s[2:3]
	s_mov_b32 s2, 0xa595c56f
	s_mov_b32 s3, 0x3f7d6d43
	v_fma_f64 v[46:47], v[40:41], v[46:47], s[28:29]
	v_fma_f64 v[44:45], v[38:39], v[44:45], s[2:3]
	v_cmp_eq_f64_e64 s[2:3], 0, v[11:12]
	v_fma_f64 v[46:47], v[40:41], v[46:47], s[30:31]
	v_fma_f64 v[44:45], v[38:39], v[44:45], s[48:49]
	;; [unrolled: 1-line block ×5, first 2 shown]
	v_ldexp_f64 v[46:47], v[36:37], 1
	v_fma_f64 v[44:45], v[38:39], v[44:45], s[52:53]
	v_add_f64 v[36:37], v[36:37], -v[42:43]
	v_mul_f64 v[40:41], v[48:49], v[40:41]
	v_cvt_f64_i32_e32 v[48:49], v7
	v_fma_f64 v[44:45], v[38:39], v[44:45], s[54:55]
	v_add_f64 v[5:6], v[5:6], -v[36:37]
	v_cndmask_b32_e32 v7, v63, v64, vcc
	v_mul_f64 v[50:51], v[48:49], s[36:37]
	v_add_f64 v[42:43], v[46:47], v[40:41]
	v_fma_f64 v[44:45], v[38:39], v[44:45], s[42:43]
	v_ldexp_f64 v[5:6], v[5:6], 1
	v_add_f64 v[36:37], v[42:43], -v[46:47]
	v_fma_f64 v[46:47], v[48:49], s[36:37], -v[50:51]
	v_fma_f64 v[44:45], v[38:39], v[44:45], s[58:59]
	v_add_f64 v[36:37], v[40:41], -v[36:37]
	v_fma_f64 v[40:41], v[38:39], v[44:45], s[60:61]
	v_fma_f64 v[44:45], v[48:49], s[38:39], v[46:47]
	v_add_f64 v[5:6], v[5:6], v[36:37]
	v_fma_f64 v[36:37], v[38:39], v[40:41], s[62:63]
	v_add_f64 v[40:41], v[50:51], v[44:45]
	v_add_f64 v[46:47], v[42:43], v[5:6]
	v_fma_f64 v[36:37], v[38:39], v[36:37], s[64:65]
	v_add_f64 v[50:51], v[40:41], -v[50:51]
	v_add_f64 v[48:49], v[40:41], v[46:47]
	v_add_f64 v[42:43], v[46:47], -v[42:43]
	v_fma_f64 v[36:37], v[38:39], v[36:37], s[66:67]
	v_add_f64 v[44:45], v[44:45], -v[50:51]
	v_add_f64 v[52:53], v[48:49], -v[40:41]
	;; [unrolled: 1-line block ×3, first 2 shown]
	v_fma_f64 v[36:37], v[38:39], v[36:37], s[68:69]
	v_add_f64 v[54:55], v[48:49], -v[52:53]
	v_add_f64 v[42:43], v[46:47], -v[52:53]
	v_fma_f64 v[36:37], v[38:39], v[36:37], s[70:71]
	v_add_f64 v[46:47], v[44:45], v[5:6]
	v_add_f64 v[40:41], v[40:41], -v[54:55]
	v_fma_f64 v[36:37], v[38:39], v[36:37], s[72:73]
	v_add_f64 v[40:41], v[42:43], v[40:41]
	;; [unrolled: 3-line block ×3, first 2 shown]
	v_add_f64 v[46:47], v[46:47], -v[42:43]
	v_fma_f64 v[36:37], v[38:39], v[36:37], s[76:77]
	v_add_f64 v[5:6], v[5:6], -v[42:43]
	v_add_f64 v[50:51], v[48:49], v[40:41]
	v_mul_f64 v[36:37], v[38:39], v[36:37]
	v_add_f64 v[38:39], v[44:45], -v[46:47]
	v_add_f64 v[42:43], v[50:51], -v[48:49]
	v_fma_f64 v[34:35], v[34:35], v[36:37], v[34:35]
	v_add_f64 v[5:6], v[5:6], v[38:39]
	v_add_f64 v[36:37], v[40:41], -v[42:43]
	v_add_f64 v[38:39], -v[34:35], s[14:15]
	v_add_f64 v[5:6], v[5:6], v[36:37]
	v_cndmask_b32_e64 v35, v35, v39, s[0:1]
	v_cndmask_b32_e64 v34, v34, v38, s[0:1]
	v_add_f64 v[36:37], -v[34:35], s[78:79]
	v_add_f64 v[5:6], v[50:51], v[5:6]
	v_cndmask_b32_e32 v34, v34, v36, vcc
	v_and_b32_e32 v36, 0x400921fb, v9
	v_mul_f64 v[9:10], v[5:6], 0.5
	v_cndmask_b32_e32 v6, v35, v37, vcc
	v_bfi_b32 v5, s44, v18, v12
	v_cndmask_b32_e64 v18, v34, v31, s[2:3]
	v_cndmask_b32_e64 v6, v6, v36, s[2:3]
	s_and_b64 s[2:3], s[6:7], s[8:9]
	s_and_b64 vcc, s[40:41], s[4:5]
	v_cndmask_b32_e32 v6, v6, v5, vcc
	v_cndmask_b32_e64 v31, 0, v9, s[2:3]
	v_cmp_ngt_f64_e64 s[2:3], -1.0, v[32:33]
	v_cndmask_b32_e64 v5, v60, v10, s[8:9]
	s_mov_b32 s40, 0xb5e68a13
	s_mov_b32 s41, 0x3eeba404
	v_cndmask_b32_e64 v5, v61, v5, s[2:3]
	v_cmp_neq_f64_e64 s[2:3], -1.0, v[32:33]
	v_cndmask_b32_e64 v32, v62, v5, s[2:3]
	v_cndmask_b32_e32 v5, v18, v7, vcc
.LBB191_52:                             ;   in Loop: Header=BB191_5 Depth=1
	s_or_b64 exec, exec, s[16:17]
.LBB191_53:                             ;   in Loop: Header=BB191_5 Depth=1
	s_or_b64 exec, exec, s[10:11]
.LBB191_54:                             ;   in Loop: Header=BB191_5 Depth=1
	s_andn2_saveexec_b64 s[8:9], s[82:83]
	s_cbranch_execz .LBB191_56
; %bb.55:                               ;   in Loop: Header=BB191_5 Depth=1
	v_max_f64 v[5:6], |v[11:12]|, |v[11:12]|
	v_max_f64 v[34:35], |v[9:10]|, |v[9:10]|
	v_cmp_class_f64_e64 s[10:11], v[9:10], s46
	v_cmp_class_f64_e64 s[16:17], v[11:12], s46
	s_mov_b32 s91, s23
	s_mov_b32 s78, s14
	v_max_f64 v[36:37], v[34:35], v[5:6]
	v_min_f64 v[5:6], v[34:35], v[5:6]
	v_frexp_exp_i32_f64_e32 v7, v[36:37]
	v_sub_u32_e32 v18, 0, v7
	v_ldexp_f64 v[31:32], |v[11:12]|, v18
	v_ldexp_f64 v[38:39], |v[9:10]|, v18
	v_mul_f64 v[31:32], v[31:32], v[31:32]
	v_fma_f64 v[31:32], v[38:39], v[38:39], v[31:32]
	v_rsq_f64_e32 v[38:39], v[31:32]
	v_cmp_eq_f64_e32 vcc, 0, v[31:32]
	v_mul_f64 v[40:41], v[31:32], v[38:39]
	v_mul_f64 v[38:39], v[38:39], 0.5
	v_fma_f64 v[42:43], -v[38:39], v[40:41], 0.5
	v_fma_f64 v[40:41], v[40:41], v[42:43], v[40:41]
	v_fma_f64 v[38:39], v[38:39], v[42:43], v[38:39]
	v_fma_f64 v[42:43], -v[40:41], v[40:41], v[31:32]
	v_fma_f64 v[38:39], v[42:43], v[38:39], v[40:41]
	v_cndmask_b32_e32 v32, v39, v32, vcc
	v_cndmask_b32_e32 v31, v38, v31, vcc
	v_ldexp_f64 v[31:32], v[31:32], v7
	s_or_b64 vcc, s[10:11], s[16:17]
	v_cndmask_b32_e32 v33, v32, v60, vcc
	v_cndmask_b32_e64 v32, v31, 0, vcc
	v_frexp_mant_f64_e32 v[38:39], v[32:33]
	v_cmp_class_f64_e64 s[6:7], v[32:33], s46
	v_cmp_gt_f64_e64 s[2:3], s[22:23], v[38:39]
	v_cndmask_b32_e64 v7, 0, 1, s[2:3]
	v_ldexp_f64 v[38:39], v[38:39], v7
	v_frexp_exp_i32_f64_e32 v7, v[32:33]
	v_add_f64 v[40:41], v[38:39], 1.0
	v_add_f64 v[46:47], v[38:39], -1.0
	v_rcp_f64_e32 v[42:43], v[40:41]
	v_add_f64 v[50:51], v[40:41], -1.0
	v_add_f64 v[38:39], v[38:39], -v[50:51]
	v_fma_f64 v[44:45], -v[40:41], v[42:43], 1.0
	v_fma_f64 v[34:35], v[44:45], v[42:43], v[42:43]
	v_div_scale_f64 v[42:43], s[4:5], v[36:37], v[36:37], v[5:6]
	s_mov_b32 s4, 0x69efb384
	s_mov_b32 s5, 0x3f4b2bb0
	v_fma_f64 v[44:45], -v[40:41], v[34:35], 1.0
	v_fma_f64 v[34:35], v[44:45], v[34:35], v[34:35]
	v_rcp_f64_e32 v[44:45], v[42:43]
	v_mul_f64 v[48:49], v[46:47], v[34:35]
	v_mul_f64 v[52:53], v[40:41], v[48:49]
	v_fma_f64 v[54:55], -v[42:43], v[44:45], 1.0
	v_fma_f64 v[40:41], v[48:49], v[40:41], -v[52:53]
	v_fma_f64 v[44:45], v[44:45], v[54:55], v[44:45]
	v_fma_f64 v[38:39], v[48:49], v[38:39], v[40:41]
	v_div_scale_f64 v[40:41], vcc, v[5:6], v[36:37], v[5:6]
	v_fma_f64 v[50:51], -v[42:43], v[44:45], 1.0
	v_add_f64 v[54:55], v[52:53], v[38:39]
	v_fma_f64 v[44:45], v[44:45], v[50:51], v[44:45]
	v_add_f64 v[50:51], v[46:47], -v[54:55]
	v_add_f64 v[52:53], v[54:55], -v[52:53]
	v_mul_f64 v[56:57], v[40:41], v[44:45]
	v_add_f64 v[46:47], v[46:47], -v[50:51]
	v_add_f64 v[38:39], v[52:53], -v[38:39]
	v_fma_f64 v[40:41], -v[42:43], v[56:57], v[40:41]
	v_add_f64 v[42:43], v[46:47], -v[54:55]
	v_div_fmas_f64 v[40:41], v[40:41], v[44:45], v[56:57]
	v_subbrev_co_u32_e64 v7, vcc, 0, v7, s[2:3]
	v_cmp_eq_f64_e64 s[2:3], 0, v[11:12]
	v_cmp_gt_i32_e32 vcc, 0, v10
	v_add_f64 v[38:39], v[38:39], v[42:43]
	v_cndmask_b32_e32 v18, v63, v64, vcc
	v_add_f64 v[38:39], v[50:51], v[38:39]
	v_div_fixup_f64 v[5:6], v[40:41], v[36:37], v[5:6]
	v_mul_f64 v[34:35], v[34:35], v[38:39]
	v_mul_f64 v[36:37], v[5:6], v[5:6]
	v_add_f64 v[38:39], v[48:49], v[34:35]
	v_fma_f64 v[40:41], v[36:37], s[40:41], v[21:22]
	v_mul_f64 v[42:43], v[38:39], v[38:39]
	v_fma_f64 v[40:41], v[36:37], v[40:41], s[4:5]
	s_mov_b32 s4, 0xaf56de9b
	s_mov_b32 s5, 0xbf67952d
	v_fma_f64 v[44:45], v[42:43], s[24:25], v[19:20]
	v_mul_f64 v[46:47], v[38:39], v[42:43]
	v_fma_f64 v[40:41], v[36:37], v[40:41], s[4:5]
	s_mov_b32 s4, 0xa595c56f
	s_mov_b32 s5, 0x3f7d6d43
	v_fma_f64 v[44:45], v[42:43], v[44:45], s[26:27]
	v_fma_f64 v[40:41], v[36:37], v[40:41], s[4:5]
	;; [unrolled: 1-line block ×9, first 2 shown]
	v_ldexp_f64 v[44:45], v[38:39], 1
	v_add_f64 v[38:39], v[38:39], -v[48:49]
	v_fma_f64 v[40:41], v[36:37], v[40:41], s[54:55]
	v_cvt_f64_i32_e32 v[48:49], v7
	v_ashrrev_i32_e32 v7, 31, v10
	v_and_b32_e32 v31, 0x54442d18, v7
	v_and_b32_e32 v7, 0x400921fb, v7
	v_mul_f64 v[42:43], v[46:47], v[42:43]
	v_mul_f64 v[50:51], v[48:49], s[36:37]
	v_add_f64 v[34:35], v[34:35], -v[38:39]
	v_fma_f64 v[40:41], v[36:37], v[40:41], s[42:43]
	v_add_f64 v[46:47], v[44:45], v[42:43]
	v_ldexp_f64 v[34:35], v[34:35], 1
	v_fma_f64 v[40:41], v[36:37], v[40:41], s[58:59]
	v_add_f64 v[38:39], v[46:47], -v[44:45]
	v_fma_f64 v[44:45], v[48:49], s[36:37], -v[50:51]
	v_fma_f64 v[40:41], v[36:37], v[40:41], s[60:61]
	v_add_f64 v[38:39], v[42:43], -v[38:39]
	v_fma_f64 v[42:43], v[48:49], s[38:39], v[44:45]
	v_fma_f64 v[40:41], v[36:37], v[40:41], s[62:63]
	v_add_f64 v[34:35], v[34:35], v[38:39]
	v_fma_f64 v[38:39], v[36:37], v[40:41], s[64:65]
	v_add_f64 v[40:41], v[50:51], v[42:43]
	v_add_f64 v[44:45], v[46:47], v[34:35]
	v_fma_f64 v[38:39], v[36:37], v[38:39], s[66:67]
	v_add_f64 v[50:51], v[40:41], -v[50:51]
	v_add_f64 v[48:49], v[40:41], v[44:45]
	v_add_f64 v[46:47], v[44:45], -v[46:47]
	v_fma_f64 v[38:39], v[36:37], v[38:39], s[68:69]
	v_add_f64 v[42:43], v[42:43], -v[50:51]
	v_add_f64 v[52:53], v[48:49], -v[40:41]
	;; [unrolled: 1-line block ×3, first 2 shown]
	v_fma_f64 v[38:39], v[36:37], v[38:39], s[70:71]
	v_add_f64 v[54:55], v[48:49], -v[52:53]
	v_add_f64 v[44:45], v[44:45], -v[52:53]
	v_add_f64 v[46:47], v[42:43], v[34:35]
	v_fma_f64 v[38:39], v[36:37], v[38:39], s[72:73]
	v_add_f64 v[40:41], v[40:41], -v[54:55]
	v_fma_f64 v[38:39], v[36:37], v[38:39], s[74:75]
	v_add_f64 v[40:41], v[44:45], v[40:41]
	v_add_f64 v[44:45], v[46:47], -v[42:43]
	v_fma_f64 v[38:39], v[36:37], v[38:39], s[76:77]
	v_add_f64 v[40:41], v[46:47], v[40:41]
	v_add_f64 v[34:35], v[34:35], -v[44:45]
	v_mul_f64 v[36:37], v[36:37], v[38:39]
	v_add_f64 v[38:39], v[46:47], -v[44:45]
	v_add_f64 v[46:47], v[48:49], v[40:41]
	v_fma_f64 v[5:6], v[5:6], v[36:37], v[5:6]
	v_add_f64 v[36:37], v[42:43], -v[38:39]
	v_add_f64 v[38:39], v[46:47], -v[48:49]
	v_add_f64 v[42:43], -v[5:6], s[14:15]
	v_add_f64 v[34:35], v[34:35], v[36:37]
	v_add_f64 v[36:37], v[40:41], -v[38:39]
	v_cndmask_b32_e64 v6, v6, v43, s[0:1]
	v_cndmask_b32_e64 v5, v5, v42, s[0:1]
	v_add_f64 v[38:39], -v[5:6], s[78:79]
	v_add_f64 v[34:35], v[34:35], v[36:37]
	v_cndmask_b32_e32 v36, v65, v66, vcc
	v_cndmask_b32_e32 v5, v5, v38, vcc
	;; [unrolled: 1-line block ×3, first 2 shown]
	v_cndmask_b32_e64 v5, v5, v31, s[2:3]
	v_add_f64 v[9:10], v[46:47], v[34:35]
	v_cndmask_b32_e64 v6, v6, v7, s[2:3]
	v_cmp_ngt_f64_e64 s[2:3], 0, v[32:33]
	v_bfi_b32 v34, s44, v36, v12
	s_and_b64 vcc, s[10:11], s[16:17]
	v_cndmask_b32_e32 v6, v6, v34, vcc
	v_cndmask_b32_e32 v5, v5, v18, vcc
	v_cndmask_b32_e64 v7, v9, v32, s[6:7]
	v_cndmask_b32_e64 v9, v10, v33, s[6:7]
	;; [unrolled: 1-line block ×3, first 2 shown]
	v_cmp_nge_f64_e64 s[2:3], 0, v[32:33]
	v_cndmask_b32_e64 v31, 0, v7, s[2:3]
	v_cmp_neq_f64_e64 s[2:3], 0, v[32:33]
	v_cndmask_b32_e64 v32, v62, v9, s[2:3]
.LBB191_56:                             ;   in Loop: Header=BB191_5 Depth=1
	s_or_b64 exec, exec, s[8:9]
                                        ; implicit-def: $vgpr35_vgpr36
.LBB191_57:                             ;   in Loop: Header=BB191_5 Depth=1
	s_andn2_saveexec_b64 s[8:9], s[20:21]
	s_cbranch_execz .LBB191_63
; %bb.58:                               ;   in Loop: Header=BB191_5 Depth=1
	s_mov_b32 s2, 0x6a3f9475
	s_mov_b32 s3, 0x20ca2fe7
	v_cmp_ngt_f64_e32 vcc, s[2:3], v[35:36]
                                        ; implicit-def: $vgpr31_vgpr32
                                        ; implicit-def: $vgpr5_vgpr6
	s_and_saveexec_b64 s[2:3], vcc
	s_xor_b64 s[10:11], exec, s[2:3]
	s_cbranch_execz .LBB191_60
; %bb.59:                               ;   in Loop: Header=BB191_5 Depth=1
	v_mul_f64 v[5:6], v[35:36], v[35:36]
	s_mov_b32 s91, s23
	s_mov_b32 s78, s14
	;; [unrolled: 1-line block ×3, first 2 shown]
	v_cmp_class_f64_e64 s[4:5], v[11:12], s46
	v_cmp_class_f64_e64 s[16:17], v[9:10], s46
	s_mov_b32 s7, 0x7ff00000
	v_add_f64 v[31:32], v[5:6], 1.0
	v_cmp_neq_f64_e64 s[6:7], s[6:7], v[5:6]
	v_frexp_mant_f64_e32 v[35:36], v[31:32]
	v_frexp_exp_i32_f64_e32 v7, v[31:32]
	v_add_f64 v[33:34], v[31:32], -1.0
	v_cmp_gt_f64_e32 vcc, s[22:23], v[35:36]
	v_add_f64 v[37:38], v[33:34], -v[31:32]
	v_add_f64 v[33:34], v[5:6], -v[33:34]
	v_subbrev_co_u32_e32 v7, vcc, 0, v7, vcc
	v_sub_u32_e32 v18, 0, v7
	v_ldexp_f64 v[31:32], v[31:32], v18
	v_add_f64 v[35:36], v[37:38], 1.0
	v_add_f64 v[37:38], v[31:32], 1.0
	v_add_f64 v[33:34], v[33:34], v[35:36]
	v_add_f64 v[43:44], v[31:32], -1.0
	v_add_f64 v[35:36], v[37:38], -1.0
	v_ldexp_f64 v[33:34], v[33:34], v18
	v_add_f64 v[45:46], v[43:44], 1.0
	v_add_f64 v[35:36], v[31:32], -v[35:36]
	v_add_f64 v[31:32], v[31:32], -v[45:46]
	v_add_f64 v[39:40], v[33:34], v[35:36]
	v_add_f64 v[45:46], v[33:34], v[31:32]
	;; [unrolled: 1-line block ×3, first 2 shown]
	v_rcp_f64_e32 v[41:42], v[35:36]
	v_add_f64 v[37:38], v[37:38], -v[35:36]
	v_add_f64 v[39:40], v[39:40], v[37:38]
	v_fma_f64 v[47:48], -v[35:36], v[41:42], 1.0
	v_fma_f64 v[41:42], v[47:48], v[41:42], v[41:42]
	v_add_f64 v[47:48], v[43:44], v[45:46]
	v_fma_f64 v[31:32], -v[35:36], v[41:42], 1.0
	v_add_f64 v[43:44], v[43:44], -v[47:48]
	v_fma_f64 v[31:32], v[31:32], v[41:42], v[41:42]
	v_add_f64 v[43:44], v[45:46], v[43:44]
	v_mul_f64 v[33:34], v[47:48], v[31:32]
	v_mul_f64 v[41:42], v[35:36], v[33:34]
	v_fma_f64 v[37:38], v[33:34], v[35:36], -v[41:42]
	v_fma_f64 v[49:50], v[33:34], v[39:40], v[37:38]
	v_add_f64 v[51:52], v[41:42], v[49:50]
	v_add_f64 v[37:38], v[47:48], -v[51:52]
	v_add_f64 v[41:42], v[51:52], -v[41:42]
	;; [unrolled: 1-line block ×5, first 2 shown]
	v_add_f64 v[43:44], v[43:44], v[45:46]
	v_max_f64 v[45:46], |v[9:10]|, |v[9:10]|
	v_ashrrev_i32_e32 v9, 31, v10
	v_and_b32_e32 v18, 0x54442d18, v9
	v_add_f64 v[41:42], v[41:42], v[43:44]
	v_max_f64 v[43:44], |v[11:12]|, |v[11:12]|
	v_add_f64 v[47:48], v[37:38], v[41:42]
	v_max_f64 v[49:50], v[45:46], v[43:44]
	v_min_f64 v[43:44], v[45:46], v[43:44]
	v_mul_f64 v[45:46], v[31:32], v[47:48]
	v_add_f64 v[37:38], v[37:38], -v[47:48]
	v_div_scale_f64 v[51:52], s[2:3], v[49:50], v[49:50], v[43:44]
	s_mov_b32 s2, 0x69efb384
	s_mov_b32 s3, 0x3f4b2bb0
	v_mul_f64 v[53:54], v[35:36], v[45:46]
	v_add_f64 v[37:38], v[41:42], v[37:38]
	v_fma_f64 v[35:36], v[45:46], v[35:36], -v[53:54]
	v_rcp_f64_e32 v[55:56], v[51:52]
	v_fma_f64 v[35:36], v[45:46], v[39:40], v[35:36]
	v_add_f64 v[39:40], v[53:54], v[35:36]
	v_fma_f64 v[57:58], -v[51:52], v[55:56], 1.0
	v_add_f64 v[67:68], v[47:48], -v[39:40]
	v_add_f64 v[41:42], v[39:40], -v[53:54]
	v_fma_f64 v[55:56], v[55:56], v[57:58], v[55:56]
	v_div_scale_f64 v[57:58], vcc, v[43:44], v[49:50], v[43:44]
	v_add_f64 v[47:48], v[47:48], -v[67:68]
	v_add_f64 v[35:36], v[41:42], -v[35:36]
	v_fma_f64 v[69:70], -v[51:52], v[55:56], 1.0
	v_add_f64 v[41:42], v[33:34], v[45:46]
	v_add_f64 v[39:40], v[47:48], -v[39:40]
	v_fma_f64 v[47:48], v[55:56], v[69:70], v[55:56]
	v_add_f64 v[33:34], v[41:42], -v[33:34]
	v_add_f64 v[37:38], v[37:38], v[39:40]
	v_mul_f64 v[39:40], v[57:58], v[47:48]
	v_add_f64 v[33:34], v[45:46], -v[33:34]
	v_add_f64 v[35:36], v[35:36], v[37:38]
	v_fma_f64 v[37:38], -v[51:52], v[39:40], v[57:58]
	v_add_f64 v[35:36], v[67:68], v[35:36]
	v_div_fmas_f64 v[37:38], v[37:38], v[47:48], v[39:40]
	v_cmp_gt_i32_e32 vcc, 0, v10
	v_mul_f64 v[31:32], v[31:32], v[35:36]
	v_add_f64 v[31:32], v[33:34], v[31:32]
	v_div_fixup_f64 v[33:34], v[37:38], v[49:50], v[43:44]
	v_add_f64 v[35:36], v[41:42], v[31:32]
	v_mul_f64 v[37:38], v[33:34], v[33:34]
	v_mul_f64 v[39:40], v[35:36], v[35:36]
	v_fma_f64 v[43:44], v[37:38], s[40:41], v[21:22]
	v_fma_f64 v[45:46], v[39:40], s[24:25], v[19:20]
	v_mul_f64 v[47:48], v[35:36], v[39:40]
	v_fma_f64 v[43:44], v[37:38], v[43:44], s[2:3]
	s_mov_b32 s2, 0xaf56de9b
	s_mov_b32 s3, 0xbf67952d
	v_fma_f64 v[45:46], v[39:40], v[45:46], s[26:27]
	v_fma_f64 v[43:44], v[37:38], v[43:44], s[2:3]
	s_mov_b32 s2, 0xa595c56f
	s_mov_b32 s3, 0x3f7d6d43
	v_fma_f64 v[45:46], v[39:40], v[45:46], s[28:29]
	v_fma_f64 v[43:44], v[37:38], v[43:44], s[2:3]
	v_cmp_eq_f64_e64 s[2:3], 0, v[11:12]
	v_fma_f64 v[45:46], v[39:40], v[45:46], s[30:31]
	v_fma_f64 v[43:44], v[37:38], v[43:44], s[48:49]
	;; [unrolled: 1-line block ×5, first 2 shown]
	v_ldexp_f64 v[45:46], v[35:36], 1
	v_fma_f64 v[43:44], v[37:38], v[43:44], s[52:53]
	v_add_f64 v[35:36], v[35:36], -v[41:42]
	v_mul_f64 v[39:40], v[47:48], v[39:40]
	v_cvt_f64_i32_e32 v[47:48], v7
	v_fma_f64 v[43:44], v[37:38], v[43:44], s[54:55]
	v_add_f64 v[31:32], v[31:32], -v[35:36]
	v_cndmask_b32_e32 v7, v63, v64, vcc
	v_mul_f64 v[49:50], v[47:48], s[36:37]
	v_add_f64 v[41:42], v[45:46], v[39:40]
	v_fma_f64 v[43:44], v[37:38], v[43:44], s[42:43]
	v_ldexp_f64 v[31:32], v[31:32], 1
	v_add_f64 v[35:36], v[41:42], -v[45:46]
	v_fma_f64 v[45:46], v[47:48], s[36:37], -v[49:50]
	v_fma_f64 v[43:44], v[37:38], v[43:44], s[58:59]
	v_add_f64 v[35:36], v[39:40], -v[35:36]
	v_fma_f64 v[39:40], v[37:38], v[43:44], s[60:61]
	v_fma_f64 v[43:44], v[47:48], s[38:39], v[45:46]
	v_add_f64 v[31:32], v[31:32], v[35:36]
	v_fma_f64 v[35:36], v[37:38], v[39:40], s[62:63]
	v_add_f64 v[39:40], v[49:50], v[43:44]
	v_add_f64 v[45:46], v[41:42], v[31:32]
	v_fma_f64 v[35:36], v[37:38], v[35:36], s[64:65]
	v_add_f64 v[49:50], v[39:40], -v[49:50]
	v_add_f64 v[47:48], v[39:40], v[45:46]
	v_add_f64 v[41:42], v[45:46], -v[41:42]
	v_fma_f64 v[35:36], v[37:38], v[35:36], s[66:67]
	v_add_f64 v[43:44], v[43:44], -v[49:50]
	v_add_f64 v[51:52], v[47:48], -v[39:40]
	;; [unrolled: 1-line block ×3, first 2 shown]
	v_fma_f64 v[35:36], v[37:38], v[35:36], s[68:69]
	v_add_f64 v[53:54], v[47:48], -v[51:52]
	v_add_f64 v[41:42], v[45:46], -v[51:52]
	v_fma_f64 v[35:36], v[37:38], v[35:36], s[70:71]
	v_add_f64 v[45:46], v[43:44], v[31:32]
	v_add_f64 v[39:40], v[39:40], -v[53:54]
	v_fma_f64 v[35:36], v[37:38], v[35:36], s[72:73]
	v_add_f64 v[39:40], v[41:42], v[39:40]
	;; [unrolled: 3-line block ×3, first 2 shown]
	v_add_f64 v[45:46], v[45:46], -v[41:42]
	v_fma_f64 v[35:36], v[37:38], v[35:36], s[76:77]
	v_add_f64 v[31:32], v[31:32], -v[41:42]
	v_add_f64 v[49:50], v[47:48], v[39:40]
	v_mul_f64 v[35:36], v[37:38], v[35:36]
	v_add_f64 v[37:38], v[43:44], -v[45:46]
	v_add_f64 v[41:42], v[49:50], -v[47:48]
	v_fma_f64 v[33:34], v[33:34], v[35:36], v[33:34]
	v_add_f64 v[31:32], v[31:32], v[37:38]
	v_add_f64 v[35:36], v[39:40], -v[41:42]
	v_add_f64 v[37:38], -v[33:34], s[14:15]
	v_add_f64 v[31:32], v[31:32], v[35:36]
	v_cndmask_b32_e64 v34, v34, v38, s[0:1]
	v_cndmask_b32_e64 v33, v33, v37, s[0:1]
	v_add_f64 v[35:36], -v[33:34], s[78:79]
	v_and_b32_e32 v37, 0x400921fb, v9
	v_add_f64 v[31:32], v[49:50], v[31:32]
	v_cndmask_b32_e32 v33, v33, v35, vcc
	v_cndmask_b32_e32 v35, v65, v66, vcc
	;; [unrolled: 1-line block ×3, first 2 shown]
	v_bfi_b32 v5, s44, v35, v12
	v_mul_f64 v[9:10], v[31:32], 0.5
	v_cndmask_b32_e64 v18, v33, v18, s[2:3]
	v_cndmask_b32_e64 v6, v6, v37, s[2:3]
	s_and_b64 vcc, s[16:17], s[4:5]
	v_cndmask_b32_e32 v6, v6, v5, vcc
	v_cndmask_b32_e32 v5, v18, v7, vcc
                                        ; implicit-def: $vgpr35_vgpr36
	v_cndmask_b32_e64 v32, v60, v10, s[6:7]
	v_cndmask_b32_e64 v31, 0, v9, s[6:7]
.LBB191_60:                             ;   in Loop: Header=BB191_5 Depth=1
	s_andn2_saveexec_b64 s[4:5], s[10:11]
	s_cbranch_execz .LBB191_62
; %bb.61:                               ;   in Loop: Header=BB191_5 Depth=1
	v_max_f64 v[5:6], |v[11:12]|, |v[11:12]|
	v_max_f64 v[31:32], |v[9:10]|, |v[9:10]|
	s_mov_b32 s78, s14
	v_cmp_class_f64_e64 s[6:7], v[11:12], s46
	v_cmp_class_f64_e64 s[10:11], v[9:10], s46
	v_ashrrev_i32_e32 v7, 31, v10
	v_max_f64 v[33:34], v[31:32], v[5:6]
	v_min_f64 v[5:6], v[31:32], v[5:6]
	v_div_scale_f64 v[31:32], s[2:3], v[33:34], v[33:34], v[5:6]
	s_mov_b32 s2, 0x69efb384
	s_mov_b32 s3, 0x3f4b2bb0
	v_rcp_f64_e32 v[37:38], v[31:32]
	v_fma_f64 v[39:40], -v[31:32], v[37:38], 1.0
	v_fma_f64 v[37:38], v[37:38], v[39:40], v[37:38]
	v_div_scale_f64 v[39:40], vcc, v[5:6], v[33:34], v[5:6]
	v_fma_f64 v[41:42], -v[31:32], v[37:38], 1.0
	v_fma_f64 v[37:38], v[37:38], v[41:42], v[37:38]
	v_mul_f64 v[41:42], v[39:40], v[37:38]
	v_fma_f64 v[31:32], -v[31:32], v[41:42], v[39:40]
	v_div_fmas_f64 v[31:32], v[31:32], v[37:38], v[41:42]
	v_mul_f64 v[37:38], v[35:36], 0.5
	v_cmp_gt_i32_e32 vcc, 0, v10
	v_cndmask_b32_e32 v9, v65, v66, vcc
	v_cndmask_b32_e32 v18, v63, v64, vcc
	v_bfi_b32 v9, s44, v9, v12
	v_div_fixup_f64 v[5:6], v[31:32], v[33:34], v[5:6]
	v_mul_f64 v[31:32], v[5:6], v[5:6]
	v_fma_f64 v[33:34], v[31:32], s[40:41], v[21:22]
	v_fma_f64 v[33:34], v[31:32], v[33:34], s[2:3]
	s_mov_b32 s2, 0xaf56de9b
	s_mov_b32 s3, 0xbf67952d
	v_fma_f64 v[33:34], v[31:32], v[33:34], s[2:3]
	s_mov_b32 s2, 0xa595c56f
	s_mov_b32 s3, 0x3f7d6d43
	v_fma_f64 v[33:34], v[31:32], v[33:34], s[2:3]
	v_cmp_eq_f64_e64 s[2:3], 0, v[11:12]
	v_fma_f64 v[33:34], v[31:32], v[33:34], s[48:49]
	v_fma_f64 v[33:34], v[31:32], v[33:34], s[50:51]
	;; [unrolled: 1-line block ×15, first 2 shown]
	v_mul_f64 v[31:32], v[31:32], v[33:34]
	v_and_b32_e32 v34, 0x54442d18, v7
	v_and_b32_e32 v7, 0x400921fb, v7
	v_fma_f64 v[5:6], v[5:6], v[31:32], v[5:6]
	v_add_f64 v[31:32], -v[5:6], s[14:15]
	v_cndmask_b32_e64 v6, v6, v32, s[0:1]
	v_cndmask_b32_e64 v5, v5, v31, s[0:1]
	v_add_f64 v[32:33], -v[5:6], s[78:79]
	v_cndmask_b32_e32 v5, v5, v32, vcc
	v_mul_f64 v[31:32], v[35:36], v[37:38]
	v_cndmask_b32_e32 v6, v6, v33, vcc
	v_cndmask_b32_e64 v5, v5, v34, s[2:3]
	v_cndmask_b32_e64 v6, v6, v7, s[2:3]
	s_and_b64 vcc, s[10:11], s[6:7]
	v_cndmask_b32_e32 v6, v6, v9, vcc
	v_cndmask_b32_e32 v5, v5, v18, vcc
.LBB191_62:                             ;   in Loop: Header=BB191_5 Depth=1
	s_or_b64 exec, exec, s[4:5]
.LBB191_63:                             ;   in Loop: Header=BB191_5 Depth=1
	s_or_b64 exec, exec, s[8:9]
.LBB191_64:                             ;   in Loop: Header=BB191_5 Depth=1
	s_andn2_saveexec_b64 s[6:7], s[18:19]
	s_cbranch_execz .LBB191_66
; %bb.65:                               ;   in Loop: Header=BB191_5 Depth=1
	v_div_scale_f64 v[5:6], s[2:3], s[84:85], s[84:85], v[9:10]
	v_div_scale_f64 v[31:32], s[2:3], s[84:85], s[84:85], v[11:12]
	;; [unrolled: 1-line block ×3, first 2 shown]
	s_mov_b32 s91, s23
	s_mov_b32 s78, s14
	v_cmp_class_f64_e64 s[8:9], v[9:10], s46
	v_rcp_f64_e32 v[33:34], v[5:6]
	v_rcp_f64_e32 v[35:36], v[31:32]
	v_fma_f64 v[37:38], -v[5:6], v[33:34], 1.0
	v_fma_f64 v[39:40], -v[31:32], v[35:36], 1.0
	v_fma_f64 v[33:34], v[33:34], v[37:38], v[33:34]
	v_div_scale_f64 v[37:38], vcc, v[9:10], s[84:85], v[9:10]
	v_fma_f64 v[35:36], v[35:36], v[39:40], v[35:36]
	v_fma_f64 v[39:40], -v[5:6], v[33:34], 1.0
	v_fma_f64 v[43:44], -v[31:32], v[35:36], 1.0
	v_fma_f64 v[33:34], v[33:34], v[39:40], v[33:34]
	v_fma_f64 v[35:36], v[35:36], v[43:44], v[35:36]
	v_mul_f64 v[39:40], v[37:38], v[33:34]
	v_mul_f64 v[43:44], v[41:42], v[35:36]
	v_fma_f64 v[5:6], -v[5:6], v[39:40], v[37:38]
	v_fma_f64 v[31:32], -v[31:32], v[43:44], v[41:42]
	v_div_fmas_f64 v[5:6], v[5:6], v[33:34], v[39:40]
	s_mov_b64 vcc, s[2:3]
	v_div_fmas_f64 v[31:32], v[31:32], v[35:36], v[43:44]
	v_max_f64 v[42:43], |v[9:10]|, |v[9:10]|
	v_div_fixup_f64 v[5:6], v[5:6], s[84:85], v[9:10]
	v_ashrrev_i32_e32 v9, 31, v10
	v_div_fixup_f64 v[31:32], v[31:32], s[84:85], v[11:12]
	v_cmp_class_f64_e64 s[2:3], v[5:6], s46
	v_max_f64 v[33:34], |v[5:6]|, |v[31:32]|
	v_cmp_class_f64_e64 s[4:5], v[31:32], s46
	v_frexp_exp_i32_f64_e32 v7, v[33:34]
	v_sub_u32_e32 v18, 0, v7
	v_ldexp_f64 v[33:34], |v[31:32]|, v18
	v_ldexp_f64 v[35:36], |v[5:6]|, v18
	v_mul_f64 v[33:34], v[33:34], v[33:34]
	v_fma_f64 v[33:34], v[35:36], v[35:36], v[33:34]
	v_rsq_f64_e32 v[35:36], v[33:34]
	v_cmp_eq_f64_e32 vcc, 0, v[33:34]
	v_mul_f64 v[37:38], v[33:34], v[35:36]
	v_mul_f64 v[35:36], v[35:36], 0.5
	v_fma_f64 v[39:40], -v[35:36], v[37:38], 0.5
	v_fma_f64 v[37:38], v[37:38], v[39:40], v[37:38]
	v_fma_f64 v[35:36], v[35:36], v[39:40], v[35:36]
	v_fma_f64 v[39:40], -v[37:38], v[37:38], v[33:34]
	v_fma_f64 v[35:36], v[39:40], v[35:36], v[37:38]
	v_max_f64 v[40:41], |v[11:12]|, |v[11:12]|
	v_cndmask_b32_e32 v34, v36, v34, vcc
	v_cndmask_b32_e32 v33, v35, v33, vcc
	v_ldexp_f64 v[33:34], v[33:34], v7
	v_cmp_o_f64_e32 vcc, v[5:6], v[31:32]
	v_and_b32_e32 v31, 0x54442d18, v9
	v_cndmask_b32_e32 v5, 0, v33, vcc
	v_cndmask_b32_e32 v6, v61, v34, vcc
	s_or_b64 vcc, s[2:3], s[4:5]
	v_cndmask_b32_e32 v33, v6, v60, vcc
	v_cndmask_b32_e64 v32, v5, 0, vcc
	v_frexp_mant_f64_e32 v[5:6], v[32:33]
	v_cmp_gt_f64_e64 s[2:3], s[22:23], v[5:6]
	v_cndmask_b32_e64 v7, 0, 1, s[2:3]
	v_ldexp_f64 v[5:6], v[5:6], v7
	v_frexp_exp_i32_f64_e32 v7, v[32:33]
	v_add_f64 v[34:35], v[5:6], 1.0
	v_add_f64 v[46:47], v[5:6], -1.0
	v_rcp_f64_e32 v[36:37], v[34:35]
	v_add_f64 v[50:51], v[34:35], -1.0
	v_add_f64 v[5:6], v[5:6], -v[50:51]
	v_fma_f64 v[38:39], -v[34:35], v[36:37], 1.0
	v_fma_f64 v[36:37], v[38:39], v[36:37], v[36:37]
	v_max_f64 v[38:39], v[42:43], v[40:41]
	v_min_f64 v[40:41], v[42:43], v[40:41]
	v_fma_f64 v[42:43], -v[34:35], v[36:37], 1.0
	v_div_scale_f64 v[44:45], s[4:5], v[38:39], v[38:39], v[40:41]
	s_mov_b32 s4, 0x69efb384
	s_mov_b32 s5, 0x3f4b2bb0
	v_fma_f64 v[36:37], v[42:43], v[36:37], v[36:37]
	v_mul_f64 v[42:43], v[46:47], v[36:37]
	v_rcp_f64_e32 v[48:49], v[44:45]
	v_mul_f64 v[52:53], v[34:35], v[42:43]
	v_fma_f64 v[34:35], v[42:43], v[34:35], -v[52:53]
	v_fma_f64 v[50:51], -v[44:45], v[48:49], 1.0
	v_fma_f64 v[5:6], v[42:43], v[5:6], v[34:35]
	v_fma_f64 v[34:35], v[48:49], v[50:51], v[48:49]
	v_div_scale_f64 v[50:51], vcc, v[40:41], v[38:39], v[40:41]
	v_add_f64 v[48:49], v[52:53], v[5:6]
	v_fma_f64 v[54:55], -v[44:45], v[34:35], 1.0
	v_add_f64 v[56:57], v[46:47], -v[48:49]
	v_add_f64 v[52:53], v[48:49], -v[52:53]
	v_fma_f64 v[34:35], v[34:35], v[54:55], v[34:35]
	v_add_f64 v[46:47], v[46:47], -v[56:57]
	v_add_f64 v[5:6], v[52:53], -v[5:6]
	v_mul_f64 v[54:55], v[50:51], v[34:35]
	v_add_f64 v[46:47], v[46:47], -v[48:49]
	v_fma_f64 v[44:45], -v[44:45], v[54:55], v[50:51]
	v_add_f64 v[5:6], v[5:6], v[46:47]
	v_div_fmas_f64 v[34:35], v[44:45], v[34:35], v[54:55]
	v_subbrev_co_u32_e64 v7, vcc, 0, v7, s[2:3]
	v_cmp_gt_i32_e32 vcc, 0, v10
	v_cmp_eq_f64_e64 s[2:3], 0, v[11:12]
	v_cndmask_b32_e32 v18, v65, v66, vcc
	v_add_f64 v[5:6], v[56:57], v[5:6]
	v_mul_f64 v[5:6], v[36:37], v[5:6]
	v_div_fixup_f64 v[34:35], v[34:35], v[38:39], v[40:41]
	v_add_f64 v[36:37], v[42:43], v[5:6]
	v_mul_f64 v[38:39], v[34:35], v[34:35]
	v_mul_f64 v[40:41], v[36:37], v[36:37]
	v_fma_f64 v[44:45], v[38:39], s[40:41], v[21:22]
	v_fma_f64 v[46:47], v[40:41], s[24:25], v[19:20]
	v_mul_f64 v[48:49], v[36:37], v[40:41]
	v_fma_f64 v[44:45], v[38:39], v[44:45], s[4:5]
	s_mov_b32 s4, 0xaf56de9b
	s_mov_b32 s5, 0xbf67952d
	v_fma_f64 v[46:47], v[40:41], v[46:47], s[26:27]
	v_fma_f64 v[44:45], v[38:39], v[44:45], s[4:5]
	s_mov_b32 s4, 0xa595c56f
	s_mov_b32 s5, 0x3f7d6d43
	v_fma_f64 v[46:47], v[40:41], v[46:47], s[28:29]
	v_fma_f64 v[44:45], v[38:39], v[44:45], s[4:5]
	v_cmp_class_f64_e64 s[4:5], v[11:12], s46
	v_fma_f64 v[46:47], v[40:41], v[46:47], s[30:31]
	v_fma_f64 v[44:45], v[38:39], v[44:45], s[48:49]
	;; [unrolled: 1-line block ×5, first 2 shown]
	v_ldexp_f64 v[46:47], v[36:37], 1
	v_fma_f64 v[44:45], v[38:39], v[44:45], s[52:53]
	v_add_f64 v[36:37], v[36:37], -v[42:43]
	v_mul_f64 v[40:41], v[48:49], v[40:41]
	v_cvt_f64_i32_e32 v[48:49], v7
	v_fma_f64 v[44:45], v[38:39], v[44:45], s[54:55]
	v_add_f64 v[5:6], v[5:6], -v[36:37]
	v_cndmask_b32_e32 v7, v63, v64, vcc
	v_mul_f64 v[50:51], v[48:49], s[36:37]
	v_add_f64 v[42:43], v[46:47], v[40:41]
	v_fma_f64 v[44:45], v[38:39], v[44:45], s[42:43]
	v_ldexp_f64 v[5:6], v[5:6], 1
	v_add_f64 v[36:37], v[42:43], -v[46:47]
	v_fma_f64 v[46:47], v[48:49], s[36:37], -v[50:51]
	v_fma_f64 v[44:45], v[38:39], v[44:45], s[58:59]
	v_add_f64 v[36:37], v[40:41], -v[36:37]
	v_fma_f64 v[40:41], v[38:39], v[44:45], s[60:61]
	v_fma_f64 v[44:45], v[48:49], s[38:39], v[46:47]
	v_add_f64 v[5:6], v[5:6], v[36:37]
	v_fma_f64 v[36:37], v[38:39], v[40:41], s[62:63]
	v_add_f64 v[40:41], v[50:51], v[44:45]
	v_add_f64 v[46:47], v[42:43], v[5:6]
	v_fma_f64 v[36:37], v[38:39], v[36:37], s[64:65]
	v_add_f64 v[50:51], v[40:41], -v[50:51]
	v_add_f64 v[48:49], v[40:41], v[46:47]
	v_add_f64 v[42:43], v[46:47], -v[42:43]
	v_fma_f64 v[36:37], v[38:39], v[36:37], s[66:67]
	v_add_f64 v[44:45], v[44:45], -v[50:51]
	v_add_f64 v[52:53], v[48:49], -v[40:41]
	;; [unrolled: 1-line block ×3, first 2 shown]
	v_fma_f64 v[36:37], v[38:39], v[36:37], s[68:69]
	v_add_f64 v[54:55], v[48:49], -v[52:53]
	v_add_f64 v[42:43], v[46:47], -v[52:53]
	v_fma_f64 v[36:37], v[38:39], v[36:37], s[70:71]
	v_add_f64 v[46:47], v[44:45], v[5:6]
	v_add_f64 v[40:41], v[40:41], -v[54:55]
	v_fma_f64 v[36:37], v[38:39], v[36:37], s[72:73]
	v_add_f64 v[40:41], v[42:43], v[40:41]
	;; [unrolled: 3-line block ×3, first 2 shown]
	v_add_f64 v[46:47], v[46:47], -v[42:43]
	v_fma_f64 v[36:37], v[38:39], v[36:37], s[76:77]
	v_add_f64 v[5:6], v[5:6], -v[42:43]
	v_add_f64 v[50:51], v[48:49], v[40:41]
	v_mul_f64 v[36:37], v[38:39], v[36:37]
	v_add_f64 v[38:39], v[44:45], -v[46:47]
	v_add_f64 v[42:43], v[50:51], -v[48:49]
	v_fma_f64 v[34:35], v[34:35], v[36:37], v[34:35]
	v_add_f64 v[5:6], v[5:6], v[38:39]
	v_add_f64 v[36:37], v[40:41], -v[42:43]
	v_add_f64 v[38:39], -v[34:35], s[14:15]
	v_add_f64 v[5:6], v[5:6], v[36:37]
	v_cndmask_b32_e64 v35, v35, v39, s[0:1]
	v_cndmask_b32_e64 v34, v34, v38, s[0:1]
	v_cmp_class_f64_e64 s[0:1], v[32:33], s46
	v_add_f64 v[36:37], -v[34:35], s[78:79]
	v_add_f64 v[5:6], v[50:51], v[5:6]
	v_cndmask_b32_e32 v34, v34, v36, vcc
	v_and_b32_e32 v36, 0x400921fb, v9
	v_cndmask_b32_e64 v6, v6, v33, s[0:1]
	v_cndmask_b32_e64 v5, v5, v32, s[0:1]
	v_add_f64 v[9:10], v[5:6], 1.0
	v_cmp_ngt_f64_e64 s[0:1], 0, v[32:33]
	v_cndmask_b32_e32 v6, v35, v37, vcc
	v_bfi_b32 v5, s44, v18, v12
	v_cndmask_b32_e64 v6, v6, v36, s[2:3]
	s_and_b64 vcc, s[8:9], s[4:5]
	v_cndmask_b32_e32 v6, v6, v5, vcc
	v_cndmask_b32_e64 v18, v34, v31, s[2:3]
	v_cndmask_b32_e64 v5, v61, v10, s[0:1]
	v_cmp_nge_f64_e64 s[0:1], 0, v[32:33]
	v_cndmask_b32_e64 v31, 0, v9, s[0:1]
	v_cmp_neq_f64_e64 s[0:1], 0, v[32:33]
	v_cndmask_b32_e64 v32, v62, v5, s[0:1]
	v_cndmask_b32_e32 v5, v18, v7, vcc
.LBB191_66:                             ;   in Loop: Header=BB191_5 Depth=1
	s_or_b64 exec, exec, s[6:7]
.LBB191_67:                             ;   in Loop: Header=BB191_5 Depth=1
	s_andn2_saveexec_b64 s[0:1], s[92:93]
	s_cbranch_execz .LBB191_73
; %bb.68:                               ;   in Loop: Header=BB191_5 Depth=1
	v_cmp_nlt_f64_e64 s[2:3], |v[9:10]|, s[94:95]
	v_cmp_nlt_f64_e64 s[4:5], |v[11:12]|, s[94:95]
                                        ; implicit-def: $vgpr32_vgpr33
	s_or_b64 s[2:3], s[2:3], s[4:5]
	s_and_saveexec_b64 s[4:5], s[2:3]
	s_xor_b64 s[2:3], exec, s[4:5]
	s_cbranch_execz .LBB191_70
; %bb.69:                               ;   in Loop: Header=BB191_5 Depth=1
	v_mul_f64 v[5:6], v[11:12], v[11:12]
	v_fma_f64 v[32:33], v[9:10], v[9:10], v[5:6]
.LBB191_70:                             ;   in Loop: Header=BB191_5 Depth=1
	s_andn2_saveexec_b64 s[2:3], s[2:3]
	s_cbranch_execz .LBB191_72
; %bb.71:                               ;   in Loop: Header=BB191_5 Depth=1
	v_mul_f64 v[5:6], v[11:12], 4.0
	v_mul_f64 v[9:10], v[9:10], 4.0
	v_mul_f64 v[5:6], v[5:6], v[5:6]
	v_fma_f64 v[5:6], v[9:10], v[9:10], v[5:6]
	v_ldexp_f64 v[32:33], v[5:6], -4
.LBB191_72:                             ;   in Loop: Header=BB191_5 Depth=1
	s_or_b64 exec, exec, s[2:3]
	v_frexp_mant_f64_e32 v[5:6], v[32:33]
	s_mov_b32 s91, s23
	v_cmp_gt_f64_e32 vcc, s[22:23], v[5:6]
	v_cndmask_b32_e64 v7, 0, 1, vcc
	v_ldexp_f64 v[5:6], v[5:6], v7
	v_frexp_exp_i32_f64_e32 v7, v[32:33]
	v_add_f64 v[9:10], v[5:6], 1.0
	v_add_f64 v[38:39], v[5:6], -1.0
	v_subbrev_co_u32_e32 v7, vcc, 0, v7, vcc
	v_cmp_class_f64_e64 vcc, v[32:33], s46
	v_rcp_f64_e32 v[34:35], v[9:10]
	v_add_f64 v[40:41], v[9:10], -1.0
	v_add_f64 v[5:6], v[5:6], -v[40:41]
	v_fma_f64 v[36:37], -v[9:10], v[34:35], 1.0
	v_fma_f64 v[34:35], v[36:37], v[34:35], v[34:35]
	v_fma_f64 v[36:37], -v[9:10], v[34:35], 1.0
	v_fma_f64 v[34:35], v[36:37], v[34:35], v[34:35]
	v_mul_f64 v[36:37], v[38:39], v[34:35]
	v_mul_f64 v[42:43], v[9:10], v[36:37]
	v_fma_f64 v[9:10], v[36:37], v[9:10], -v[42:43]
	v_fma_f64 v[5:6], v[36:37], v[5:6], v[9:10]
	v_add_f64 v[9:10], v[42:43], v[5:6]
	v_add_f64 v[40:41], v[38:39], -v[9:10]
	v_add_f64 v[42:43], v[9:10], -v[42:43]
	;; [unrolled: 1-line block ×5, first 2 shown]
	v_add_f64 v[5:6], v[5:6], v[9:10]
	v_add_f64 v[5:6], v[40:41], v[5:6]
	v_mul_f64 v[5:6], v[34:35], v[5:6]
	v_add_f64 v[9:10], v[36:37], v[5:6]
	v_mul_f64 v[34:35], v[9:10], v[9:10]
	v_fma_f64 v[38:39], v[34:35], s[24:25], v[19:20]
	v_mul_f64 v[40:41], v[9:10], v[34:35]
	v_fma_f64 v[38:39], v[34:35], v[38:39], s[26:27]
	v_fma_f64 v[38:39], v[34:35], v[38:39], s[28:29]
	;; [unrolled: 1-line block ×5, first 2 shown]
	v_ldexp_f64 v[38:39], v[9:10], 1
	v_add_f64 v[9:10], v[9:10], -v[36:37]
	v_mul_f64 v[34:35], v[40:41], v[34:35]
	v_cvt_f64_i32_e32 v[40:41], v7
	v_add_f64 v[5:6], v[5:6], -v[9:10]
	v_mul_f64 v[42:43], v[40:41], s[36:37]
	v_add_f64 v[36:37], v[38:39], v[34:35]
	v_ldexp_f64 v[5:6], v[5:6], 1
	v_add_f64 v[9:10], v[36:37], -v[38:39]
	v_fma_f64 v[38:39], v[40:41], s[36:37], -v[42:43]
	v_add_f64 v[9:10], v[34:35], -v[9:10]
	v_fma_f64 v[34:35], v[40:41], s[38:39], v[38:39]
	v_add_f64 v[5:6], v[5:6], v[9:10]
	v_add_f64 v[9:10], v[42:43], v[34:35]
	;; [unrolled: 1-line block ×3, first 2 shown]
	v_add_f64 v[42:43], v[9:10], -v[42:43]
	v_add_f64 v[40:41], v[9:10], v[38:39]
	v_add_f64 v[36:37], v[38:39], -v[36:37]
	v_add_f64 v[34:35], v[34:35], -v[42:43]
	;; [unrolled: 1-line block ×6, first 2 shown]
	v_add_f64 v[38:39], v[34:35], v[5:6]
	v_add_f64 v[9:10], v[9:10], -v[46:47]
	v_add_f64 v[9:10], v[36:37], v[9:10]
	v_add_f64 v[36:37], v[38:39], -v[34:35]
	;; [unrolled: 2-line block ×3, first 2 shown]
	v_add_f64 v[5:6], v[5:6], -v[36:37]
	v_add_f64 v[42:43], v[40:41], v[9:10]
	v_add_f64 v[34:35], v[34:35], -v[38:39]
	v_add_f64 v[36:37], v[42:43], -v[40:41]
	v_add_f64 v[5:6], v[5:6], v[34:35]
	v_add_f64 v[9:10], v[9:10], -v[36:37]
	v_add_f64 v[5:6], v[5:6], v[9:10]
	v_add_f64 v[9:10], v[42:43], v[5:6]
	v_mov_b32_e32 v5, 0
	v_mov_b32_e32 v6, 0x7ff80000
	v_cndmask_b32_e32 v7, v9, v32, vcc
	v_cndmask_b32_e32 v9, v10, v33, vcc
	v_cmp_ngt_f64_e32 vcc, 0, v[32:33]
	v_cndmask_b32_e32 v9, v61, v9, vcc
	v_cmp_nge_f64_e32 vcc, 0, v[32:33]
	v_cndmask_b32_e32 v31, 0, v7, vcc
	v_cmp_neq_f64_e32 vcc, 0, v[32:33]
	v_cndmask_b32_e32 v32, v62, v9, vcc
.LBB191_73:                             ;   in Loop: Header=BB191_5 Depth=1
	s_or_b64 exec, exec, s[0:1]
	s_waitcnt vmcnt(0)
	v_cmp_o_f64_e32 vcc, v[13:14], v[15:16]
                                        ; implicit-def: $vgpr33_vgpr34
                                        ; implicit-def: $vgpr9_vgpr10
	s_and_saveexec_b64 s[0:1], vcc
	s_xor_b64 s[92:93], exec, s[0:1]
	s_cbranch_execz .LBB191_101
; %bb.74:                               ;   in Loop: Header=BB191_5 Depth=1
	v_cmp_lt_f64_e64 s[0:1], |v[13:14]|, |v[15:16]|
	v_and_b32_e32 v7, 0x7fffffff, v14
	v_and_b32_e32 v11, 0x7fffffff, v16
	s_mov_b32 s2, 0x85ebc8a0
	s_mov_b32 s3, 0x7fd1ccf3
	v_mov_b32_e32 v18, v15
                                        ; implicit-def: $vgpr33_vgpr34
                                        ; implicit-def: $vgpr9_vgpr10
	v_cndmask_b32_e64 v38, v11, v7, s[0:1]
	v_cndmask_b32_e64 v37, v15, v13, s[0:1]
	v_cmp_nlt_f64_e32 vcc, s[2:3], v[37:38]
	s_and_saveexec_b64 s[2:3], vcc
	s_xor_b64 s[18:19], exec, s[2:3]
	s_cbranch_execz .LBB191_98
; %bb.75:                               ;   in Loop: Header=BB191_5 Depth=1
	v_cndmask_b32_e64 v40, v7, v11, s[0:1]
	v_cndmask_b32_e64 v39, v13, v18, s[0:1]
	v_cmp_neq_f64_e32 vcc, 1.0, v[39:40]
                                        ; implicit-def: $vgpr33_vgpr34
                                        ; implicit-def: $vgpr9_vgpr10
	s_and_saveexec_b64 s[2:3], vcc
	s_xor_b64 s[20:21], exec, s[2:3]
	s_cbranch_execz .LBB191_91
; %bb.76:                               ;   in Loop: Header=BB191_5 Depth=1
	v_max_f64 v[9:10], v[37:38], v[37:38]
	v_max_f64 v[33:34], v[39:40], v[39:40]
	s_mov_b32 s2, 0x4ad4b81f
	s_mov_b32 s3, 0x358dee7a
	v_min_f64 v[35:36], v[33:34], v[9:10]
	v_max_f64 v[9:10], v[33:34], v[9:10]
                                        ; implicit-def: $vgpr33_vgpr34
	v_cmp_ngt_f64_e32 vcc, s[2:3], v[35:36]
	s_mov_b32 s2, 0xc57e649a
	s_mov_b32 s3, 0x4a511b0e
	v_cmp_nlt_f64_e64 s[2:3], s[2:3], v[9:10]
                                        ; implicit-def: $vgpr9_vgpr10
	s_and_b64 s[2:3], s[2:3], vcc
	s_and_saveexec_b64 s[4:5], s[2:3]
	s_xor_b64 s[82:83], exec, s[4:5]
	s_cbranch_execz .LBB191_88
; %bb.77:                               ;   in Loop: Header=BB191_5 Depth=1
	v_cmp_le_f64_e32 vcc, 1.0, v[39:40]
                                        ; implicit-def: $vgpr33_vgpr34
                                        ; implicit-def: $vgpr9_vgpr10
	s_and_saveexec_b64 s[2:3], vcc
	s_xor_b64 s[10:11], exec, s[2:3]
	s_cbranch_execz .LBB191_79
; %bb.78:                               ;   in Loop: Header=BB191_5 Depth=1
	v_add_f64 v[9:10], v[39:40], -1.0
	v_add_f64 v[33:34], v[39:40], 1.0
	s_mov_b32 s91, s23
	s_mov_b32 s78, s14
	;; [unrolled: 1-line block ×4, first 2 shown]
	v_cmp_class_f64_e64 s[16:17], v[13:14], s46
	v_cmp_class_f64_e64 s[4:5], v[15:16], s46
	v_mul_f64 v[9:10], v[9:10], v[33:34]
	v_fma_f64 v[34:35], v[37:38], v[37:38], v[9:10]
	v_add_f64 v[9:10], v[34:35], 1.0
	v_cmp_nge_f64_e64 s[6:7], -1.0, v[34:35]
	v_cmp_neq_f64_e64 s[8:9], s[8:9], v[34:35]
	v_frexp_mant_f64_e32 v[38:39], v[9:10]
	v_frexp_exp_i32_f64_e32 v7, v[9:10]
	v_add_f64 v[36:37], v[9:10], -1.0
	v_cmp_gt_f64_e32 vcc, s[22:23], v[38:39]
	v_add_f64 v[40:41], v[36:37], -v[9:10]
	v_add_f64 v[36:37], v[34:35], -v[36:37]
	v_subbrev_co_u32_e32 v7, vcc, 0, v7, vcc
	v_sub_u32_e32 v11, 0, v7
	v_ldexp_f64 v[9:10], v[9:10], v11
	v_add_f64 v[38:39], v[40:41], 1.0
	v_add_f64 v[40:41], v[9:10], 1.0
	v_add_f64 v[36:37], v[36:37], v[38:39]
	v_add_f64 v[46:47], v[9:10], -1.0
	v_add_f64 v[38:39], v[40:41], -1.0
	v_ldexp_f64 v[36:37], v[36:37], v11
	v_add_f64 v[48:49], v[46:47], 1.0
	v_ashrrev_i32_e32 v11, 31, v14
	v_and_b32_e32 v33, 0x54442d18, v11
	v_and_b32_e32 v11, 0x400921fb, v11
	v_add_f64 v[38:39], v[9:10], -v[38:39]
	v_add_f64 v[9:10], v[9:10], -v[48:49]
	v_add_f64 v[42:43], v[36:37], v[38:39]
	v_add_f64 v[48:49], v[36:37], v[9:10]
	;; [unrolled: 1-line block ×3, first 2 shown]
	v_rcp_f64_e32 v[44:45], v[38:39]
	v_add_f64 v[40:41], v[38:39], -v[40:41]
	v_add_f64 v[42:43], v[42:43], -v[40:41]
	v_fma_f64 v[50:51], -v[38:39], v[44:45], 1.0
	v_fma_f64 v[44:45], v[50:51], v[44:45], v[44:45]
	v_add_f64 v[50:51], v[46:47], v[48:49]
	v_fma_f64 v[9:10], -v[38:39], v[44:45], 1.0
	v_add_f64 v[46:47], v[50:51], -v[46:47]
	v_fma_f64 v[9:10], v[9:10], v[44:45], v[44:45]
	v_add_f64 v[46:47], v[48:49], -v[46:47]
	v_mul_f64 v[36:37], v[50:51], v[9:10]
	v_mul_f64 v[44:45], v[38:39], v[36:37]
	v_fma_f64 v[40:41], v[36:37], v[38:39], -v[44:45]
	v_fma_f64 v[52:53], v[36:37], v[42:43], v[40:41]
	v_add_f64 v[54:55], v[44:45], v[52:53]
	v_add_f64 v[40:41], v[50:51], -v[54:55]
	v_add_f64 v[44:45], v[54:55], -v[44:45]
	v_add_f64 v[50:51], v[50:51], -v[40:41]
	v_add_f64 v[44:45], v[44:45], -v[52:53]
	v_add_f64 v[48:49], v[50:51], -v[54:55]
	v_add_f64 v[46:47], v[46:47], v[48:49]
	v_max_f64 v[48:49], |v[13:14]|, |v[13:14]|
	v_add_f64 v[44:45], v[44:45], v[46:47]
	v_max_f64 v[46:47], |v[15:16]|, |v[15:16]|
	v_add_f64 v[50:51], v[40:41], v[44:45]
	v_max_f64 v[52:53], v[48:49], v[46:47]
	v_min_f64 v[46:47], v[48:49], v[46:47]
	v_mul_f64 v[48:49], v[9:10], v[50:51]
	v_add_f64 v[40:41], v[40:41], -v[50:51]
	v_div_scale_f64 v[54:55], s[2:3], v[52:53], v[52:53], v[46:47]
	s_mov_b32 s2, 0x69efb384
	s_mov_b32 s3, 0x3f4b2bb0
	v_mul_f64 v[56:57], v[38:39], v[48:49]
	v_add_f64 v[40:41], v[44:45], v[40:41]
	v_fma_f64 v[38:39], v[48:49], v[38:39], -v[56:57]
	v_rcp_f64_e32 v[67:68], v[54:55]
	v_fma_f64 v[38:39], v[48:49], v[42:43], v[38:39]
	v_add_f64 v[42:43], v[56:57], v[38:39]
	v_fma_f64 v[69:70], -v[54:55], v[67:68], 1.0
	v_add_f64 v[71:72], v[50:51], -v[42:43]
	v_add_f64 v[44:45], v[42:43], -v[56:57]
	v_fma_f64 v[67:68], v[67:68], v[69:70], v[67:68]
	v_div_scale_f64 v[69:70], vcc, v[46:47], v[52:53], v[46:47]
	v_add_f64 v[50:51], v[50:51], -v[71:72]
	v_add_f64 v[38:39], v[44:45], -v[38:39]
	v_fma_f64 v[73:74], -v[54:55], v[67:68], 1.0
	v_add_f64 v[44:45], v[36:37], v[48:49]
	v_add_f64 v[42:43], v[50:51], -v[42:43]
	v_fma_f64 v[50:51], v[67:68], v[73:74], v[67:68]
	v_add_f64 v[36:37], v[44:45], -v[36:37]
	v_add_f64 v[40:41], v[40:41], v[42:43]
	v_mul_f64 v[42:43], v[69:70], v[50:51]
	v_add_f64 v[36:37], v[48:49], -v[36:37]
	v_add_f64 v[38:39], v[38:39], v[40:41]
	v_fma_f64 v[40:41], -v[54:55], v[42:43], v[69:70]
	v_add_f64 v[38:39], v[71:72], v[38:39]
	v_div_fmas_f64 v[40:41], v[40:41], v[50:51], v[42:43]
	v_cmp_gt_i32_e32 vcc, 0, v14
	v_cndmask_b32_e32 v18, v65, v66, vcc
	v_mul_f64 v[9:10], v[9:10], v[38:39]
	v_add_f64 v[9:10], v[36:37], v[9:10]
	v_div_fixup_f64 v[36:37], v[40:41], v[52:53], v[46:47]
	v_add_f64 v[38:39], v[44:45], v[9:10]
	v_mul_f64 v[40:41], v[36:37], v[36:37]
	v_mul_f64 v[42:43], v[38:39], v[38:39]
	v_fma_f64 v[46:47], v[40:41], s[40:41], v[21:22]
	v_fma_f64 v[48:49], v[42:43], s[24:25], v[19:20]
	v_mul_f64 v[50:51], v[38:39], v[42:43]
	v_fma_f64 v[46:47], v[40:41], v[46:47], s[2:3]
	s_mov_b32 s2, 0xaf56de9b
	s_mov_b32 s3, 0xbf67952d
	v_fma_f64 v[48:49], v[42:43], v[48:49], s[26:27]
	v_fma_f64 v[46:47], v[40:41], v[46:47], s[2:3]
	s_mov_b32 s2, 0xa595c56f
	s_mov_b32 s3, 0x3f7d6d43
	v_fma_f64 v[48:49], v[42:43], v[48:49], s[28:29]
	v_fma_f64 v[46:47], v[40:41], v[46:47], s[2:3]
	v_cmp_eq_f64_e64 s[2:3], 0, v[15:16]
	v_fma_f64 v[48:49], v[42:43], v[48:49], s[30:31]
	v_fma_f64 v[46:47], v[40:41], v[46:47], s[48:49]
	;; [unrolled: 1-line block ×5, first 2 shown]
	v_ldexp_f64 v[48:49], v[38:39], 1
	v_fma_f64 v[46:47], v[40:41], v[46:47], s[52:53]
	v_add_f64 v[38:39], v[38:39], -v[44:45]
	v_mul_f64 v[42:43], v[50:51], v[42:43]
	v_cvt_f64_i32_e32 v[50:51], v7
	v_fma_f64 v[46:47], v[40:41], v[46:47], s[54:55]
	v_add_f64 v[9:10], v[9:10], -v[38:39]
	v_cndmask_b32_e32 v7, v63, v64, vcc
	v_mul_f64 v[52:53], v[50:51], s[36:37]
	v_add_f64 v[44:45], v[48:49], v[42:43]
	v_fma_f64 v[46:47], v[40:41], v[46:47], s[42:43]
	v_ldexp_f64 v[9:10], v[9:10], 1
	v_add_f64 v[38:39], v[44:45], -v[48:49]
	v_fma_f64 v[48:49], v[50:51], s[36:37], -v[52:53]
	v_fma_f64 v[46:47], v[40:41], v[46:47], s[58:59]
	v_add_f64 v[38:39], v[42:43], -v[38:39]
	v_fma_f64 v[42:43], v[40:41], v[46:47], s[60:61]
	v_fma_f64 v[46:47], v[50:51], s[38:39], v[48:49]
	v_add_f64 v[9:10], v[9:10], v[38:39]
	v_fma_f64 v[38:39], v[40:41], v[42:43], s[62:63]
	v_add_f64 v[42:43], v[52:53], v[46:47]
	v_add_f64 v[48:49], v[44:45], v[9:10]
	v_fma_f64 v[38:39], v[40:41], v[38:39], s[64:65]
	v_add_f64 v[52:53], v[42:43], -v[52:53]
	v_add_f64 v[50:51], v[42:43], v[48:49]
	v_add_f64 v[44:45], v[48:49], -v[44:45]
	v_fma_f64 v[38:39], v[40:41], v[38:39], s[66:67]
	v_add_f64 v[46:47], v[46:47], -v[52:53]
	v_add_f64 v[54:55], v[50:51], -v[42:43]
	;; [unrolled: 1-line block ×3, first 2 shown]
	v_fma_f64 v[38:39], v[40:41], v[38:39], s[68:69]
	v_add_f64 v[56:57], v[50:51], -v[54:55]
	v_add_f64 v[44:45], v[48:49], -v[54:55]
	v_fma_f64 v[38:39], v[40:41], v[38:39], s[70:71]
	v_add_f64 v[48:49], v[46:47], v[9:10]
	v_add_f64 v[42:43], v[42:43], -v[56:57]
	v_fma_f64 v[38:39], v[40:41], v[38:39], s[72:73]
	v_add_f64 v[42:43], v[44:45], v[42:43]
	v_add_f64 v[44:45], v[48:49], -v[46:47]
	v_fma_f64 v[38:39], v[40:41], v[38:39], s[74:75]
	v_add_f64 v[42:43], v[48:49], v[42:43]
	v_add_f64 v[48:49], v[48:49], -v[44:45]
	v_fma_f64 v[38:39], v[40:41], v[38:39], s[76:77]
	v_add_f64 v[9:10], v[9:10], -v[44:45]
	v_add_f64 v[52:53], v[50:51], v[42:43]
	v_mul_f64 v[38:39], v[40:41], v[38:39]
	v_add_f64 v[40:41], v[46:47], -v[48:49]
	v_add_f64 v[44:45], v[52:53], -v[50:51]
	v_fma_f64 v[36:37], v[36:37], v[38:39], v[36:37]
	v_add_f64 v[9:10], v[9:10], v[40:41]
	v_add_f64 v[38:39], v[42:43], -v[44:45]
	v_add_f64 v[40:41], -v[36:37], s[14:15]
	v_add_f64 v[9:10], v[9:10], v[38:39]
	v_cndmask_b32_e64 v37, v37, v41, s[0:1]
	v_cndmask_b32_e64 v36, v36, v40, s[0:1]
	v_add_f64 v[38:39], -v[36:37], s[78:79]
	v_add_f64 v[9:10], v[52:53], v[9:10]
	v_cndmask_b32_e32 v36, v36, v38, vcc
	v_mul_f64 v[13:14], v[9:10], 0.5
	v_cndmask_b32_e32 v10, v37, v39, vcc
	v_bfi_b32 v9, s44, v18, v16
	v_cndmask_b32_e64 v18, v36, v33, s[2:3]
	v_cndmask_b32_e64 v10, v10, v11, s[2:3]
	s_and_b64 s[2:3], s[6:7], s[8:9]
	s_and_b64 vcc, s[16:17], s[4:5]
	v_cndmask_b32_e32 v10, v10, v9, vcc
	v_cndmask_b32_e64 v33, 0, v13, s[2:3]
	v_cmp_ngt_f64_e64 s[2:3], -1.0, v[34:35]
	v_cndmask_b32_e64 v9, v60, v14, s[8:9]
                                        ; implicit-def: $vgpr37_vgpr38
                                        ; implicit-def: $vgpr39_vgpr40
	v_cndmask_b32_e64 v9, v61, v9, s[2:3]
	v_cmp_neq_f64_e64 s[2:3], -1.0, v[34:35]
	v_cndmask_b32_e64 v34, v62, v9, s[2:3]
	v_cndmask_b32_e32 v9, v18, v7, vcc
.LBB191_79:                             ;   in Loop: Header=BB191_5 Depth=1
	s_andn2_saveexec_b64 s[10:11], s[10:11]
	s_cbranch_execz .LBB191_87
; %bb.80:                               ;   in Loop: Header=BB191_5 Depth=1
	v_mul_f64 v[9:10], v[37:38], v[37:38]
	s_mov_b32 s2, 0x66666666
	s_mov_b32 s3, 0x3fe66666
                                        ; implicit-def: $vgpr33_vgpr34
	v_fma_f64 v[35:36], v[39:40], v[39:40], v[9:10]
                                        ; implicit-def: $vgpr9_vgpr10
	v_cmp_ge_f64_e32 vcc, s[2:3], v[35:36]
	s_and_saveexec_b64 s[2:3], vcc
	s_xor_b64 s[8:9], exec, s[2:3]
	s_cbranch_execz .LBB191_82
; %bb.81:                               ;   in Loop: Header=BB191_5 Depth=1
	v_frexp_mant_f64_e32 v[9:10], v[35:36]
	v_max_f64 v[41:42], |v[15:16]|, |v[15:16]|
	v_max_f64 v[43:44], |v[13:14]|, |v[13:14]|
	s_mov_b32 s91, s23
	s_mov_b32 s78, s14
	v_cmp_class_f64_e64 s[16:17], v[13:14], s46
	v_ashrrev_i32_e32 v11, 31, v14
	v_cmp_neq_f64_e64 s[6:7], 0, v[35:36]
	v_cmp_gt_f64_e64 s[2:3], s[22:23], v[9:10]
	v_and_b32_e32 v18, 0x54442d18, v11
	v_and_b32_e32 v11, 0x400921fb, v11
	v_cndmask_b32_e64 v7, 0, 1, s[2:3]
	v_ldexp_f64 v[9:10], v[9:10], v7
	v_frexp_exp_i32_f64_e32 v7, v[35:36]
	v_add_f64 v[33:34], v[9:10], 1.0
	v_add_f64 v[47:48], v[9:10], -1.0
	v_rcp_f64_e32 v[37:38], v[33:34]
	v_add_f64 v[51:52], v[33:34], -1.0
	v_add_f64 v[9:10], v[9:10], -v[51:52]
	v_fma_f64 v[39:40], -v[33:34], v[37:38], 1.0
	v_fma_f64 v[37:38], v[39:40], v[37:38], v[37:38]
	v_max_f64 v[39:40], v[43:44], v[41:42]
	v_min_f64 v[41:42], v[43:44], v[41:42]
	v_fma_f64 v[43:44], -v[33:34], v[37:38], 1.0
	v_div_scale_f64 v[45:46], s[4:5], v[39:40], v[39:40], v[41:42]
	s_mov_b32 s4, 0x69efb384
	s_mov_b32 s5, 0x3f4b2bb0
	v_fma_f64 v[37:38], v[43:44], v[37:38], v[37:38]
	v_mul_f64 v[43:44], v[47:48], v[37:38]
	v_rcp_f64_e32 v[49:50], v[45:46]
	v_mul_f64 v[53:54], v[33:34], v[43:44]
	v_fma_f64 v[33:34], v[43:44], v[33:34], -v[53:54]
	v_fma_f64 v[51:52], -v[45:46], v[49:50], 1.0
	v_fma_f64 v[9:10], v[43:44], v[9:10], v[33:34]
	v_fma_f64 v[33:34], v[49:50], v[51:52], v[49:50]
	v_div_scale_f64 v[51:52], vcc, v[41:42], v[39:40], v[41:42]
	v_add_f64 v[49:50], v[53:54], v[9:10]
	v_fma_f64 v[55:56], -v[45:46], v[33:34], 1.0
	v_add_f64 v[57:58], v[47:48], -v[49:50]
	v_add_f64 v[53:54], v[49:50], -v[53:54]
	v_fma_f64 v[33:34], v[33:34], v[55:56], v[33:34]
	v_add_f64 v[47:48], v[47:48], -v[57:58]
	v_add_f64 v[9:10], v[53:54], -v[9:10]
	v_mul_f64 v[55:56], v[51:52], v[33:34]
	v_add_f64 v[47:48], v[47:48], -v[49:50]
	v_fma_f64 v[45:46], -v[45:46], v[55:56], v[51:52]
	v_add_f64 v[9:10], v[9:10], v[47:48]
	v_div_fmas_f64 v[33:34], v[45:46], v[33:34], v[55:56]
	v_subbrev_co_u32_e64 v7, vcc, 0, v7, s[2:3]
	v_cmp_eq_f64_e64 s[2:3], 0, v[15:16]
	v_cmp_gt_i32_e32 vcc, 0, v14
	v_add_f64 v[9:10], v[57:58], v[9:10]
	v_mul_f64 v[9:10], v[37:38], v[9:10]
	v_div_fixup_f64 v[33:34], v[33:34], v[39:40], v[41:42]
	v_add_f64 v[37:38], v[43:44], v[9:10]
	v_mul_f64 v[39:40], v[33:34], v[33:34]
	v_mul_f64 v[41:42], v[37:38], v[37:38]
	v_fma_f64 v[45:46], v[39:40], s[40:41], v[21:22]
	v_fma_f64 v[47:48], v[41:42], s[24:25], v[19:20]
	v_mul_f64 v[49:50], v[37:38], v[41:42]
	v_fma_f64 v[45:46], v[39:40], v[45:46], s[4:5]
	s_mov_b32 s4, 0xaf56de9b
	s_mov_b32 s5, 0xbf67952d
	v_fma_f64 v[47:48], v[41:42], v[47:48], s[26:27]
	v_fma_f64 v[45:46], v[39:40], v[45:46], s[4:5]
	s_mov_b32 s4, 0xa595c56f
	s_mov_b32 s5, 0x3f7d6d43
	v_fma_f64 v[47:48], v[41:42], v[47:48], s[28:29]
	v_fma_f64 v[45:46], v[39:40], v[45:46], s[4:5]
	v_cmp_class_f64_e64 s[4:5], v[15:16], s46
	v_fma_f64 v[47:48], v[41:42], v[47:48], s[30:31]
	v_fma_f64 v[45:46], v[39:40], v[45:46], s[48:49]
	;; [unrolled: 1-line block ×5, first 2 shown]
	v_ldexp_f64 v[47:48], v[37:38], 1
	v_fma_f64 v[45:46], v[39:40], v[45:46], s[52:53]
	v_add_f64 v[37:38], v[37:38], -v[43:44]
	v_mul_f64 v[41:42], v[49:50], v[41:42]
	v_cvt_f64_i32_e32 v[49:50], v7
	v_fma_f64 v[45:46], v[39:40], v[45:46], s[54:55]
	v_add_f64 v[9:10], v[9:10], -v[37:38]
	v_cndmask_b32_e32 v7, v63, v64, vcc
	v_mul_f64 v[51:52], v[49:50], s[36:37]
	v_add_f64 v[43:44], v[47:48], v[41:42]
	v_fma_f64 v[45:46], v[39:40], v[45:46], s[42:43]
	v_ldexp_f64 v[9:10], v[9:10], 1
	v_add_f64 v[37:38], v[43:44], -v[47:48]
	v_fma_f64 v[47:48], v[49:50], s[36:37], -v[51:52]
	v_fma_f64 v[45:46], v[39:40], v[45:46], s[58:59]
	v_add_f64 v[37:38], v[41:42], -v[37:38]
	v_fma_f64 v[41:42], v[39:40], v[45:46], s[60:61]
	v_fma_f64 v[45:46], v[49:50], s[38:39], v[47:48]
	v_add_f64 v[9:10], v[9:10], v[37:38]
	v_fma_f64 v[37:38], v[39:40], v[41:42], s[62:63]
	v_add_f64 v[41:42], v[51:52], v[45:46]
	v_add_f64 v[47:48], v[43:44], v[9:10]
	v_fma_f64 v[37:38], v[39:40], v[37:38], s[64:65]
	v_add_f64 v[51:52], v[41:42], -v[51:52]
	v_add_f64 v[49:50], v[41:42], v[47:48]
	v_add_f64 v[43:44], v[47:48], -v[43:44]
	v_fma_f64 v[37:38], v[39:40], v[37:38], s[66:67]
	v_add_f64 v[45:46], v[45:46], -v[51:52]
	v_add_f64 v[53:54], v[49:50], -v[41:42]
	;; [unrolled: 1-line block ×3, first 2 shown]
	v_fma_f64 v[37:38], v[39:40], v[37:38], s[68:69]
	v_add_f64 v[55:56], v[49:50], -v[53:54]
	v_add_f64 v[43:44], v[47:48], -v[53:54]
	v_fma_f64 v[37:38], v[39:40], v[37:38], s[70:71]
	v_add_f64 v[47:48], v[45:46], v[9:10]
	v_add_f64 v[41:42], v[41:42], -v[55:56]
	v_fma_f64 v[37:38], v[39:40], v[37:38], s[72:73]
	v_add_f64 v[41:42], v[43:44], v[41:42]
	;; [unrolled: 3-line block ×3, first 2 shown]
	v_add_f64 v[47:48], v[47:48], -v[43:44]
	v_fma_f64 v[37:38], v[39:40], v[37:38], s[76:77]
	v_add_f64 v[9:10], v[9:10], -v[43:44]
	v_add_f64 v[51:52], v[49:50], v[41:42]
	v_mul_f64 v[37:38], v[39:40], v[37:38]
	v_add_f64 v[39:40], v[45:46], -v[47:48]
	v_add_f64 v[43:44], v[51:52], -v[49:50]
	v_fma_f64 v[33:34], v[33:34], v[37:38], v[33:34]
	v_add_f64 v[9:10], v[9:10], v[39:40]
	v_add_f64 v[37:38], v[41:42], -v[43:44]
	v_add_f64 v[39:40], -v[33:34], s[14:15]
	v_add_f64 v[9:10], v[9:10], v[37:38]
	v_cndmask_b32_e64 v34, v34, v40, s[0:1]
	v_cndmask_b32_e64 v33, v33, v39, s[0:1]
	v_add_f64 v[37:38], -v[33:34], s[78:79]
                                        ; implicit-def: $vgpr39_vgpr40
	v_add_f64 v[9:10], v[51:52], v[9:10]
	v_cndmask_b32_e32 v33, v33, v37, vcc
	v_cndmask_b32_e32 v37, v65, v66, vcc
	v_cndmask_b32_e64 v18, v33, v18, s[2:3]
	v_mul_f64 v[13:14], v[9:10], 0.5
	v_cndmask_b32_e32 v10, v34, v38, vcc
	v_bfi_b32 v9, s44, v37, v16
	v_cndmask_b32_e64 v10, v10, v11, s[2:3]
	s_and_b64 vcc, s[16:17], s[4:5]
	v_cndmask_b32_e32 v10, v10, v9, vcc
	v_cndmask_b32_e32 v9, v18, v7, vcc
                                        ; implicit-def: $vgpr37_vgpr38
	v_cndmask_b32_e64 v34, v62, v14, s[6:7]
	v_cndmask_b32_e64 v33, 0, v13, s[6:7]
.LBB191_82:                             ;   in Loop: Header=BB191_5 Depth=1
	s_andn2_saveexec_b64 s[16:17], s[8:9]
	s_cbranch_execz .LBB191_86
; %bb.83:                               ;   in Loop: Header=BB191_5 Depth=1
	v_and_b32_e32 v18, 0x7ffffff8, v40
	v_and_b32_e32 v34, 0x7ffffff8, v38
	v_mov_b32_e32 v33, v17
	v_add_f64 v[9:10], v[39:40], -v[17:18]
	v_add_f64 v[35:36], v[37:38], -v[33:34]
	v_mov_b32_e32 v39, v17
	v_mov_b32_e32 v47, v17
	v_add_f64 v[43:44], v[17:18], v[17:18]
	v_add_f64 v[45:46], v[33:34], v[33:34]
	v_mul_f64 v[33:34], v[33:34], v[33:34]
	s_mov_b64 s[4:5], 0
	v_and_b32_e32 v40, -8, v10
	v_and_b32_e32 v48, -8, v36
	v_add_f64 v[53:54], v[9:10], -v[39:40]
	v_add_f64 v[55:56], v[35:36], -v[47:48]
	v_add_f64 v[57:58], v[39:40], v[39:40]
	v_add_f64 v[67:68], v[47:48], v[47:48]
	v_mul_f64 v[9:10], v[17:18], v[17:18]
	v_mul_f64 v[37:38], v[43:44], v[39:40]
	;; [unrolled: 1-line block ×11, first 2 shown]
.LBB191_84:                             ;   Parent Loop BB191_5 Depth=1
                                        ; =>  This Inner Loop Header: Depth=2
	v_cmp_nlt_f64_e32 vcc, v[9:10], v[33:34]
	v_cndmask_b32_e32 v56, v10, v34, vcc
	v_cndmask_b32_e32 v55, v9, v33, vcc
	v_cmp_nlt_f64_e64 s[2:3], v[55:56], v[37:38]
	v_cndmask_b32_e32 v10, v34, v10, vcc
	v_cndmask_b32_e32 v9, v33, v9, vcc
	v_cndmask_b32_e64 v58, v56, v38, s[2:3]
	v_cndmask_b32_e64 v57, v55, v37, s[2:3]
	v_cmp_nlt_f64_e64 s[6:7], v[57:58], v[35:36]
	v_cndmask_b32_e64 v34, v38, v56, s[2:3]
	v_cndmask_b32_e64 v33, v37, v55, s[2:3]
	s_and_b64 s[40:41], vcc, s[2:3]
	v_cndmask_b32_e64 v68, v58, v36, s[6:7]
	v_cndmask_b32_e64 v67, v57, v35, s[6:7]
	v_cmp_nlt_f64_e64 s[8:9], v[67:68], v[41:42]
	v_cndmask_b32_e64 v38, v36, v58, s[6:7]
	v_cndmask_b32_e64 v37, v35, v57, s[6:7]
	;; [unrolled: 1-line block ×4, first 2 shown]
	v_cmp_nlt_f64_e32 vcc, v[55:56], v[47:48]
	v_cndmask_b32_e64 v36, v42, v68, s[8:9]
	v_cndmask_b32_e64 v35, v41, v67, s[8:9]
	s_and_b64 s[8:9], s[6:7], s[8:9]
	v_cndmask_b32_e32 v58, v56, v48, vcc
	v_cndmask_b32_e32 v57, v55, v47, vcc
	v_cmp_nlt_f64_e64 s[2:3], v[57:58], v[51:52]
	v_cndmask_b32_e32 v42, v48, v56, vcc
	v_cndmask_b32_e32 v41, v47, v55, vcc
	v_cndmask_b32_e64 v56, v58, v52, s[2:3]
	v_cndmask_b32_e64 v55, v57, v51, s[2:3]
	v_cmp_nlt_f64_e64 s[6:7], v[55:56], v[49:50]
	v_cndmask_b32_e64 v48, v52, v58, s[2:3]
	v_cndmask_b32_e64 v47, v51, v57, s[2:3]
	s_and_b64 s[2:3], vcc, s[2:3]
	v_cndmask_b32_e64 v58, v56, v50, s[6:7]
	v_cndmask_b32_e64 v57, v55, v49, s[6:7]
	v_cmp_nlt_f64_e32 vcc, v[57:58], v[45:46]
	v_cndmask_b32_e64 v52, v50, v56, s[6:7]
	v_cndmask_b32_e64 v51, v49, v55, s[6:7]
	s_and_b64 s[6:7], s[2:3], s[6:7]
	v_cndmask_b32_e32 v56, v58, v46, vcc
	v_cndmask_b32_e32 v55, v57, v45, vcc
	v_cmp_nlt_f64_e64 s[2:3], v[55:56], v[43:44]
	v_cndmask_b32_e32 v50, v46, v58, vcc
	v_cndmask_b32_e32 v49, v45, v57, vcc
	s_and_b64 s[6:7], s[6:7], vcc
	v_cndmask_b32_e64 v58, v56, v44, s[2:3]
	v_cndmask_b32_e64 v57, v55, v43, s[2:3]
	v_cmp_nlt_f64_e32 vcc, v[57:58], v[39:40]
	v_cndmask_b32_e64 v46, v44, v56, s[2:3]
	v_cndmask_b32_e64 v45, v43, v55, s[2:3]
	s_and_b64 s[6:7], s[6:7], s[2:3]
	v_cndmask_b32_e32 v68, v58, v40, vcc
	v_cndmask_b32_e32 v67, v57, v39, vcc
	v_cmp_nlt_f64_e64 s[2:3], v[67:68], v[53:54]
	s_and_b64 s[6:7], s[6:7], vcc
	v_cndmask_b32_e32 v44, v40, v58, vcc
	v_cndmask_b32_e32 v43, v39, v57, vcc
	v_cndmask_b32_e64 v56, v68, v54, s[2:3]
	v_cndmask_b32_e64 v55, v67, v53, s[2:3]
	v_cndmask_b32_e64 v40, v54, v68, s[2:3]
	v_cndmask_b32_e64 v39, v53, v67, s[2:3]
	s_and_b64 s[2:3], s[6:7], s[2:3]
	s_and_b64 s[2:3], s[2:3], s[8:9]
	;; [unrolled: 1-line block ×3, first 2 shown]
	s_and_b64 s[2:3], exec, s[2:3]
	v_mov_b32_e32 v53, v55
	s_or_b64 s[4:5], s[2:3], s[4:5]
	v_mov_b32_e32 v54, v56
	s_andn2_b64 exec, exec, s[4:5]
	s_cbranch_execnz .LBB191_84
; %bb.85:                               ;   in Loop: Header=BB191_5 Depth=1
	s_or_b64 exec, exec, s[4:5]
	v_add_f64 v[9:10], v[9:10], -1.0
	s_mov_b32 s91, s23
	s_mov_b32 s78, s14
	;; [unrolled: 1-line block ×4, first 2 shown]
	v_cmp_class_f64_e64 s[40:41], v[13:14], s46
	v_cmp_class_f64_e64 s[4:5], v[15:16], s46
	v_add_f64 v[9:10], v[9:10], v[33:34]
	v_add_f64 v[9:10], v[9:10], v[37:38]
	;; [unrolled: 1-line block ×11, first 2 shown]
	v_add_f64 v[9:10], v[34:35], 1.0
	v_cmp_nge_f64_e64 s[6:7], -1.0, v[34:35]
	v_cmp_neq_f64_e64 s[8:9], s[8:9], v[34:35]
	v_frexp_mant_f64_e32 v[38:39], v[9:10]
	v_frexp_exp_i32_f64_e32 v7, v[9:10]
	v_add_f64 v[36:37], v[9:10], -1.0
	v_cmp_gt_f64_e32 vcc, s[22:23], v[38:39]
	v_add_f64 v[40:41], v[36:37], -v[9:10]
	v_add_f64 v[36:37], v[34:35], -v[36:37]
	v_subbrev_co_u32_e32 v7, vcc, 0, v7, vcc
	v_sub_u32_e32 v11, 0, v7
	v_ldexp_f64 v[9:10], v[9:10], v11
	v_add_f64 v[38:39], v[40:41], 1.0
	v_add_f64 v[40:41], v[9:10], 1.0
	v_add_f64 v[36:37], v[36:37], v[38:39]
	v_add_f64 v[46:47], v[9:10], -1.0
	v_add_f64 v[38:39], v[40:41], -1.0
	v_ldexp_f64 v[36:37], v[36:37], v11
	v_add_f64 v[48:49], v[46:47], 1.0
	v_ashrrev_i32_e32 v11, 31, v14
	v_and_b32_e32 v33, 0x54442d18, v11
	v_and_b32_e32 v11, 0x400921fb, v11
	v_add_f64 v[38:39], v[9:10], -v[38:39]
	v_add_f64 v[9:10], v[9:10], -v[48:49]
	v_add_f64 v[42:43], v[36:37], v[38:39]
	v_add_f64 v[48:49], v[36:37], v[9:10]
	;; [unrolled: 1-line block ×3, first 2 shown]
	v_rcp_f64_e32 v[44:45], v[38:39]
	v_add_f64 v[40:41], v[38:39], -v[40:41]
	v_add_f64 v[42:43], v[42:43], -v[40:41]
	v_fma_f64 v[50:51], -v[38:39], v[44:45], 1.0
	v_fma_f64 v[44:45], v[50:51], v[44:45], v[44:45]
	v_add_f64 v[50:51], v[46:47], v[48:49]
	v_fma_f64 v[9:10], -v[38:39], v[44:45], 1.0
	v_add_f64 v[46:47], v[50:51], -v[46:47]
	v_fma_f64 v[9:10], v[9:10], v[44:45], v[44:45]
	v_add_f64 v[46:47], v[48:49], -v[46:47]
	v_mul_f64 v[36:37], v[50:51], v[9:10]
	v_mul_f64 v[44:45], v[38:39], v[36:37]
	v_fma_f64 v[40:41], v[36:37], v[38:39], -v[44:45]
	v_fma_f64 v[52:53], v[36:37], v[42:43], v[40:41]
	v_add_f64 v[54:55], v[44:45], v[52:53]
	v_add_f64 v[40:41], v[50:51], -v[54:55]
	v_add_f64 v[44:45], v[54:55], -v[44:45]
	v_add_f64 v[50:51], v[50:51], -v[40:41]
	v_add_f64 v[44:45], v[44:45], -v[52:53]
	v_add_f64 v[48:49], v[50:51], -v[54:55]
	v_add_f64 v[46:47], v[46:47], v[48:49]
	v_max_f64 v[48:49], |v[13:14]|, |v[13:14]|
	v_add_f64 v[44:45], v[44:45], v[46:47]
	v_max_f64 v[46:47], |v[15:16]|, |v[15:16]|
	v_add_f64 v[50:51], v[40:41], v[44:45]
	v_max_f64 v[52:53], v[48:49], v[46:47]
	v_min_f64 v[46:47], v[48:49], v[46:47]
	v_mul_f64 v[48:49], v[9:10], v[50:51]
	v_add_f64 v[40:41], v[40:41], -v[50:51]
	v_div_scale_f64 v[54:55], s[2:3], v[52:53], v[52:53], v[46:47]
	s_mov_b32 s2, 0xb5e68a13
	s_mov_b32 s3, 0x3eeba404
	v_mul_f64 v[56:57], v[38:39], v[48:49]
	v_add_f64 v[40:41], v[44:45], v[40:41]
	v_fma_f64 v[38:39], v[48:49], v[38:39], -v[56:57]
	v_rcp_f64_e32 v[67:68], v[54:55]
	v_fma_f64 v[38:39], v[48:49], v[42:43], v[38:39]
	v_add_f64 v[42:43], v[56:57], v[38:39]
	v_fma_f64 v[69:70], -v[54:55], v[67:68], 1.0
	v_add_f64 v[71:72], v[50:51], -v[42:43]
	v_add_f64 v[44:45], v[42:43], -v[56:57]
	v_fma_f64 v[67:68], v[67:68], v[69:70], v[67:68]
	v_div_scale_f64 v[69:70], vcc, v[46:47], v[52:53], v[46:47]
	v_add_f64 v[50:51], v[50:51], -v[71:72]
	v_add_f64 v[38:39], v[44:45], -v[38:39]
	v_fma_f64 v[73:74], -v[54:55], v[67:68], 1.0
	v_add_f64 v[44:45], v[36:37], v[48:49]
	v_add_f64 v[42:43], v[50:51], -v[42:43]
	v_fma_f64 v[50:51], v[67:68], v[73:74], v[67:68]
	v_add_f64 v[36:37], v[44:45], -v[36:37]
	v_add_f64 v[40:41], v[40:41], v[42:43]
	v_mul_f64 v[42:43], v[69:70], v[50:51]
	v_add_f64 v[36:37], v[48:49], -v[36:37]
	v_add_f64 v[38:39], v[38:39], v[40:41]
	v_fma_f64 v[40:41], -v[54:55], v[42:43], v[69:70]
	v_add_f64 v[38:39], v[71:72], v[38:39]
	v_div_fmas_f64 v[40:41], v[40:41], v[50:51], v[42:43]
	v_cmp_gt_i32_e32 vcc, 0, v14
	v_cndmask_b32_e32 v18, v65, v66, vcc
	v_mul_f64 v[9:10], v[9:10], v[38:39]
	v_add_f64 v[9:10], v[36:37], v[9:10]
	v_div_fixup_f64 v[36:37], v[40:41], v[52:53], v[46:47]
	v_add_f64 v[38:39], v[44:45], v[9:10]
	v_mul_f64 v[40:41], v[36:37], v[36:37]
	v_mul_f64 v[42:43], v[38:39], v[38:39]
	v_fma_f64 v[46:47], v[40:41], s[2:3], v[21:22]
	s_mov_b32 s2, 0x69efb384
	s_mov_b32 s3, 0x3f4b2bb0
	v_fma_f64 v[48:49], v[42:43], s[24:25], v[19:20]
	v_mul_f64 v[50:51], v[38:39], v[42:43]
	v_fma_f64 v[46:47], v[40:41], v[46:47], s[2:3]
	s_mov_b32 s2, 0xaf56de9b
	s_mov_b32 s3, 0xbf67952d
	v_fma_f64 v[48:49], v[42:43], v[48:49], s[26:27]
	v_fma_f64 v[46:47], v[40:41], v[46:47], s[2:3]
	s_mov_b32 s2, 0xa595c56f
	s_mov_b32 s3, 0x3f7d6d43
	v_fma_f64 v[48:49], v[42:43], v[48:49], s[28:29]
	v_fma_f64 v[46:47], v[40:41], v[46:47], s[2:3]
	v_cmp_eq_f64_e64 s[2:3], 0, v[15:16]
	v_fma_f64 v[48:49], v[42:43], v[48:49], s[30:31]
	v_fma_f64 v[46:47], v[40:41], v[46:47], s[48:49]
	;; [unrolled: 1-line block ×5, first 2 shown]
	v_ldexp_f64 v[48:49], v[38:39], 1
	v_fma_f64 v[46:47], v[40:41], v[46:47], s[52:53]
	v_add_f64 v[38:39], v[38:39], -v[44:45]
	v_mul_f64 v[42:43], v[50:51], v[42:43]
	v_cvt_f64_i32_e32 v[50:51], v7
	v_fma_f64 v[46:47], v[40:41], v[46:47], s[54:55]
	v_add_f64 v[9:10], v[9:10], -v[38:39]
	v_cndmask_b32_e32 v7, v63, v64, vcc
	v_mul_f64 v[52:53], v[50:51], s[36:37]
	v_add_f64 v[44:45], v[48:49], v[42:43]
	v_fma_f64 v[46:47], v[40:41], v[46:47], s[42:43]
	v_ldexp_f64 v[9:10], v[9:10], 1
	v_add_f64 v[38:39], v[44:45], -v[48:49]
	v_fma_f64 v[48:49], v[50:51], s[36:37], -v[52:53]
	v_fma_f64 v[46:47], v[40:41], v[46:47], s[58:59]
	v_add_f64 v[38:39], v[42:43], -v[38:39]
	v_fma_f64 v[42:43], v[40:41], v[46:47], s[60:61]
	v_fma_f64 v[46:47], v[50:51], s[38:39], v[48:49]
	v_add_f64 v[9:10], v[9:10], v[38:39]
	v_fma_f64 v[38:39], v[40:41], v[42:43], s[62:63]
	v_add_f64 v[42:43], v[52:53], v[46:47]
	v_add_f64 v[48:49], v[44:45], v[9:10]
	v_fma_f64 v[38:39], v[40:41], v[38:39], s[64:65]
	v_add_f64 v[52:53], v[42:43], -v[52:53]
	v_add_f64 v[50:51], v[42:43], v[48:49]
	v_add_f64 v[44:45], v[48:49], -v[44:45]
	v_fma_f64 v[38:39], v[40:41], v[38:39], s[66:67]
	v_add_f64 v[46:47], v[46:47], -v[52:53]
	v_add_f64 v[54:55], v[50:51], -v[42:43]
	;; [unrolled: 1-line block ×3, first 2 shown]
	v_fma_f64 v[38:39], v[40:41], v[38:39], s[68:69]
	v_add_f64 v[56:57], v[50:51], -v[54:55]
	v_add_f64 v[44:45], v[48:49], -v[54:55]
	v_fma_f64 v[38:39], v[40:41], v[38:39], s[70:71]
	v_add_f64 v[48:49], v[46:47], v[9:10]
	v_add_f64 v[42:43], v[42:43], -v[56:57]
	v_fma_f64 v[38:39], v[40:41], v[38:39], s[72:73]
	v_add_f64 v[42:43], v[44:45], v[42:43]
	;; [unrolled: 3-line block ×3, first 2 shown]
	v_add_f64 v[48:49], v[48:49], -v[44:45]
	v_fma_f64 v[38:39], v[40:41], v[38:39], s[76:77]
	v_add_f64 v[9:10], v[9:10], -v[44:45]
	v_add_f64 v[52:53], v[50:51], v[42:43]
	v_mul_f64 v[38:39], v[40:41], v[38:39]
	v_add_f64 v[40:41], v[46:47], -v[48:49]
	v_add_f64 v[44:45], v[52:53], -v[50:51]
	v_fma_f64 v[36:37], v[36:37], v[38:39], v[36:37]
	v_add_f64 v[9:10], v[9:10], v[40:41]
	v_add_f64 v[38:39], v[42:43], -v[44:45]
	v_add_f64 v[40:41], -v[36:37], s[14:15]
	v_add_f64 v[9:10], v[9:10], v[38:39]
	v_cndmask_b32_e64 v37, v37, v41, s[0:1]
	v_cndmask_b32_e64 v36, v36, v40, s[0:1]
	v_add_f64 v[38:39], -v[36:37], s[78:79]
	v_add_f64 v[9:10], v[52:53], v[9:10]
	v_cndmask_b32_e32 v36, v36, v38, vcc
	v_mul_f64 v[13:14], v[9:10], 0.5
	v_cndmask_b32_e32 v10, v37, v39, vcc
	v_bfi_b32 v9, s44, v18, v16
	v_cndmask_b32_e64 v18, v36, v33, s[2:3]
	v_cndmask_b32_e64 v10, v10, v11, s[2:3]
	s_and_b64 s[2:3], s[6:7], s[8:9]
	s_and_b64 vcc, s[40:41], s[4:5]
	v_cndmask_b32_e32 v10, v10, v9, vcc
	v_cndmask_b32_e64 v33, 0, v13, s[2:3]
	v_cmp_ngt_f64_e64 s[2:3], -1.0, v[34:35]
	v_cndmask_b32_e64 v9, v60, v14, s[8:9]
	s_mov_b32 s40, 0xb5e68a13
	s_mov_b32 s41, 0x3eeba404
	v_cndmask_b32_e64 v9, v61, v9, s[2:3]
	v_cmp_neq_f64_e64 s[2:3], -1.0, v[34:35]
	v_cndmask_b32_e64 v34, v62, v9, s[2:3]
	v_cndmask_b32_e32 v9, v18, v7, vcc
.LBB191_86:                             ;   in Loop: Header=BB191_5 Depth=1
	s_or_b64 exec, exec, s[16:17]
.LBB191_87:                             ;   in Loop: Header=BB191_5 Depth=1
	s_or_b64 exec, exec, s[10:11]
.LBB191_88:                             ;   in Loop: Header=BB191_5 Depth=1
	s_andn2_saveexec_b64 s[8:9], s[82:83]
	s_cbranch_execz .LBB191_90
; %bb.89:                               ;   in Loop: Header=BB191_5 Depth=1
	v_max_f64 v[36:37], |v[15:16]|, |v[15:16]|
	v_max_f64 v[38:39], |v[13:14]|, |v[13:14]|
	v_cmp_class_f64_e64 s[10:11], v[13:14], s46
	v_cmp_class_f64_e64 s[16:17], v[15:16], s46
	s_mov_b32 s91, s23
	s_mov_b32 s78, s14
	v_max_f64 v[9:10], v[38:39], v[36:37]
	v_min_f64 v[36:37], v[38:39], v[36:37]
	v_frexp_exp_i32_f64_e32 v7, v[9:10]
	v_sub_u32_e32 v11, 0, v7
	v_ldexp_f64 v[33:34], |v[15:16]|, v11
	v_ldexp_f64 v[40:41], |v[13:14]|, v11
	v_ashrrev_i32_e32 v11, 31, v14
	v_and_b32_e32 v18, 0x54442d18, v11
	v_and_b32_e32 v11, 0x400921fb, v11
	v_mul_f64 v[33:34], v[33:34], v[33:34]
	v_fma_f64 v[33:34], v[40:41], v[40:41], v[33:34]
	v_rsq_f64_e32 v[40:41], v[33:34]
	v_cmp_eq_f64_e32 vcc, 0, v[33:34]
	v_mul_f64 v[42:43], v[33:34], v[40:41]
	v_mul_f64 v[40:41], v[40:41], 0.5
	v_fma_f64 v[44:45], -v[40:41], v[42:43], 0.5
	v_fma_f64 v[42:43], v[42:43], v[44:45], v[42:43]
	v_fma_f64 v[40:41], v[40:41], v[44:45], v[40:41]
	v_fma_f64 v[44:45], -v[42:43], v[42:43], v[33:34]
	v_fma_f64 v[40:41], v[44:45], v[40:41], v[42:43]
	v_cndmask_b32_e32 v34, v41, v34, vcc
	v_cndmask_b32_e32 v33, v40, v33, vcc
	v_ldexp_f64 v[33:34], v[33:34], v7
	s_or_b64 vcc, s[10:11], s[16:17]
	v_cndmask_b32_e32 v35, v34, v60, vcc
	v_cndmask_b32_e64 v34, v33, 0, vcc
	v_frexp_mant_f64_e32 v[40:41], v[34:35]
	v_cmp_class_f64_e64 s[6:7], v[34:35], s46
	v_cmp_gt_f64_e64 s[2:3], s[22:23], v[40:41]
	v_cndmask_b32_e64 v7, 0, 1, s[2:3]
	v_ldexp_f64 v[40:41], v[40:41], v7
	v_frexp_exp_i32_f64_e32 v7, v[34:35]
	v_add_f64 v[42:43], v[40:41], 1.0
	v_add_f64 v[48:49], v[40:41], -1.0
	v_rcp_f64_e32 v[44:45], v[42:43]
	v_add_f64 v[52:53], v[42:43], -1.0
	v_add_f64 v[40:41], v[40:41], -v[52:53]
	v_fma_f64 v[46:47], -v[42:43], v[44:45], 1.0
	v_fma_f64 v[38:39], v[46:47], v[44:45], v[44:45]
	v_div_scale_f64 v[44:45], s[4:5], v[9:10], v[9:10], v[36:37]
	s_mov_b32 s4, 0x69efb384
	s_mov_b32 s5, 0x3f4b2bb0
	v_fma_f64 v[46:47], -v[42:43], v[38:39], 1.0
	v_fma_f64 v[38:39], v[46:47], v[38:39], v[38:39]
	v_rcp_f64_e32 v[46:47], v[44:45]
	v_mul_f64 v[50:51], v[48:49], v[38:39]
	v_mul_f64 v[54:55], v[42:43], v[50:51]
	v_fma_f64 v[56:57], -v[44:45], v[46:47], 1.0
	v_fma_f64 v[42:43], v[50:51], v[42:43], -v[54:55]
	v_fma_f64 v[46:47], v[46:47], v[56:57], v[46:47]
	v_fma_f64 v[40:41], v[50:51], v[40:41], v[42:43]
	v_div_scale_f64 v[42:43], vcc, v[36:37], v[9:10], v[36:37]
	v_fma_f64 v[52:53], -v[44:45], v[46:47], 1.0
	v_add_f64 v[56:57], v[54:55], v[40:41]
	v_fma_f64 v[46:47], v[46:47], v[52:53], v[46:47]
	v_add_f64 v[52:53], v[48:49], -v[56:57]
	v_add_f64 v[54:55], v[56:57], -v[54:55]
	v_mul_f64 v[67:68], v[42:43], v[46:47]
	v_add_f64 v[48:49], v[48:49], -v[52:53]
	v_add_f64 v[40:41], v[54:55], -v[40:41]
	v_fma_f64 v[42:43], -v[44:45], v[67:68], v[42:43]
	v_add_f64 v[44:45], v[48:49], -v[56:57]
	v_div_fmas_f64 v[42:43], v[42:43], v[46:47], v[67:68]
	v_subbrev_co_u32_e64 v7, vcc, 0, v7, s[2:3]
	v_cmp_eq_f64_e64 s[2:3], 0, v[15:16]
	v_cmp_gt_i32_e32 vcc, 0, v14
	v_add_f64 v[40:41], v[40:41], v[44:45]
	v_cndmask_b32_e32 v33, v65, v66, vcc
	v_bfi_b32 v33, s44, v33, v16
	v_add_f64 v[40:41], v[52:53], v[40:41]
	v_div_fixup_f64 v[9:10], v[42:43], v[9:10], v[36:37]
	v_mul_f64 v[36:37], v[38:39], v[40:41]
	v_mul_f64 v[38:39], v[9:10], v[9:10]
	v_add_f64 v[40:41], v[50:51], v[36:37]
	v_fma_f64 v[42:43], v[38:39], s[40:41], v[21:22]
	v_mul_f64 v[44:45], v[40:41], v[40:41]
	v_fma_f64 v[42:43], v[38:39], v[42:43], s[4:5]
	s_mov_b32 s4, 0xaf56de9b
	s_mov_b32 s5, 0xbf67952d
	v_fma_f64 v[46:47], v[44:45], s[24:25], v[19:20]
	v_mul_f64 v[48:49], v[40:41], v[44:45]
	v_fma_f64 v[42:43], v[38:39], v[42:43], s[4:5]
	s_mov_b32 s4, 0xa595c56f
	s_mov_b32 s5, 0x3f7d6d43
	v_fma_f64 v[46:47], v[44:45], v[46:47], s[26:27]
	v_fma_f64 v[42:43], v[38:39], v[42:43], s[4:5]
	;; [unrolled: 1-line block ×9, first 2 shown]
	v_ldexp_f64 v[46:47], v[40:41], 1
	v_add_f64 v[40:41], v[40:41], -v[50:51]
	v_fma_f64 v[42:43], v[38:39], v[42:43], s[54:55]
	v_cvt_f64_i32_e32 v[50:51], v7
	v_cndmask_b32_e32 v7, v63, v64, vcc
	v_mul_f64 v[44:45], v[48:49], v[44:45]
	v_mul_f64 v[52:53], v[50:51], s[36:37]
	v_add_f64 v[36:37], v[36:37], -v[40:41]
	v_fma_f64 v[42:43], v[38:39], v[42:43], s[42:43]
	v_add_f64 v[48:49], v[46:47], v[44:45]
	v_ldexp_f64 v[36:37], v[36:37], 1
	v_fma_f64 v[42:43], v[38:39], v[42:43], s[58:59]
	v_add_f64 v[40:41], v[48:49], -v[46:47]
	v_fma_f64 v[46:47], v[50:51], s[36:37], -v[52:53]
	v_fma_f64 v[42:43], v[38:39], v[42:43], s[60:61]
	v_add_f64 v[40:41], v[44:45], -v[40:41]
	v_fma_f64 v[44:45], v[50:51], s[38:39], v[46:47]
	v_fma_f64 v[42:43], v[38:39], v[42:43], s[62:63]
	v_add_f64 v[36:37], v[36:37], v[40:41]
	v_fma_f64 v[40:41], v[38:39], v[42:43], s[64:65]
	v_add_f64 v[42:43], v[52:53], v[44:45]
	v_add_f64 v[46:47], v[48:49], v[36:37]
	v_fma_f64 v[40:41], v[38:39], v[40:41], s[66:67]
	v_add_f64 v[52:53], v[42:43], -v[52:53]
	v_add_f64 v[50:51], v[42:43], v[46:47]
	v_add_f64 v[48:49], v[46:47], -v[48:49]
	v_fma_f64 v[40:41], v[38:39], v[40:41], s[68:69]
	v_add_f64 v[44:45], v[44:45], -v[52:53]
	v_add_f64 v[54:55], v[50:51], -v[42:43]
	;; [unrolled: 1-line block ×3, first 2 shown]
	v_fma_f64 v[40:41], v[38:39], v[40:41], s[70:71]
	v_add_f64 v[56:57], v[50:51], -v[54:55]
	v_add_f64 v[46:47], v[46:47], -v[54:55]
	v_add_f64 v[48:49], v[44:45], v[36:37]
	v_fma_f64 v[40:41], v[38:39], v[40:41], s[72:73]
	v_add_f64 v[42:43], v[42:43], -v[56:57]
	v_fma_f64 v[40:41], v[38:39], v[40:41], s[74:75]
	v_add_f64 v[42:43], v[46:47], v[42:43]
	v_add_f64 v[46:47], v[48:49], -v[44:45]
	v_fma_f64 v[40:41], v[38:39], v[40:41], s[76:77]
	v_add_f64 v[42:43], v[48:49], v[42:43]
	v_add_f64 v[36:37], v[36:37], -v[46:47]
	v_mul_f64 v[38:39], v[38:39], v[40:41]
	v_add_f64 v[40:41], v[48:49], -v[46:47]
	v_add_f64 v[48:49], v[50:51], v[42:43]
	v_fma_f64 v[9:10], v[9:10], v[38:39], v[9:10]
	v_add_f64 v[38:39], v[44:45], -v[40:41]
	v_add_f64 v[40:41], v[48:49], -v[50:51]
	v_add_f64 v[44:45], -v[9:10], s[14:15]
	v_add_f64 v[36:37], v[36:37], v[38:39]
	v_add_f64 v[38:39], v[42:43], -v[40:41]
	v_cndmask_b32_e64 v10, v10, v45, s[0:1]
	v_cndmask_b32_e64 v9, v9, v44, s[0:1]
	v_add_f64 v[40:41], -v[9:10], s[78:79]
	v_add_f64 v[36:37], v[36:37], v[38:39]
	v_cndmask_b32_e32 v9, v9, v40, vcc
	v_cndmask_b32_e32 v10, v10, v41, vcc
	v_cndmask_b32_e64 v9, v9, v18, s[2:3]
	v_add_f64 v[13:14], v[48:49], v[36:37]
	v_cndmask_b32_e64 v10, v10, v11, s[2:3]
	v_cmp_ngt_f64_e64 s[2:3], 0, v[34:35]
	s_and_b64 vcc, s[10:11], s[16:17]
	v_cndmask_b32_e32 v10, v10, v33, vcc
	v_cndmask_b32_e32 v9, v9, v7, vcc
	v_cndmask_b32_e64 v11, v13, v34, s[6:7]
	v_cndmask_b32_e64 v13, v14, v35, s[6:7]
	;; [unrolled: 1-line block ×3, first 2 shown]
	v_cmp_nge_f64_e64 s[2:3], 0, v[34:35]
	v_cndmask_b32_e64 v33, 0, v11, s[2:3]
	v_cmp_neq_f64_e64 s[2:3], 0, v[34:35]
	v_cndmask_b32_e64 v34, v62, v13, s[2:3]
.LBB191_90:                             ;   in Loop: Header=BB191_5 Depth=1
	s_or_b64 exec, exec, s[8:9]
                                        ; implicit-def: $vgpr37_vgpr38
.LBB191_91:                             ;   in Loop: Header=BB191_5 Depth=1
	s_andn2_saveexec_b64 s[8:9], s[20:21]
	s_cbranch_execz .LBB191_97
; %bb.92:                               ;   in Loop: Header=BB191_5 Depth=1
	s_mov_b32 s2, 0x6a3f9475
	s_mov_b32 s3, 0x20ca2fe7
	v_cmp_ngt_f64_e32 vcc, s[2:3], v[37:38]
                                        ; implicit-def: $vgpr33_vgpr34
                                        ; implicit-def: $vgpr9_vgpr10
	s_and_saveexec_b64 s[2:3], vcc
	s_xor_b64 s[10:11], exec, s[2:3]
	s_cbranch_execz .LBB191_94
; %bb.93:                               ;   in Loop: Header=BB191_5 Depth=1
	v_mul_f64 v[9:10], v[37:38], v[37:38]
	s_mov_b32 s91, s23
	s_mov_b32 s78, s14
	;; [unrolled: 1-line block ×3, first 2 shown]
	v_cmp_class_f64_e64 s[4:5], v[15:16], s46
	v_cmp_class_f64_e64 s[16:17], v[13:14], s46
	s_mov_b32 s7, 0x7ff00000
	v_add_f64 v[33:34], v[9:10], 1.0
	v_cmp_neq_f64_e64 s[6:7], s[6:7], v[9:10]
	v_frexp_mant_f64_e32 v[37:38], v[33:34]
	v_frexp_exp_i32_f64_e32 v7, v[33:34]
	v_add_f64 v[35:36], v[33:34], -1.0
	v_cmp_gt_f64_e32 vcc, s[22:23], v[37:38]
	v_add_f64 v[39:40], v[35:36], -v[33:34]
	v_add_f64 v[35:36], v[9:10], -v[35:36]
	v_subbrev_co_u32_e32 v7, vcc, 0, v7, vcc
	v_sub_u32_e32 v11, 0, v7
	v_ldexp_f64 v[33:34], v[33:34], v11
	v_add_f64 v[37:38], v[39:40], 1.0
	v_add_f64 v[39:40], v[33:34], 1.0
	v_add_f64 v[35:36], v[35:36], v[37:38]
	v_add_f64 v[45:46], v[33:34], -1.0
	v_add_f64 v[37:38], v[39:40], -1.0
	v_ldexp_f64 v[35:36], v[35:36], v11
	v_add_f64 v[47:48], v[45:46], 1.0
	v_ashrrev_i32_e32 v11, 31, v14
	v_and_b32_e32 v18, 0x54442d18, v11
	v_and_b32_e32 v11, 0x400921fb, v11
	v_add_f64 v[37:38], v[33:34], -v[37:38]
	v_add_f64 v[33:34], v[33:34], -v[47:48]
	v_add_f64 v[41:42], v[35:36], v[37:38]
	v_add_f64 v[47:48], v[35:36], v[33:34]
	;; [unrolled: 1-line block ×3, first 2 shown]
	v_rcp_f64_e32 v[43:44], v[37:38]
	v_add_f64 v[39:40], v[39:40], -v[37:38]
	v_add_f64 v[41:42], v[41:42], v[39:40]
	v_fma_f64 v[49:50], -v[37:38], v[43:44], 1.0
	v_fma_f64 v[43:44], v[49:50], v[43:44], v[43:44]
	v_add_f64 v[49:50], v[45:46], v[47:48]
	v_fma_f64 v[33:34], -v[37:38], v[43:44], 1.0
	v_add_f64 v[45:46], v[45:46], -v[49:50]
	v_fma_f64 v[33:34], v[33:34], v[43:44], v[43:44]
	v_add_f64 v[45:46], v[47:48], v[45:46]
	v_mul_f64 v[35:36], v[49:50], v[33:34]
	v_mul_f64 v[43:44], v[37:38], v[35:36]
	v_fma_f64 v[39:40], v[35:36], v[37:38], -v[43:44]
	v_fma_f64 v[51:52], v[35:36], v[41:42], v[39:40]
	v_add_f64 v[53:54], v[43:44], v[51:52]
	v_add_f64 v[39:40], v[49:50], -v[53:54]
	v_add_f64 v[43:44], v[53:54], -v[43:44]
	;; [unrolled: 1-line block ×5, first 2 shown]
	v_add_f64 v[45:46], v[45:46], v[47:48]
	v_max_f64 v[47:48], |v[13:14]|, |v[13:14]|
	v_add_f64 v[43:44], v[43:44], v[45:46]
	v_max_f64 v[45:46], |v[15:16]|, |v[15:16]|
	v_add_f64 v[49:50], v[39:40], v[43:44]
	v_max_f64 v[51:52], v[47:48], v[45:46]
	v_min_f64 v[45:46], v[47:48], v[45:46]
	v_mul_f64 v[47:48], v[33:34], v[49:50]
	v_add_f64 v[39:40], v[39:40], -v[49:50]
	v_div_scale_f64 v[53:54], s[2:3], v[51:52], v[51:52], v[45:46]
	s_mov_b32 s2, 0x69efb384
	s_mov_b32 s3, 0x3f4b2bb0
	v_mul_f64 v[55:56], v[37:38], v[47:48]
	v_add_f64 v[39:40], v[43:44], v[39:40]
	v_fma_f64 v[37:38], v[47:48], v[37:38], -v[55:56]
	v_rcp_f64_e32 v[57:58], v[53:54]
	v_fma_f64 v[37:38], v[47:48], v[41:42], v[37:38]
	v_add_f64 v[41:42], v[55:56], v[37:38]
	v_fma_f64 v[67:68], -v[53:54], v[57:58], 1.0
	v_add_f64 v[69:70], v[49:50], -v[41:42]
	v_add_f64 v[43:44], v[41:42], -v[55:56]
	v_fma_f64 v[57:58], v[57:58], v[67:68], v[57:58]
	v_div_scale_f64 v[67:68], vcc, v[45:46], v[51:52], v[45:46]
	v_add_f64 v[49:50], v[49:50], -v[69:70]
	v_add_f64 v[37:38], v[43:44], -v[37:38]
	v_fma_f64 v[71:72], -v[53:54], v[57:58], 1.0
	v_add_f64 v[43:44], v[35:36], v[47:48]
	v_add_f64 v[41:42], v[49:50], -v[41:42]
	v_fma_f64 v[49:50], v[57:58], v[71:72], v[57:58]
	v_add_f64 v[35:36], v[43:44], -v[35:36]
	v_add_f64 v[39:40], v[39:40], v[41:42]
	v_mul_f64 v[41:42], v[67:68], v[49:50]
	v_add_f64 v[35:36], v[47:48], -v[35:36]
	v_add_f64 v[37:38], v[37:38], v[39:40]
	v_fma_f64 v[39:40], -v[53:54], v[41:42], v[67:68]
	v_add_f64 v[37:38], v[69:70], v[37:38]
	v_div_fmas_f64 v[39:40], v[39:40], v[49:50], v[41:42]
	v_cmp_gt_i32_e32 vcc, 0, v14
	v_mul_f64 v[33:34], v[33:34], v[37:38]
	v_add_f64 v[33:34], v[35:36], v[33:34]
	v_div_fixup_f64 v[35:36], v[39:40], v[51:52], v[45:46]
	v_add_f64 v[37:38], v[43:44], v[33:34]
	v_mul_f64 v[39:40], v[35:36], v[35:36]
	v_mul_f64 v[41:42], v[37:38], v[37:38]
	v_fma_f64 v[45:46], v[39:40], s[40:41], v[21:22]
	v_fma_f64 v[47:48], v[41:42], s[24:25], v[19:20]
	v_mul_f64 v[49:50], v[37:38], v[41:42]
	v_fma_f64 v[45:46], v[39:40], v[45:46], s[2:3]
	s_mov_b32 s2, 0xaf56de9b
	s_mov_b32 s3, 0xbf67952d
	v_fma_f64 v[47:48], v[41:42], v[47:48], s[26:27]
	v_fma_f64 v[45:46], v[39:40], v[45:46], s[2:3]
	s_mov_b32 s2, 0xa595c56f
	s_mov_b32 s3, 0x3f7d6d43
	v_fma_f64 v[47:48], v[41:42], v[47:48], s[28:29]
	v_fma_f64 v[45:46], v[39:40], v[45:46], s[2:3]
	v_cmp_eq_f64_e64 s[2:3], 0, v[15:16]
	v_fma_f64 v[47:48], v[41:42], v[47:48], s[30:31]
	v_fma_f64 v[45:46], v[39:40], v[45:46], s[48:49]
	;; [unrolled: 1-line block ×5, first 2 shown]
	v_ldexp_f64 v[47:48], v[37:38], 1
	v_fma_f64 v[45:46], v[39:40], v[45:46], s[52:53]
	v_add_f64 v[37:38], v[37:38], -v[43:44]
	v_mul_f64 v[41:42], v[49:50], v[41:42]
	v_cvt_f64_i32_e32 v[49:50], v7
	v_fma_f64 v[45:46], v[39:40], v[45:46], s[54:55]
	v_add_f64 v[33:34], v[33:34], -v[37:38]
	v_cndmask_b32_e32 v7, v63, v64, vcc
	v_mul_f64 v[51:52], v[49:50], s[36:37]
	v_add_f64 v[43:44], v[47:48], v[41:42]
	v_fma_f64 v[45:46], v[39:40], v[45:46], s[42:43]
	v_ldexp_f64 v[33:34], v[33:34], 1
	v_add_f64 v[37:38], v[43:44], -v[47:48]
	v_fma_f64 v[47:48], v[49:50], s[36:37], -v[51:52]
	v_fma_f64 v[45:46], v[39:40], v[45:46], s[58:59]
	v_add_f64 v[37:38], v[41:42], -v[37:38]
	v_fma_f64 v[41:42], v[39:40], v[45:46], s[60:61]
	v_fma_f64 v[45:46], v[49:50], s[38:39], v[47:48]
	v_add_f64 v[33:34], v[33:34], v[37:38]
	v_fma_f64 v[37:38], v[39:40], v[41:42], s[62:63]
	v_add_f64 v[41:42], v[51:52], v[45:46]
	v_add_f64 v[47:48], v[43:44], v[33:34]
	v_fma_f64 v[37:38], v[39:40], v[37:38], s[64:65]
	v_add_f64 v[51:52], v[41:42], -v[51:52]
	v_add_f64 v[49:50], v[41:42], v[47:48]
	v_add_f64 v[43:44], v[47:48], -v[43:44]
	v_fma_f64 v[37:38], v[39:40], v[37:38], s[66:67]
	v_add_f64 v[45:46], v[45:46], -v[51:52]
	v_add_f64 v[53:54], v[49:50], -v[41:42]
	v_add_f64 v[33:34], v[33:34], -v[43:44]
	v_fma_f64 v[37:38], v[39:40], v[37:38], s[68:69]
	v_add_f64 v[55:56], v[49:50], -v[53:54]
	v_add_f64 v[43:44], v[47:48], -v[53:54]
	v_fma_f64 v[37:38], v[39:40], v[37:38], s[70:71]
	v_add_f64 v[47:48], v[45:46], v[33:34]
	v_add_f64 v[41:42], v[41:42], -v[55:56]
	v_fma_f64 v[37:38], v[39:40], v[37:38], s[72:73]
	v_add_f64 v[41:42], v[43:44], v[41:42]
	;; [unrolled: 3-line block ×3, first 2 shown]
	v_add_f64 v[47:48], v[47:48], -v[43:44]
	v_fma_f64 v[37:38], v[39:40], v[37:38], s[76:77]
	v_add_f64 v[33:34], v[33:34], -v[43:44]
	v_add_f64 v[51:52], v[49:50], v[41:42]
	v_mul_f64 v[37:38], v[39:40], v[37:38]
	v_add_f64 v[39:40], v[45:46], -v[47:48]
	v_add_f64 v[43:44], v[51:52], -v[49:50]
	v_fma_f64 v[35:36], v[35:36], v[37:38], v[35:36]
	v_add_f64 v[33:34], v[33:34], v[39:40]
	v_add_f64 v[37:38], v[41:42], -v[43:44]
	v_add_f64 v[39:40], -v[35:36], s[14:15]
	v_add_f64 v[33:34], v[33:34], v[37:38]
	v_cndmask_b32_e64 v36, v36, v40, s[0:1]
	v_cndmask_b32_e64 v35, v35, v39, s[0:1]
	v_add_f64 v[37:38], -v[35:36], s[78:79]
	v_add_f64 v[33:34], v[51:52], v[33:34]
	v_cndmask_b32_e32 v35, v35, v37, vcc
	v_cndmask_b32_e32 v37, v65, v66, vcc
	;; [unrolled: 1-line block ×3, first 2 shown]
	v_bfi_b32 v9, s44, v37, v16
	v_mul_f64 v[13:14], v[33:34], 0.5
	v_cndmask_b32_e64 v18, v35, v18, s[2:3]
	v_cndmask_b32_e64 v10, v10, v11, s[2:3]
	s_and_b64 vcc, s[16:17], s[4:5]
	v_cndmask_b32_e32 v10, v10, v9, vcc
	v_cndmask_b32_e32 v9, v18, v7, vcc
                                        ; implicit-def: $vgpr37_vgpr38
	v_cndmask_b32_e64 v34, v60, v14, s[6:7]
	v_cndmask_b32_e64 v33, 0, v13, s[6:7]
.LBB191_94:                             ;   in Loop: Header=BB191_5 Depth=1
	s_andn2_saveexec_b64 s[4:5], s[10:11]
	s_cbranch_execz .LBB191_96
; %bb.95:                               ;   in Loop: Header=BB191_5 Depth=1
	v_max_f64 v[9:10], |v[15:16]|, |v[15:16]|
	v_max_f64 v[33:34], |v[13:14]|, |v[13:14]|
	s_mov_b32 s78, s14
	v_cmp_class_f64_e64 s[6:7], v[15:16], s46
	v_cmp_class_f64_e64 s[10:11], v[13:14], s46
	v_ashrrev_i32_e32 v7, 31, v14
	v_and_b32_e32 v18, 0x54442d18, v7
	v_and_b32_e32 v7, 0x400921fb, v7
	v_max_f64 v[35:36], v[33:34], v[9:10]
	v_min_f64 v[9:10], v[33:34], v[9:10]
	v_div_scale_f64 v[33:34], s[2:3], v[35:36], v[35:36], v[9:10]
	s_mov_b32 s2, 0x69efb384
	s_mov_b32 s3, 0x3f4b2bb0
	v_rcp_f64_e32 v[39:40], v[33:34]
	v_fma_f64 v[41:42], -v[33:34], v[39:40], 1.0
	v_fma_f64 v[39:40], v[39:40], v[41:42], v[39:40]
	v_div_scale_f64 v[41:42], vcc, v[9:10], v[35:36], v[9:10]
	v_fma_f64 v[43:44], -v[33:34], v[39:40], 1.0
	v_fma_f64 v[39:40], v[39:40], v[43:44], v[39:40]
	v_mul_f64 v[43:44], v[41:42], v[39:40]
	v_fma_f64 v[33:34], -v[33:34], v[43:44], v[41:42]
	v_div_fmas_f64 v[33:34], v[33:34], v[39:40], v[43:44]
	v_mul_f64 v[39:40], v[37:38], 0.5
	v_cmp_gt_i32_e32 vcc, 0, v14
	v_cndmask_b32_e32 v13, v65, v66, vcc
	v_cndmask_b32_e32 v11, v63, v64, vcc
	v_bfi_b32 v13, s44, v13, v16
	v_div_fixup_f64 v[9:10], v[33:34], v[35:36], v[9:10]
	v_mul_f64 v[33:34], v[9:10], v[9:10]
	v_fma_f64 v[35:36], v[33:34], s[40:41], v[21:22]
	v_fma_f64 v[35:36], v[33:34], v[35:36], s[2:3]
	s_mov_b32 s2, 0xaf56de9b
	s_mov_b32 s3, 0xbf67952d
	v_fma_f64 v[35:36], v[33:34], v[35:36], s[2:3]
	s_mov_b32 s2, 0xa595c56f
	s_mov_b32 s3, 0x3f7d6d43
	v_fma_f64 v[35:36], v[33:34], v[35:36], s[2:3]
	v_cmp_eq_f64_e64 s[2:3], 0, v[15:16]
	v_fma_f64 v[35:36], v[33:34], v[35:36], s[48:49]
	v_fma_f64 v[35:36], v[33:34], v[35:36], s[50:51]
	;; [unrolled: 1-line block ×15, first 2 shown]
	v_mul_f64 v[33:34], v[33:34], v[35:36]
	v_fma_f64 v[9:10], v[9:10], v[33:34], v[9:10]
	v_add_f64 v[33:34], -v[9:10], s[14:15]
	v_cndmask_b32_e64 v10, v10, v34, s[0:1]
	v_cndmask_b32_e64 v9, v9, v33, s[0:1]
	v_add_f64 v[34:35], -v[9:10], s[78:79]
	v_cndmask_b32_e32 v9, v9, v34, vcc
	v_mul_f64 v[33:34], v[37:38], v[39:40]
	v_cndmask_b32_e32 v10, v10, v35, vcc
	v_cndmask_b32_e64 v9, v9, v18, s[2:3]
	v_cndmask_b32_e64 v7, v10, v7, s[2:3]
	s_and_b64 vcc, s[10:11], s[6:7]
	v_cndmask_b32_e32 v10, v7, v13, vcc
	v_cndmask_b32_e32 v9, v9, v11, vcc
.LBB191_96:                             ;   in Loop: Header=BB191_5 Depth=1
	s_or_b64 exec, exec, s[4:5]
.LBB191_97:                             ;   in Loop: Header=BB191_5 Depth=1
	s_or_b64 exec, exec, s[8:9]
.LBB191_98:                             ;   in Loop: Header=BB191_5 Depth=1
	s_andn2_saveexec_b64 s[6:7], s[18:19]
	s_cbranch_execz .LBB191_100
; %bb.99:                               ;   in Loop: Header=BB191_5 Depth=1
	v_div_scale_f64 v[9:10], s[2:3], s[84:85], s[84:85], v[13:14]
	v_div_scale_f64 v[33:34], s[2:3], s[84:85], s[84:85], v[15:16]
	;; [unrolled: 1-line block ×3, first 2 shown]
	s_mov_b32 s91, s23
	s_mov_b32 s78, s14
	v_cmp_class_f64_e64 s[8:9], v[13:14], s46
	v_rcp_f64_e32 v[35:36], v[9:10]
	v_rcp_f64_e32 v[37:38], v[33:34]
	v_fma_f64 v[39:40], -v[9:10], v[35:36], 1.0
	v_fma_f64 v[41:42], -v[33:34], v[37:38], 1.0
	v_fma_f64 v[35:36], v[35:36], v[39:40], v[35:36]
	v_div_scale_f64 v[39:40], vcc, v[13:14], s[84:85], v[13:14]
	v_fma_f64 v[37:38], v[37:38], v[41:42], v[37:38]
	v_fma_f64 v[41:42], -v[9:10], v[35:36], 1.0
	v_fma_f64 v[45:46], -v[33:34], v[37:38], 1.0
	v_fma_f64 v[35:36], v[35:36], v[41:42], v[35:36]
	v_fma_f64 v[37:38], v[37:38], v[45:46], v[37:38]
	v_mul_f64 v[41:42], v[39:40], v[35:36]
	v_mul_f64 v[45:46], v[43:44], v[37:38]
	v_fma_f64 v[9:10], -v[9:10], v[41:42], v[39:40]
	v_fma_f64 v[33:34], -v[33:34], v[45:46], v[43:44]
	v_div_fmas_f64 v[9:10], v[9:10], v[35:36], v[41:42]
	s_mov_b64 vcc, s[2:3]
	v_div_fmas_f64 v[33:34], v[33:34], v[37:38], v[45:46]
	v_max_f64 v[44:45], |v[13:14]|, |v[13:14]|
	v_div_fixup_f64 v[9:10], v[9:10], s[84:85], v[13:14]
	v_div_fixup_f64 v[33:34], v[33:34], s[84:85], v[15:16]
	v_cmp_class_f64_e64 s[2:3], v[9:10], s46
	v_max_f64 v[35:36], |v[9:10]|, |v[33:34]|
	v_cmp_class_f64_e64 s[4:5], v[33:34], s46
	v_frexp_exp_i32_f64_e32 v7, v[35:36]
	v_sub_u32_e32 v11, 0, v7
	v_ldexp_f64 v[35:36], |v[33:34]|, v11
	v_ldexp_f64 v[37:38], |v[9:10]|, v11
	v_ashrrev_i32_e32 v11, 31, v14
	v_mul_f64 v[35:36], v[35:36], v[35:36]
	v_fma_f64 v[35:36], v[37:38], v[37:38], v[35:36]
	v_rsq_f64_e32 v[37:38], v[35:36]
	v_cmp_eq_f64_e32 vcc, 0, v[35:36]
	v_mul_f64 v[39:40], v[35:36], v[37:38]
	v_mul_f64 v[37:38], v[37:38], 0.5
	v_fma_f64 v[41:42], -v[37:38], v[39:40], 0.5
	v_fma_f64 v[39:40], v[39:40], v[41:42], v[39:40]
	v_fma_f64 v[37:38], v[37:38], v[41:42], v[37:38]
	v_fma_f64 v[41:42], -v[39:40], v[39:40], v[35:36]
	v_fma_f64 v[37:38], v[41:42], v[37:38], v[39:40]
	v_max_f64 v[42:43], |v[15:16]|, |v[15:16]|
	v_cndmask_b32_e32 v36, v38, v36, vcc
	v_cndmask_b32_e32 v35, v37, v35, vcc
	v_ldexp_f64 v[35:36], v[35:36], v7
	v_cmp_o_f64_e32 vcc, v[9:10], v[33:34]
	v_and_b32_e32 v33, 0x54442d18, v11
	v_and_b32_e32 v11, 0x400921fb, v11
	v_cndmask_b32_e32 v7, 0, v35, vcc
	v_cndmask_b32_e32 v9, v61, v36, vcc
	s_or_b64 vcc, s[2:3], s[4:5]
	v_cndmask_b32_e32 v35, v9, v60, vcc
	v_cndmask_b32_e64 v34, v7, 0, vcc
	v_frexp_mant_f64_e32 v[9:10], v[34:35]
	v_cmp_gt_f64_e64 s[2:3], s[22:23], v[9:10]
	v_cndmask_b32_e64 v7, 0, 1, s[2:3]
	v_ldexp_f64 v[9:10], v[9:10], v7
	v_frexp_exp_i32_f64_e32 v7, v[34:35]
	v_add_f64 v[36:37], v[9:10], 1.0
	v_add_f64 v[48:49], v[9:10], -1.0
	v_rcp_f64_e32 v[38:39], v[36:37]
	v_add_f64 v[52:53], v[36:37], -1.0
	v_add_f64 v[9:10], v[9:10], -v[52:53]
	v_fma_f64 v[40:41], -v[36:37], v[38:39], 1.0
	v_fma_f64 v[38:39], v[40:41], v[38:39], v[38:39]
	v_max_f64 v[40:41], v[44:45], v[42:43]
	v_min_f64 v[42:43], v[44:45], v[42:43]
	v_fma_f64 v[44:45], -v[36:37], v[38:39], 1.0
	v_div_scale_f64 v[46:47], s[4:5], v[40:41], v[40:41], v[42:43]
	s_mov_b32 s4, 0x69efb384
	s_mov_b32 s5, 0x3f4b2bb0
	v_fma_f64 v[38:39], v[44:45], v[38:39], v[38:39]
	v_mul_f64 v[44:45], v[48:49], v[38:39]
	v_rcp_f64_e32 v[50:51], v[46:47]
	v_mul_f64 v[54:55], v[36:37], v[44:45]
	v_fma_f64 v[36:37], v[44:45], v[36:37], -v[54:55]
	v_fma_f64 v[52:53], -v[46:47], v[50:51], 1.0
	v_fma_f64 v[9:10], v[44:45], v[9:10], v[36:37]
	v_fma_f64 v[36:37], v[50:51], v[52:53], v[50:51]
	v_div_scale_f64 v[52:53], vcc, v[42:43], v[40:41], v[42:43]
	v_add_f64 v[50:51], v[54:55], v[9:10]
	v_fma_f64 v[56:57], -v[46:47], v[36:37], 1.0
	v_add_f64 v[67:68], v[48:49], -v[50:51]
	v_add_f64 v[54:55], v[50:51], -v[54:55]
	v_fma_f64 v[36:37], v[36:37], v[56:57], v[36:37]
	v_add_f64 v[48:49], v[48:49], -v[67:68]
	v_add_f64 v[9:10], v[54:55], -v[9:10]
	v_mul_f64 v[56:57], v[52:53], v[36:37]
	v_add_f64 v[48:49], v[48:49], -v[50:51]
	v_fma_f64 v[46:47], -v[46:47], v[56:57], v[52:53]
	v_add_f64 v[9:10], v[9:10], v[48:49]
	v_div_fmas_f64 v[36:37], v[46:47], v[36:37], v[56:57]
	v_subbrev_co_u32_e64 v7, vcc, 0, v7, s[2:3]
	v_cmp_eq_f64_e64 s[2:3], 0, v[15:16]
	v_cmp_gt_i32_e32 vcc, 0, v14
	v_cndmask_b32_e32 v18, v65, v66, vcc
	v_add_f64 v[9:10], v[67:68], v[9:10]
	v_mul_f64 v[9:10], v[38:39], v[9:10]
	v_div_fixup_f64 v[36:37], v[36:37], v[40:41], v[42:43]
	v_add_f64 v[38:39], v[44:45], v[9:10]
	v_mul_f64 v[40:41], v[36:37], v[36:37]
	v_mul_f64 v[42:43], v[38:39], v[38:39]
	v_fma_f64 v[46:47], v[40:41], s[40:41], v[21:22]
	v_fma_f64 v[48:49], v[42:43], s[24:25], v[19:20]
	v_mul_f64 v[50:51], v[38:39], v[42:43]
	v_fma_f64 v[46:47], v[40:41], v[46:47], s[4:5]
	s_mov_b32 s4, 0xaf56de9b
	s_mov_b32 s5, 0xbf67952d
	v_fma_f64 v[48:49], v[42:43], v[48:49], s[26:27]
	v_fma_f64 v[46:47], v[40:41], v[46:47], s[4:5]
	s_mov_b32 s4, 0xa595c56f
	s_mov_b32 s5, 0x3f7d6d43
	v_fma_f64 v[48:49], v[42:43], v[48:49], s[28:29]
	v_fma_f64 v[46:47], v[40:41], v[46:47], s[4:5]
	v_cmp_class_f64_e64 s[4:5], v[15:16], s46
	v_fma_f64 v[48:49], v[42:43], v[48:49], s[30:31]
	v_fma_f64 v[46:47], v[40:41], v[46:47], s[48:49]
	;; [unrolled: 1-line block ×5, first 2 shown]
	v_ldexp_f64 v[48:49], v[38:39], 1
	v_fma_f64 v[46:47], v[40:41], v[46:47], s[52:53]
	v_add_f64 v[38:39], v[38:39], -v[44:45]
	v_mul_f64 v[42:43], v[50:51], v[42:43]
	v_cvt_f64_i32_e32 v[50:51], v7
	v_fma_f64 v[46:47], v[40:41], v[46:47], s[54:55]
	v_add_f64 v[9:10], v[9:10], -v[38:39]
	v_cndmask_b32_e32 v7, v63, v64, vcc
	v_mul_f64 v[52:53], v[50:51], s[36:37]
	v_add_f64 v[44:45], v[48:49], v[42:43]
	v_fma_f64 v[46:47], v[40:41], v[46:47], s[42:43]
	v_ldexp_f64 v[9:10], v[9:10], 1
	v_add_f64 v[38:39], v[44:45], -v[48:49]
	v_fma_f64 v[48:49], v[50:51], s[36:37], -v[52:53]
	v_fma_f64 v[46:47], v[40:41], v[46:47], s[58:59]
	v_add_f64 v[38:39], v[42:43], -v[38:39]
	v_fma_f64 v[42:43], v[40:41], v[46:47], s[60:61]
	v_fma_f64 v[46:47], v[50:51], s[38:39], v[48:49]
	v_add_f64 v[9:10], v[9:10], v[38:39]
	v_fma_f64 v[38:39], v[40:41], v[42:43], s[62:63]
	v_add_f64 v[42:43], v[52:53], v[46:47]
	v_add_f64 v[48:49], v[44:45], v[9:10]
	v_fma_f64 v[38:39], v[40:41], v[38:39], s[64:65]
	v_add_f64 v[52:53], v[42:43], -v[52:53]
	v_add_f64 v[50:51], v[42:43], v[48:49]
	v_add_f64 v[44:45], v[48:49], -v[44:45]
	v_fma_f64 v[38:39], v[40:41], v[38:39], s[66:67]
	v_add_f64 v[46:47], v[46:47], -v[52:53]
	v_add_f64 v[54:55], v[50:51], -v[42:43]
	;; [unrolled: 1-line block ×3, first 2 shown]
	v_fma_f64 v[38:39], v[40:41], v[38:39], s[68:69]
	v_add_f64 v[56:57], v[50:51], -v[54:55]
	v_add_f64 v[44:45], v[48:49], -v[54:55]
	v_fma_f64 v[38:39], v[40:41], v[38:39], s[70:71]
	v_add_f64 v[48:49], v[46:47], v[9:10]
	v_add_f64 v[42:43], v[42:43], -v[56:57]
	v_fma_f64 v[38:39], v[40:41], v[38:39], s[72:73]
	v_add_f64 v[42:43], v[44:45], v[42:43]
	;; [unrolled: 3-line block ×3, first 2 shown]
	v_add_f64 v[48:49], v[48:49], -v[44:45]
	v_fma_f64 v[38:39], v[40:41], v[38:39], s[76:77]
	v_add_f64 v[9:10], v[9:10], -v[44:45]
	v_add_f64 v[52:53], v[50:51], v[42:43]
	v_mul_f64 v[38:39], v[40:41], v[38:39]
	v_add_f64 v[40:41], v[46:47], -v[48:49]
	v_add_f64 v[44:45], v[52:53], -v[50:51]
	v_fma_f64 v[36:37], v[36:37], v[38:39], v[36:37]
	v_add_f64 v[9:10], v[9:10], v[40:41]
	v_add_f64 v[38:39], v[42:43], -v[44:45]
	v_add_f64 v[40:41], -v[36:37], s[14:15]
	v_add_f64 v[9:10], v[9:10], v[38:39]
	v_cndmask_b32_e64 v37, v37, v41, s[0:1]
	v_cndmask_b32_e64 v36, v36, v40, s[0:1]
	v_cmp_class_f64_e64 s[0:1], v[34:35], s46
	v_add_f64 v[38:39], -v[36:37], s[78:79]
	v_add_f64 v[9:10], v[52:53], v[9:10]
	v_cndmask_b32_e32 v36, v36, v38, vcc
	v_cndmask_b32_e64 v10, v10, v35, s[0:1]
	v_cndmask_b32_e64 v9, v9, v34, s[0:1]
	v_add_f64 v[13:14], v[9:10], 1.0
	v_cmp_ngt_f64_e64 s[0:1], 0, v[34:35]
	v_cndmask_b32_e32 v10, v37, v39, vcc
	v_bfi_b32 v9, s44, v18, v16
	v_cndmask_b32_e64 v10, v10, v11, s[2:3]
	s_and_b64 vcc, s[8:9], s[4:5]
	v_cndmask_b32_e32 v10, v10, v9, vcc
	v_cndmask_b32_e64 v18, v36, v33, s[2:3]
	v_cndmask_b32_e64 v9, v61, v14, s[0:1]
	v_cmp_nge_f64_e64 s[0:1], 0, v[34:35]
	v_cndmask_b32_e64 v33, 0, v13, s[0:1]
	v_cmp_neq_f64_e64 s[0:1], 0, v[34:35]
	v_cndmask_b32_e64 v34, v62, v9, s[0:1]
	v_cndmask_b32_e32 v9, v18, v7, vcc
.LBB191_100:                            ;   in Loop: Header=BB191_5 Depth=1
	s_or_b64 exec, exec, s[6:7]
.LBB191_101:                            ;   in Loop: Header=BB191_5 Depth=1
	s_andn2_saveexec_b64 s[0:1], s[92:93]
	s_cbranch_execz .LBB191_107
; %bb.102:                              ;   in Loop: Header=BB191_5 Depth=1
	v_cmp_nlt_f64_e64 s[2:3], |v[13:14]|, s[94:95]
	v_cmp_nlt_f64_e64 s[4:5], |v[15:16]|, s[94:95]
                                        ; implicit-def: $vgpr34_vgpr35
	s_or_b64 s[2:3], s[2:3], s[4:5]
	s_and_saveexec_b64 s[4:5], s[2:3]
	s_xor_b64 s[2:3], exec, s[4:5]
	s_cbranch_execz .LBB191_104
; %bb.103:                              ;   in Loop: Header=BB191_5 Depth=1
	v_mul_f64 v[9:10], v[15:16], v[15:16]
	v_fma_f64 v[34:35], v[13:14], v[13:14], v[9:10]
.LBB191_104:                            ;   in Loop: Header=BB191_5 Depth=1
	s_andn2_saveexec_b64 s[2:3], s[2:3]
	s_cbranch_execz .LBB191_106
; %bb.105:                              ;   in Loop: Header=BB191_5 Depth=1
	v_mul_f64 v[9:10], v[15:16], 4.0
	v_mul_f64 v[13:14], v[13:14], 4.0
	v_mul_f64 v[9:10], v[9:10], v[9:10]
	v_fma_f64 v[9:10], v[13:14], v[13:14], v[9:10]
	v_ldexp_f64 v[34:35], v[9:10], -4
.LBB191_106:                            ;   in Loop: Header=BB191_5 Depth=1
	s_or_b64 exec, exec, s[2:3]
	v_frexp_mant_f64_e32 v[9:10], v[34:35]
	s_mov_b32 s91, s23
	v_cmp_gt_f64_e32 vcc, s[22:23], v[9:10]
	v_cndmask_b32_e64 v7, 0, 1, vcc
	v_ldexp_f64 v[9:10], v[9:10], v7
	v_frexp_exp_i32_f64_e32 v7, v[34:35]
	v_add_f64 v[13:14], v[9:10], 1.0
	v_add_f64 v[40:41], v[9:10], -1.0
	v_subbrev_co_u32_e32 v7, vcc, 0, v7, vcc
	v_cmp_class_f64_e64 vcc, v[34:35], s46
	v_rcp_f64_e32 v[36:37], v[13:14]
	v_add_f64 v[42:43], v[13:14], -1.0
	v_add_f64 v[9:10], v[9:10], -v[42:43]
	v_fma_f64 v[38:39], -v[13:14], v[36:37], 1.0
	v_fma_f64 v[36:37], v[38:39], v[36:37], v[36:37]
	v_fma_f64 v[38:39], -v[13:14], v[36:37], 1.0
	v_fma_f64 v[36:37], v[38:39], v[36:37], v[36:37]
	v_mul_f64 v[38:39], v[40:41], v[36:37]
	v_mul_f64 v[44:45], v[13:14], v[38:39]
	v_fma_f64 v[13:14], v[38:39], v[13:14], -v[44:45]
	v_fma_f64 v[9:10], v[38:39], v[9:10], v[13:14]
	v_add_f64 v[13:14], v[44:45], v[9:10]
	v_add_f64 v[42:43], v[40:41], -v[13:14]
	v_add_f64 v[44:45], v[13:14], -v[44:45]
	;; [unrolled: 1-line block ×5, first 2 shown]
	v_add_f64 v[9:10], v[9:10], v[13:14]
	v_add_f64 v[9:10], v[42:43], v[9:10]
	v_mul_f64 v[9:10], v[36:37], v[9:10]
	v_add_f64 v[13:14], v[38:39], v[9:10]
	v_mul_f64 v[36:37], v[13:14], v[13:14]
	v_fma_f64 v[40:41], v[36:37], s[24:25], v[19:20]
	v_mul_f64 v[42:43], v[13:14], v[36:37]
	v_fma_f64 v[40:41], v[36:37], v[40:41], s[26:27]
	v_fma_f64 v[40:41], v[36:37], v[40:41], s[28:29]
	;; [unrolled: 1-line block ×5, first 2 shown]
	v_ldexp_f64 v[40:41], v[13:14], 1
	v_add_f64 v[13:14], v[13:14], -v[38:39]
	v_mul_f64 v[36:37], v[42:43], v[36:37]
	v_cvt_f64_i32_e32 v[42:43], v7
	v_add_f64 v[9:10], v[9:10], -v[13:14]
	v_mul_f64 v[44:45], v[42:43], s[36:37]
	v_add_f64 v[38:39], v[40:41], v[36:37]
	v_ldexp_f64 v[9:10], v[9:10], 1
	v_add_f64 v[13:14], v[38:39], -v[40:41]
	v_fma_f64 v[40:41], v[42:43], s[36:37], -v[44:45]
	v_add_f64 v[13:14], v[36:37], -v[13:14]
	v_fma_f64 v[36:37], v[42:43], s[38:39], v[40:41]
	v_add_f64 v[9:10], v[9:10], v[13:14]
	v_add_f64 v[13:14], v[44:45], v[36:37]
	;; [unrolled: 1-line block ×3, first 2 shown]
	v_add_f64 v[44:45], v[13:14], -v[44:45]
	v_add_f64 v[42:43], v[13:14], v[40:41]
	v_add_f64 v[38:39], v[40:41], -v[38:39]
	v_add_f64 v[36:37], v[36:37], -v[44:45]
	;; [unrolled: 1-line block ×6, first 2 shown]
	v_add_f64 v[40:41], v[36:37], v[9:10]
	v_add_f64 v[13:14], v[13:14], -v[48:49]
	v_add_f64 v[13:14], v[38:39], v[13:14]
	v_add_f64 v[38:39], v[40:41], -v[36:37]
	;; [unrolled: 2-line block ×3, first 2 shown]
	v_add_f64 v[9:10], v[9:10], -v[38:39]
	v_add_f64 v[44:45], v[42:43], v[13:14]
	v_add_f64 v[36:37], v[36:37], -v[40:41]
	v_add_f64 v[38:39], v[44:45], -v[42:43]
	v_add_f64 v[9:10], v[9:10], v[36:37]
	v_add_f64 v[13:14], v[13:14], -v[38:39]
	v_add_f64 v[9:10], v[9:10], v[13:14]
	v_add_f64 v[13:14], v[44:45], v[9:10]
	v_mov_b32_e32 v9, 0
	v_mov_b32_e32 v10, 0x7ff80000
	v_cndmask_b32_e32 v7, v13, v34, vcc
	v_cndmask_b32_e32 v11, v14, v35, vcc
	v_cmp_ngt_f64_e32 vcc, 0, v[34:35]
	v_cndmask_b32_e32 v11, v61, v11, vcc
	v_cmp_nge_f64_e32 vcc, 0, v[34:35]
	v_cndmask_b32_e32 v33, 0, v7, vcc
	v_cmp_neq_f64_e32 vcc, 0, v[34:35]
	v_cndmask_b32_e32 v34, v62, v11, vcc
.LBB191_107:                            ;   in Loop: Header=BB191_5 Depth=1
	s_or_b64 exec, exec, s[0:1]
	v_cmp_o_f64_e32 vcc, v[1:2], v[3:4]
                                        ; implicit-def: $vgpr37_vgpr38
                                        ; implicit-def: $vgpr35_vgpr36
	s_and_saveexec_b64 s[0:1], vcc
	s_xor_b64 s[92:93], exec, s[0:1]
	s_cbranch_execz .LBB191_135
; %bb.108:                              ;   in Loop: Header=BB191_5 Depth=1
	v_cmp_lt_f64_e64 s[0:1], |v[1:2]|, |v[3:4]|
	v_and_b32_e32 v7, 0x7fffffff, v2
	v_and_b32_e32 v11, 0x7fffffff, v4
	s_mov_b32 s2, 0x85ebc8a0
	s_mov_b32 s3, 0x7fd1ccf3
	v_mov_b32_e32 v13, v3
                                        ; implicit-def: $vgpr37_vgpr38
                                        ; implicit-def: $vgpr35_vgpr36
	v_cndmask_b32_e64 v40, v11, v7, s[0:1]
	v_cndmask_b32_e64 v39, v3, v1, s[0:1]
	v_cmp_nlt_f64_e32 vcc, s[2:3], v[39:40]
	s_and_saveexec_b64 s[2:3], vcc
	s_xor_b64 s[18:19], exec, s[2:3]
	s_cbranch_execz .LBB191_132
; %bb.109:                              ;   in Loop: Header=BB191_5 Depth=1
	v_cndmask_b32_e64 v42, v7, v11, s[0:1]
	v_cndmask_b32_e64 v41, v1, v13, s[0:1]
	v_cmp_neq_f64_e32 vcc, 1.0, v[41:42]
                                        ; implicit-def: $vgpr37_vgpr38
                                        ; implicit-def: $vgpr35_vgpr36
	s_and_saveexec_b64 s[2:3], vcc
	s_xor_b64 s[20:21], exec, s[2:3]
	s_cbranch_execz .LBB191_125
; %bb.110:                              ;   in Loop: Header=BB191_5 Depth=1
	v_max_f64 v[13:14], v[39:40], v[39:40]
	v_max_f64 v[35:36], v[41:42], v[41:42]
	s_mov_b32 s2, 0x4ad4b81f
	s_mov_b32 s3, 0x358dee7a
	v_min_f64 v[37:38], v[35:36], v[13:14]
	v_max_f64 v[13:14], v[35:36], v[13:14]
                                        ; implicit-def: $vgpr35_vgpr36
	v_cmp_ngt_f64_e32 vcc, s[2:3], v[37:38]
	s_mov_b32 s2, 0xc57e649a
	s_mov_b32 s3, 0x4a511b0e
	v_cmp_nlt_f64_e64 s[2:3], s[2:3], v[13:14]
                                        ; implicit-def: $vgpr37_vgpr38
	s_and_b64 s[2:3], s[2:3], vcc
	s_and_saveexec_b64 s[4:5], s[2:3]
	s_xor_b64 s[82:83], exec, s[4:5]
	s_cbranch_execz .LBB191_122
; %bb.111:                              ;   in Loop: Header=BB191_5 Depth=1
	v_cmp_le_f64_e32 vcc, 1.0, v[41:42]
                                        ; implicit-def: $vgpr37_vgpr38
                                        ; implicit-def: $vgpr35_vgpr36
	s_and_saveexec_b64 s[2:3], vcc
	s_xor_b64 s[10:11], exec, s[2:3]
	s_cbranch_execz .LBB191_113
; %bb.112:                              ;   in Loop: Header=BB191_5 Depth=1
	v_add_f64 v[13:14], v[41:42], -1.0
	v_add_f64 v[35:36], v[41:42], 1.0
	s_mov_b32 s91, s23
	s_mov_b32 s78, s14
	;; [unrolled: 1-line block ×4, first 2 shown]
	v_cmp_class_f64_e64 s[16:17], v[1:2], s46
	v_cmp_class_f64_e64 s[4:5], v[3:4], s46
	v_mul_f64 v[13:14], v[13:14], v[35:36]
	v_fma_f64 v[13:14], v[39:40], v[39:40], v[13:14]
	v_add_f64 v[35:36], v[13:14], 1.0
	v_cmp_nge_f64_e64 s[6:7], -1.0, v[13:14]
	v_cmp_neq_f64_e64 s[8:9], s[8:9], v[13:14]
	v_frexp_mant_f64_e32 v[39:40], v[35:36]
	v_frexp_exp_i32_f64_e32 v7, v[35:36]
	v_add_f64 v[37:38], v[35:36], -1.0
	v_cmp_gt_f64_e32 vcc, s[22:23], v[39:40]
	v_add_f64 v[41:42], v[37:38], -v[35:36]
	v_add_f64 v[37:38], v[13:14], -v[37:38]
	v_subbrev_co_u32_e32 v7, vcc, 0, v7, vcc
	v_sub_u32_e32 v11, 0, v7
	v_ldexp_f64 v[35:36], v[35:36], v11
	v_add_f64 v[39:40], v[41:42], 1.0
	v_add_f64 v[41:42], v[35:36], 1.0
	v_add_f64 v[37:38], v[37:38], v[39:40]
	v_add_f64 v[47:48], v[35:36], -1.0
	v_add_f64 v[39:40], v[41:42], -1.0
	v_ldexp_f64 v[37:38], v[37:38], v11
	v_add_f64 v[49:50], v[47:48], 1.0
	v_add_f64 v[39:40], v[35:36], -v[39:40]
	v_add_f64 v[35:36], v[35:36], -v[49:50]
	v_add_f64 v[43:44], v[37:38], v[39:40]
	v_add_f64 v[49:50], v[37:38], v[35:36]
	;; [unrolled: 1-line block ×3, first 2 shown]
	v_rcp_f64_e32 v[45:46], v[39:40]
	v_add_f64 v[41:42], v[39:40], -v[41:42]
	v_add_f64 v[43:44], v[43:44], -v[41:42]
	v_fma_f64 v[51:52], -v[39:40], v[45:46], 1.0
	v_fma_f64 v[45:46], v[51:52], v[45:46], v[45:46]
	v_add_f64 v[51:52], v[47:48], v[49:50]
	v_fma_f64 v[35:36], -v[39:40], v[45:46], 1.0
	v_add_f64 v[47:48], v[51:52], -v[47:48]
	v_fma_f64 v[35:36], v[35:36], v[45:46], v[45:46]
	v_add_f64 v[47:48], v[49:50], -v[47:48]
	v_mul_f64 v[37:38], v[51:52], v[35:36]
	v_mul_f64 v[45:46], v[39:40], v[37:38]
	v_fma_f64 v[41:42], v[37:38], v[39:40], -v[45:46]
	v_fma_f64 v[53:54], v[37:38], v[43:44], v[41:42]
	v_add_f64 v[55:56], v[45:46], v[53:54]
	v_add_f64 v[41:42], v[51:52], -v[55:56]
	v_add_f64 v[45:46], v[55:56], -v[45:46]
	;; [unrolled: 1-line block ×5, first 2 shown]
	v_add_f64 v[47:48], v[47:48], v[49:50]
	v_max_f64 v[49:50], |v[1:2]|, |v[1:2]|
	v_ashrrev_i32_e32 v1, 31, v2
	v_and_b32_e32 v15, 0x54442d18, v1
	v_add_f64 v[45:46], v[45:46], v[47:48]
	v_max_f64 v[47:48], |v[3:4]|, |v[3:4]|
	v_add_f64 v[51:52], v[41:42], v[45:46]
	v_max_f64 v[53:54], v[49:50], v[47:48]
	v_min_f64 v[47:48], v[49:50], v[47:48]
	v_mul_f64 v[49:50], v[35:36], v[51:52]
	v_add_f64 v[41:42], v[41:42], -v[51:52]
	v_div_scale_f64 v[55:56], s[2:3], v[53:54], v[53:54], v[47:48]
	s_mov_b32 s2, 0x69efb384
	s_mov_b32 s3, 0x3f4b2bb0
	v_mul_f64 v[57:58], v[39:40], v[49:50]
	v_add_f64 v[41:42], v[45:46], v[41:42]
	v_fma_f64 v[39:40], v[49:50], v[39:40], -v[57:58]
	v_rcp_f64_e32 v[67:68], v[55:56]
	v_fma_f64 v[39:40], v[49:50], v[43:44], v[39:40]
	v_add_f64 v[43:44], v[57:58], v[39:40]
	v_fma_f64 v[69:70], -v[55:56], v[67:68], 1.0
	v_add_f64 v[71:72], v[51:52], -v[43:44]
	v_add_f64 v[45:46], v[43:44], -v[57:58]
	v_fma_f64 v[67:68], v[67:68], v[69:70], v[67:68]
	v_div_scale_f64 v[69:70], vcc, v[47:48], v[53:54], v[47:48]
	v_add_f64 v[51:52], v[51:52], -v[71:72]
	v_add_f64 v[39:40], v[45:46], -v[39:40]
	v_fma_f64 v[73:74], -v[55:56], v[67:68], 1.0
	v_add_f64 v[45:46], v[37:38], v[49:50]
	v_add_f64 v[43:44], v[51:52], -v[43:44]
	v_fma_f64 v[51:52], v[67:68], v[73:74], v[67:68]
	v_add_f64 v[37:38], v[45:46], -v[37:38]
	v_add_f64 v[41:42], v[41:42], v[43:44]
	v_mul_f64 v[43:44], v[69:70], v[51:52]
	v_add_f64 v[37:38], v[49:50], -v[37:38]
	v_add_f64 v[39:40], v[39:40], v[41:42]
	v_fma_f64 v[41:42], -v[55:56], v[43:44], v[69:70]
	v_add_f64 v[39:40], v[71:72], v[39:40]
	v_div_fmas_f64 v[41:42], v[41:42], v[51:52], v[43:44]
	v_cmp_gt_i32_e32 vcc, 0, v2
	v_cndmask_b32_e32 v11, v65, v66, vcc
	v_bfi_b32 v11, s44, v11, v4
	v_mul_f64 v[35:36], v[35:36], v[39:40]
	v_add_f64 v[35:36], v[37:38], v[35:36]
	v_div_fixup_f64 v[37:38], v[41:42], v[53:54], v[47:48]
	v_add_f64 v[39:40], v[45:46], v[35:36]
	v_mul_f64 v[41:42], v[37:38], v[37:38]
	v_mul_f64 v[43:44], v[39:40], v[39:40]
	v_fma_f64 v[47:48], v[41:42], s[40:41], v[21:22]
	v_fma_f64 v[49:50], v[43:44], s[24:25], v[19:20]
	v_mul_f64 v[51:52], v[39:40], v[43:44]
	v_fma_f64 v[47:48], v[41:42], v[47:48], s[2:3]
	s_mov_b32 s2, 0xaf56de9b
	s_mov_b32 s3, 0xbf67952d
	v_fma_f64 v[49:50], v[43:44], v[49:50], s[26:27]
	v_fma_f64 v[47:48], v[41:42], v[47:48], s[2:3]
	s_mov_b32 s2, 0xa595c56f
	s_mov_b32 s3, 0x3f7d6d43
	v_fma_f64 v[49:50], v[43:44], v[49:50], s[28:29]
	v_fma_f64 v[47:48], v[41:42], v[47:48], s[2:3]
	v_cmp_eq_f64_e64 s[2:3], 0, v[3:4]
	v_fma_f64 v[49:50], v[43:44], v[49:50], s[30:31]
	v_fma_f64 v[47:48], v[41:42], v[47:48], s[48:49]
	;; [unrolled: 1-line block ×5, first 2 shown]
	v_ldexp_f64 v[49:50], v[39:40], 1
	v_fma_f64 v[47:48], v[41:42], v[47:48], s[52:53]
	v_add_f64 v[39:40], v[39:40], -v[45:46]
	v_mul_f64 v[43:44], v[51:52], v[43:44]
	v_cvt_f64_i32_e32 v[51:52], v7
	v_fma_f64 v[47:48], v[41:42], v[47:48], s[54:55]
	v_add_f64 v[35:36], v[35:36], -v[39:40]
	v_cndmask_b32_e32 v7, v63, v64, vcc
	v_mul_f64 v[53:54], v[51:52], s[36:37]
	v_add_f64 v[45:46], v[49:50], v[43:44]
	v_fma_f64 v[47:48], v[41:42], v[47:48], s[42:43]
	v_ldexp_f64 v[35:36], v[35:36], 1
	v_add_f64 v[39:40], v[45:46], -v[49:50]
	v_fma_f64 v[49:50], v[51:52], s[36:37], -v[53:54]
	v_fma_f64 v[47:48], v[41:42], v[47:48], s[58:59]
	v_add_f64 v[39:40], v[43:44], -v[39:40]
	v_fma_f64 v[43:44], v[41:42], v[47:48], s[60:61]
	v_fma_f64 v[47:48], v[51:52], s[38:39], v[49:50]
	v_add_f64 v[35:36], v[35:36], v[39:40]
	v_fma_f64 v[39:40], v[41:42], v[43:44], s[62:63]
	v_add_f64 v[43:44], v[53:54], v[47:48]
	v_add_f64 v[49:50], v[45:46], v[35:36]
	v_fma_f64 v[39:40], v[41:42], v[39:40], s[64:65]
	v_add_f64 v[53:54], v[43:44], -v[53:54]
	v_add_f64 v[51:52], v[43:44], v[49:50]
	v_add_f64 v[45:46], v[49:50], -v[45:46]
	v_fma_f64 v[39:40], v[41:42], v[39:40], s[66:67]
	v_add_f64 v[47:48], v[47:48], -v[53:54]
	v_add_f64 v[55:56], v[51:52], -v[43:44]
	;; [unrolled: 1-line block ×3, first 2 shown]
	v_fma_f64 v[39:40], v[41:42], v[39:40], s[68:69]
	v_add_f64 v[57:58], v[51:52], -v[55:56]
	v_add_f64 v[45:46], v[49:50], -v[55:56]
	v_fma_f64 v[39:40], v[41:42], v[39:40], s[70:71]
	v_add_f64 v[49:50], v[47:48], v[35:36]
	v_add_f64 v[43:44], v[43:44], -v[57:58]
	v_fma_f64 v[39:40], v[41:42], v[39:40], s[72:73]
	v_add_f64 v[43:44], v[45:46], v[43:44]
	;; [unrolled: 3-line block ×3, first 2 shown]
	v_add_f64 v[49:50], v[49:50], -v[45:46]
	v_fma_f64 v[39:40], v[41:42], v[39:40], s[76:77]
	v_add_f64 v[35:36], v[35:36], -v[45:46]
	v_add_f64 v[53:54], v[51:52], v[43:44]
	v_mul_f64 v[39:40], v[41:42], v[39:40]
	v_add_f64 v[41:42], v[47:48], -v[49:50]
	v_add_f64 v[45:46], v[53:54], -v[51:52]
	v_fma_f64 v[37:38], v[37:38], v[39:40], v[37:38]
	v_add_f64 v[35:36], v[35:36], v[41:42]
	v_add_f64 v[39:40], v[43:44], -v[45:46]
	v_add_f64 v[41:42], -v[37:38], s[14:15]
	v_add_f64 v[35:36], v[35:36], v[39:40]
	v_cndmask_b32_e64 v38, v38, v42, s[0:1]
	v_cndmask_b32_e64 v37, v37, v41, s[0:1]
	v_add_f64 v[39:40], -v[37:38], s[78:79]
                                        ; implicit-def: $vgpr41_vgpr42
	v_add_f64 v[35:36], v[53:54], v[35:36]
	v_cndmask_b32_e32 v18, v37, v39, vcc
	v_and_b32_e32 v37, 0x400921fb, v1
	v_cndmask_b32_e64 v15, v18, v15, s[2:3]
	v_mul_f64 v[1:2], v[35:36], 0.5
	v_cndmask_b32_e32 v35, v38, v40, vcc
	v_cndmask_b32_e64 v18, v35, v37, s[2:3]
	s_and_b64 s[2:3], s[6:7], s[8:9]
	s_and_b64 vcc, s[16:17], s[4:5]
	v_cndmask_b32_e32 v36, v18, v11, vcc
	v_cndmask_b32_e32 v35, v15, v7, vcc
                                        ; implicit-def: $vgpr39_vgpr40
	v_cndmask_b32_e64 v37, 0, v1, s[2:3]
	v_cmp_ngt_f64_e64 s[2:3], -1.0, v[13:14]
	v_cndmask_b32_e64 v2, v60, v2, s[8:9]
	v_cndmask_b32_e64 v1, v61, v2, s[2:3]
	v_cmp_neq_f64_e64 s[2:3], -1.0, v[13:14]
	v_cndmask_b32_e64 v38, v62, v1, s[2:3]
.LBB191_113:                            ;   in Loop: Header=BB191_5 Depth=1
	s_andn2_saveexec_b64 s[10:11], s[10:11]
	s_cbranch_execz .LBB191_121
; %bb.114:                              ;   in Loop: Header=BB191_5 Depth=1
	v_mul_f64 v[13:14], v[39:40], v[39:40]
	s_mov_b32 s2, 0x66666666
	s_mov_b32 s3, 0x3fe66666
                                        ; implicit-def: $vgpr37_vgpr38
                                        ; implicit-def: $vgpr35_vgpr36
	v_fma_f64 v[13:14], v[41:42], v[41:42], v[13:14]
	v_cmp_ge_f64_e32 vcc, s[2:3], v[13:14]
	s_and_saveexec_b64 s[2:3], vcc
	s_xor_b64 s[8:9], exec, s[2:3]
	s_cbranch_execz .LBB191_116
; %bb.115:                              ;   in Loop: Header=BB191_5 Depth=1
	v_frexp_mant_f64_e32 v[35:36], v[13:14]
	v_max_f64 v[43:44], |v[3:4]|, |v[3:4]|
	v_max_f64 v[45:46], |v[1:2]|, |v[1:2]|
	s_mov_b32 s91, s23
	s_mov_b32 s78, s14
	v_cmp_class_f64_e64 s[16:17], v[1:2], s46
	v_ashrrev_i32_e32 v1, 31, v2
	v_and_b32_e32 v11, 0x54442d18, v1
	v_cmp_gt_f64_e64 s[2:3], s[22:23], v[35:36]
	v_cmp_neq_f64_e64 s[6:7], 0, v[13:14]
	v_cndmask_b32_e64 v7, 0, 1, s[2:3]
	v_ldexp_f64 v[35:36], v[35:36], v7
	v_frexp_exp_i32_f64_e32 v7, v[13:14]
	v_add_f64 v[37:38], v[35:36], 1.0
	v_add_f64 v[49:50], v[35:36], -1.0
	v_rcp_f64_e32 v[39:40], v[37:38]
	v_add_f64 v[53:54], v[37:38], -1.0
	v_add_f64 v[35:36], v[35:36], -v[53:54]
	v_fma_f64 v[41:42], -v[37:38], v[39:40], 1.0
	v_fma_f64 v[39:40], v[41:42], v[39:40], v[39:40]
	v_max_f64 v[41:42], v[45:46], v[43:44]
	v_min_f64 v[43:44], v[45:46], v[43:44]
	v_fma_f64 v[45:46], -v[37:38], v[39:40], 1.0
	v_div_scale_f64 v[47:48], s[4:5], v[41:42], v[41:42], v[43:44]
	s_mov_b32 s4, 0x69efb384
	s_mov_b32 s5, 0x3f4b2bb0
	v_fma_f64 v[39:40], v[45:46], v[39:40], v[39:40]
	v_mul_f64 v[45:46], v[49:50], v[39:40]
	v_rcp_f64_e32 v[51:52], v[47:48]
	v_mul_f64 v[55:56], v[37:38], v[45:46]
	v_fma_f64 v[37:38], v[45:46], v[37:38], -v[55:56]
	v_fma_f64 v[53:54], -v[47:48], v[51:52], 1.0
	v_fma_f64 v[35:36], v[45:46], v[35:36], v[37:38]
	v_fma_f64 v[37:38], v[51:52], v[53:54], v[51:52]
	v_div_scale_f64 v[53:54], vcc, v[43:44], v[41:42], v[43:44]
	v_add_f64 v[51:52], v[55:56], v[35:36]
	v_fma_f64 v[57:58], -v[47:48], v[37:38], 1.0
	v_add_f64 v[67:68], v[49:50], -v[51:52]
	v_add_f64 v[55:56], v[51:52], -v[55:56]
	v_fma_f64 v[37:38], v[37:38], v[57:58], v[37:38]
	v_add_f64 v[49:50], v[49:50], -v[67:68]
	v_add_f64 v[35:36], v[55:56], -v[35:36]
	v_mul_f64 v[57:58], v[53:54], v[37:38]
	v_add_f64 v[49:50], v[49:50], -v[51:52]
	v_fma_f64 v[47:48], -v[47:48], v[57:58], v[53:54]
	v_add_f64 v[35:36], v[35:36], v[49:50]
	v_div_fmas_f64 v[37:38], v[47:48], v[37:38], v[57:58]
	v_subbrev_co_u32_e64 v7, vcc, 0, v7, s[2:3]
	v_cmp_gt_i32_e32 vcc, 0, v2
	v_cmp_eq_f64_e64 s[2:3], 0, v[3:4]
	v_cndmask_b32_e32 v18, v65, v66, vcc
	v_add_f64 v[35:36], v[67:68], v[35:36]
	v_bfi_b32 v13, s44, v18, v4
	v_mul_f64 v[35:36], v[39:40], v[35:36]
	v_div_fixup_f64 v[37:38], v[37:38], v[41:42], v[43:44]
	v_add_f64 v[39:40], v[45:46], v[35:36]
	v_mul_f64 v[41:42], v[37:38], v[37:38]
	v_mul_f64 v[43:44], v[39:40], v[39:40]
	v_fma_f64 v[47:48], v[41:42], s[40:41], v[21:22]
	v_fma_f64 v[49:50], v[43:44], s[24:25], v[19:20]
	v_mul_f64 v[51:52], v[39:40], v[43:44]
	v_fma_f64 v[47:48], v[41:42], v[47:48], s[4:5]
	s_mov_b32 s4, 0xaf56de9b
	s_mov_b32 s5, 0xbf67952d
	v_fma_f64 v[49:50], v[43:44], v[49:50], s[26:27]
	v_fma_f64 v[47:48], v[41:42], v[47:48], s[4:5]
	s_mov_b32 s4, 0xa595c56f
	s_mov_b32 s5, 0x3f7d6d43
	v_fma_f64 v[49:50], v[43:44], v[49:50], s[28:29]
	v_fma_f64 v[47:48], v[41:42], v[47:48], s[4:5]
	v_cmp_class_f64_e64 s[4:5], v[3:4], s46
	v_fma_f64 v[49:50], v[43:44], v[49:50], s[30:31]
	v_fma_f64 v[47:48], v[41:42], v[47:48], s[48:49]
	;; [unrolled: 1-line block ×5, first 2 shown]
	v_ldexp_f64 v[49:50], v[39:40], 1
	v_fma_f64 v[47:48], v[41:42], v[47:48], s[52:53]
	v_add_f64 v[39:40], v[39:40], -v[45:46]
	v_mul_f64 v[43:44], v[51:52], v[43:44]
	v_cvt_f64_i32_e32 v[51:52], v7
	v_fma_f64 v[47:48], v[41:42], v[47:48], s[54:55]
	v_add_f64 v[35:36], v[35:36], -v[39:40]
	v_cndmask_b32_e32 v7, v63, v64, vcc
	v_mul_f64 v[53:54], v[51:52], s[36:37]
	v_add_f64 v[45:46], v[49:50], v[43:44]
	v_fma_f64 v[47:48], v[41:42], v[47:48], s[42:43]
	v_ldexp_f64 v[35:36], v[35:36], 1
	v_add_f64 v[39:40], v[45:46], -v[49:50]
	v_fma_f64 v[49:50], v[51:52], s[36:37], -v[53:54]
	v_fma_f64 v[47:48], v[41:42], v[47:48], s[58:59]
	v_add_f64 v[39:40], v[43:44], -v[39:40]
	v_fma_f64 v[43:44], v[41:42], v[47:48], s[60:61]
	v_fma_f64 v[47:48], v[51:52], s[38:39], v[49:50]
	v_add_f64 v[35:36], v[35:36], v[39:40]
	v_fma_f64 v[39:40], v[41:42], v[43:44], s[62:63]
	v_add_f64 v[43:44], v[53:54], v[47:48]
	v_add_f64 v[49:50], v[45:46], v[35:36]
	v_fma_f64 v[39:40], v[41:42], v[39:40], s[64:65]
	v_add_f64 v[53:54], v[43:44], -v[53:54]
	v_add_f64 v[51:52], v[43:44], v[49:50]
	v_add_f64 v[45:46], v[49:50], -v[45:46]
	v_fma_f64 v[39:40], v[41:42], v[39:40], s[66:67]
	v_add_f64 v[47:48], v[47:48], -v[53:54]
	v_add_f64 v[55:56], v[51:52], -v[43:44]
	v_add_f64 v[35:36], v[35:36], -v[45:46]
	v_fma_f64 v[39:40], v[41:42], v[39:40], s[68:69]
	v_add_f64 v[57:58], v[51:52], -v[55:56]
	v_add_f64 v[45:46], v[49:50], -v[55:56]
	v_fma_f64 v[39:40], v[41:42], v[39:40], s[70:71]
	v_add_f64 v[49:50], v[47:48], v[35:36]
	v_add_f64 v[43:44], v[43:44], -v[57:58]
	v_fma_f64 v[39:40], v[41:42], v[39:40], s[72:73]
	v_add_f64 v[43:44], v[45:46], v[43:44]
	;; [unrolled: 3-line block ×3, first 2 shown]
	v_add_f64 v[49:50], v[49:50], -v[45:46]
	v_fma_f64 v[39:40], v[41:42], v[39:40], s[76:77]
	v_add_f64 v[35:36], v[35:36], -v[45:46]
	v_add_f64 v[53:54], v[51:52], v[43:44]
	v_mul_f64 v[39:40], v[41:42], v[39:40]
	v_add_f64 v[41:42], v[47:48], -v[49:50]
	v_add_f64 v[45:46], v[53:54], -v[51:52]
	v_fma_f64 v[37:38], v[37:38], v[39:40], v[37:38]
	v_add_f64 v[35:36], v[35:36], v[41:42]
	v_add_f64 v[39:40], v[43:44], -v[45:46]
	v_add_f64 v[41:42], -v[37:38], s[14:15]
	v_add_f64 v[35:36], v[35:36], v[39:40]
	v_cndmask_b32_e64 v38, v38, v42, s[0:1]
	v_cndmask_b32_e64 v37, v37, v41, s[0:1]
	v_add_f64 v[39:40], -v[37:38], s[78:79]
                                        ; implicit-def: $vgpr41_vgpr42
	v_add_f64 v[35:36], v[53:54], v[35:36]
	v_cndmask_b32_e32 v15, v37, v39, vcc
	v_and_b32_e32 v37, 0x400921fb, v1
	v_cndmask_b32_e32 v14, v38, v40, vcc
	v_cndmask_b32_e64 v11, v15, v11, s[2:3]
	v_mul_f64 v[1:2], v[35:36], 0.5
	v_cndmask_b32_e64 v14, v14, v37, s[2:3]
	s_and_b64 vcc, s[16:17], s[4:5]
	v_cndmask_b32_e32 v36, v14, v13, vcc
	v_cndmask_b32_e32 v35, v11, v7, vcc
                                        ; implicit-def: $vgpr39_vgpr40
	v_cndmask_b32_e64 v38, v62, v2, s[6:7]
	v_cndmask_b32_e64 v37, 0, v1, s[6:7]
.LBB191_116:                            ;   in Loop: Header=BB191_5 Depth=1
	s_andn2_saveexec_b64 s[16:17], s[8:9]
	s_cbranch_execz .LBB191_120
; %bb.117:                              ;   in Loop: Header=BB191_5 Depth=1
	v_and_b32_e32 v18, 0x7ffffff8, v42
	v_and_b32_e32 v36, 0x7ffffff8, v40
	v_mov_b32_e32 v35, v17
	v_add_f64 v[13:14], v[41:42], -v[17:18]
	v_add_f64 v[37:38], v[39:40], -v[35:36]
	v_mov_b32_e32 v41, v17
	v_mov_b32_e32 v45, v17
	v_add_f64 v[47:48], v[17:18], v[17:18]
	v_add_f64 v[49:50], v[35:36], v[35:36]
	v_mul_f64 v[35:36], v[35:36], v[35:36]
	s_mov_b64 s[4:5], 0
	v_and_b32_e32 v42, -8, v14
	v_and_b32_e32 v46, -8, v38
	v_add_f64 v[55:56], v[13:14], -v[41:42]
	v_add_f64 v[57:58], v[37:38], -v[45:46]
	v_add_f64 v[67:68], v[41:42], v[41:42]
	v_add_f64 v[69:70], v[45:46], v[45:46]
	v_mul_f64 v[13:14], v[17:18], v[17:18]
	v_mul_f64 v[39:40], v[47:48], v[41:42]
	v_mul_f64 v[37:38], v[49:50], v[45:46]
	v_mul_f64 v[43:44], v[41:42], v[41:42]
	v_mul_f64 v[45:46], v[45:46], v[45:46]
	v_mul_f64 v[53:54], v[47:48], v[55:56]
	v_mul_f64 v[51:52], v[49:50], v[57:58]
	v_mul_f64 v[49:50], v[67:68], v[55:56]
	v_mul_f64 v[47:48], v[69:70], v[57:58]
	v_mul_f64 v[41:42], v[55:56], v[55:56]
	v_mul_f64 v[55:56], v[57:58], v[57:58]
.LBB191_118:                            ;   Parent Loop BB191_5 Depth=1
                                        ; =>  This Inner Loop Header: Depth=2
	v_cmp_nlt_f64_e32 vcc, v[13:14], v[35:36]
	v_cndmask_b32_e32 v58, v14, v36, vcc
	v_cndmask_b32_e32 v57, v13, v35, vcc
	v_cmp_nlt_f64_e64 s[2:3], v[57:58], v[39:40]
	v_cndmask_b32_e32 v14, v36, v14, vcc
	v_cndmask_b32_e32 v13, v35, v13, vcc
	v_cndmask_b32_e64 v68, v58, v40, s[2:3]
	v_cndmask_b32_e64 v67, v57, v39, s[2:3]
	v_cmp_nlt_f64_e64 s[6:7], v[67:68], v[37:38]
	v_cndmask_b32_e64 v36, v40, v58, s[2:3]
	v_cndmask_b32_e64 v35, v39, v57, s[2:3]
	s_and_b64 s[40:41], vcc, s[2:3]
	v_cndmask_b32_e64 v70, v68, v38, s[6:7]
	v_cndmask_b32_e64 v69, v67, v37, s[6:7]
	v_cmp_nlt_f64_e64 s[8:9], v[69:70], v[43:44]
	v_cndmask_b32_e64 v40, v38, v68, s[6:7]
	v_cndmask_b32_e64 v39, v37, v67, s[6:7]
	;; [unrolled: 1-line block ×4, first 2 shown]
	v_cmp_nlt_f64_e32 vcc, v[57:58], v[45:46]
	v_cndmask_b32_e64 v38, v44, v70, s[8:9]
	v_cndmask_b32_e64 v37, v43, v69, s[8:9]
	s_and_b64 s[8:9], s[6:7], s[8:9]
	v_cndmask_b32_e32 v68, v58, v46, vcc
	v_cndmask_b32_e32 v67, v57, v45, vcc
	v_cmp_nlt_f64_e64 s[2:3], v[67:68], v[53:54]
	v_cndmask_b32_e32 v44, v46, v58, vcc
	v_cndmask_b32_e32 v43, v45, v57, vcc
	v_cndmask_b32_e64 v58, v68, v54, s[2:3]
	v_cndmask_b32_e64 v57, v67, v53, s[2:3]
	v_cmp_nlt_f64_e64 s[6:7], v[57:58], v[51:52]
	v_cndmask_b32_e64 v46, v54, v68, s[2:3]
	v_cndmask_b32_e64 v45, v53, v67, s[2:3]
	s_and_b64 s[2:3], vcc, s[2:3]
	v_cndmask_b32_e64 v68, v58, v52, s[6:7]
	v_cndmask_b32_e64 v67, v57, v51, s[6:7]
	v_cmp_nlt_f64_e32 vcc, v[67:68], v[49:50]
	v_cndmask_b32_e64 v54, v52, v58, s[6:7]
	v_cndmask_b32_e64 v53, v51, v57, s[6:7]
	s_and_b64 s[6:7], s[2:3], s[6:7]
	v_cndmask_b32_e32 v58, v68, v50, vcc
	v_cndmask_b32_e32 v57, v67, v49, vcc
	v_cmp_nlt_f64_e64 s[2:3], v[57:58], v[47:48]
	v_cndmask_b32_e32 v52, v50, v68, vcc
	v_cndmask_b32_e32 v51, v49, v67, vcc
	s_and_b64 s[6:7], s[6:7], vcc
	v_cndmask_b32_e64 v68, v58, v48, s[2:3]
	v_cndmask_b32_e64 v67, v57, v47, s[2:3]
	v_cmp_nlt_f64_e32 vcc, v[67:68], v[41:42]
	v_cndmask_b32_e64 v50, v48, v58, s[2:3]
	v_cndmask_b32_e64 v49, v47, v57, s[2:3]
	s_and_b64 s[6:7], s[6:7], s[2:3]
	v_cndmask_b32_e32 v70, v68, v42, vcc
	v_cndmask_b32_e32 v69, v67, v41, vcc
	v_cmp_nlt_f64_e64 s[2:3], v[69:70], v[55:56]
	s_and_b64 s[6:7], s[6:7], vcc
	v_cndmask_b32_e32 v48, v42, v68, vcc
	v_cndmask_b32_e32 v47, v41, v67, vcc
	v_cndmask_b32_e64 v58, v70, v56, s[2:3]
	v_cndmask_b32_e64 v57, v69, v55, s[2:3]
	;; [unrolled: 1-line block ×4, first 2 shown]
	s_and_b64 s[2:3], s[6:7], s[2:3]
	s_and_b64 s[2:3], s[2:3], s[8:9]
	;; [unrolled: 1-line block ×3, first 2 shown]
	s_and_b64 s[2:3], exec, s[2:3]
	v_mov_b32_e32 v55, v57
	s_or_b64 s[4:5], s[2:3], s[4:5]
	v_mov_b32_e32 v56, v58
	s_andn2_b64 exec, exec, s[4:5]
	s_cbranch_execnz .LBB191_118
; %bb.119:                              ;   in Loop: Header=BB191_5 Depth=1
	s_or_b64 exec, exec, s[4:5]
	v_add_f64 v[13:14], v[13:14], -1.0
	s_mov_b32 s91, s23
	s_mov_b32 s78, s14
	;; [unrolled: 1-line block ×4, first 2 shown]
	v_cmp_class_f64_e64 s[40:41], v[1:2], s46
	v_cmp_class_f64_e64 s[4:5], v[3:4], s46
	v_add_f64 v[13:14], v[13:14], v[35:36]
	v_add_f64 v[13:14], v[13:14], v[39:40]
	;; [unrolled: 1-line block ×11, first 2 shown]
	v_add_f64 v[35:36], v[13:14], 1.0
	v_cmp_nge_f64_e64 s[6:7], -1.0, v[13:14]
	v_cmp_neq_f64_e64 s[8:9], s[8:9], v[13:14]
	v_frexp_mant_f64_e32 v[39:40], v[35:36]
	v_frexp_exp_i32_f64_e32 v7, v[35:36]
	v_add_f64 v[37:38], v[35:36], -1.0
	v_cmp_gt_f64_e32 vcc, s[22:23], v[39:40]
	v_add_f64 v[41:42], v[37:38], -v[35:36]
	v_add_f64 v[37:38], v[13:14], -v[37:38]
	v_subbrev_co_u32_e32 v7, vcc, 0, v7, vcc
	v_sub_u32_e32 v11, 0, v7
	v_ldexp_f64 v[35:36], v[35:36], v11
	v_add_f64 v[39:40], v[41:42], 1.0
	v_add_f64 v[41:42], v[35:36], 1.0
	v_add_f64 v[37:38], v[37:38], v[39:40]
	v_add_f64 v[47:48], v[35:36], -1.0
	v_add_f64 v[39:40], v[41:42], -1.0
	v_ldexp_f64 v[37:38], v[37:38], v11
	v_add_f64 v[49:50], v[47:48], 1.0
	v_add_f64 v[39:40], v[35:36], -v[39:40]
	v_add_f64 v[35:36], v[35:36], -v[49:50]
	v_add_f64 v[43:44], v[37:38], v[39:40]
	v_add_f64 v[49:50], v[37:38], v[35:36]
	;; [unrolled: 1-line block ×3, first 2 shown]
	v_rcp_f64_e32 v[45:46], v[39:40]
	v_add_f64 v[41:42], v[39:40], -v[41:42]
	v_add_f64 v[43:44], v[43:44], -v[41:42]
	v_fma_f64 v[51:52], -v[39:40], v[45:46], 1.0
	v_fma_f64 v[45:46], v[51:52], v[45:46], v[45:46]
	v_add_f64 v[51:52], v[47:48], v[49:50]
	v_fma_f64 v[35:36], -v[39:40], v[45:46], 1.0
	v_add_f64 v[47:48], v[51:52], -v[47:48]
	v_fma_f64 v[35:36], v[35:36], v[45:46], v[45:46]
	v_add_f64 v[47:48], v[49:50], -v[47:48]
	v_mul_f64 v[37:38], v[51:52], v[35:36]
	v_mul_f64 v[45:46], v[39:40], v[37:38]
	v_fma_f64 v[41:42], v[37:38], v[39:40], -v[45:46]
	v_fma_f64 v[53:54], v[37:38], v[43:44], v[41:42]
	v_add_f64 v[55:56], v[45:46], v[53:54]
	v_add_f64 v[41:42], v[51:52], -v[55:56]
	v_add_f64 v[45:46], v[55:56], -v[45:46]
	;; [unrolled: 1-line block ×5, first 2 shown]
	v_add_f64 v[47:48], v[47:48], v[49:50]
	v_max_f64 v[49:50], |v[1:2]|, |v[1:2]|
	v_ashrrev_i32_e32 v1, 31, v2
	v_and_b32_e32 v15, 0x54442d18, v1
	v_add_f64 v[45:46], v[45:46], v[47:48]
	v_max_f64 v[47:48], |v[3:4]|, |v[3:4]|
	v_add_f64 v[51:52], v[41:42], v[45:46]
	v_max_f64 v[53:54], v[49:50], v[47:48]
	v_min_f64 v[47:48], v[49:50], v[47:48]
	v_mul_f64 v[49:50], v[35:36], v[51:52]
	v_add_f64 v[41:42], v[41:42], -v[51:52]
	v_div_scale_f64 v[55:56], s[2:3], v[53:54], v[53:54], v[47:48]
	s_mov_b32 s2, 0xb5e68a13
	s_mov_b32 s3, 0x3eeba404
	v_mul_f64 v[57:58], v[39:40], v[49:50]
	v_add_f64 v[41:42], v[45:46], v[41:42]
	v_fma_f64 v[39:40], v[49:50], v[39:40], -v[57:58]
	v_rcp_f64_e32 v[67:68], v[55:56]
	v_fma_f64 v[39:40], v[49:50], v[43:44], v[39:40]
	v_add_f64 v[43:44], v[57:58], v[39:40]
	v_fma_f64 v[69:70], -v[55:56], v[67:68], 1.0
	v_add_f64 v[71:72], v[51:52], -v[43:44]
	v_add_f64 v[45:46], v[43:44], -v[57:58]
	v_fma_f64 v[67:68], v[67:68], v[69:70], v[67:68]
	v_div_scale_f64 v[69:70], vcc, v[47:48], v[53:54], v[47:48]
	v_add_f64 v[51:52], v[51:52], -v[71:72]
	v_add_f64 v[39:40], v[45:46], -v[39:40]
	v_fma_f64 v[73:74], -v[55:56], v[67:68], 1.0
	v_add_f64 v[45:46], v[37:38], v[49:50]
	v_add_f64 v[43:44], v[51:52], -v[43:44]
	v_fma_f64 v[51:52], v[67:68], v[73:74], v[67:68]
	v_add_f64 v[37:38], v[45:46], -v[37:38]
	v_add_f64 v[41:42], v[41:42], v[43:44]
	v_mul_f64 v[43:44], v[69:70], v[51:52]
	v_add_f64 v[37:38], v[49:50], -v[37:38]
	v_add_f64 v[39:40], v[39:40], v[41:42]
	v_fma_f64 v[41:42], -v[55:56], v[43:44], v[69:70]
	v_add_f64 v[39:40], v[71:72], v[39:40]
	v_div_fmas_f64 v[41:42], v[41:42], v[51:52], v[43:44]
	v_cmp_gt_i32_e32 vcc, 0, v2
	v_cndmask_b32_e32 v11, v65, v66, vcc
	v_bfi_b32 v11, s44, v11, v4
	v_mul_f64 v[35:36], v[35:36], v[39:40]
	v_add_f64 v[35:36], v[37:38], v[35:36]
	v_div_fixup_f64 v[37:38], v[41:42], v[53:54], v[47:48]
	v_add_f64 v[39:40], v[45:46], v[35:36]
	v_mul_f64 v[41:42], v[37:38], v[37:38]
	v_mul_f64 v[43:44], v[39:40], v[39:40]
	v_fma_f64 v[47:48], v[41:42], s[2:3], v[21:22]
	s_mov_b32 s2, 0x69efb384
	s_mov_b32 s3, 0x3f4b2bb0
	v_fma_f64 v[49:50], v[43:44], s[24:25], v[19:20]
	v_mul_f64 v[51:52], v[39:40], v[43:44]
	v_fma_f64 v[47:48], v[41:42], v[47:48], s[2:3]
	s_mov_b32 s2, 0xaf56de9b
	s_mov_b32 s3, 0xbf67952d
	v_fma_f64 v[49:50], v[43:44], v[49:50], s[26:27]
	v_fma_f64 v[47:48], v[41:42], v[47:48], s[2:3]
	s_mov_b32 s2, 0xa595c56f
	s_mov_b32 s3, 0x3f7d6d43
	v_fma_f64 v[49:50], v[43:44], v[49:50], s[28:29]
	v_fma_f64 v[47:48], v[41:42], v[47:48], s[2:3]
	v_cmp_eq_f64_e64 s[2:3], 0, v[3:4]
	v_fma_f64 v[49:50], v[43:44], v[49:50], s[30:31]
	v_fma_f64 v[47:48], v[41:42], v[47:48], s[48:49]
	;; [unrolled: 1-line block ×5, first 2 shown]
	v_ldexp_f64 v[49:50], v[39:40], 1
	v_fma_f64 v[47:48], v[41:42], v[47:48], s[52:53]
	v_add_f64 v[39:40], v[39:40], -v[45:46]
	v_mul_f64 v[43:44], v[51:52], v[43:44]
	v_cvt_f64_i32_e32 v[51:52], v7
	v_fma_f64 v[47:48], v[41:42], v[47:48], s[54:55]
	v_add_f64 v[35:36], v[35:36], -v[39:40]
	v_cndmask_b32_e32 v7, v63, v64, vcc
	v_mul_f64 v[53:54], v[51:52], s[36:37]
	v_add_f64 v[45:46], v[49:50], v[43:44]
	v_fma_f64 v[47:48], v[41:42], v[47:48], s[42:43]
	v_ldexp_f64 v[35:36], v[35:36], 1
	v_add_f64 v[39:40], v[45:46], -v[49:50]
	v_fma_f64 v[49:50], v[51:52], s[36:37], -v[53:54]
	v_fma_f64 v[47:48], v[41:42], v[47:48], s[58:59]
	v_add_f64 v[39:40], v[43:44], -v[39:40]
	v_fma_f64 v[43:44], v[41:42], v[47:48], s[60:61]
	v_fma_f64 v[47:48], v[51:52], s[38:39], v[49:50]
	v_add_f64 v[35:36], v[35:36], v[39:40]
	v_fma_f64 v[39:40], v[41:42], v[43:44], s[62:63]
	v_add_f64 v[43:44], v[53:54], v[47:48]
	v_add_f64 v[49:50], v[45:46], v[35:36]
	v_fma_f64 v[39:40], v[41:42], v[39:40], s[64:65]
	v_add_f64 v[53:54], v[43:44], -v[53:54]
	v_add_f64 v[51:52], v[43:44], v[49:50]
	v_add_f64 v[45:46], v[49:50], -v[45:46]
	v_fma_f64 v[39:40], v[41:42], v[39:40], s[66:67]
	v_add_f64 v[47:48], v[47:48], -v[53:54]
	v_add_f64 v[55:56], v[51:52], -v[43:44]
	;; [unrolled: 1-line block ×3, first 2 shown]
	v_fma_f64 v[39:40], v[41:42], v[39:40], s[68:69]
	v_add_f64 v[57:58], v[51:52], -v[55:56]
	v_add_f64 v[45:46], v[49:50], -v[55:56]
	v_fma_f64 v[39:40], v[41:42], v[39:40], s[70:71]
	v_add_f64 v[49:50], v[47:48], v[35:36]
	v_add_f64 v[43:44], v[43:44], -v[57:58]
	v_fma_f64 v[39:40], v[41:42], v[39:40], s[72:73]
	v_add_f64 v[43:44], v[45:46], v[43:44]
	;; [unrolled: 3-line block ×3, first 2 shown]
	v_add_f64 v[49:50], v[49:50], -v[45:46]
	v_fma_f64 v[39:40], v[41:42], v[39:40], s[76:77]
	v_add_f64 v[35:36], v[35:36], -v[45:46]
	v_add_f64 v[53:54], v[51:52], v[43:44]
	v_mul_f64 v[39:40], v[41:42], v[39:40]
	v_add_f64 v[41:42], v[47:48], -v[49:50]
	v_add_f64 v[45:46], v[53:54], -v[51:52]
	v_fma_f64 v[37:38], v[37:38], v[39:40], v[37:38]
	v_add_f64 v[35:36], v[35:36], v[41:42]
	v_add_f64 v[39:40], v[43:44], -v[45:46]
	v_add_f64 v[41:42], -v[37:38], s[14:15]
	v_add_f64 v[35:36], v[35:36], v[39:40]
	v_cndmask_b32_e64 v38, v38, v42, s[0:1]
	v_cndmask_b32_e64 v37, v37, v41, s[0:1]
	v_add_f64 v[39:40], -v[37:38], s[78:79]
	v_add_f64 v[35:36], v[53:54], v[35:36]
	v_cndmask_b32_e32 v18, v37, v39, vcc
	v_and_b32_e32 v37, 0x400921fb, v1
	v_cndmask_b32_e64 v15, v18, v15, s[2:3]
	v_mul_f64 v[1:2], v[35:36], 0.5
	v_cndmask_b32_e32 v35, v38, v40, vcc
	v_cndmask_b32_e64 v18, v35, v37, s[2:3]
	s_and_b64 s[2:3], s[6:7], s[8:9]
	s_and_b64 vcc, s[40:41], s[4:5]
	s_mov_b32 s40, 0xb5e68a13
	s_mov_b32 s41, 0x3eeba404
	v_cndmask_b32_e32 v36, v18, v11, vcc
	v_cndmask_b32_e64 v37, 0, v1, s[2:3]
	v_cmp_ngt_f64_e64 s[2:3], -1.0, v[13:14]
	v_cndmask_b32_e64 v2, v60, v2, s[8:9]
	v_cndmask_b32_e32 v35, v15, v7, vcc
	v_cndmask_b32_e64 v1, v61, v2, s[2:3]
	v_cmp_neq_f64_e64 s[2:3], -1.0, v[13:14]
	v_cndmask_b32_e64 v38, v62, v1, s[2:3]
.LBB191_120:                            ;   in Loop: Header=BB191_5 Depth=1
	s_or_b64 exec, exec, s[16:17]
.LBB191_121:                            ;   in Loop: Header=BB191_5 Depth=1
	s_or_b64 exec, exec, s[10:11]
.LBB191_122:                            ;   in Loop: Header=BB191_5 Depth=1
	s_andn2_saveexec_b64 s[8:9], s[82:83]
	s_cbranch_execz .LBB191_124
; %bb.123:                              ;   in Loop: Header=BB191_5 Depth=1
	v_max_f64 v[37:38], |v[3:4]|, |v[3:4]|
	v_max_f64 v[39:40], |v[1:2]|, |v[1:2]|
	v_cmp_class_f64_e64 s[10:11], v[1:2], s46
	v_cmp_class_f64_e64 s[16:17], v[3:4], s46
	s_mov_b32 s91, s23
	s_mov_b32 s78, s14
	v_max_f64 v[35:36], v[39:40], v[37:38]
	v_min_f64 v[37:38], v[39:40], v[37:38]
	v_frexp_exp_i32_f64_e32 v7, v[35:36]
	v_sub_u32_e32 v11, 0, v7
	v_ldexp_f64 v[13:14], |v[3:4]|, v11
	v_ldexp_f64 v[41:42], |v[1:2]|, v11
	v_mul_f64 v[13:14], v[13:14], v[13:14]
	v_fma_f64 v[13:14], v[41:42], v[41:42], v[13:14]
	v_rsq_f64_e32 v[41:42], v[13:14]
	v_cmp_eq_f64_e32 vcc, 0, v[13:14]
	v_mul_f64 v[43:44], v[13:14], v[41:42]
	v_mul_f64 v[41:42], v[41:42], 0.5
	v_fma_f64 v[45:46], -v[41:42], v[43:44], 0.5
	v_fma_f64 v[43:44], v[43:44], v[45:46], v[43:44]
	v_fma_f64 v[41:42], v[41:42], v[45:46], v[41:42]
	v_fma_f64 v[45:46], -v[43:44], v[43:44], v[13:14]
	v_fma_f64 v[41:42], v[45:46], v[41:42], v[43:44]
	v_cndmask_b32_e32 v14, v42, v14, vcc
	v_cndmask_b32_e32 v13, v41, v13, vcc
	v_ldexp_f64 v[13:14], v[13:14], v7
	s_or_b64 vcc, s[10:11], s[16:17]
	v_cndmask_b32_e32 v14, v14, v60, vcc
	v_cndmask_b32_e64 v13, v13, 0, vcc
	v_frexp_mant_f64_e32 v[41:42], v[13:14]
	v_cmp_class_f64_e64 s[6:7], v[13:14], s46
	v_cmp_gt_f64_e64 s[2:3], s[22:23], v[41:42]
	v_cndmask_b32_e64 v1, 0, 1, s[2:3]
	v_ldexp_f64 v[41:42], v[41:42], v1
	v_frexp_exp_i32_f64_e32 v1, v[13:14]
	v_add_f64 v[43:44], v[41:42], 1.0
	v_add_f64 v[49:50], v[41:42], -1.0
	v_rcp_f64_e32 v[45:46], v[43:44]
	v_add_f64 v[53:54], v[43:44], -1.0
	v_add_f64 v[41:42], v[41:42], -v[53:54]
	v_fma_f64 v[47:48], -v[43:44], v[45:46], 1.0
	v_fma_f64 v[39:40], v[47:48], v[45:46], v[45:46]
	v_div_scale_f64 v[45:46], s[4:5], v[35:36], v[35:36], v[37:38]
	s_mov_b32 s4, 0x69efb384
	s_mov_b32 s5, 0x3f4b2bb0
	v_fma_f64 v[47:48], -v[43:44], v[39:40], 1.0
	v_fma_f64 v[39:40], v[47:48], v[39:40], v[39:40]
	v_rcp_f64_e32 v[47:48], v[45:46]
	v_mul_f64 v[51:52], v[49:50], v[39:40]
	v_mul_f64 v[55:56], v[43:44], v[51:52]
	v_fma_f64 v[57:58], -v[45:46], v[47:48], 1.0
	v_fma_f64 v[43:44], v[51:52], v[43:44], -v[55:56]
	v_fma_f64 v[47:48], v[47:48], v[57:58], v[47:48]
	v_fma_f64 v[41:42], v[51:52], v[41:42], v[43:44]
	v_div_scale_f64 v[43:44], vcc, v[37:38], v[35:36], v[37:38]
	v_fma_f64 v[53:54], -v[45:46], v[47:48], 1.0
	v_add_f64 v[57:58], v[55:56], v[41:42]
	v_fma_f64 v[47:48], v[47:48], v[53:54], v[47:48]
	v_add_f64 v[53:54], v[49:50], -v[57:58]
	v_add_f64 v[55:56], v[57:58], -v[55:56]
	v_mul_f64 v[67:68], v[43:44], v[47:48]
	v_add_f64 v[49:50], v[49:50], -v[53:54]
	v_add_f64 v[41:42], v[55:56], -v[41:42]
	v_fma_f64 v[43:44], -v[45:46], v[67:68], v[43:44]
	v_add_f64 v[45:46], v[49:50], -v[57:58]
	v_div_fmas_f64 v[43:44], v[43:44], v[47:48], v[67:68]
	v_subbrev_co_u32_e64 v1, vcc, 0, v1, s[2:3]
	v_cmp_eq_f64_e64 s[2:3], 0, v[3:4]
	v_cmp_gt_i32_e32 vcc, 0, v2
	v_add_f64 v[41:42], v[41:42], v[45:46]
	v_cndmask_b32_e32 v18, v65, v66, vcc
	v_cndmask_b32_e32 v7, v63, v64, vcc
	v_bfi_b32 v18, s44, v18, v4
	v_add_f64 v[41:42], v[53:54], v[41:42]
	v_div_fixup_f64 v[35:36], v[43:44], v[35:36], v[37:38]
	v_mul_f64 v[37:38], v[39:40], v[41:42]
	v_mul_f64 v[39:40], v[35:36], v[35:36]
	v_add_f64 v[41:42], v[51:52], v[37:38]
	v_fma_f64 v[43:44], v[39:40], s[40:41], v[21:22]
	v_mul_f64 v[45:46], v[41:42], v[41:42]
	v_fma_f64 v[43:44], v[39:40], v[43:44], s[4:5]
	s_mov_b32 s4, 0xaf56de9b
	s_mov_b32 s5, 0xbf67952d
	v_fma_f64 v[47:48], v[45:46], s[24:25], v[19:20]
	v_mul_f64 v[49:50], v[41:42], v[45:46]
	v_fma_f64 v[43:44], v[39:40], v[43:44], s[4:5]
	s_mov_b32 s4, 0xa595c56f
	s_mov_b32 s5, 0x3f7d6d43
	v_fma_f64 v[47:48], v[45:46], v[47:48], s[26:27]
	v_fma_f64 v[43:44], v[39:40], v[43:44], s[4:5]
	;; [unrolled: 1-line block ×9, first 2 shown]
	v_ldexp_f64 v[47:48], v[41:42], 1
	v_add_f64 v[41:42], v[41:42], -v[51:52]
	v_fma_f64 v[43:44], v[39:40], v[43:44], s[54:55]
	v_cvt_f64_i32_e32 v[51:52], v1
	v_ashrrev_i32_e32 v1, 31, v2
	v_and_b32_e32 v11, 0x54442d18, v1
	v_mul_f64 v[45:46], v[49:50], v[45:46]
	v_mul_f64 v[53:54], v[51:52], s[36:37]
	v_add_f64 v[37:38], v[37:38], -v[41:42]
	v_fma_f64 v[43:44], v[39:40], v[43:44], s[42:43]
	v_add_f64 v[49:50], v[47:48], v[45:46]
	v_ldexp_f64 v[37:38], v[37:38], 1
	v_fma_f64 v[43:44], v[39:40], v[43:44], s[58:59]
	v_add_f64 v[41:42], v[49:50], -v[47:48]
	v_fma_f64 v[47:48], v[51:52], s[36:37], -v[53:54]
	v_fma_f64 v[43:44], v[39:40], v[43:44], s[60:61]
	v_add_f64 v[41:42], v[45:46], -v[41:42]
	v_fma_f64 v[45:46], v[51:52], s[38:39], v[47:48]
	v_fma_f64 v[43:44], v[39:40], v[43:44], s[62:63]
	v_add_f64 v[37:38], v[37:38], v[41:42]
	v_fma_f64 v[41:42], v[39:40], v[43:44], s[64:65]
	v_add_f64 v[43:44], v[53:54], v[45:46]
	v_add_f64 v[47:48], v[49:50], v[37:38]
	v_fma_f64 v[41:42], v[39:40], v[41:42], s[66:67]
	v_add_f64 v[53:54], v[43:44], -v[53:54]
	v_add_f64 v[51:52], v[43:44], v[47:48]
	v_add_f64 v[49:50], v[47:48], -v[49:50]
	v_fma_f64 v[41:42], v[39:40], v[41:42], s[68:69]
	v_add_f64 v[45:46], v[45:46], -v[53:54]
	v_add_f64 v[55:56], v[51:52], -v[43:44]
	;; [unrolled: 1-line block ×3, first 2 shown]
	v_fma_f64 v[41:42], v[39:40], v[41:42], s[70:71]
	v_add_f64 v[57:58], v[51:52], -v[55:56]
	v_add_f64 v[47:48], v[47:48], -v[55:56]
	v_add_f64 v[49:50], v[45:46], v[37:38]
	v_fma_f64 v[41:42], v[39:40], v[41:42], s[72:73]
	v_add_f64 v[43:44], v[43:44], -v[57:58]
	v_fma_f64 v[41:42], v[39:40], v[41:42], s[74:75]
	v_add_f64 v[43:44], v[47:48], v[43:44]
	v_add_f64 v[47:48], v[49:50], -v[45:46]
	v_fma_f64 v[41:42], v[39:40], v[41:42], s[76:77]
	v_add_f64 v[43:44], v[49:50], v[43:44]
	v_add_f64 v[37:38], v[37:38], -v[47:48]
	v_mul_f64 v[39:40], v[39:40], v[41:42]
	v_add_f64 v[41:42], v[49:50], -v[47:48]
	v_add_f64 v[49:50], v[51:52], v[43:44]
	v_fma_f64 v[35:36], v[35:36], v[39:40], v[35:36]
	v_add_f64 v[39:40], v[45:46], -v[41:42]
	v_add_f64 v[41:42], v[49:50], -v[51:52]
	v_add_f64 v[45:46], -v[35:36], s[14:15]
	v_add_f64 v[37:38], v[37:38], v[39:40]
	v_add_f64 v[39:40], v[43:44], -v[41:42]
	v_cndmask_b32_e64 v36, v36, v46, s[0:1]
	v_cndmask_b32_e64 v35, v35, v45, s[0:1]
	v_add_f64 v[41:42], -v[35:36], s[78:79]
	v_add_f64 v[37:38], v[37:38], v[39:40]
	v_cndmask_b32_e32 v15, v35, v41, vcc
	v_and_b32_e32 v35, 0x400921fb, v1
	v_cndmask_b32_e32 v36, v36, v42, vcc
	v_add_f64 v[1:2], v[49:50], v[37:38]
	v_cndmask_b32_e64 v11, v15, v11, s[2:3]
	v_cndmask_b32_e64 v15, v36, v35, s[2:3]
	v_cmp_ngt_f64_e64 s[2:3], 0, v[13:14]
	s_and_b64 vcc, s[10:11], s[16:17]
	v_cndmask_b32_e32 v36, v15, v18, vcc
	v_cndmask_b32_e32 v35, v11, v7, vcc
	v_cndmask_b32_e64 v2, v2, v14, s[6:7]
	v_cndmask_b32_e64 v1, v1, v13, s[6:7]
	;; [unrolled: 1-line block ×3, first 2 shown]
	v_cmp_nge_f64_e64 s[2:3], 0, v[13:14]
	v_cndmask_b32_e64 v37, 0, v1, s[2:3]
	v_cmp_neq_f64_e64 s[2:3], 0, v[13:14]
	v_cndmask_b32_e64 v38, v62, v2, s[2:3]
.LBB191_124:                            ;   in Loop: Header=BB191_5 Depth=1
	s_or_b64 exec, exec, s[8:9]
                                        ; implicit-def: $vgpr39_vgpr40
.LBB191_125:                            ;   in Loop: Header=BB191_5 Depth=1
	s_andn2_saveexec_b64 s[8:9], s[20:21]
	s_cbranch_execz .LBB191_131
; %bb.126:                              ;   in Loop: Header=BB191_5 Depth=1
	s_mov_b32 s2, 0x6a3f9475
	s_mov_b32 s3, 0x20ca2fe7
	v_cmp_ngt_f64_e32 vcc, s[2:3], v[39:40]
                                        ; implicit-def: $vgpr37_vgpr38
                                        ; implicit-def: $vgpr35_vgpr36
	s_and_saveexec_b64 s[2:3], vcc
	s_xor_b64 s[10:11], exec, s[2:3]
	s_cbranch_execz .LBB191_128
; %bb.127:                              ;   in Loop: Header=BB191_5 Depth=1
	v_mul_f64 v[13:14], v[39:40], v[39:40]
	s_mov_b32 s91, s23
	s_mov_b32 s78, s14
	;; [unrolled: 1-line block ×3, first 2 shown]
	v_cmp_class_f64_e64 s[4:5], v[3:4], s46
	v_cmp_class_f64_e64 s[16:17], v[1:2], s46
	s_mov_b32 s7, 0x7ff00000
	v_add_f64 v[35:36], v[13:14], 1.0
	v_cmp_neq_f64_e64 s[6:7], s[6:7], v[13:14]
	v_frexp_mant_f64_e32 v[39:40], v[35:36]
	v_frexp_exp_i32_f64_e32 v7, v[35:36]
	v_add_f64 v[37:38], v[35:36], -1.0
	v_cmp_gt_f64_e32 vcc, s[22:23], v[39:40]
	v_add_f64 v[41:42], v[37:38], -v[35:36]
	v_add_f64 v[37:38], v[13:14], -v[37:38]
	v_subbrev_co_u32_e32 v7, vcc, 0, v7, vcc
	v_sub_u32_e32 v11, 0, v7
	v_ldexp_f64 v[35:36], v[35:36], v11
	v_add_f64 v[39:40], v[41:42], 1.0
	v_add_f64 v[41:42], v[35:36], 1.0
	v_add_f64 v[37:38], v[37:38], v[39:40]
	v_add_f64 v[47:48], v[35:36], -1.0
	v_add_f64 v[39:40], v[41:42], -1.0
	v_ldexp_f64 v[37:38], v[37:38], v11
	v_add_f64 v[49:50], v[47:48], 1.0
	v_add_f64 v[39:40], v[35:36], -v[39:40]
	v_add_f64 v[35:36], v[35:36], -v[49:50]
	v_add_f64 v[43:44], v[37:38], v[39:40]
	v_add_f64 v[49:50], v[37:38], v[35:36]
	;; [unrolled: 1-line block ×3, first 2 shown]
	v_rcp_f64_e32 v[45:46], v[39:40]
	v_add_f64 v[41:42], v[41:42], -v[39:40]
	v_add_f64 v[43:44], v[43:44], v[41:42]
	v_fma_f64 v[51:52], -v[39:40], v[45:46], 1.0
	v_fma_f64 v[45:46], v[51:52], v[45:46], v[45:46]
	v_add_f64 v[51:52], v[47:48], v[49:50]
	v_fma_f64 v[35:36], -v[39:40], v[45:46], 1.0
	v_add_f64 v[47:48], v[47:48], -v[51:52]
	v_fma_f64 v[35:36], v[35:36], v[45:46], v[45:46]
	v_add_f64 v[47:48], v[49:50], v[47:48]
	v_mul_f64 v[37:38], v[51:52], v[35:36]
	v_mul_f64 v[45:46], v[39:40], v[37:38]
	v_fma_f64 v[41:42], v[37:38], v[39:40], -v[45:46]
	v_fma_f64 v[53:54], v[37:38], v[43:44], v[41:42]
	v_add_f64 v[55:56], v[45:46], v[53:54]
	v_add_f64 v[41:42], v[51:52], -v[55:56]
	v_add_f64 v[45:46], v[55:56], -v[45:46]
	;; [unrolled: 1-line block ×5, first 2 shown]
	v_add_f64 v[47:48], v[47:48], v[49:50]
	v_max_f64 v[49:50], |v[1:2]|, |v[1:2]|
	v_ashrrev_i32_e32 v1, 31, v2
	v_and_b32_e32 v11, 0x54442d18, v1
	v_add_f64 v[45:46], v[45:46], v[47:48]
	v_max_f64 v[47:48], |v[3:4]|, |v[3:4]|
	v_add_f64 v[51:52], v[41:42], v[45:46]
	v_max_f64 v[53:54], v[49:50], v[47:48]
	v_min_f64 v[47:48], v[49:50], v[47:48]
	v_mul_f64 v[49:50], v[35:36], v[51:52]
	v_add_f64 v[41:42], v[41:42], -v[51:52]
	v_div_scale_f64 v[55:56], s[2:3], v[53:54], v[53:54], v[47:48]
	s_mov_b32 s2, 0x69efb384
	s_mov_b32 s3, 0x3f4b2bb0
	v_mul_f64 v[57:58], v[39:40], v[49:50]
	v_add_f64 v[41:42], v[45:46], v[41:42]
	v_fma_f64 v[39:40], v[49:50], v[39:40], -v[57:58]
	v_rcp_f64_e32 v[67:68], v[55:56]
	v_fma_f64 v[39:40], v[49:50], v[43:44], v[39:40]
	v_add_f64 v[43:44], v[57:58], v[39:40]
	v_fma_f64 v[69:70], -v[55:56], v[67:68], 1.0
	v_add_f64 v[71:72], v[51:52], -v[43:44]
	v_add_f64 v[45:46], v[43:44], -v[57:58]
	v_fma_f64 v[67:68], v[67:68], v[69:70], v[67:68]
	v_div_scale_f64 v[69:70], vcc, v[47:48], v[53:54], v[47:48]
	v_add_f64 v[51:52], v[51:52], -v[71:72]
	v_add_f64 v[39:40], v[45:46], -v[39:40]
	v_fma_f64 v[73:74], -v[55:56], v[67:68], 1.0
	v_add_f64 v[45:46], v[37:38], v[49:50]
	v_add_f64 v[43:44], v[51:52], -v[43:44]
	v_fma_f64 v[51:52], v[67:68], v[73:74], v[67:68]
	v_add_f64 v[37:38], v[45:46], -v[37:38]
	v_add_f64 v[41:42], v[41:42], v[43:44]
	v_mul_f64 v[43:44], v[69:70], v[51:52]
	v_add_f64 v[37:38], v[49:50], -v[37:38]
	v_add_f64 v[39:40], v[39:40], v[41:42]
	v_fma_f64 v[41:42], -v[55:56], v[43:44], v[69:70]
	v_add_f64 v[39:40], v[71:72], v[39:40]
	v_div_fmas_f64 v[41:42], v[41:42], v[51:52], v[43:44]
	v_cmp_gt_i32_e32 vcc, 0, v2
	v_cndmask_b32_e32 v18, v65, v66, vcc
	v_bfi_b32 v13, s44, v18, v4
	v_mul_f64 v[35:36], v[35:36], v[39:40]
	v_add_f64 v[35:36], v[37:38], v[35:36]
	v_div_fixup_f64 v[37:38], v[41:42], v[53:54], v[47:48]
	v_add_f64 v[39:40], v[45:46], v[35:36]
	v_mul_f64 v[41:42], v[37:38], v[37:38]
	v_mul_f64 v[43:44], v[39:40], v[39:40]
	v_fma_f64 v[47:48], v[41:42], s[40:41], v[21:22]
	v_fma_f64 v[49:50], v[43:44], s[24:25], v[19:20]
	v_mul_f64 v[51:52], v[39:40], v[43:44]
	v_fma_f64 v[47:48], v[41:42], v[47:48], s[2:3]
	s_mov_b32 s2, 0xaf56de9b
	s_mov_b32 s3, 0xbf67952d
	v_fma_f64 v[49:50], v[43:44], v[49:50], s[26:27]
	v_fma_f64 v[47:48], v[41:42], v[47:48], s[2:3]
	s_mov_b32 s2, 0xa595c56f
	s_mov_b32 s3, 0x3f7d6d43
	v_fma_f64 v[49:50], v[43:44], v[49:50], s[28:29]
	v_fma_f64 v[47:48], v[41:42], v[47:48], s[2:3]
	v_cmp_eq_f64_e64 s[2:3], 0, v[3:4]
	v_fma_f64 v[49:50], v[43:44], v[49:50], s[30:31]
	v_fma_f64 v[47:48], v[41:42], v[47:48], s[48:49]
	;; [unrolled: 1-line block ×5, first 2 shown]
	v_ldexp_f64 v[49:50], v[39:40], 1
	v_fma_f64 v[47:48], v[41:42], v[47:48], s[52:53]
	v_add_f64 v[39:40], v[39:40], -v[45:46]
	v_mul_f64 v[43:44], v[51:52], v[43:44]
	v_cvt_f64_i32_e32 v[51:52], v7
	v_fma_f64 v[47:48], v[41:42], v[47:48], s[54:55]
	v_add_f64 v[35:36], v[35:36], -v[39:40]
	v_cndmask_b32_e32 v7, v63, v64, vcc
	v_mul_f64 v[53:54], v[51:52], s[36:37]
	v_add_f64 v[45:46], v[49:50], v[43:44]
	v_fma_f64 v[47:48], v[41:42], v[47:48], s[42:43]
	v_ldexp_f64 v[35:36], v[35:36], 1
	v_add_f64 v[39:40], v[45:46], -v[49:50]
	v_fma_f64 v[49:50], v[51:52], s[36:37], -v[53:54]
	v_fma_f64 v[47:48], v[41:42], v[47:48], s[58:59]
	v_add_f64 v[39:40], v[43:44], -v[39:40]
	v_fma_f64 v[43:44], v[41:42], v[47:48], s[60:61]
	v_fma_f64 v[47:48], v[51:52], s[38:39], v[49:50]
	v_add_f64 v[35:36], v[35:36], v[39:40]
	v_fma_f64 v[39:40], v[41:42], v[43:44], s[62:63]
	v_add_f64 v[43:44], v[53:54], v[47:48]
	v_add_f64 v[49:50], v[45:46], v[35:36]
	v_fma_f64 v[39:40], v[41:42], v[39:40], s[64:65]
	v_add_f64 v[53:54], v[43:44], -v[53:54]
	v_add_f64 v[51:52], v[43:44], v[49:50]
	v_add_f64 v[45:46], v[49:50], -v[45:46]
	v_fma_f64 v[39:40], v[41:42], v[39:40], s[66:67]
	v_add_f64 v[47:48], v[47:48], -v[53:54]
	v_add_f64 v[55:56], v[51:52], -v[43:44]
	;; [unrolled: 1-line block ×3, first 2 shown]
	v_fma_f64 v[39:40], v[41:42], v[39:40], s[68:69]
	v_add_f64 v[57:58], v[51:52], -v[55:56]
	v_add_f64 v[45:46], v[49:50], -v[55:56]
	v_fma_f64 v[39:40], v[41:42], v[39:40], s[70:71]
	v_add_f64 v[49:50], v[47:48], v[35:36]
	v_add_f64 v[43:44], v[43:44], -v[57:58]
	v_fma_f64 v[39:40], v[41:42], v[39:40], s[72:73]
	v_add_f64 v[43:44], v[45:46], v[43:44]
	;; [unrolled: 3-line block ×3, first 2 shown]
	v_add_f64 v[49:50], v[49:50], -v[45:46]
	v_fma_f64 v[39:40], v[41:42], v[39:40], s[76:77]
	v_add_f64 v[35:36], v[35:36], -v[45:46]
	v_add_f64 v[53:54], v[51:52], v[43:44]
	v_mul_f64 v[39:40], v[41:42], v[39:40]
	v_add_f64 v[41:42], v[47:48], -v[49:50]
	v_add_f64 v[45:46], v[53:54], -v[51:52]
	v_fma_f64 v[37:38], v[37:38], v[39:40], v[37:38]
	v_add_f64 v[35:36], v[35:36], v[41:42]
	v_add_f64 v[39:40], v[43:44], -v[45:46]
	v_add_f64 v[41:42], -v[37:38], s[14:15]
	v_add_f64 v[35:36], v[35:36], v[39:40]
	v_cndmask_b32_e64 v38, v38, v42, s[0:1]
	v_cndmask_b32_e64 v37, v37, v41, s[0:1]
	v_add_f64 v[39:40], -v[37:38], s[78:79]
	v_add_f64 v[35:36], v[53:54], v[35:36]
	v_cndmask_b32_e32 v15, v37, v39, vcc
	v_and_b32_e32 v37, 0x400921fb, v1
	v_cndmask_b32_e32 v14, v38, v40, vcc
	v_cndmask_b32_e64 v11, v15, v11, s[2:3]
	v_mul_f64 v[1:2], v[35:36], 0.5
	v_cndmask_b32_e64 v14, v14, v37, s[2:3]
	s_and_b64 vcc, s[16:17], s[4:5]
	v_cndmask_b32_e32 v36, v14, v13, vcc
	v_cndmask_b32_e32 v35, v11, v7, vcc
                                        ; implicit-def: $vgpr39_vgpr40
	v_cndmask_b32_e64 v38, v60, v2, s[6:7]
	v_cndmask_b32_e64 v37, 0, v1, s[6:7]
.LBB191_128:                            ;   in Loop: Header=BB191_5 Depth=1
	s_andn2_saveexec_b64 s[4:5], s[10:11]
	s_cbranch_execz .LBB191_130
; %bb.129:                              ;   in Loop: Header=BB191_5 Depth=1
	v_max_f64 v[13:14], |v[3:4]|, |v[3:4]|
	v_max_f64 v[35:36], |v[1:2]|, |v[1:2]|
	s_mov_b32 s78, s14
	v_cmp_class_f64_e64 s[6:7], v[3:4], s46
	v_cmp_class_f64_e64 s[10:11], v[1:2], s46
	v_ashrrev_i32_e32 v7, 31, v2
	v_and_b32_e32 v15, 0x54442d18, v7
	v_max_f64 v[37:38], v[35:36], v[13:14]
	v_min_f64 v[13:14], v[35:36], v[13:14]
	v_div_scale_f64 v[35:36], s[2:3], v[37:38], v[37:38], v[13:14]
	s_mov_b32 s2, 0x69efb384
	s_mov_b32 s3, 0x3f4b2bb0
	v_rcp_f64_e32 v[41:42], v[35:36]
	v_fma_f64 v[43:44], -v[35:36], v[41:42], 1.0
	v_fma_f64 v[41:42], v[41:42], v[43:44], v[41:42]
	v_div_scale_f64 v[43:44], vcc, v[13:14], v[37:38], v[13:14]
	v_fma_f64 v[45:46], -v[35:36], v[41:42], 1.0
	v_fma_f64 v[41:42], v[41:42], v[45:46], v[41:42]
	v_mul_f64 v[45:46], v[43:44], v[41:42]
	v_fma_f64 v[35:36], -v[35:36], v[45:46], v[43:44]
	v_div_fmas_f64 v[35:36], v[35:36], v[41:42], v[45:46]
	v_cmp_gt_i32_e32 vcc, 0, v2
	v_cndmask_b32_e32 v1, v65, v66, vcc
	v_and_b32_e32 v2, 0x400921fb, v7
	v_cndmask_b32_e32 v11, v63, v64, vcc
	v_bfi_b32 v1, s44, v1, v4
	v_div_fixup_f64 v[13:14], v[35:36], v[37:38], v[13:14]
	v_mul_f64 v[35:36], v[13:14], v[13:14]
	v_fma_f64 v[37:38], v[35:36], s[40:41], v[21:22]
	v_fma_f64 v[37:38], v[35:36], v[37:38], s[2:3]
	s_mov_b32 s2, 0xaf56de9b
	s_mov_b32 s3, 0xbf67952d
	v_fma_f64 v[37:38], v[35:36], v[37:38], s[2:3]
	s_mov_b32 s2, 0xa595c56f
	s_mov_b32 s3, 0x3f7d6d43
	v_fma_f64 v[37:38], v[35:36], v[37:38], s[2:3]
	v_cmp_eq_f64_e64 s[2:3], 0, v[3:4]
	v_fma_f64 v[37:38], v[35:36], v[37:38], s[48:49]
	v_fma_f64 v[37:38], v[35:36], v[37:38], s[50:51]
	;; [unrolled: 1-line block ×15, first 2 shown]
	v_mul_f64 v[35:36], v[35:36], v[37:38]
	v_mul_f64 v[37:38], v[39:40], 0.5
	v_fma_f64 v[13:14], v[13:14], v[35:36], v[13:14]
	v_mul_f64 v[37:38], v[39:40], v[37:38]
	v_add_f64 v[35:36], -v[13:14], s[14:15]
	v_cndmask_b32_e64 v14, v14, v36, s[0:1]
	v_cndmask_b32_e64 v13, v13, v35, s[0:1]
	v_add_f64 v[35:36], -v[13:14], s[78:79]
	v_cndmask_b32_e32 v13, v13, v35, vcc
	v_cndmask_b32_e32 v7, v14, v36, vcc
	v_cndmask_b32_e64 v13, v13, v15, s[2:3]
	v_cndmask_b32_e64 v2, v7, v2, s[2:3]
	s_and_b64 vcc, s[10:11], s[6:7]
	v_cndmask_b32_e32 v36, v2, v1, vcc
	v_cndmask_b32_e32 v35, v13, v11, vcc
.LBB191_130:                            ;   in Loop: Header=BB191_5 Depth=1
	s_or_b64 exec, exec, s[4:5]
.LBB191_131:                            ;   in Loop: Header=BB191_5 Depth=1
	s_or_b64 exec, exec, s[8:9]
.LBB191_132:                            ;   in Loop: Header=BB191_5 Depth=1
	s_andn2_saveexec_b64 s[6:7], s[18:19]
	s_cbranch_execz .LBB191_134
; %bb.133:                              ;   in Loop: Header=BB191_5 Depth=1
	v_div_scale_f64 v[13:14], s[2:3], s[84:85], s[84:85], v[1:2]
	v_div_scale_f64 v[35:36], s[2:3], s[84:85], s[84:85], v[3:4]
	;; [unrolled: 1-line block ×3, first 2 shown]
	s_mov_b32 s91, s23
	s_mov_b32 s78, s14
	v_cmp_class_f64_e64 s[8:9], v[1:2], s46
	v_rcp_f64_e32 v[37:38], v[13:14]
	v_rcp_f64_e32 v[39:40], v[35:36]
	v_fma_f64 v[41:42], -v[13:14], v[37:38], 1.0
	v_fma_f64 v[43:44], -v[35:36], v[39:40], 1.0
	v_fma_f64 v[37:38], v[37:38], v[41:42], v[37:38]
	v_div_scale_f64 v[41:42], vcc, v[1:2], s[84:85], v[1:2]
	v_fma_f64 v[39:40], v[39:40], v[43:44], v[39:40]
	v_fma_f64 v[43:44], -v[13:14], v[37:38], 1.0
	v_fma_f64 v[47:48], -v[35:36], v[39:40], 1.0
	v_fma_f64 v[37:38], v[37:38], v[43:44], v[37:38]
	v_fma_f64 v[39:40], v[39:40], v[47:48], v[39:40]
	v_mul_f64 v[43:44], v[41:42], v[37:38]
	v_mul_f64 v[47:48], v[45:46], v[39:40]
	v_fma_f64 v[13:14], -v[13:14], v[43:44], v[41:42]
	v_fma_f64 v[35:36], -v[35:36], v[47:48], v[45:46]
	v_max_f64 v[45:46], |v[1:2]|, |v[1:2]|
	v_div_fmas_f64 v[13:14], v[13:14], v[37:38], v[43:44]
	s_mov_b64 vcc, s[2:3]
	v_div_fmas_f64 v[35:36], v[35:36], v[39:40], v[47:48]
	v_div_fixup_f64 v[13:14], v[13:14], s[84:85], v[1:2]
	v_ashrrev_i32_e32 v1, 31, v2
	v_and_b32_e32 v15, 0x54442d18, v1
	v_div_fixup_f64 v[35:36], v[35:36], s[84:85], v[3:4]
	v_cmp_class_f64_e64 s[2:3], v[13:14], s46
	v_max_f64 v[37:38], |v[13:14]|, |v[35:36]|
	v_cmp_class_f64_e64 s[4:5], v[35:36], s46
	v_frexp_exp_i32_f64_e32 v7, v[37:38]
	v_sub_u32_e32 v11, 0, v7
	v_ldexp_f64 v[37:38], |v[35:36]|, v11
	v_ldexp_f64 v[39:40], |v[13:14]|, v11
	v_mul_f64 v[37:38], v[37:38], v[37:38]
	v_fma_f64 v[37:38], v[39:40], v[39:40], v[37:38]
	v_rsq_f64_e32 v[39:40], v[37:38]
	v_cmp_eq_f64_e32 vcc, 0, v[37:38]
	v_mul_f64 v[41:42], v[37:38], v[39:40]
	v_mul_f64 v[39:40], v[39:40], 0.5
	v_fma_f64 v[43:44], -v[39:40], v[41:42], 0.5
	v_fma_f64 v[41:42], v[41:42], v[43:44], v[41:42]
	v_fma_f64 v[39:40], v[39:40], v[43:44], v[39:40]
	v_fma_f64 v[43:44], -v[41:42], v[41:42], v[37:38]
	v_fma_f64 v[39:40], v[43:44], v[39:40], v[41:42]
	v_max_f64 v[43:44], |v[3:4]|, |v[3:4]|
	v_cndmask_b32_e32 v38, v40, v38, vcc
	v_cndmask_b32_e32 v37, v39, v37, vcc
	v_ldexp_f64 v[37:38], v[37:38], v7
	v_cmp_o_f64_e32 vcc, v[13:14], v[35:36]
	v_cndmask_b32_e32 v7, 0, v37, vcc
	v_cndmask_b32_e32 v11, v61, v38, vcc
	s_or_b64 vcc, s[2:3], s[4:5]
	v_cndmask_b32_e32 v14, v11, v60, vcc
	v_cndmask_b32_e64 v13, v7, 0, vcc
	v_frexp_mant_f64_e32 v[35:36], v[13:14]
	v_cmp_gt_f64_e64 s[2:3], s[22:23], v[35:36]
	v_cndmask_b32_e64 v7, 0, 1, s[2:3]
	v_ldexp_f64 v[35:36], v[35:36], v7
	v_frexp_exp_i32_f64_e32 v7, v[13:14]
	v_add_f64 v[37:38], v[35:36], 1.0
	v_add_f64 v[49:50], v[35:36], -1.0
	v_rcp_f64_e32 v[39:40], v[37:38]
	v_add_f64 v[53:54], v[37:38], -1.0
	v_add_f64 v[35:36], v[35:36], -v[53:54]
	v_fma_f64 v[41:42], -v[37:38], v[39:40], 1.0
	v_fma_f64 v[39:40], v[41:42], v[39:40], v[39:40]
	v_max_f64 v[41:42], v[45:46], v[43:44]
	v_min_f64 v[43:44], v[45:46], v[43:44]
	v_fma_f64 v[45:46], -v[37:38], v[39:40], 1.0
	v_div_scale_f64 v[47:48], s[4:5], v[41:42], v[41:42], v[43:44]
	s_mov_b32 s4, 0x69efb384
	s_mov_b32 s5, 0x3f4b2bb0
	v_fma_f64 v[39:40], v[45:46], v[39:40], v[39:40]
	v_mul_f64 v[45:46], v[49:50], v[39:40]
	v_rcp_f64_e32 v[51:52], v[47:48]
	v_mul_f64 v[55:56], v[37:38], v[45:46]
	v_fma_f64 v[37:38], v[45:46], v[37:38], -v[55:56]
	v_fma_f64 v[53:54], -v[47:48], v[51:52], 1.0
	v_fma_f64 v[35:36], v[45:46], v[35:36], v[37:38]
	v_fma_f64 v[37:38], v[51:52], v[53:54], v[51:52]
	v_div_scale_f64 v[53:54], vcc, v[43:44], v[41:42], v[43:44]
	v_add_f64 v[51:52], v[55:56], v[35:36]
	v_fma_f64 v[57:58], -v[47:48], v[37:38], 1.0
	v_add_f64 v[67:68], v[49:50], -v[51:52]
	v_add_f64 v[55:56], v[51:52], -v[55:56]
	v_fma_f64 v[37:38], v[37:38], v[57:58], v[37:38]
	v_add_f64 v[49:50], v[49:50], -v[67:68]
	v_add_f64 v[35:36], v[55:56], -v[35:36]
	v_mul_f64 v[57:58], v[53:54], v[37:38]
	v_add_f64 v[49:50], v[49:50], -v[51:52]
	v_fma_f64 v[47:48], -v[47:48], v[57:58], v[53:54]
	v_add_f64 v[35:36], v[35:36], v[49:50]
	v_div_fmas_f64 v[37:38], v[47:48], v[37:38], v[57:58]
	v_subbrev_co_u32_e64 v7, vcc, 0, v7, s[2:3]
	v_cmp_gt_i32_e32 vcc, 0, v2
	v_cmp_eq_f64_e64 s[2:3], 0, v[3:4]
	v_cndmask_b32_e32 v11, v65, v66, vcc
	v_add_f64 v[35:36], v[67:68], v[35:36]
	v_bfi_b32 v11, s44, v11, v4
	v_mul_f64 v[35:36], v[39:40], v[35:36]
	v_div_fixup_f64 v[37:38], v[37:38], v[41:42], v[43:44]
	v_add_f64 v[39:40], v[45:46], v[35:36]
	v_mul_f64 v[41:42], v[37:38], v[37:38]
	v_mul_f64 v[43:44], v[39:40], v[39:40]
	v_fma_f64 v[47:48], v[41:42], s[40:41], v[21:22]
	v_fma_f64 v[49:50], v[43:44], s[24:25], v[19:20]
	v_mul_f64 v[51:52], v[39:40], v[43:44]
	v_fma_f64 v[47:48], v[41:42], v[47:48], s[4:5]
	s_mov_b32 s4, 0xaf56de9b
	s_mov_b32 s5, 0xbf67952d
	v_fma_f64 v[49:50], v[43:44], v[49:50], s[26:27]
	v_fma_f64 v[47:48], v[41:42], v[47:48], s[4:5]
	s_mov_b32 s4, 0xa595c56f
	s_mov_b32 s5, 0x3f7d6d43
	v_fma_f64 v[49:50], v[43:44], v[49:50], s[28:29]
	v_fma_f64 v[47:48], v[41:42], v[47:48], s[4:5]
	v_cmp_class_f64_e64 s[4:5], v[3:4], s46
	v_fma_f64 v[49:50], v[43:44], v[49:50], s[30:31]
	v_fma_f64 v[47:48], v[41:42], v[47:48], s[48:49]
	;; [unrolled: 1-line block ×5, first 2 shown]
	v_ldexp_f64 v[49:50], v[39:40], 1
	v_fma_f64 v[47:48], v[41:42], v[47:48], s[52:53]
	v_add_f64 v[39:40], v[39:40], -v[45:46]
	v_mul_f64 v[43:44], v[51:52], v[43:44]
	v_cvt_f64_i32_e32 v[51:52], v7
	v_fma_f64 v[47:48], v[41:42], v[47:48], s[54:55]
	v_add_f64 v[35:36], v[35:36], -v[39:40]
	v_cndmask_b32_e32 v7, v63, v64, vcc
	v_mul_f64 v[53:54], v[51:52], s[36:37]
	v_add_f64 v[45:46], v[49:50], v[43:44]
	v_fma_f64 v[47:48], v[41:42], v[47:48], s[42:43]
	v_ldexp_f64 v[35:36], v[35:36], 1
	v_add_f64 v[39:40], v[45:46], -v[49:50]
	v_fma_f64 v[49:50], v[51:52], s[36:37], -v[53:54]
	v_fma_f64 v[47:48], v[41:42], v[47:48], s[58:59]
	v_add_f64 v[39:40], v[43:44], -v[39:40]
	v_fma_f64 v[43:44], v[41:42], v[47:48], s[60:61]
	v_fma_f64 v[47:48], v[51:52], s[38:39], v[49:50]
	v_add_f64 v[35:36], v[35:36], v[39:40]
	v_fma_f64 v[39:40], v[41:42], v[43:44], s[62:63]
	v_add_f64 v[43:44], v[53:54], v[47:48]
	v_add_f64 v[49:50], v[45:46], v[35:36]
	v_fma_f64 v[39:40], v[41:42], v[39:40], s[64:65]
	v_add_f64 v[53:54], v[43:44], -v[53:54]
	v_add_f64 v[51:52], v[43:44], v[49:50]
	v_add_f64 v[45:46], v[49:50], -v[45:46]
	v_fma_f64 v[39:40], v[41:42], v[39:40], s[66:67]
	v_add_f64 v[47:48], v[47:48], -v[53:54]
	v_add_f64 v[55:56], v[51:52], -v[43:44]
	;; [unrolled: 1-line block ×3, first 2 shown]
	v_fma_f64 v[39:40], v[41:42], v[39:40], s[68:69]
	v_add_f64 v[57:58], v[51:52], -v[55:56]
	v_add_f64 v[45:46], v[49:50], -v[55:56]
	v_fma_f64 v[39:40], v[41:42], v[39:40], s[70:71]
	v_add_f64 v[49:50], v[47:48], v[35:36]
	v_add_f64 v[43:44], v[43:44], -v[57:58]
	v_fma_f64 v[39:40], v[41:42], v[39:40], s[72:73]
	v_add_f64 v[43:44], v[45:46], v[43:44]
	;; [unrolled: 3-line block ×3, first 2 shown]
	v_add_f64 v[49:50], v[49:50], -v[45:46]
	v_fma_f64 v[39:40], v[41:42], v[39:40], s[76:77]
	v_add_f64 v[35:36], v[35:36], -v[45:46]
	v_add_f64 v[53:54], v[51:52], v[43:44]
	v_mul_f64 v[39:40], v[41:42], v[39:40]
	v_add_f64 v[41:42], v[47:48], -v[49:50]
	v_add_f64 v[45:46], v[53:54], -v[51:52]
	v_fma_f64 v[37:38], v[37:38], v[39:40], v[37:38]
	v_add_f64 v[35:36], v[35:36], v[41:42]
	v_add_f64 v[39:40], v[43:44], -v[45:46]
	v_add_f64 v[41:42], -v[37:38], s[14:15]
	v_add_f64 v[35:36], v[35:36], v[39:40]
	v_cndmask_b32_e64 v38, v38, v42, s[0:1]
	v_cndmask_b32_e64 v37, v37, v41, s[0:1]
	v_add_f64 v[39:40], -v[37:38], s[78:79]
	v_cmp_class_f64_e64 s[0:1], v[13:14], s46
	v_add_f64 v[35:36], v[53:54], v[35:36]
	v_cndmask_b32_e32 v18, v37, v39, vcc
	v_and_b32_e32 v37, 0x400921fb, v1
	v_cndmask_b32_e64 v15, v18, v15, s[2:3]
	v_cndmask_b32_e64 v2, v36, v14, s[0:1]
	;; [unrolled: 1-line block ×3, first 2 shown]
	v_add_f64 v[1:2], v[1:2], 1.0
	v_cmp_ngt_f64_e64 s[0:1], 0, v[13:14]
	v_cndmask_b32_e32 v35, v38, v40, vcc
	v_cndmask_b32_e64 v18, v35, v37, s[2:3]
	s_and_b64 vcc, s[8:9], s[4:5]
	v_cndmask_b32_e32 v36, v18, v11, vcc
	v_cndmask_b32_e32 v35, v15, v7, vcc
	v_cndmask_b32_e64 v2, v61, v2, s[0:1]
	v_cmp_nge_f64_e64 s[0:1], 0, v[13:14]
	v_cndmask_b32_e64 v37, 0, v1, s[0:1]
	v_cmp_neq_f64_e64 s[0:1], 0, v[13:14]
	v_cndmask_b32_e64 v38, v62, v2, s[0:1]
.LBB191_134:                            ;   in Loop: Header=BB191_5 Depth=1
	s_or_b64 exec, exec, s[6:7]
.LBB191_135:                            ;   in Loop: Header=BB191_5 Depth=1
	s_andn2_saveexec_b64 s[0:1], s[92:93]
	s_cbranch_execz .LBB191_4
; %bb.136:                              ;   in Loop: Header=BB191_5 Depth=1
	v_cmp_nlt_f64_e64 s[2:3], |v[1:2]|, s[94:95]
	v_cmp_nlt_f64_e64 s[4:5], |v[3:4]|, s[94:95]
                                        ; implicit-def: $vgpr13_vgpr14
	s_or_b64 s[2:3], s[2:3], s[4:5]
	s_and_saveexec_b64 s[4:5], s[2:3]
	s_xor_b64 s[2:3], exec, s[4:5]
	s_cbranch_execz .LBB191_138
; %bb.137:                              ;   in Loop: Header=BB191_5 Depth=1
	v_mul_f64 v[13:14], v[3:4], v[3:4]
	v_fma_f64 v[13:14], v[1:2], v[1:2], v[13:14]
.LBB191_138:                            ;   in Loop: Header=BB191_5 Depth=1
	s_andn2_saveexec_b64 s[2:3], s[2:3]
	s_cbranch_execz .LBB191_3
; %bb.139:                              ;   in Loop: Header=BB191_5 Depth=1
	v_mul_f64 v[13:14], v[3:4], 4.0
	v_mul_f64 v[1:2], v[1:2], 4.0
	v_mul_f64 v[13:14], v[13:14], v[13:14]
	v_fma_f64 v[1:2], v[1:2], v[1:2], v[13:14]
	v_ldexp_f64 v[13:14], v[1:2], -4
	s_branch .LBB191_3
.LBB191_140:
	v_readlane_b32 s0, v78, 4
	v_readlane_b32 s1, v78, 5
	s_or_b64 exec, exec, s[0:1]
	v_readlane_b32 s4, v78, 0
	v_readlane_b32 s10, v78, 2
	s_mov_b64 s[0:1], 0
	s_mov_b32 s63, s47
	v_readlane_b32 s5, v78, 1
	v_readlane_b32 s11, v78, 3
.LBB191_141:
	s_andn2_b64 vcc, exec, s[0:1]
	s_cbranch_vccnz .LBB191_297
; %bb.142:
	v_cmp_lt_i64_e64 s[0:1], s[10:11], 1
	s_and_b64 vcc, exec, s[0:1]
	s_cbranch_vccnz .LBB191_297
; %bb.143:
	v_mov_b32_e32 v1, 0x10000
	s_load_dword s2, s[4:5], 0xc5c
	v_mov_b32_e32 v2, 0
	v_cmp_lt_i64_e32 vcc, s[10:11], v[1:2]
	s_mov_b32 s26, 0x55555555
	s_and_b64 s[0:1], vcc, exec
	v_cmp_lt_u64_e32 vcc, s[10:11], v[1:2]
	s_cselect_b32 s17, s11, 0
	s_cselect_b32 s16, s10, 0x10000
	s_waitcnt lgkmcnt(0)
	s_and_b32 s58, s2, 0xffff
	s_and_b64 s[0:1], vcc, exec
	s_mov_b32 s28, 0xbf559e2b
	s_mov_b32 s30, 0xd7f4df2e
	;; [unrolled: 1-line block ×23, first 2 shown]
	v_mov_b32_e32 v17, 0
	s_cselect_b32 s19, s11, 0
	s_cselect_b32 s18, s10, 0x10000
	s_mov_b32 s27, 0x3fe55555
	s_mov_b32 s29, 0x3fc3ab76
	;; [unrolled: 1-line block ×22, first 2 shown]
	v_mov_b32_e32 v19, 0x6b47b09a
	v_mov_b32_e32 v20, 0x3fc38538
	;; [unrolled: 1-line block ×11, first 2 shown]
	s_lshl_b32 s59, s58, 1
	s_lshl_b32 s60, s58, 2
	s_brev_b32 s61, -2
	s_movk_i32 s62, 0x204
	s_mov_b64 s[92:93], 0
	s_mov_b32 s94, 0x55555780
	s_brev_b32 s85, 4
	s_brev_b32 s23, 1
	s_mov_b32 s83, 0x400921fb
	s_branch .LBB191_145
.LBB191_144:                            ;   in Loop: Header=BB191_145 Depth=1
	s_or_b64 exec, exec, s[0:1]
	s_add_u32 s92, s92, s60
	v_mov_b32_e32 v1, s16
	s_addc_u32 s93, s93, 0
	v_mov_b32_e32 v2, s17
	v_cmp_ge_i64_e32 vcc, s[92:93], v[1:2]
	s_cbranch_vccnz .LBB191_297
.LBB191_145:                            ; =>This Loop Header: Depth=1
                                        ;     Child Loop BB191_164 Depth 2
                                        ;     Child Loop BB191_198 Depth 2
	;; [unrolled: 1-line block ×4, first 2 shown]
	v_mov_b32_e32 v1, s93
	v_add_co_u32_e32 v23, vcc, s92, v0
	v_addc_co_u32_e32 v24, vcc, 0, v1, vcc
	v_cmp_gt_u64_e64 s[0:1], s[18:19], v[23:24]
	v_mov_b32_e32 v3, 0
	v_mov_b32_e32 v11, 0
	;; [unrolled: 1-line block ×6, first 2 shown]
	s_and_saveexec_b64 s[2:3], s[0:1]
	s_cbranch_execz .LBB191_147
; %bb.146:                              ;   in Loop: Header=BB191_145 Depth=1
	v_lshlrev_b64 v[1:2], 4, v[23:24]
	v_mov_b32_e32 v5, s63
	v_add_co_u32_e32 v1, vcc, s33, v1
	v_addc_co_u32_e32 v2, vcc, v5, v2, vcc
	global_load_dwordx4 v[9:12], v[1:2], off
.LBB191_147:                            ;   in Loop: Header=BB191_145 Depth=1
	s_or_b64 exec, exec, s[2:3]
	v_add_co_u32_e32 v25, vcc, s58, v23
	v_addc_co_u32_e32 v26, vcc, 0, v24, vcc
	v_cmp_gt_u64_e64 s[2:3], s[18:19], v[25:26]
	v_mov_b32_e32 v1, 0
	v_mov_b32_e32 v2, 0
	s_and_saveexec_b64 s[4:5], s[2:3]
	s_cbranch_execz .LBB191_149
; %bb.148:                              ;   in Loop: Header=BB191_145 Depth=1
	v_lshlrev_b64 v[1:2], 4, v[25:26]
	v_mov_b32_e32 v3, s63
	v_add_co_u32_e32 v1, vcc, s33, v1
	v_addc_co_u32_e32 v2, vcc, v3, v2, vcc
	global_load_dwordx4 v[1:4], v[1:2], off
.LBB191_149:                            ;   in Loop: Header=BB191_145 Depth=1
	s_or_b64 exec, exec, s[4:5]
	v_add_co_u32_e32 v27, vcc, s59, v23
	v_addc_co_u32_e32 v28, vcc, 0, v24, vcc
	v_cmp_gt_u64_e64 s[4:5], s[18:19], v[27:28]
	v_mov_b32_e32 v7, 0
	v_mov_b32_e32 v15, 0
	;; [unrolled: 1-line block ×6, first 2 shown]
	s_and_saveexec_b64 s[6:7], s[4:5]
	s_cbranch_execz .LBB191_151
; %bb.150:                              ;   in Loop: Header=BB191_145 Depth=1
	v_lshlrev_b64 v[5:6], 4, v[27:28]
	v_mov_b32_e32 v13, s63
	v_add_co_u32_e32 v5, vcc, s33, v5
	v_addc_co_u32_e32 v6, vcc, v13, v6, vcc
	global_load_dwordx4 v[13:16], v[5:6], off
.LBB191_151:                            ;   in Loop: Header=BB191_145 Depth=1
	s_or_b64 exec, exec, s[6:7]
	s_mul_i32 s6, s58, 3
	v_add_co_u32_e32 v29, vcc, s6, v23
	v_addc_co_u32_e32 v30, vcc, 0, v24, vcc
	v_cmp_gt_u64_e64 s[6:7], s[18:19], v[29:30]
	v_mov_b32_e32 v5, 0
	v_mov_b32_e32 v6, 0
	s_and_saveexec_b64 s[8:9], s[6:7]
	s_cbranch_execz .LBB191_153
; %bb.152:                              ;   in Loop: Header=BB191_145 Depth=1
	v_lshlrev_b64 v[5:6], 4, v[29:30]
	v_mov_b32_e32 v7, s63
	v_add_co_u32_e32 v5, vcc, s33, v5
	v_addc_co_u32_e32 v6, vcc, v7, v6, vcc
	global_load_dwordx4 v[5:8], v[5:6], off
.LBB191_153:                            ;   in Loop: Header=BB191_145 Depth=1
	s_or_b64 exec, exec, s[8:9]
	s_waitcnt vmcnt(0)
	v_cmp_o_f64_e32 vcc, v[9:10], v[11:12]
                                        ; implicit-def: $vgpr33_vgpr34
                                        ; implicit-def: $vgpr31_vgpr32
	s_and_saveexec_b64 s[8:9], vcc
	s_xor_b64 s[86:87], exec, s[8:9]
	s_cbranch_execz .LBB191_181
; %bb.154:                              ;   in Loop: Header=BB191_145 Depth=1
	v_cmp_lt_f64_e64 s[8:9], |v[9:10]|, |v[11:12]|
	v_and_b32_e32 v18, 0x7fffffff, v10
	v_and_b32_e32 v35, 0x7fffffff, v12
	s_mov_b32 s10, 0x85ebc8a0
	s_mov_b32 s11, 0x7fd1ccf3
	v_mov_b32_e32 v36, v11
                                        ; implicit-def: $vgpr33_vgpr34
                                        ; implicit-def: $vgpr31_vgpr32
	v_cndmask_b32_e64 v38, v35, v18, s[8:9]
	v_cndmask_b32_e64 v37, v11, v9, s[8:9]
	v_cmp_nlt_f64_e32 vcc, s[10:11], v[37:38]
	s_and_saveexec_b64 s[10:11], vcc
	s_xor_b64 s[20:21], exec, s[10:11]
	s_cbranch_execz .LBB191_178
; %bb.155:                              ;   in Loop: Header=BB191_145 Depth=1
	v_cndmask_b32_e64 v40, v18, v35, s[8:9]
	v_cndmask_b32_e64 v39, v9, v36, s[8:9]
	v_cmp_neq_f64_e32 vcc, 1.0, v[39:40]
                                        ; implicit-def: $vgpr33_vgpr34
                                        ; implicit-def: $vgpr31_vgpr32
	s_and_saveexec_b64 s[10:11], vcc
	s_xor_b64 s[44:45], exec, s[10:11]
	s_cbranch_execz .LBB191_171
; %bb.156:                              ;   in Loop: Header=BB191_145 Depth=1
	v_max_f64 v[31:32], v[37:38], v[37:38]
	v_max_f64 v[33:34], v[39:40], v[39:40]
	s_mov_b32 s10, 0x4ad4b81f
	s_mov_b32 s11, 0x358dee7a
	v_min_f64 v[35:36], v[33:34], v[31:32]
	v_max_f64 v[31:32], v[33:34], v[31:32]
                                        ; implicit-def: $vgpr33_vgpr34
	v_cmp_ngt_f64_e32 vcc, s[10:11], v[35:36]
	s_mov_b32 s10, 0xc57e649a
	s_mov_b32 s11, 0x4a511b0e
	v_cmp_nlt_f64_e64 s[10:11], s[10:11], v[31:32]
                                        ; implicit-def: $vgpr31_vgpr32
	s_and_b64 s[10:11], s[10:11], vcc
	s_and_saveexec_b64 s[12:13], s[10:11]
	s_xor_b64 s[46:47], exec, s[12:13]
	s_cbranch_execz .LBB191_168
; %bb.157:                              ;   in Loop: Header=BB191_145 Depth=1
	v_cmp_le_f64_e32 vcc, 1.0, v[39:40]
                                        ; implicit-def: $vgpr33_vgpr34
                                        ; implicit-def: $vgpr31_vgpr32
	s_and_saveexec_b64 s[10:11], vcc
	s_xor_b64 s[48:49], exec, s[10:11]
	s_cbranch_execz .LBB191_159
; %bb.158:                              ;   in Loop: Header=BB191_145 Depth=1
	v_add_f64 v[31:32], v[39:40], -1.0
	v_add_f64 v[33:34], v[39:40], 1.0
	s_mov_b32 s95, s27
	s_mov_b32 s82, s24
	;; [unrolled: 1-line block ×4, first 2 shown]
	v_cmp_class_f64_e64 s[50:51], v[11:12], s62
	v_mul_f64 v[31:32], v[31:32], v[33:34]
	v_fma_f64 v[34:35], v[37:38], v[37:38], v[31:32]
	v_add_f64 v[31:32], v[34:35], 1.0
	v_cmp_nge_f64_e64 s[12:13], -1.0, v[34:35]
	v_cmp_neq_f64_e64 s[14:15], s[14:15], v[34:35]
	v_frexp_mant_f64_e32 v[38:39], v[31:32]
	v_frexp_exp_i32_f64_e32 v18, v[31:32]
	v_add_f64 v[36:37], v[31:32], -1.0
	v_cmp_gt_f64_e32 vcc, s[26:27], v[38:39]
	v_add_f64 v[40:41], v[36:37], -v[31:32]
	v_add_f64 v[36:37], v[34:35], -v[36:37]
	v_subbrev_co_u32_e32 v18, vcc, 0, v18, vcc
	v_sub_u32_e32 v33, 0, v18
	v_ldexp_f64 v[31:32], v[31:32], v33
	v_add_f64 v[38:39], v[40:41], 1.0
	v_add_f64 v[40:41], v[31:32], 1.0
	v_add_f64 v[36:37], v[36:37], v[38:39]
	v_add_f64 v[46:47], v[31:32], -1.0
	v_add_f64 v[38:39], v[40:41], -1.0
	v_ldexp_f64 v[36:37], v[36:37], v33
	v_add_f64 v[48:49], v[46:47], 1.0
	v_add_f64 v[38:39], v[31:32], -v[38:39]
	v_add_f64 v[31:32], v[31:32], -v[48:49]
	v_add_f64 v[42:43], v[36:37], v[38:39]
	v_add_f64 v[48:49], v[36:37], v[31:32]
	;; [unrolled: 1-line block ×3, first 2 shown]
	v_rcp_f64_e32 v[44:45], v[38:39]
	v_add_f64 v[40:41], v[38:39], -v[40:41]
	v_add_f64 v[42:43], v[42:43], -v[40:41]
	v_fma_f64 v[50:51], -v[38:39], v[44:45], 1.0
	v_fma_f64 v[44:45], v[50:51], v[44:45], v[44:45]
	v_add_f64 v[50:51], v[46:47], v[48:49]
	v_fma_f64 v[31:32], -v[38:39], v[44:45], 1.0
	v_add_f64 v[46:47], v[50:51], -v[46:47]
	v_fma_f64 v[31:32], v[31:32], v[44:45], v[44:45]
	v_add_f64 v[46:47], v[48:49], -v[46:47]
	v_mul_f64 v[36:37], v[50:51], v[31:32]
	v_mul_f64 v[44:45], v[38:39], v[36:37]
	v_fma_f64 v[40:41], v[36:37], v[38:39], -v[44:45]
	v_fma_f64 v[52:53], v[36:37], v[42:43], v[40:41]
	v_add_f64 v[54:55], v[44:45], v[52:53]
	v_add_f64 v[40:41], v[50:51], -v[54:55]
	v_add_f64 v[44:45], v[54:55], -v[44:45]
	;; [unrolled: 1-line block ×5, first 2 shown]
	v_add_f64 v[46:47], v[46:47], v[48:49]
	v_max_f64 v[48:49], |v[9:10]|, |v[9:10]|
	v_add_f64 v[44:45], v[44:45], v[46:47]
	v_max_f64 v[46:47], |v[11:12]|, |v[11:12]|
	v_add_f64 v[50:51], v[40:41], v[44:45]
	v_max_f64 v[52:53], v[48:49], v[46:47]
	v_min_f64 v[46:47], v[48:49], v[46:47]
	v_mul_f64 v[48:49], v[31:32], v[50:51]
	v_add_f64 v[40:41], v[40:41], -v[50:51]
	v_div_scale_f64 v[54:55], s[10:11], v[52:53], v[52:53], v[46:47]
	s_mov_b32 s10, 0xaf56de9b
	s_mov_b32 s11, 0xbf67952d
	v_mul_f64 v[56:57], v[38:39], v[48:49]
	v_add_f64 v[40:41], v[44:45], v[40:41]
	v_fma_f64 v[38:39], v[48:49], v[38:39], -v[56:57]
	v_rcp_f64_e32 v[58:59], v[54:55]
	v_fma_f64 v[38:39], v[48:49], v[42:43], v[38:39]
	v_add_f64 v[42:43], v[56:57], v[38:39]
	v_fma_f64 v[60:61], -v[54:55], v[58:59], 1.0
	v_add_f64 v[70:71], v[50:51], -v[42:43]
	v_add_f64 v[44:45], v[42:43], -v[56:57]
	v_fma_f64 v[58:59], v[58:59], v[60:61], v[58:59]
	v_div_scale_f64 v[60:61], vcc, v[46:47], v[52:53], v[46:47]
	v_add_f64 v[50:51], v[50:51], -v[70:71]
	v_add_f64 v[38:39], v[44:45], -v[38:39]
	v_fma_f64 v[72:73], -v[54:55], v[58:59], 1.0
	v_add_f64 v[44:45], v[36:37], v[48:49]
	v_add_f64 v[42:43], v[50:51], -v[42:43]
	v_fma_f64 v[50:51], v[58:59], v[72:73], v[58:59]
	v_add_f64 v[36:37], v[44:45], -v[36:37]
	v_add_f64 v[40:41], v[40:41], v[42:43]
	v_mul_f64 v[42:43], v[60:61], v[50:51]
	v_add_f64 v[36:37], v[48:49], -v[36:37]
	v_add_f64 v[38:39], v[38:39], v[40:41]
	v_fma_f64 v[40:41], -v[54:55], v[42:43], v[60:61]
	v_add_f64 v[38:39], v[70:71], v[38:39]
	v_div_fmas_f64 v[40:41], v[40:41], v[50:51], v[42:43]
	v_cmp_gt_i32_e32 vcc, 0, v10
	v_cndmask_b32_e32 v33, v68, v69, vcc
	v_mul_f64 v[31:32], v[31:32], v[38:39]
	v_add_f64 v[31:32], v[36:37], v[31:32]
	v_div_fixup_f64 v[36:37], v[40:41], v[52:53], v[46:47]
	v_add_f64 v[38:39], v[44:45], v[31:32]
	v_mul_f64 v[40:41], v[36:37], v[36:37]
	v_mul_f64 v[42:43], v[38:39], v[38:39]
	v_fma_f64 v[46:47], v[40:41], s[54:55], v[21:22]
	v_fma_f64 v[48:49], v[42:43], s[28:29], v[19:20]
	v_mul_f64 v[50:51], v[38:39], v[42:43]
	v_fma_f64 v[46:47], v[40:41], v[46:47], s[52:53]
	v_cmp_class_f64_e64 s[52:53], v[9:10], s62
	v_ashrrev_i32_e32 v9, 31, v10
	v_fma_f64 v[48:49], v[42:43], v[48:49], s[30:31]
	v_fma_f64 v[46:47], v[40:41], v[46:47], s[10:11]
	s_mov_b32 s10, 0xa595c56f
	s_mov_b32 s11, 0x3f7d6d43
	v_fma_f64 v[48:49], v[42:43], v[48:49], s[34:35]
	v_fma_f64 v[46:47], v[40:41], v[46:47], s[10:11]
	s_mov_b32 s10, 0xa57d9582
	s_mov_b32 s11, 0xbf8c6ea4
	;; [unrolled: 4-line block ×4, first 2 shown]
	v_fma_f64 v[42:43], v[42:43], v[48:49], s[94:95]
	v_ldexp_f64 v[48:49], v[38:39], 1
	v_fma_f64 v[46:47], v[40:41], v[46:47], s[10:11]
	s_mov_b32 s10, 0x5711927a
	s_mov_b32 s11, 0x3fa2c15b
	v_add_f64 v[38:39], v[38:39], -v[44:45]
	v_mul_f64 v[42:43], v[50:51], v[42:43]
	v_cvt_f64_i32_e32 v[50:51], v18
	v_fma_f64 v[46:47], v[40:41], v[46:47], s[10:11]
	s_mov_b32 s10, 0xe82d3ff0
	s_mov_b32 s11, 0xbfa59976
	v_mul_f64 v[52:53], v[50:51], s[40:41]
	v_add_f64 v[31:32], v[31:32], -v[38:39]
	v_cndmask_b32_e32 v18, v66, v67, vcc
	v_add_f64 v[44:45], v[48:49], v[42:43]
	v_fma_f64 v[46:47], v[40:41], v[46:47], s[10:11]
	s_mov_b32 s10, 0x6ef28734
	s_mov_b32 s11, 0x3fa82d5d
	v_ldexp_f64 v[31:32], v[31:32], 1
	v_add_f64 v[38:39], v[44:45], -v[48:49]
	v_fma_f64 v[48:49], v[50:51], s[40:41], -v[52:53]
	v_fma_f64 v[46:47], v[40:41], v[46:47], s[10:11]
	v_cmp_eq_f64_e64 s[10:11], 0, v[11:12]
	v_add_f64 v[38:39], v[42:43], -v[38:39]
	v_fma_f64 v[42:43], v[40:41], v[46:47], s[64:65]
	v_fma_f64 v[46:47], v[50:51], s[42:43], v[48:49]
	v_add_f64 v[31:32], v[31:32], v[38:39]
	v_fma_f64 v[38:39], v[40:41], v[42:43], s[66:67]
	v_add_f64 v[42:43], v[52:53], v[46:47]
	v_add_f64 v[48:49], v[44:45], v[31:32]
	v_fma_f64 v[38:39], v[40:41], v[38:39], s[68:69]
	v_add_f64 v[52:53], v[42:43], -v[52:53]
	v_add_f64 v[50:51], v[42:43], v[48:49]
	v_add_f64 v[44:45], v[48:49], -v[44:45]
	v_fma_f64 v[38:39], v[40:41], v[38:39], s[70:71]
	v_add_f64 v[46:47], v[46:47], -v[52:53]
	v_add_f64 v[54:55], v[50:51], -v[42:43]
	;; [unrolled: 1-line block ×3, first 2 shown]
	v_fma_f64 v[38:39], v[40:41], v[38:39], s[72:73]
	v_add_f64 v[56:57], v[50:51], -v[54:55]
	v_add_f64 v[44:45], v[48:49], -v[54:55]
	v_fma_f64 v[38:39], v[40:41], v[38:39], s[74:75]
	v_add_f64 v[48:49], v[46:47], v[31:32]
	v_add_f64 v[42:43], v[42:43], -v[56:57]
	v_fma_f64 v[38:39], v[40:41], v[38:39], s[76:77]
	v_add_f64 v[42:43], v[44:45], v[42:43]
	;; [unrolled: 3-line block ×3, first 2 shown]
	v_add_f64 v[48:49], v[48:49], -v[44:45]
	v_fma_f64 v[38:39], v[40:41], v[38:39], s[80:81]
	v_add_f64 v[31:32], v[31:32], -v[44:45]
	v_add_f64 v[52:53], v[50:51], v[42:43]
	v_mul_f64 v[38:39], v[40:41], v[38:39]
	v_add_f64 v[40:41], v[46:47], -v[48:49]
	v_add_f64 v[44:45], v[52:53], -v[50:51]
	v_fma_f64 v[36:37], v[36:37], v[38:39], v[36:37]
	v_add_f64 v[31:32], v[31:32], v[40:41]
	v_add_f64 v[38:39], v[42:43], -v[44:45]
	v_add_f64 v[40:41], -v[36:37], s[24:25]
	v_add_f64 v[31:32], v[31:32], v[38:39]
	v_cndmask_b32_e64 v37, v37, v41, s[8:9]
	v_cndmask_b32_e64 v36, v36, v40, s[8:9]
	v_add_f64 v[38:39], -v[36:37], s[82:83]
	v_and_b32_e32 v40, 0x54442d18, v9
	v_add_f64 v[31:32], v[52:53], v[31:32]
	v_cndmask_b32_e32 v36, v36, v38, vcc
	v_and_b32_e32 v38, 0x400921fb, v9
	v_cndmask_b32_e64 v36, v36, v40, s[10:11]
	v_mul_f64 v[9:10], v[31:32], 0.5
	v_cndmask_b32_e32 v32, v37, v39, vcc
	v_cndmask_b32_e64 v32, v32, v38, s[10:11]
	s_and_b64 s[10:11], s[12:13], s[14:15]
	v_bfi_b32 v31, s61, v33, v12
	s_and_b64 vcc, s[50:51], s[52:53]
	s_mov_b32 s52, 0x69efb384
	s_mov_b32 s53, 0x3f4b2bb0
	v_cndmask_b32_e64 v33, 0, v9, s[10:11]
	v_cmp_ngt_f64_e64 s[10:11], -1.0, v[34:35]
	v_cndmask_b32_e64 v10, v63, v10, s[14:15]
	v_cndmask_b32_e32 v32, v32, v31, vcc
	v_cndmask_b32_e32 v31, v36, v18, vcc
                                        ; implicit-def: $vgpr37_vgpr38
                                        ; implicit-def: $vgpr39_vgpr40
	v_cndmask_b32_e64 v9, v64, v10, s[10:11]
	v_cmp_neq_f64_e64 s[10:11], -1.0, v[34:35]
	v_cndmask_b32_e64 v34, v65, v9, s[10:11]
.LBB191_159:                            ;   in Loop: Header=BB191_145 Depth=1
	s_andn2_saveexec_b64 s[48:49], s[48:49]
	s_cbranch_execz .LBB191_167
; %bb.160:                              ;   in Loop: Header=BB191_145 Depth=1
	v_mul_f64 v[31:32], v[37:38], v[37:38]
	s_mov_b32 s10, 0x66666666
	s_mov_b32 s11, 0x3fe66666
                                        ; implicit-def: $vgpr33_vgpr34
	v_fma_f64 v[35:36], v[39:40], v[39:40], v[31:32]
                                        ; implicit-def: $vgpr31_vgpr32
	v_cmp_ge_f64_e32 vcc, s[10:11], v[35:36]
	s_and_saveexec_b64 s[10:11], vcc
	s_xor_b64 s[14:15], exec, s[10:11]
	s_cbranch_execz .LBB191_162
; %bb.161:                              ;   in Loop: Header=BB191_145 Depth=1
	v_frexp_mant_f64_e32 v[31:32], v[35:36]
	v_max_f64 v[41:42], |v[11:12]|, |v[11:12]|
	v_max_f64 v[43:44], |v[9:10]|, |v[9:10]|
	s_mov_b32 s95, s27
	s_mov_b32 s82, s24
	v_cmp_class_f64_e64 s[50:51], v[11:12], s62
	v_cmp_gt_f64_e64 s[10:11], s[26:27], v[31:32]
	v_cndmask_b32_e64 v18, 0, 1, s[10:11]
	v_ldexp_f64 v[31:32], v[31:32], v18
	v_frexp_exp_i32_f64_e32 v18, v[35:36]
	v_add_f64 v[33:34], v[31:32], 1.0
	v_add_f64 v[47:48], v[31:32], -1.0
	v_rcp_f64_e32 v[37:38], v[33:34]
	v_add_f64 v[51:52], v[33:34], -1.0
	v_add_f64 v[31:32], v[31:32], -v[51:52]
	v_fma_f64 v[39:40], -v[33:34], v[37:38], 1.0
	v_fma_f64 v[37:38], v[39:40], v[37:38], v[37:38]
	v_max_f64 v[39:40], v[43:44], v[41:42]
	v_min_f64 v[41:42], v[43:44], v[41:42]
	v_fma_f64 v[43:44], -v[33:34], v[37:38], 1.0
	v_div_scale_f64 v[45:46], s[12:13], v[39:40], v[39:40], v[41:42]
	s_mov_b32 s12, 0xaf56de9b
	s_mov_b32 s13, 0xbf67952d
	v_fma_f64 v[37:38], v[43:44], v[37:38], v[37:38]
	v_mul_f64 v[43:44], v[47:48], v[37:38]
	v_rcp_f64_e32 v[49:50], v[45:46]
	v_mul_f64 v[53:54], v[33:34], v[43:44]
	v_fma_f64 v[33:34], v[43:44], v[33:34], -v[53:54]
	v_fma_f64 v[51:52], -v[45:46], v[49:50], 1.0
	v_fma_f64 v[31:32], v[43:44], v[31:32], v[33:34]
	v_fma_f64 v[33:34], v[49:50], v[51:52], v[49:50]
	v_div_scale_f64 v[51:52], vcc, v[41:42], v[39:40], v[41:42]
	v_add_f64 v[49:50], v[53:54], v[31:32]
	v_fma_f64 v[55:56], -v[45:46], v[33:34], 1.0
	v_add_f64 v[57:58], v[47:48], -v[49:50]
	v_add_f64 v[53:54], v[49:50], -v[53:54]
	v_fma_f64 v[33:34], v[33:34], v[55:56], v[33:34]
	v_add_f64 v[47:48], v[47:48], -v[57:58]
	v_add_f64 v[31:32], v[53:54], -v[31:32]
	v_mul_f64 v[55:56], v[51:52], v[33:34]
	v_add_f64 v[47:48], v[47:48], -v[49:50]
	v_fma_f64 v[45:46], -v[45:46], v[55:56], v[51:52]
	v_add_f64 v[31:32], v[31:32], v[47:48]
	v_div_fmas_f64 v[33:34], v[45:46], v[33:34], v[55:56]
	v_subbrev_co_u32_e64 v18, vcc, 0, v18, s[10:11]
	s_mov_b32 s10, 0xe82d3ff0
	s_mov_b32 s11, 0xbfa59976
	v_cmp_gt_i32_e32 vcc, 0, v10
	v_add_f64 v[31:32], v[57:58], v[31:32]
	v_mul_f64 v[31:32], v[37:38], v[31:32]
	v_div_fixup_f64 v[33:34], v[33:34], v[39:40], v[41:42]
	v_add_f64 v[37:38], v[43:44], v[31:32]
	v_mul_f64 v[39:40], v[33:34], v[33:34]
	v_mul_f64 v[41:42], v[37:38], v[37:38]
	v_fma_f64 v[45:46], v[39:40], s[54:55], v[21:22]
	v_fma_f64 v[47:48], v[41:42], s[28:29], v[19:20]
	v_mul_f64 v[49:50], v[37:38], v[41:42]
	v_fma_f64 v[45:46], v[39:40], v[45:46], s[52:53]
	v_cmp_class_f64_e64 s[52:53], v[9:10], s62
	v_ashrrev_i32_e32 v9, 31, v10
	v_fma_f64 v[47:48], v[41:42], v[47:48], s[30:31]
	v_fma_f64 v[45:46], v[39:40], v[45:46], s[12:13]
	s_mov_b32 s12, 0xa595c56f
	s_mov_b32 s13, 0x3f7d6d43
	v_fma_f64 v[47:48], v[41:42], v[47:48], s[34:35]
	v_fma_f64 v[45:46], v[39:40], v[45:46], s[12:13]
	s_mov_b32 s12, 0xa57d9582
	s_mov_b32 s13, 0xbf8c6ea4
	;; [unrolled: 4-line block ×4, first 2 shown]
	v_fma_f64 v[41:42], v[41:42], v[47:48], s[94:95]
	v_ldexp_f64 v[47:48], v[37:38], 1
	v_fma_f64 v[45:46], v[39:40], v[45:46], s[12:13]
	s_mov_b32 s12, 0x5711927a
	s_mov_b32 s13, 0x3fa2c15b
	v_add_f64 v[37:38], v[37:38], -v[43:44]
	v_mul_f64 v[41:42], v[49:50], v[41:42]
	v_cvt_f64_i32_e32 v[49:50], v18
	v_fma_f64 v[45:46], v[39:40], v[45:46], s[12:13]
	v_cmp_neq_f64_e64 s[12:13], 0, v[35:36]
	v_cndmask_b32_e32 v18, v66, v67, vcc
	v_mul_f64 v[51:52], v[49:50], s[40:41]
	v_add_f64 v[31:32], v[31:32], -v[37:38]
	v_add_f64 v[43:44], v[47:48], v[41:42]
	v_fma_f64 v[45:46], v[39:40], v[45:46], s[10:11]
	s_mov_b32 s10, 0x6ef28734
	s_mov_b32 s11, 0x3fa82d5d
	v_ldexp_f64 v[31:32], v[31:32], 1
	v_add_f64 v[37:38], v[43:44], -v[47:48]
	v_fma_f64 v[47:48], v[49:50], s[40:41], -v[51:52]
	v_fma_f64 v[45:46], v[39:40], v[45:46], s[10:11]
	v_cmp_eq_f64_e64 s[10:11], 0, v[11:12]
	v_add_f64 v[37:38], v[41:42], -v[37:38]
	v_fma_f64 v[41:42], v[39:40], v[45:46], s[64:65]
	v_fma_f64 v[45:46], v[49:50], s[42:43], v[47:48]
	v_add_f64 v[31:32], v[31:32], v[37:38]
	v_fma_f64 v[37:38], v[39:40], v[41:42], s[66:67]
	v_add_f64 v[41:42], v[51:52], v[45:46]
	v_add_f64 v[47:48], v[43:44], v[31:32]
	v_fma_f64 v[37:38], v[39:40], v[37:38], s[68:69]
	v_add_f64 v[51:52], v[41:42], -v[51:52]
	v_add_f64 v[49:50], v[41:42], v[47:48]
	v_add_f64 v[43:44], v[47:48], -v[43:44]
	v_fma_f64 v[37:38], v[39:40], v[37:38], s[70:71]
	v_add_f64 v[45:46], v[45:46], -v[51:52]
	v_add_f64 v[53:54], v[49:50], -v[41:42]
	;; [unrolled: 1-line block ×3, first 2 shown]
	v_fma_f64 v[37:38], v[39:40], v[37:38], s[72:73]
	v_add_f64 v[55:56], v[49:50], -v[53:54]
	v_add_f64 v[43:44], v[47:48], -v[53:54]
	v_fma_f64 v[37:38], v[39:40], v[37:38], s[74:75]
	v_add_f64 v[47:48], v[45:46], v[31:32]
	v_add_f64 v[41:42], v[41:42], -v[55:56]
	v_fma_f64 v[37:38], v[39:40], v[37:38], s[76:77]
	v_add_f64 v[41:42], v[43:44], v[41:42]
	v_add_f64 v[43:44], v[47:48], -v[45:46]
	v_fma_f64 v[37:38], v[39:40], v[37:38], s[78:79]
	v_add_f64 v[41:42], v[47:48], v[41:42]
	v_add_f64 v[47:48], v[47:48], -v[43:44]
	v_fma_f64 v[37:38], v[39:40], v[37:38], s[80:81]
	v_add_f64 v[31:32], v[31:32], -v[43:44]
	v_add_f64 v[51:52], v[49:50], v[41:42]
	v_mul_f64 v[37:38], v[39:40], v[37:38]
	v_add_f64 v[39:40], v[45:46], -v[47:48]
	v_add_f64 v[43:44], v[51:52], -v[49:50]
	v_fma_f64 v[33:34], v[33:34], v[37:38], v[33:34]
	v_add_f64 v[31:32], v[31:32], v[39:40]
	v_add_f64 v[37:38], v[41:42], -v[43:44]
	v_add_f64 v[39:40], -v[33:34], s[24:25]
	v_add_f64 v[31:32], v[31:32], v[37:38]
	v_cndmask_b32_e64 v34, v34, v40, s[8:9]
	v_cndmask_b32_e64 v33, v33, v39, s[8:9]
	v_add_f64 v[37:38], -v[33:34], s[82:83]
	v_and_b32_e32 v39, 0x54442d18, v9
	v_and_b32_e32 v40, 0x400921fb, v9
	v_add_f64 v[31:32], v[51:52], v[31:32]
	v_cndmask_b32_e32 v33, v33, v37, vcc
	v_cndmask_b32_e32 v37, v68, v69, vcc
	v_cndmask_b32_e64 v35, v33, v39, s[10:11]
	v_mul_f64 v[9:10], v[31:32], 0.5
	v_cndmask_b32_e32 v32, v34, v38, vcc
	v_bfi_b32 v31, s61, v37, v12
	v_cndmask_b32_e64 v32, v32, v40, s[10:11]
	s_and_b64 vcc, s[50:51], s[52:53]
	s_mov_b32 s52, 0x69efb384
	s_mov_b32 s53, 0x3f4b2bb0
	v_cndmask_b32_e32 v32, v32, v31, vcc
	v_cndmask_b32_e64 v34, v65, v10, s[12:13]
	v_cndmask_b32_e64 v33, 0, v9, s[12:13]
	v_cndmask_b32_e32 v31, v35, v18, vcc
                                        ; implicit-def: $vgpr39_vgpr40
                                        ; implicit-def: $vgpr37_vgpr38
.LBB191_162:                            ;   in Loop: Header=BB191_145 Depth=1
	s_andn2_saveexec_b64 s[50:51], s[14:15]
	s_cbranch_execz .LBB191_166
; %bb.163:                              ;   in Loop: Header=BB191_145 Depth=1
	v_and_b32_e32 v18, 0x7ffffff8, v40
	v_and_b32_e32 v34, 0x7ffffff8, v38
	v_mov_b32_e32 v33, v17
	v_add_f64 v[31:32], v[39:40], -v[17:18]
	v_add_f64 v[35:36], v[37:38], -v[33:34]
	v_mov_b32_e32 v39, v17
	v_mov_b32_e32 v43, v17
	v_add_f64 v[45:46], v[17:18], v[17:18]
	v_add_f64 v[47:48], v[33:34], v[33:34]
	v_mul_f64 v[33:34], v[33:34], v[33:34]
	s_mov_b64 s[52:53], 0
	v_and_b32_e32 v40, -8, v32
	v_and_b32_e32 v44, -8, v36
	v_add_f64 v[53:54], v[31:32], -v[39:40]
	v_add_f64 v[55:56], v[35:36], -v[43:44]
	v_add_f64 v[57:58], v[39:40], v[39:40]
	v_add_f64 v[59:60], v[43:44], v[43:44]
	v_mul_f64 v[31:32], v[17:18], v[17:18]
	v_mul_f64 v[37:38], v[45:46], v[39:40]
	;; [unrolled: 1-line block ×11, first 2 shown]
.LBB191_164:                            ;   Parent Loop BB191_145 Depth=1
                                        ; =>  This Inner Loop Header: Depth=2
	v_cmp_nlt_f64_e32 vcc, v[31:32], v[33:34]
	v_cndmask_b32_e32 v56, v32, v34, vcc
	v_cndmask_b32_e32 v55, v31, v33, vcc
	v_cmp_nlt_f64_e64 s[10:11], v[55:56], v[37:38]
	v_cndmask_b32_e32 v32, v34, v32, vcc
	v_cndmask_b32_e32 v31, v33, v31, vcc
	v_cndmask_b32_e64 v58, v56, v38, s[10:11]
	v_cndmask_b32_e64 v57, v55, v37, s[10:11]
	v_cmp_nlt_f64_e64 s[12:13], v[57:58], v[35:36]
	v_cndmask_b32_e64 v34, v38, v56, s[10:11]
	v_cndmask_b32_e64 v33, v37, v55, s[10:11]
	s_and_b64 s[54:55], vcc, s[10:11]
	v_cndmask_b32_e64 v60, v58, v36, s[12:13]
	v_cndmask_b32_e64 v59, v57, v35, s[12:13]
	v_cmp_nlt_f64_e64 s[14:15], v[59:60], v[41:42]
	v_cndmask_b32_e64 v38, v36, v58, s[12:13]
	v_cndmask_b32_e64 v37, v35, v57, s[12:13]
	;; [unrolled: 1-line block ×4, first 2 shown]
	v_cmp_nlt_f64_e32 vcc, v[55:56], v[43:44]
	v_cndmask_b32_e64 v36, v42, v60, s[14:15]
	v_cndmask_b32_e64 v35, v41, v59, s[14:15]
	s_and_b64 s[14:15], s[12:13], s[14:15]
	v_cndmask_b32_e32 v58, v56, v44, vcc
	v_cndmask_b32_e32 v57, v55, v43, vcc
	v_cmp_nlt_f64_e64 s[10:11], v[57:58], v[51:52]
	v_cndmask_b32_e32 v42, v44, v56, vcc
	v_cndmask_b32_e32 v41, v43, v55, vcc
	v_cndmask_b32_e64 v56, v58, v52, s[10:11]
	v_cndmask_b32_e64 v55, v57, v51, s[10:11]
	v_cmp_nlt_f64_e64 s[12:13], v[55:56], v[49:50]
	v_cndmask_b32_e64 v44, v52, v58, s[10:11]
	v_cndmask_b32_e64 v43, v51, v57, s[10:11]
	s_and_b64 s[10:11], vcc, s[10:11]
	v_cndmask_b32_e64 v58, v56, v50, s[12:13]
	v_cndmask_b32_e64 v57, v55, v49, s[12:13]
	v_cmp_nlt_f64_e32 vcc, v[57:58], v[47:48]
	v_cndmask_b32_e64 v52, v50, v56, s[12:13]
	v_cndmask_b32_e64 v51, v49, v55, s[12:13]
	s_and_b64 s[12:13], s[10:11], s[12:13]
	v_cndmask_b32_e32 v56, v58, v48, vcc
	v_cndmask_b32_e32 v55, v57, v47, vcc
	v_cmp_nlt_f64_e64 s[10:11], v[55:56], v[45:46]
	v_cndmask_b32_e32 v50, v48, v58, vcc
	v_cndmask_b32_e32 v49, v47, v57, vcc
	s_and_b64 s[12:13], s[12:13], vcc
	v_cndmask_b32_e64 v58, v56, v46, s[10:11]
	v_cndmask_b32_e64 v57, v55, v45, s[10:11]
	v_cmp_nlt_f64_e32 vcc, v[57:58], v[39:40]
	v_cndmask_b32_e64 v48, v46, v56, s[10:11]
	v_cndmask_b32_e64 v47, v45, v55, s[10:11]
	s_and_b64 s[12:13], s[12:13], s[10:11]
	v_cndmask_b32_e32 v60, v58, v40, vcc
	v_cndmask_b32_e32 v59, v57, v39, vcc
	v_cmp_nlt_f64_e64 s[10:11], v[59:60], v[53:54]
	s_and_b64 s[12:13], s[12:13], vcc
	v_cndmask_b32_e32 v46, v40, v58, vcc
	v_cndmask_b32_e32 v45, v39, v57, vcc
	v_cndmask_b32_e64 v56, v60, v54, s[10:11]
	v_cndmask_b32_e64 v55, v59, v53, s[10:11]
	;; [unrolled: 1-line block ×4, first 2 shown]
	s_and_b64 s[10:11], s[12:13], s[10:11]
	s_and_b64 s[10:11], s[10:11], s[14:15]
	;; [unrolled: 1-line block ×3, first 2 shown]
	s_and_b64 s[10:11], exec, s[10:11]
	v_mov_b32_e32 v53, v55
	s_or_b64 s[52:53], s[10:11], s[52:53]
	v_mov_b32_e32 v54, v56
	s_andn2_b64 exec, exec, s[52:53]
	s_cbranch_execnz .LBB191_164
; %bb.165:                              ;   in Loop: Header=BB191_145 Depth=1
	s_or_b64 exec, exec, s[52:53]
	v_add_f64 v[31:32], v[31:32], -1.0
	s_mov_b32 s95, s27
	s_mov_b32 s82, s24
	s_mov_b32 s14, 0
	s_mov_b32 s15, 0x7ff00000
	v_cmp_class_f64_e64 s[54:55], v[9:10], s62
	v_cmp_class_f64_e64 s[52:53], v[11:12], s62
	v_add_f64 v[31:32], v[31:32], v[33:34]
	v_add_f64 v[31:32], v[31:32], v[37:38]
	;; [unrolled: 1-line block ×11, first 2 shown]
	v_add_f64 v[31:32], v[34:35], 1.0
	v_cmp_nge_f64_e64 s[12:13], -1.0, v[34:35]
	v_cmp_neq_f64_e64 s[14:15], s[14:15], v[34:35]
	v_frexp_mant_f64_e32 v[38:39], v[31:32]
	v_frexp_exp_i32_f64_e32 v18, v[31:32]
	v_add_f64 v[36:37], v[31:32], -1.0
	v_cmp_gt_f64_e32 vcc, s[26:27], v[38:39]
	v_add_f64 v[40:41], v[36:37], -v[31:32]
	v_add_f64 v[36:37], v[34:35], -v[36:37]
	v_subbrev_co_u32_e32 v18, vcc, 0, v18, vcc
	v_sub_u32_e32 v33, 0, v18
	v_ldexp_f64 v[31:32], v[31:32], v33
	v_add_f64 v[38:39], v[40:41], 1.0
	v_add_f64 v[40:41], v[31:32], 1.0
	v_add_f64 v[36:37], v[36:37], v[38:39]
	v_add_f64 v[46:47], v[31:32], -1.0
	v_add_f64 v[38:39], v[40:41], -1.0
	v_ldexp_f64 v[36:37], v[36:37], v33
	v_add_f64 v[48:49], v[46:47], 1.0
	v_add_f64 v[38:39], v[31:32], -v[38:39]
	v_add_f64 v[31:32], v[31:32], -v[48:49]
	v_add_f64 v[42:43], v[36:37], v[38:39]
	v_add_f64 v[48:49], v[36:37], v[31:32]
	v_add_f64 v[38:39], v[40:41], v[42:43]
	v_rcp_f64_e32 v[44:45], v[38:39]
	v_add_f64 v[40:41], v[38:39], -v[40:41]
	v_add_f64 v[42:43], v[42:43], -v[40:41]
	v_fma_f64 v[50:51], -v[38:39], v[44:45], 1.0
	v_fma_f64 v[44:45], v[50:51], v[44:45], v[44:45]
	v_add_f64 v[50:51], v[46:47], v[48:49]
	v_fma_f64 v[31:32], -v[38:39], v[44:45], 1.0
	v_add_f64 v[46:47], v[50:51], -v[46:47]
	v_fma_f64 v[31:32], v[31:32], v[44:45], v[44:45]
	v_add_f64 v[46:47], v[48:49], -v[46:47]
	v_mul_f64 v[36:37], v[50:51], v[31:32]
	v_mul_f64 v[44:45], v[38:39], v[36:37]
	v_fma_f64 v[40:41], v[36:37], v[38:39], -v[44:45]
	v_fma_f64 v[52:53], v[36:37], v[42:43], v[40:41]
	v_add_f64 v[54:55], v[44:45], v[52:53]
	v_add_f64 v[40:41], v[50:51], -v[54:55]
	v_add_f64 v[44:45], v[54:55], -v[44:45]
	;; [unrolled: 1-line block ×5, first 2 shown]
	v_add_f64 v[46:47], v[46:47], v[48:49]
	v_max_f64 v[48:49], |v[9:10]|, |v[9:10]|
	v_ashrrev_i32_e32 v9, 31, v10
	v_add_f64 v[44:45], v[44:45], v[46:47]
	v_max_f64 v[46:47], |v[11:12]|, |v[11:12]|
	v_add_f64 v[50:51], v[40:41], v[44:45]
	v_max_f64 v[52:53], v[48:49], v[46:47]
	v_min_f64 v[46:47], v[48:49], v[46:47]
	v_mul_f64 v[48:49], v[31:32], v[50:51]
	v_add_f64 v[40:41], v[40:41], -v[50:51]
	v_div_scale_f64 v[54:55], s[10:11], v[52:53], v[52:53], v[46:47]
	s_mov_b32 s10, 0xb5e68a13
	s_mov_b32 s11, 0x3eeba404
	v_mul_f64 v[56:57], v[38:39], v[48:49]
	v_add_f64 v[40:41], v[44:45], v[40:41]
	v_fma_f64 v[38:39], v[48:49], v[38:39], -v[56:57]
	v_rcp_f64_e32 v[58:59], v[54:55]
	v_fma_f64 v[38:39], v[48:49], v[42:43], v[38:39]
	v_add_f64 v[42:43], v[56:57], v[38:39]
	v_fma_f64 v[60:61], -v[54:55], v[58:59], 1.0
	v_add_f64 v[70:71], v[50:51], -v[42:43]
	v_add_f64 v[44:45], v[42:43], -v[56:57]
	v_fma_f64 v[58:59], v[58:59], v[60:61], v[58:59]
	v_div_scale_f64 v[60:61], vcc, v[46:47], v[52:53], v[46:47]
	v_add_f64 v[50:51], v[50:51], -v[70:71]
	v_add_f64 v[38:39], v[44:45], -v[38:39]
	v_fma_f64 v[72:73], -v[54:55], v[58:59], 1.0
	v_add_f64 v[44:45], v[36:37], v[48:49]
	v_add_f64 v[42:43], v[50:51], -v[42:43]
	v_fma_f64 v[50:51], v[58:59], v[72:73], v[58:59]
	v_add_f64 v[36:37], v[44:45], -v[36:37]
	v_add_f64 v[40:41], v[40:41], v[42:43]
	v_mul_f64 v[42:43], v[60:61], v[50:51]
	v_add_f64 v[36:37], v[48:49], -v[36:37]
	v_add_f64 v[38:39], v[38:39], v[40:41]
	v_fma_f64 v[40:41], -v[54:55], v[42:43], v[60:61]
	v_add_f64 v[38:39], v[70:71], v[38:39]
	v_div_fmas_f64 v[40:41], v[40:41], v[50:51], v[42:43]
	v_cmp_gt_i32_e32 vcc, 0, v10
	v_cndmask_b32_e32 v33, v68, v69, vcc
	v_mul_f64 v[31:32], v[31:32], v[38:39]
	v_add_f64 v[31:32], v[36:37], v[31:32]
	v_div_fixup_f64 v[36:37], v[40:41], v[52:53], v[46:47]
	v_add_f64 v[38:39], v[44:45], v[31:32]
	v_mul_f64 v[40:41], v[36:37], v[36:37]
	v_mul_f64 v[42:43], v[38:39], v[38:39]
	v_fma_f64 v[46:47], v[40:41], s[10:11], v[21:22]
	s_mov_b32 s10, 0x69efb384
	s_mov_b32 s11, 0x3f4b2bb0
	v_fma_f64 v[48:49], v[42:43], s[28:29], v[19:20]
	v_mul_f64 v[50:51], v[38:39], v[42:43]
	v_fma_f64 v[46:47], v[40:41], v[46:47], s[10:11]
	s_mov_b32 s10, 0xaf56de9b
	s_mov_b32 s11, 0xbf67952d
	v_fma_f64 v[48:49], v[42:43], v[48:49], s[30:31]
	v_fma_f64 v[46:47], v[40:41], v[46:47], s[10:11]
	s_mov_b32 s10, 0xa595c56f
	s_mov_b32 s11, 0x3f7d6d43
	v_fma_f64 v[48:49], v[42:43], v[48:49], s[34:35]
	;; [unrolled: 4-line block ×5, first 2 shown]
	v_ldexp_f64 v[48:49], v[38:39], 1
	v_fma_f64 v[46:47], v[40:41], v[46:47], s[10:11]
	s_mov_b32 s10, 0x5711927a
	s_mov_b32 s11, 0x3fa2c15b
	v_add_f64 v[38:39], v[38:39], -v[44:45]
	v_mul_f64 v[42:43], v[50:51], v[42:43]
	v_cvt_f64_i32_e32 v[50:51], v18
	v_fma_f64 v[46:47], v[40:41], v[46:47], s[10:11]
	s_mov_b32 s10, 0xe82d3ff0
	s_mov_b32 s11, 0xbfa59976
	v_mul_f64 v[52:53], v[50:51], s[40:41]
	v_add_f64 v[31:32], v[31:32], -v[38:39]
	v_cndmask_b32_e32 v18, v66, v67, vcc
	v_add_f64 v[44:45], v[48:49], v[42:43]
	v_fma_f64 v[46:47], v[40:41], v[46:47], s[10:11]
	s_mov_b32 s10, 0x6ef28734
	s_mov_b32 s11, 0x3fa82d5d
	v_ldexp_f64 v[31:32], v[31:32], 1
	v_add_f64 v[38:39], v[44:45], -v[48:49]
	v_fma_f64 v[48:49], v[50:51], s[40:41], -v[52:53]
	v_fma_f64 v[46:47], v[40:41], v[46:47], s[10:11]
	v_cmp_eq_f64_e64 s[10:11], 0, v[11:12]
	v_add_f64 v[38:39], v[42:43], -v[38:39]
	v_fma_f64 v[42:43], v[40:41], v[46:47], s[64:65]
	v_fma_f64 v[46:47], v[50:51], s[42:43], v[48:49]
	v_add_f64 v[31:32], v[31:32], v[38:39]
	v_fma_f64 v[38:39], v[40:41], v[42:43], s[66:67]
	v_add_f64 v[42:43], v[52:53], v[46:47]
	v_add_f64 v[48:49], v[44:45], v[31:32]
	v_fma_f64 v[38:39], v[40:41], v[38:39], s[68:69]
	v_add_f64 v[52:53], v[42:43], -v[52:53]
	v_add_f64 v[50:51], v[42:43], v[48:49]
	v_add_f64 v[44:45], v[48:49], -v[44:45]
	v_fma_f64 v[38:39], v[40:41], v[38:39], s[70:71]
	v_add_f64 v[46:47], v[46:47], -v[52:53]
	v_add_f64 v[54:55], v[50:51], -v[42:43]
	;; [unrolled: 1-line block ×3, first 2 shown]
	v_fma_f64 v[38:39], v[40:41], v[38:39], s[72:73]
	v_add_f64 v[56:57], v[50:51], -v[54:55]
	v_add_f64 v[44:45], v[48:49], -v[54:55]
	v_fma_f64 v[38:39], v[40:41], v[38:39], s[74:75]
	v_add_f64 v[48:49], v[46:47], v[31:32]
	v_add_f64 v[42:43], v[42:43], -v[56:57]
	v_fma_f64 v[38:39], v[40:41], v[38:39], s[76:77]
	v_add_f64 v[42:43], v[44:45], v[42:43]
	;; [unrolled: 3-line block ×3, first 2 shown]
	v_add_f64 v[48:49], v[48:49], -v[44:45]
	v_fma_f64 v[38:39], v[40:41], v[38:39], s[80:81]
	v_add_f64 v[31:32], v[31:32], -v[44:45]
	v_add_f64 v[52:53], v[50:51], v[42:43]
	v_mul_f64 v[38:39], v[40:41], v[38:39]
	v_add_f64 v[40:41], v[46:47], -v[48:49]
	v_add_f64 v[44:45], v[52:53], -v[50:51]
	v_fma_f64 v[36:37], v[36:37], v[38:39], v[36:37]
	v_add_f64 v[31:32], v[31:32], v[40:41]
	v_add_f64 v[38:39], v[42:43], -v[44:45]
	v_add_f64 v[40:41], -v[36:37], s[24:25]
	v_add_f64 v[31:32], v[31:32], v[38:39]
	v_cndmask_b32_e64 v37, v37, v41, s[8:9]
	v_cndmask_b32_e64 v36, v36, v40, s[8:9]
	v_add_f64 v[38:39], -v[36:37], s[82:83]
	v_and_b32_e32 v40, 0x54442d18, v9
	v_add_f64 v[31:32], v[52:53], v[31:32]
	v_cndmask_b32_e32 v36, v36, v38, vcc
	v_and_b32_e32 v38, 0x400921fb, v9
	v_cndmask_b32_e64 v36, v36, v40, s[10:11]
	v_mul_f64 v[9:10], v[31:32], 0.5
	v_cndmask_b32_e32 v32, v37, v39, vcc
	v_cndmask_b32_e64 v32, v32, v38, s[10:11]
	s_and_b64 s[10:11], s[12:13], s[14:15]
	v_bfi_b32 v31, s61, v33, v12
	s_and_b64 vcc, s[52:53], s[54:55]
	s_mov_b32 s52, 0x69efb384
	s_mov_b32 s54, 0xb5e68a13
	v_cndmask_b32_e64 v33, 0, v9, s[10:11]
	v_cmp_ngt_f64_e64 s[10:11], -1.0, v[34:35]
	v_cndmask_b32_e64 v10, v63, v10, s[14:15]
	s_mov_b32 s53, 0x3f4b2bb0
	s_mov_b32 s55, 0x3eeba404
	v_cndmask_b32_e32 v32, v32, v31, vcc
	v_cndmask_b32_e32 v31, v36, v18, vcc
	v_cndmask_b32_e64 v9, v64, v10, s[10:11]
	v_cmp_neq_f64_e64 s[10:11], -1.0, v[34:35]
	v_cndmask_b32_e64 v34, v65, v9, s[10:11]
.LBB191_166:                            ;   in Loop: Header=BB191_145 Depth=1
	s_or_b64 exec, exec, s[50:51]
.LBB191_167:                            ;   in Loop: Header=BB191_145 Depth=1
	s_or_b64 exec, exec, s[48:49]
.LBB191_168:                            ;   in Loop: Header=BB191_145 Depth=1
	s_andn2_saveexec_b64 s[14:15], s[46:47]
	s_cbranch_execz .LBB191_170
; %bb.169:                              ;   in Loop: Header=BB191_145 Depth=1
	v_max_f64 v[36:37], |v[11:12]|, |v[11:12]|
	v_max_f64 v[38:39], |v[9:10]|, |v[9:10]|
	v_cmp_class_f64_e64 s[46:47], v[9:10], s62
	v_cmp_class_f64_e64 s[48:49], v[11:12], s62
	s_mov_b32 s95, s27
	s_mov_b32 s82, s24
	v_max_f64 v[31:32], v[38:39], v[36:37]
	v_min_f64 v[36:37], v[38:39], v[36:37]
	v_frexp_exp_i32_f64_e32 v18, v[31:32]
	v_sub_u32_e32 v35, 0, v18
	v_ldexp_f64 v[33:34], |v[11:12]|, v35
	v_ldexp_f64 v[40:41], |v[9:10]|, v35
	v_mul_f64 v[33:34], v[33:34], v[33:34]
	v_fma_f64 v[33:34], v[40:41], v[40:41], v[33:34]
	v_rsq_f64_e32 v[40:41], v[33:34]
	v_cmp_eq_f64_e32 vcc, 0, v[33:34]
	v_mul_f64 v[42:43], v[33:34], v[40:41]
	v_mul_f64 v[40:41], v[40:41], 0.5
	v_fma_f64 v[44:45], -v[40:41], v[42:43], 0.5
	v_fma_f64 v[42:43], v[42:43], v[44:45], v[42:43]
	v_fma_f64 v[40:41], v[40:41], v[44:45], v[40:41]
	v_fma_f64 v[44:45], -v[42:43], v[42:43], v[33:34]
	v_fma_f64 v[40:41], v[44:45], v[40:41], v[42:43]
	v_cndmask_b32_e32 v34, v41, v34, vcc
	v_cndmask_b32_e32 v33, v40, v33, vcc
	v_ldexp_f64 v[33:34], v[33:34], v18
	s_or_b64 vcc, s[48:49], s[46:47]
	v_cndmask_b32_e32 v35, v34, v63, vcc
	v_cndmask_b32_e64 v34, v33, 0, vcc
	v_frexp_mant_f64_e32 v[40:41], v[34:35]
	v_cmp_gt_f64_e64 s[10:11], s[26:27], v[40:41]
	v_cndmask_b32_e64 v9, 0, 1, s[10:11]
	v_ldexp_f64 v[40:41], v[40:41], v9
	v_frexp_exp_i32_f64_e32 v9, v[34:35]
	v_add_f64 v[42:43], v[40:41], 1.0
	v_add_f64 v[48:49], v[40:41], -1.0
	v_rcp_f64_e32 v[44:45], v[42:43]
	v_add_f64 v[52:53], v[42:43], -1.0
	v_add_f64 v[40:41], v[40:41], -v[52:53]
	v_fma_f64 v[46:47], -v[42:43], v[44:45], 1.0
	v_fma_f64 v[38:39], v[46:47], v[44:45], v[44:45]
	v_div_scale_f64 v[44:45], s[12:13], v[31:32], v[31:32], v[36:37]
	s_mov_b32 s12, 0xaf56de9b
	s_mov_b32 s13, 0xbf67952d
	v_fma_f64 v[46:47], -v[42:43], v[38:39], 1.0
	v_fma_f64 v[38:39], v[46:47], v[38:39], v[38:39]
	v_rcp_f64_e32 v[46:47], v[44:45]
	v_mul_f64 v[50:51], v[48:49], v[38:39]
	v_mul_f64 v[54:55], v[42:43], v[50:51]
	v_fma_f64 v[56:57], -v[44:45], v[46:47], 1.0
	v_fma_f64 v[42:43], v[50:51], v[42:43], -v[54:55]
	v_fma_f64 v[46:47], v[46:47], v[56:57], v[46:47]
	v_fma_f64 v[40:41], v[50:51], v[40:41], v[42:43]
	v_div_scale_f64 v[42:43], vcc, v[36:37], v[31:32], v[36:37]
	v_fma_f64 v[52:53], -v[44:45], v[46:47], 1.0
	v_add_f64 v[56:57], v[54:55], v[40:41]
	v_fma_f64 v[46:47], v[46:47], v[52:53], v[46:47]
	v_add_f64 v[52:53], v[48:49], -v[56:57]
	v_add_f64 v[54:55], v[56:57], -v[54:55]
	v_mul_f64 v[58:59], v[42:43], v[46:47]
	v_add_f64 v[48:49], v[48:49], -v[52:53]
	v_add_f64 v[40:41], v[54:55], -v[40:41]
	v_fma_f64 v[42:43], -v[44:45], v[58:59], v[42:43]
	v_add_f64 v[44:45], v[48:49], -v[56:57]
	v_div_fmas_f64 v[42:43], v[42:43], v[46:47], v[58:59]
	v_subbrev_co_u32_e64 v9, vcc, 0, v9, s[10:11]
	s_mov_b32 s10, 0x6ef28734
	s_mov_b32 s11, 0x3fa82d5d
	v_add_f64 v[40:41], v[40:41], v[44:45]
	v_cmp_gt_i32_e32 vcc, 0, v10
	v_cndmask_b32_e32 v18, v66, v67, vcc
	v_add_f64 v[40:41], v[52:53], v[40:41]
	v_div_fixup_f64 v[31:32], v[42:43], v[31:32], v[36:37]
	v_mul_f64 v[36:37], v[38:39], v[40:41]
	v_mul_f64 v[38:39], v[31:32], v[31:32]
	v_add_f64 v[40:41], v[50:51], v[36:37]
	v_fma_f64 v[42:43], v[38:39], s[54:55], v[21:22]
	v_mul_f64 v[44:45], v[40:41], v[40:41]
	v_fma_f64 v[42:43], v[38:39], v[42:43], s[52:53]
	v_fma_f64 v[46:47], v[44:45], s[28:29], v[19:20]
	v_mul_f64 v[48:49], v[40:41], v[44:45]
	v_fma_f64 v[42:43], v[38:39], v[42:43], s[12:13]
	s_mov_b32 s12, 0xa595c56f
	s_mov_b32 s13, 0x3f7d6d43
	v_fma_f64 v[46:47], v[44:45], v[46:47], s[30:31]
	v_fma_f64 v[42:43], v[38:39], v[42:43], s[12:13]
	s_mov_b32 s12, 0xa57d9582
	s_mov_b32 s13, 0xbf8c6ea4
	v_fma_f64 v[46:47], v[44:45], v[46:47], s[34:35]
	;; [unrolled: 4-line block ×5, first 2 shown]
	v_ldexp_f64 v[46:47], v[40:41], 1
	v_add_f64 v[40:41], v[40:41], -v[50:51]
	v_fma_f64 v[42:43], v[38:39], v[42:43], s[12:13]
	s_mov_b32 s12, 0xe82d3ff0
	s_mov_b32 s13, 0xbfa59976
	v_cvt_f64_i32_e32 v[50:51], v9
	v_ashrrev_i32_e32 v9, 31, v10
	v_mul_f64 v[44:45], v[48:49], v[44:45]
	v_and_b32_e32 v33, 0x54442d18, v9
	v_mul_f64 v[52:53], v[50:51], s[40:41]
	v_fma_f64 v[42:43], v[38:39], v[42:43], s[12:13]
	v_add_f64 v[36:37], v[36:37], -v[40:41]
	v_cmp_class_f64_e64 s[12:13], v[34:35], s62
	v_add_f64 v[48:49], v[46:47], v[44:45]
	v_fma_f64 v[42:43], v[38:39], v[42:43], s[10:11]
	v_ldexp_f64 v[36:37], v[36:37], 1
	v_cmp_eq_f64_e64 s[10:11], 0, v[11:12]
	v_add_f64 v[40:41], v[48:49], -v[46:47]
	v_fma_f64 v[46:47], v[50:51], s[40:41], -v[52:53]
	v_fma_f64 v[42:43], v[38:39], v[42:43], s[64:65]
	v_add_f64 v[40:41], v[44:45], -v[40:41]
	v_fma_f64 v[44:45], v[50:51], s[42:43], v[46:47]
	v_fma_f64 v[42:43], v[38:39], v[42:43], s[66:67]
	v_add_f64 v[36:37], v[36:37], v[40:41]
	v_fma_f64 v[40:41], v[38:39], v[42:43], s[68:69]
	v_add_f64 v[42:43], v[52:53], v[44:45]
	v_add_f64 v[46:47], v[48:49], v[36:37]
	v_fma_f64 v[40:41], v[38:39], v[40:41], s[70:71]
	v_add_f64 v[52:53], v[42:43], -v[52:53]
	v_add_f64 v[50:51], v[42:43], v[46:47]
	v_add_f64 v[48:49], v[46:47], -v[48:49]
	v_fma_f64 v[40:41], v[38:39], v[40:41], s[72:73]
	v_add_f64 v[44:45], v[44:45], -v[52:53]
	v_add_f64 v[54:55], v[50:51], -v[42:43]
	;; [unrolled: 1-line block ×3, first 2 shown]
	v_fma_f64 v[40:41], v[38:39], v[40:41], s[74:75]
	v_add_f64 v[56:57], v[50:51], -v[54:55]
	v_add_f64 v[46:47], v[46:47], -v[54:55]
	v_add_f64 v[48:49], v[44:45], v[36:37]
	v_fma_f64 v[40:41], v[38:39], v[40:41], s[76:77]
	v_add_f64 v[42:43], v[42:43], -v[56:57]
	v_fma_f64 v[40:41], v[38:39], v[40:41], s[78:79]
	v_add_f64 v[42:43], v[46:47], v[42:43]
	v_add_f64 v[46:47], v[48:49], -v[44:45]
	v_fma_f64 v[40:41], v[38:39], v[40:41], s[80:81]
	v_add_f64 v[42:43], v[48:49], v[42:43]
	v_add_f64 v[36:37], v[36:37], -v[46:47]
	v_mul_f64 v[38:39], v[38:39], v[40:41]
	v_add_f64 v[40:41], v[48:49], -v[46:47]
	v_add_f64 v[48:49], v[50:51], v[42:43]
	v_fma_f64 v[31:32], v[31:32], v[38:39], v[31:32]
	v_add_f64 v[38:39], v[44:45], -v[40:41]
	v_add_f64 v[40:41], v[48:49], -v[50:51]
	v_add_f64 v[44:45], -v[31:32], s[24:25]
	v_add_f64 v[36:37], v[36:37], v[38:39]
	v_add_f64 v[38:39], v[42:43], -v[40:41]
	v_cndmask_b32_e64 v32, v32, v45, s[8:9]
	v_cndmask_b32_e64 v31, v31, v44, s[8:9]
	v_add_f64 v[40:41], -v[31:32], s[82:83]
	v_add_f64 v[36:37], v[36:37], v[38:39]
	v_and_b32_e32 v39, 0x400921fb, v9
	v_cndmask_b32_e32 v38, v68, v69, vcc
	v_cndmask_b32_e32 v31, v31, v40, vcc
	;; [unrolled: 1-line block ×3, first 2 shown]
	v_cndmask_b32_e64 v31, v31, v33, s[10:11]
	v_add_f64 v[9:10], v[48:49], v[36:37]
	v_cndmask_b32_e64 v32, v32, v39, s[10:11]
	v_cmp_ngt_f64_e64 s[10:11], 0, v[34:35]
	v_bfi_b32 v36, s61, v38, v12
	s_and_b64 vcc, s[48:49], s[46:47]
	v_cndmask_b32_e32 v32, v32, v36, vcc
	v_cndmask_b32_e32 v31, v31, v18, vcc
	v_cndmask_b32_e64 v10, v10, v35, s[12:13]
	v_cndmask_b32_e64 v9, v9, v34, s[12:13]
	;; [unrolled: 1-line block ×3, first 2 shown]
	v_cmp_nge_f64_e64 s[10:11], 0, v[34:35]
	v_cndmask_b32_e64 v33, 0, v9, s[10:11]
	v_cmp_neq_f64_e64 s[10:11], 0, v[34:35]
	v_cndmask_b32_e64 v34, v65, v10, s[10:11]
.LBB191_170:                            ;   in Loop: Header=BB191_145 Depth=1
	s_or_b64 exec, exec, s[14:15]
                                        ; implicit-def: $vgpr37_vgpr38
.LBB191_171:                            ;   in Loop: Header=BB191_145 Depth=1
	s_andn2_saveexec_b64 s[14:15], s[44:45]
	s_cbranch_execz .LBB191_177
; %bb.172:                              ;   in Loop: Header=BB191_145 Depth=1
	s_mov_b32 s10, 0x6a3f9475
	s_mov_b32 s11, 0x20ca2fe7
	v_cmp_ngt_f64_e32 vcc, s[10:11], v[37:38]
                                        ; implicit-def: $vgpr33_vgpr34
                                        ; implicit-def: $vgpr31_vgpr32
	s_and_saveexec_b64 s[10:11], vcc
	s_xor_b64 s[44:45], exec, s[10:11]
	s_cbranch_execz .LBB191_174
; %bb.173:                              ;   in Loop: Header=BB191_145 Depth=1
	v_mul_f64 v[31:32], v[37:38], v[37:38]
	s_mov_b32 s95, s27
	s_mov_b32 s82, s24
	;; [unrolled: 1-line block ×3, first 2 shown]
	v_cmp_class_f64_e64 s[46:47], v[11:12], s62
	v_cmp_class_f64_e64 s[48:49], v[9:10], s62
	s_mov_b32 s13, 0x7ff00000
	v_add_f64 v[33:34], v[31:32], 1.0
	v_cmp_neq_f64_e64 s[12:13], s[12:13], v[31:32]
	v_frexp_mant_f64_e32 v[37:38], v[33:34]
	v_frexp_exp_i32_f64_e32 v18, v[33:34]
	v_add_f64 v[35:36], v[33:34], -1.0
	v_cmp_gt_f64_e32 vcc, s[26:27], v[37:38]
	v_add_f64 v[39:40], v[35:36], -v[33:34]
	v_add_f64 v[35:36], v[31:32], -v[35:36]
	v_subbrev_co_u32_e32 v18, vcc, 0, v18, vcc
	v_sub_u32_e32 v41, 0, v18
	v_ldexp_f64 v[33:34], v[33:34], v41
	v_add_f64 v[37:38], v[39:40], 1.0
	v_add_f64 v[39:40], v[33:34], 1.0
	v_add_f64 v[35:36], v[35:36], v[37:38]
	v_add_f64 v[45:46], v[33:34], -1.0
	v_add_f64 v[37:38], v[39:40], -1.0
	v_ldexp_f64 v[35:36], v[35:36], v41
	v_add_f64 v[47:48], v[45:46], 1.0
	v_add_f64 v[37:38], v[33:34], -v[37:38]
	v_add_f64 v[33:34], v[33:34], -v[47:48]
	v_add_f64 v[41:42], v[35:36], v[37:38]
	v_add_f64 v[47:48], v[35:36], v[33:34]
	;; [unrolled: 1-line block ×3, first 2 shown]
	v_rcp_f64_e32 v[43:44], v[37:38]
	v_add_f64 v[39:40], v[39:40], -v[37:38]
	v_add_f64 v[41:42], v[41:42], v[39:40]
	v_fma_f64 v[49:50], -v[37:38], v[43:44], 1.0
	v_fma_f64 v[43:44], v[49:50], v[43:44], v[43:44]
	v_add_f64 v[49:50], v[45:46], v[47:48]
	v_fma_f64 v[33:34], -v[37:38], v[43:44], 1.0
	v_add_f64 v[45:46], v[45:46], -v[49:50]
	v_fma_f64 v[33:34], v[33:34], v[43:44], v[43:44]
	v_add_f64 v[45:46], v[47:48], v[45:46]
	v_mul_f64 v[35:36], v[49:50], v[33:34]
	v_mul_f64 v[43:44], v[37:38], v[35:36]
	v_fma_f64 v[39:40], v[35:36], v[37:38], -v[43:44]
	v_fma_f64 v[51:52], v[35:36], v[41:42], v[39:40]
	v_add_f64 v[53:54], v[43:44], v[51:52]
	v_add_f64 v[39:40], v[49:50], -v[53:54]
	v_add_f64 v[43:44], v[53:54], -v[43:44]
	;; [unrolled: 1-line block ×5, first 2 shown]
	v_add_f64 v[45:46], v[45:46], v[47:48]
	v_max_f64 v[47:48], |v[9:10]|, |v[9:10]|
	v_ashrrev_i32_e32 v9, 31, v10
	v_add_f64 v[43:44], v[43:44], v[45:46]
	v_max_f64 v[45:46], |v[11:12]|, |v[11:12]|
	v_add_f64 v[49:50], v[39:40], v[43:44]
	v_max_f64 v[51:52], v[47:48], v[45:46]
	v_min_f64 v[45:46], v[47:48], v[45:46]
	v_mul_f64 v[47:48], v[33:34], v[49:50]
	v_add_f64 v[39:40], v[39:40], -v[49:50]
	v_div_scale_f64 v[53:54], s[10:11], v[51:52], v[51:52], v[45:46]
	s_mov_b32 s10, 0xaf56de9b
	s_mov_b32 s11, 0xbf67952d
	v_mul_f64 v[55:56], v[37:38], v[47:48]
	v_add_f64 v[39:40], v[43:44], v[39:40]
	v_fma_f64 v[37:38], v[47:48], v[37:38], -v[55:56]
	v_rcp_f64_e32 v[57:58], v[53:54]
	v_fma_f64 v[37:38], v[47:48], v[41:42], v[37:38]
	v_add_f64 v[41:42], v[55:56], v[37:38]
	v_fma_f64 v[59:60], -v[53:54], v[57:58], 1.0
	v_add_f64 v[61:62], v[49:50], -v[41:42]
	v_add_f64 v[43:44], v[41:42], -v[55:56]
	v_fma_f64 v[57:58], v[57:58], v[59:60], v[57:58]
	v_div_scale_f64 v[59:60], vcc, v[45:46], v[51:52], v[45:46]
	v_add_f64 v[49:50], v[49:50], -v[61:62]
	v_add_f64 v[37:38], v[43:44], -v[37:38]
	v_fma_f64 v[70:71], -v[53:54], v[57:58], 1.0
	v_add_f64 v[43:44], v[35:36], v[47:48]
	v_add_f64 v[41:42], v[49:50], -v[41:42]
	v_fma_f64 v[49:50], v[57:58], v[70:71], v[57:58]
	v_add_f64 v[35:36], v[43:44], -v[35:36]
	v_add_f64 v[39:40], v[39:40], v[41:42]
	v_mul_f64 v[41:42], v[59:60], v[49:50]
	v_add_f64 v[35:36], v[47:48], -v[35:36]
	v_add_f64 v[37:38], v[37:38], v[39:40]
	v_fma_f64 v[39:40], -v[53:54], v[41:42], v[59:60]
	v_add_f64 v[37:38], v[61:62], v[37:38]
	v_div_fmas_f64 v[39:40], v[39:40], v[49:50], v[41:42]
	v_cmp_gt_i32_e32 vcc, 0, v10
	v_mul_f64 v[33:34], v[33:34], v[37:38]
	v_add_f64 v[33:34], v[35:36], v[33:34]
	v_div_fixup_f64 v[35:36], v[39:40], v[51:52], v[45:46]
	v_add_f64 v[37:38], v[43:44], v[33:34]
	v_mul_f64 v[39:40], v[35:36], v[35:36]
	v_mul_f64 v[41:42], v[37:38], v[37:38]
	v_fma_f64 v[45:46], v[39:40], s[54:55], v[21:22]
	v_fma_f64 v[47:48], v[41:42], s[28:29], v[19:20]
	v_mul_f64 v[49:50], v[37:38], v[41:42]
	v_fma_f64 v[45:46], v[39:40], v[45:46], s[52:53]
	v_fma_f64 v[47:48], v[41:42], v[47:48], s[30:31]
	;; [unrolled: 1-line block ×3, first 2 shown]
	s_mov_b32 s10, 0xa595c56f
	s_mov_b32 s11, 0x3f7d6d43
	v_fma_f64 v[47:48], v[41:42], v[47:48], s[34:35]
	v_fma_f64 v[45:46], v[39:40], v[45:46], s[10:11]
	s_mov_b32 s10, 0xa57d9582
	s_mov_b32 s11, 0xbf8c6ea4
	v_fma_f64 v[47:48], v[41:42], v[47:48], s[36:37]
	v_fma_f64 v[45:46], v[39:40], v[45:46], s[10:11]
	;; [unrolled: 4-line block ×3, first 2 shown]
	s_mov_b32 s10, 0xfc27006a
	s_mov_b32 s11, 0xbf9e9ae6
	v_fma_f64 v[41:42], v[41:42], v[47:48], s[94:95]
	v_ldexp_f64 v[47:48], v[37:38], 1
	v_fma_f64 v[45:46], v[39:40], v[45:46], s[10:11]
	s_mov_b32 s10, 0x5711927a
	s_mov_b32 s11, 0x3fa2c15b
	v_add_f64 v[37:38], v[37:38], -v[43:44]
	v_mul_f64 v[41:42], v[49:50], v[41:42]
	v_cvt_f64_i32_e32 v[49:50], v18
	v_fma_f64 v[45:46], v[39:40], v[45:46], s[10:11]
	s_mov_b32 s10, 0xe82d3ff0
	s_mov_b32 s11, 0xbfa59976
	v_mul_f64 v[51:52], v[49:50], s[40:41]
	v_add_f64 v[33:34], v[33:34], -v[37:38]
	v_cndmask_b32_e32 v18, v66, v67, vcc
	v_add_f64 v[43:44], v[47:48], v[41:42]
	v_fma_f64 v[45:46], v[39:40], v[45:46], s[10:11]
	s_mov_b32 s10, 0x6ef28734
	s_mov_b32 s11, 0x3fa82d5d
	v_ldexp_f64 v[33:34], v[33:34], 1
	v_add_f64 v[37:38], v[43:44], -v[47:48]
	v_fma_f64 v[47:48], v[49:50], s[40:41], -v[51:52]
	v_fma_f64 v[45:46], v[39:40], v[45:46], s[10:11]
	v_cmp_eq_f64_e64 s[10:11], 0, v[11:12]
	v_add_f64 v[37:38], v[41:42], -v[37:38]
	v_fma_f64 v[41:42], v[39:40], v[45:46], s[64:65]
	v_fma_f64 v[45:46], v[49:50], s[42:43], v[47:48]
	v_add_f64 v[33:34], v[33:34], v[37:38]
	v_fma_f64 v[37:38], v[39:40], v[41:42], s[66:67]
	v_add_f64 v[41:42], v[51:52], v[45:46]
	v_add_f64 v[47:48], v[43:44], v[33:34]
	v_fma_f64 v[37:38], v[39:40], v[37:38], s[68:69]
	v_add_f64 v[51:52], v[41:42], -v[51:52]
	v_add_f64 v[49:50], v[41:42], v[47:48]
	v_add_f64 v[43:44], v[47:48], -v[43:44]
	v_fma_f64 v[37:38], v[39:40], v[37:38], s[70:71]
	v_add_f64 v[45:46], v[45:46], -v[51:52]
	v_add_f64 v[53:54], v[49:50], -v[41:42]
	;; [unrolled: 1-line block ×3, first 2 shown]
	v_fma_f64 v[37:38], v[39:40], v[37:38], s[72:73]
	v_add_f64 v[55:56], v[49:50], -v[53:54]
	v_add_f64 v[43:44], v[47:48], -v[53:54]
	v_fma_f64 v[37:38], v[39:40], v[37:38], s[74:75]
	v_add_f64 v[47:48], v[45:46], v[33:34]
	v_add_f64 v[41:42], v[41:42], -v[55:56]
	v_fma_f64 v[37:38], v[39:40], v[37:38], s[76:77]
	v_add_f64 v[41:42], v[43:44], v[41:42]
	;; [unrolled: 3-line block ×3, first 2 shown]
	v_add_f64 v[47:48], v[47:48], -v[43:44]
	v_fma_f64 v[37:38], v[39:40], v[37:38], s[80:81]
	v_add_f64 v[33:34], v[33:34], -v[43:44]
	v_add_f64 v[51:52], v[49:50], v[41:42]
	v_mul_f64 v[37:38], v[39:40], v[37:38]
	v_add_f64 v[39:40], v[45:46], -v[47:48]
	v_add_f64 v[43:44], v[51:52], -v[49:50]
	v_fma_f64 v[35:36], v[35:36], v[37:38], v[35:36]
	v_add_f64 v[33:34], v[33:34], v[39:40]
	v_add_f64 v[37:38], v[41:42], -v[43:44]
	v_add_f64 v[39:40], -v[35:36], s[24:25]
	v_add_f64 v[33:34], v[33:34], v[37:38]
	v_cndmask_b32_e64 v36, v36, v40, s[8:9]
	v_cndmask_b32_e64 v35, v35, v39, s[8:9]
	v_add_f64 v[37:38], -v[35:36], s[82:83]
	v_and_b32_e32 v39, 0x54442d18, v9
	v_and_b32_e32 v40, 0x400921fb, v9
	v_add_f64 v[33:34], v[51:52], v[33:34]
	v_cndmask_b32_e32 v35, v35, v37, vcc
	v_cndmask_b32_e32 v37, v68, v69, vcc
	;; [unrolled: 1-line block ×3, first 2 shown]
	v_bfi_b32 v31, s61, v37, v12
	v_mul_f64 v[9:10], v[33:34], 0.5
	v_cndmask_b32_e64 v35, v35, v39, s[10:11]
	v_cndmask_b32_e64 v32, v32, v40, s[10:11]
	s_and_b64 vcc, s[46:47], s[48:49]
	v_cndmask_b32_e32 v32, v32, v31, vcc
	v_cndmask_b32_e32 v31, v35, v18, vcc
                                        ; implicit-def: $vgpr37_vgpr38
	v_cndmask_b32_e64 v34, v63, v10, s[12:13]
	v_cndmask_b32_e64 v33, 0, v9, s[12:13]
.LBB191_174:                            ;   in Loop: Header=BB191_145 Depth=1
	s_andn2_saveexec_b64 s[12:13], s[44:45]
	s_cbranch_execz .LBB191_176
; %bb.175:                              ;   in Loop: Header=BB191_145 Depth=1
	v_max_f64 v[31:32], |v[11:12]|, |v[11:12]|
	v_max_f64 v[33:34], |v[9:10]|, |v[9:10]|
	s_mov_b32 s82, s24
	v_cmp_class_f64_e64 s[44:45], v[11:12], s62
	v_cmp_class_f64_e64 s[46:47], v[9:10], s62
	v_ashrrev_i32_e32 v18, 31, v10
	v_max_f64 v[35:36], v[33:34], v[31:32]
	v_min_f64 v[31:32], v[33:34], v[31:32]
	v_div_scale_f64 v[33:34], s[10:11], v[35:36], v[35:36], v[31:32]
	s_mov_b32 s10, 0xaf56de9b
	s_mov_b32 s11, 0xbf67952d
	v_rcp_f64_e32 v[39:40], v[33:34]
	v_fma_f64 v[41:42], -v[33:34], v[39:40], 1.0
	v_fma_f64 v[39:40], v[39:40], v[41:42], v[39:40]
	v_div_scale_f64 v[41:42], vcc, v[31:32], v[35:36], v[31:32]
	v_fma_f64 v[43:44], -v[33:34], v[39:40], 1.0
	v_fma_f64 v[39:40], v[39:40], v[43:44], v[39:40]
	v_mul_f64 v[43:44], v[41:42], v[39:40]
	v_fma_f64 v[33:34], -v[33:34], v[43:44], v[41:42]
	v_and_b32_e32 v41, 0x54442d18, v18
	v_div_fmas_f64 v[33:34], v[33:34], v[39:40], v[43:44]
	v_mul_f64 v[39:40], v[37:38], 0.5
	v_cmp_gt_i32_e32 vcc, 0, v10
	v_cndmask_b32_e32 v9, v68, v69, vcc
	v_and_b32_e32 v10, 0x400921fb, v18
	v_bfi_b32 v9, s61, v9, v12
	v_div_fixup_f64 v[31:32], v[33:34], v[35:36], v[31:32]
	v_mul_f64 v[33:34], v[31:32], v[31:32]
	v_fma_f64 v[35:36], v[33:34], s[54:55], v[21:22]
	v_fma_f64 v[35:36], v[33:34], v[35:36], s[52:53]
	;; [unrolled: 1-line block ×3, first 2 shown]
	s_mov_b32 s10, 0xa595c56f
	s_mov_b32 s11, 0x3f7d6d43
	v_fma_f64 v[35:36], v[33:34], v[35:36], s[10:11]
	s_mov_b32 s10, 0xa57d9582
	s_mov_b32 s11, 0xbf8c6ea4
	v_fma_f64 v[35:36], v[33:34], v[35:36], s[10:11]
	;; [unrolled: 3-line block ×7, first 2 shown]
	v_cmp_eq_f64_e64 s[10:11], 0, v[11:12]
	v_fma_f64 v[35:36], v[33:34], v[35:36], s[64:65]
	v_fma_f64 v[35:36], v[33:34], v[35:36], s[66:67]
	;; [unrolled: 1-line block ×9, first 2 shown]
	v_mul_f64 v[33:34], v[33:34], v[35:36]
	v_cndmask_b32_e32 v36, v66, v67, vcc
	v_fma_f64 v[31:32], v[31:32], v[33:34], v[31:32]
	v_add_f64 v[33:34], -v[31:32], s[24:25]
	v_cndmask_b32_e64 v32, v32, v34, s[8:9]
	v_cndmask_b32_e64 v31, v31, v33, s[8:9]
	v_add_f64 v[34:35], -v[31:32], s[82:83]
	v_cndmask_b32_e32 v31, v31, v34, vcc
	v_mul_f64 v[33:34], v[37:38], v[39:40]
	v_cndmask_b32_e32 v18, v32, v35, vcc
	v_cndmask_b32_e64 v31, v31, v41, s[10:11]
	v_cndmask_b32_e64 v10, v18, v10, s[10:11]
	s_and_b64 vcc, s[44:45], s[46:47]
	v_cndmask_b32_e32 v32, v10, v9, vcc
	v_cndmask_b32_e32 v31, v31, v36, vcc
.LBB191_176:                            ;   in Loop: Header=BB191_145 Depth=1
	s_or_b64 exec, exec, s[12:13]
.LBB191_177:                            ;   in Loop: Header=BB191_145 Depth=1
	s_or_b64 exec, exec, s[14:15]
.LBB191_178:                            ;   in Loop: Header=BB191_145 Depth=1
	s_andn2_saveexec_b64 s[12:13], s[20:21]
	s_cbranch_execz .LBB191_180
; %bb.179:                              ;   in Loop: Header=BB191_145 Depth=1
	v_div_scale_f64 v[31:32], s[10:11], s[88:89], s[88:89], v[9:10]
	v_div_scale_f64 v[33:34], s[10:11], s[88:89], s[88:89], v[11:12]
	;; [unrolled: 1-line block ×3, first 2 shown]
	s_mov_b32 s95, s27
	s_mov_b32 s82, s24
	v_cmp_class_f64_e64 s[20:21], v[9:10], s62
	v_rcp_f64_e32 v[35:36], v[31:32]
	v_rcp_f64_e32 v[37:38], v[33:34]
	v_fma_f64 v[39:40], -v[31:32], v[35:36], 1.0
	v_fma_f64 v[41:42], -v[33:34], v[37:38], 1.0
	v_fma_f64 v[35:36], v[35:36], v[39:40], v[35:36]
	v_div_scale_f64 v[39:40], vcc, v[9:10], s[88:89], v[9:10]
	v_fma_f64 v[37:38], v[37:38], v[41:42], v[37:38]
	v_fma_f64 v[41:42], -v[31:32], v[35:36], 1.0
	v_fma_f64 v[45:46], -v[33:34], v[37:38], 1.0
	v_fma_f64 v[35:36], v[35:36], v[41:42], v[35:36]
	v_fma_f64 v[37:38], v[37:38], v[45:46], v[37:38]
	v_mul_f64 v[41:42], v[39:40], v[35:36]
	v_mul_f64 v[45:46], v[43:44], v[37:38]
	v_fma_f64 v[31:32], -v[31:32], v[41:42], v[39:40]
	v_fma_f64 v[33:34], -v[33:34], v[45:46], v[43:44]
	v_div_fmas_f64 v[31:32], v[31:32], v[35:36], v[41:42]
	s_mov_b64 vcc, s[10:11]
	v_div_fmas_f64 v[33:34], v[33:34], v[37:38], v[45:46]
	v_max_f64 v[44:45], |v[9:10]|, |v[9:10]|
	v_div_fixup_f64 v[31:32], v[31:32], s[88:89], v[9:10]
	v_ashrrev_i32_e32 v9, 31, v10
	v_div_fixup_f64 v[33:34], v[33:34], s[88:89], v[11:12]
	v_cmp_class_f64_e64 s[10:11], v[31:32], s62
	v_max_f64 v[35:36], |v[31:32]|, |v[33:34]|
	v_cmp_class_f64_e64 s[14:15], v[33:34], s62
	v_frexp_exp_i32_f64_e32 v18, v[35:36]
	v_sub_u32_e32 v37, 0, v18
	v_ldexp_f64 v[35:36], |v[33:34]|, v37
	v_ldexp_f64 v[37:38], |v[31:32]|, v37
	v_mul_f64 v[35:36], v[35:36], v[35:36]
	v_fma_f64 v[35:36], v[37:38], v[37:38], v[35:36]
	v_rsq_f64_e32 v[37:38], v[35:36]
	v_cmp_eq_f64_e32 vcc, 0, v[35:36]
	v_mul_f64 v[39:40], v[35:36], v[37:38]
	v_mul_f64 v[37:38], v[37:38], 0.5
	v_fma_f64 v[41:42], -v[37:38], v[39:40], 0.5
	v_fma_f64 v[39:40], v[39:40], v[41:42], v[39:40]
	v_fma_f64 v[37:38], v[37:38], v[41:42], v[37:38]
	v_fma_f64 v[41:42], -v[39:40], v[39:40], v[35:36]
	v_fma_f64 v[37:38], v[41:42], v[37:38], v[39:40]
	v_max_f64 v[42:43], |v[11:12]|, |v[11:12]|
	v_cndmask_b32_e32 v36, v38, v36, vcc
	v_cndmask_b32_e32 v35, v37, v35, vcc
	v_ldexp_f64 v[35:36], v[35:36], v18
	v_cmp_o_f64_e32 vcc, v[31:32], v[33:34]
	v_cndmask_b32_e32 v18, 0, v35, vcc
	v_cndmask_b32_e32 v31, v64, v36, vcc
	s_or_b64 vcc, s[14:15], s[10:11]
	v_cndmask_b32_e32 v35, v31, v63, vcc
	v_cndmask_b32_e64 v34, v18, 0, vcc
	v_frexp_mant_f64_e32 v[31:32], v[34:35]
	v_cmp_gt_f64_e64 s[10:11], s[26:27], v[31:32]
	v_cndmask_b32_e64 v18, 0, 1, s[10:11]
	v_ldexp_f64 v[31:32], v[31:32], v18
	v_frexp_exp_i32_f64_e32 v18, v[34:35]
	v_add_f64 v[36:37], v[31:32], 1.0
	v_add_f64 v[48:49], v[31:32], -1.0
	v_rcp_f64_e32 v[38:39], v[36:37]
	v_add_f64 v[52:53], v[36:37], -1.0
	v_add_f64 v[31:32], v[31:32], -v[52:53]
	v_fma_f64 v[40:41], -v[36:37], v[38:39], 1.0
	v_fma_f64 v[38:39], v[40:41], v[38:39], v[38:39]
	v_max_f64 v[40:41], v[44:45], v[42:43]
	v_min_f64 v[42:43], v[44:45], v[42:43]
	v_fma_f64 v[44:45], -v[36:37], v[38:39], 1.0
	v_div_scale_f64 v[46:47], s[14:15], v[40:41], v[40:41], v[42:43]
	s_mov_b32 s14, 0xaf56de9b
	s_mov_b32 s15, 0xbf67952d
	v_fma_f64 v[38:39], v[44:45], v[38:39], v[38:39]
	v_mul_f64 v[44:45], v[48:49], v[38:39]
	v_rcp_f64_e32 v[50:51], v[46:47]
	v_mul_f64 v[54:55], v[36:37], v[44:45]
	v_fma_f64 v[36:37], v[44:45], v[36:37], -v[54:55]
	v_fma_f64 v[52:53], -v[46:47], v[50:51], 1.0
	v_fma_f64 v[31:32], v[44:45], v[31:32], v[36:37]
	v_fma_f64 v[36:37], v[50:51], v[52:53], v[50:51]
	v_div_scale_f64 v[52:53], vcc, v[42:43], v[40:41], v[42:43]
	v_add_f64 v[50:51], v[54:55], v[31:32]
	v_fma_f64 v[56:57], -v[46:47], v[36:37], 1.0
	v_add_f64 v[58:59], v[48:49], -v[50:51]
	v_add_f64 v[54:55], v[50:51], -v[54:55]
	v_fma_f64 v[36:37], v[36:37], v[56:57], v[36:37]
	v_add_f64 v[48:49], v[48:49], -v[58:59]
	v_add_f64 v[31:32], v[54:55], -v[31:32]
	v_mul_f64 v[56:57], v[52:53], v[36:37]
	v_add_f64 v[48:49], v[48:49], -v[50:51]
	v_fma_f64 v[46:47], -v[46:47], v[56:57], v[52:53]
	v_add_f64 v[31:32], v[31:32], v[48:49]
	v_div_fmas_f64 v[36:37], v[46:47], v[36:37], v[56:57]
	v_subbrev_co_u32_e64 v18, vcc, 0, v18, s[10:11]
	s_mov_b32 s10, 0xe82d3ff0
	s_mov_b32 s11, 0xbfa59976
	v_cmp_gt_i32_e32 vcc, 0, v10
	v_add_f64 v[31:32], v[58:59], v[31:32]
	v_cndmask_b32_e32 v33, v68, v69, vcc
	v_mul_f64 v[31:32], v[38:39], v[31:32]
	v_div_fixup_f64 v[36:37], v[36:37], v[40:41], v[42:43]
	v_add_f64 v[38:39], v[44:45], v[31:32]
	v_mul_f64 v[40:41], v[36:37], v[36:37]
	v_mul_f64 v[42:43], v[38:39], v[38:39]
	v_fma_f64 v[46:47], v[40:41], s[54:55], v[21:22]
	v_fma_f64 v[48:49], v[42:43], s[28:29], v[19:20]
	v_mul_f64 v[50:51], v[38:39], v[42:43]
	v_fma_f64 v[46:47], v[40:41], v[46:47], s[52:53]
	v_fma_f64 v[48:49], v[42:43], v[48:49], s[30:31]
	;; [unrolled: 1-line block ×3, first 2 shown]
	s_mov_b32 s14, 0xa595c56f
	s_mov_b32 s15, 0x3f7d6d43
	v_fma_f64 v[48:49], v[42:43], v[48:49], s[34:35]
	v_fma_f64 v[46:47], v[40:41], v[46:47], s[14:15]
	s_mov_b32 s14, 0xa57d9582
	s_mov_b32 s15, 0xbf8c6ea4
	v_fma_f64 v[48:49], v[42:43], v[48:49], s[36:37]
	v_fma_f64 v[46:47], v[40:41], v[46:47], s[14:15]
	;; [unrolled: 4-line block ×3, first 2 shown]
	s_mov_b32 s14, 0xfc27006a
	s_mov_b32 s15, 0xbf9e9ae6
	v_fma_f64 v[42:43], v[42:43], v[48:49], s[94:95]
	v_ldexp_f64 v[48:49], v[38:39], 1
	v_fma_f64 v[46:47], v[40:41], v[46:47], s[14:15]
	s_mov_b32 s14, 0x5711927a
	s_mov_b32 s15, 0x3fa2c15b
	v_add_f64 v[38:39], v[38:39], -v[44:45]
	v_mul_f64 v[42:43], v[50:51], v[42:43]
	v_cvt_f64_i32_e32 v[50:51], v18
	v_fma_f64 v[46:47], v[40:41], v[46:47], s[14:15]
	v_cmp_class_f64_e64 s[14:15], v[11:12], s62
	v_cndmask_b32_e32 v18, v66, v67, vcc
	v_mul_f64 v[52:53], v[50:51], s[40:41]
	v_add_f64 v[31:32], v[31:32], -v[38:39]
	v_add_f64 v[44:45], v[48:49], v[42:43]
	v_fma_f64 v[46:47], v[40:41], v[46:47], s[10:11]
	s_mov_b32 s10, 0x6ef28734
	s_mov_b32 s11, 0x3fa82d5d
	v_ldexp_f64 v[31:32], v[31:32], 1
	v_add_f64 v[38:39], v[44:45], -v[48:49]
	v_fma_f64 v[48:49], v[50:51], s[40:41], -v[52:53]
	v_fma_f64 v[46:47], v[40:41], v[46:47], s[10:11]
	v_cmp_eq_f64_e64 s[10:11], 0, v[11:12]
	v_add_f64 v[38:39], v[42:43], -v[38:39]
	v_fma_f64 v[42:43], v[40:41], v[46:47], s[64:65]
	v_fma_f64 v[46:47], v[50:51], s[42:43], v[48:49]
	v_add_f64 v[31:32], v[31:32], v[38:39]
	v_fma_f64 v[38:39], v[40:41], v[42:43], s[66:67]
	v_add_f64 v[42:43], v[52:53], v[46:47]
	v_add_f64 v[48:49], v[44:45], v[31:32]
	v_fma_f64 v[38:39], v[40:41], v[38:39], s[68:69]
	v_add_f64 v[52:53], v[42:43], -v[52:53]
	v_add_f64 v[50:51], v[42:43], v[48:49]
	v_add_f64 v[44:45], v[48:49], -v[44:45]
	v_fma_f64 v[38:39], v[40:41], v[38:39], s[70:71]
	v_add_f64 v[46:47], v[46:47], -v[52:53]
	v_add_f64 v[54:55], v[50:51], -v[42:43]
	;; [unrolled: 1-line block ×3, first 2 shown]
	v_fma_f64 v[38:39], v[40:41], v[38:39], s[72:73]
	v_add_f64 v[56:57], v[50:51], -v[54:55]
	v_add_f64 v[44:45], v[48:49], -v[54:55]
	v_fma_f64 v[38:39], v[40:41], v[38:39], s[74:75]
	v_add_f64 v[48:49], v[46:47], v[31:32]
	v_add_f64 v[42:43], v[42:43], -v[56:57]
	v_fma_f64 v[38:39], v[40:41], v[38:39], s[76:77]
	v_add_f64 v[42:43], v[44:45], v[42:43]
	;; [unrolled: 3-line block ×3, first 2 shown]
	v_add_f64 v[48:49], v[48:49], -v[44:45]
	v_fma_f64 v[38:39], v[40:41], v[38:39], s[80:81]
	v_add_f64 v[31:32], v[31:32], -v[44:45]
	v_add_f64 v[52:53], v[50:51], v[42:43]
	v_mul_f64 v[38:39], v[40:41], v[38:39]
	v_add_f64 v[40:41], v[46:47], -v[48:49]
	v_add_f64 v[44:45], v[52:53], -v[50:51]
	v_fma_f64 v[36:37], v[36:37], v[38:39], v[36:37]
	v_add_f64 v[31:32], v[31:32], v[40:41]
	v_add_f64 v[38:39], v[42:43], -v[44:45]
	v_add_f64 v[40:41], -v[36:37], s[24:25]
	v_add_f64 v[31:32], v[31:32], v[38:39]
	v_cndmask_b32_e64 v37, v37, v41, s[8:9]
	v_cndmask_b32_e64 v36, v36, v40, s[8:9]
	v_add_f64 v[38:39], -v[36:37], s[82:83]
	v_cmp_class_f64_e64 s[8:9], v[34:35], s62
	v_and_b32_e32 v40, 0x54442d18, v9
	v_add_f64 v[31:32], v[52:53], v[31:32]
	v_cndmask_b32_e32 v36, v36, v38, vcc
	v_and_b32_e32 v38, 0x400921fb, v9
	v_cndmask_b32_e64 v36, v36, v40, s[10:11]
	v_cndmask_b32_e64 v10, v32, v35, s[8:9]
	;; [unrolled: 1-line block ×3, first 2 shown]
	v_add_f64 v[9:10], v[9:10], 1.0
	v_cmp_ngt_f64_e64 s[8:9], 0, v[34:35]
	v_bfi_b32 v31, s61, v33, v12
	v_cndmask_b32_e32 v32, v37, v39, vcc
	v_cndmask_b32_e64 v32, v32, v38, s[10:11]
	s_and_b64 vcc, s[14:15], s[20:21]
	v_cndmask_b32_e32 v32, v32, v31, vcc
	v_cndmask_b32_e32 v31, v36, v18, vcc
	v_cndmask_b32_e64 v10, v64, v10, s[8:9]
	v_cmp_nge_f64_e64 s[8:9], 0, v[34:35]
	v_cndmask_b32_e64 v33, 0, v9, s[8:9]
	v_cmp_neq_f64_e64 s[8:9], 0, v[34:35]
	v_cndmask_b32_e64 v34, v65, v10, s[8:9]
.LBB191_180:                            ;   in Loop: Header=BB191_145 Depth=1
	s_or_b64 exec, exec, s[12:13]
.LBB191_181:                            ;   in Loop: Header=BB191_145 Depth=1
	s_andn2_saveexec_b64 s[8:9], s[86:87]
	s_cbranch_execz .LBB191_187
; %bb.182:                              ;   in Loop: Header=BB191_145 Depth=1
	v_cmp_nlt_f64_e64 s[10:11], |v[9:10]|, s[84:85]
	v_cmp_nlt_f64_e64 s[12:13], |v[11:12]|, s[84:85]
                                        ; implicit-def: $vgpr34_vgpr35
	s_or_b64 s[10:11], s[12:13], s[10:11]
	s_and_saveexec_b64 s[12:13], s[10:11]
	s_xor_b64 s[10:11], exec, s[12:13]
	s_cbranch_execz .LBB191_184
; %bb.183:                              ;   in Loop: Header=BB191_145 Depth=1
	v_mul_f64 v[9:10], v[9:10], v[9:10]
	v_fma_f64 v[34:35], v[11:12], v[11:12], v[9:10]
.LBB191_184:                            ;   in Loop: Header=BB191_145 Depth=1
	s_andn2_saveexec_b64 s[10:11], s[10:11]
	s_cbranch_execz .LBB191_186
; %bb.185:                              ;   in Loop: Header=BB191_145 Depth=1
	v_mul_f64 v[9:10], v[9:10], 4.0
	v_mul_f64 v[31:32], v[11:12], 4.0
	v_mul_f64 v[9:10], v[9:10], v[9:10]
	v_fma_f64 v[9:10], v[31:32], v[31:32], v[9:10]
	v_ldexp_f64 v[34:35], v[9:10], -4
.LBB191_186:                            ;   in Loop: Header=BB191_145 Depth=1
	s_or_b64 exec, exec, s[10:11]
	v_frexp_mant_f64_e32 v[9:10], v[34:35]
	s_mov_b32 s95, s27
	v_cmp_gt_f64_e32 vcc, s[26:27], v[9:10]
	v_cndmask_b32_e64 v11, 0, 1, vcc
	v_ldexp_f64 v[9:10], v[9:10], v11
	v_frexp_exp_i32_f64_e32 v11, v[34:35]
	v_add_f64 v[31:32], v[9:10], 1.0
	v_add_f64 v[40:41], v[9:10], -1.0
	v_subbrev_co_u32_e32 v11, vcc, 0, v11, vcc
	v_cmp_class_f64_e64 vcc, v[34:35], s62
	v_rcp_f64_e32 v[36:37], v[31:32]
	v_add_f64 v[42:43], v[31:32], -1.0
	v_add_f64 v[9:10], v[9:10], -v[42:43]
	v_fma_f64 v[38:39], -v[31:32], v[36:37], 1.0
	v_fma_f64 v[36:37], v[38:39], v[36:37], v[36:37]
	v_fma_f64 v[38:39], -v[31:32], v[36:37], 1.0
	v_fma_f64 v[36:37], v[38:39], v[36:37], v[36:37]
	v_mul_f64 v[38:39], v[40:41], v[36:37]
	v_mul_f64 v[44:45], v[31:32], v[38:39]
	v_fma_f64 v[31:32], v[38:39], v[31:32], -v[44:45]
	v_fma_f64 v[9:10], v[38:39], v[9:10], v[31:32]
	v_add_f64 v[31:32], v[44:45], v[9:10]
	v_add_f64 v[42:43], v[40:41], -v[31:32]
	v_add_f64 v[44:45], v[31:32], -v[44:45]
	;; [unrolled: 1-line block ×5, first 2 shown]
	v_add_f64 v[9:10], v[9:10], v[31:32]
	v_add_f64 v[9:10], v[42:43], v[9:10]
	v_mul_f64 v[9:10], v[36:37], v[9:10]
	v_add_f64 v[31:32], v[38:39], v[9:10]
	v_mul_f64 v[36:37], v[31:32], v[31:32]
	v_fma_f64 v[40:41], v[36:37], s[28:29], v[19:20]
	v_mul_f64 v[42:43], v[31:32], v[36:37]
	v_fma_f64 v[40:41], v[36:37], v[40:41], s[30:31]
	v_fma_f64 v[40:41], v[36:37], v[40:41], s[34:35]
	;; [unrolled: 1-line block ×5, first 2 shown]
	v_ldexp_f64 v[40:41], v[31:32], 1
	v_add_f64 v[31:32], v[31:32], -v[38:39]
	v_mul_f64 v[36:37], v[42:43], v[36:37]
	v_cvt_f64_i32_e32 v[42:43], v11
	v_add_f64 v[9:10], v[9:10], -v[31:32]
	v_mul_f64 v[44:45], v[42:43], s[40:41]
	v_add_f64 v[38:39], v[40:41], v[36:37]
	v_ldexp_f64 v[9:10], v[9:10], 1
	v_add_f64 v[31:32], v[38:39], -v[40:41]
	v_fma_f64 v[40:41], v[42:43], s[40:41], -v[44:45]
	v_add_f64 v[31:32], v[36:37], -v[31:32]
	v_fma_f64 v[36:37], v[42:43], s[42:43], v[40:41]
	v_add_f64 v[9:10], v[9:10], v[31:32]
	v_add_f64 v[31:32], v[44:45], v[36:37]
	;; [unrolled: 1-line block ×3, first 2 shown]
	v_add_f64 v[44:45], v[31:32], -v[44:45]
	v_add_f64 v[42:43], v[31:32], v[40:41]
	v_add_f64 v[38:39], v[40:41], -v[38:39]
	v_add_f64 v[36:37], v[36:37], -v[44:45]
	;; [unrolled: 1-line block ×6, first 2 shown]
	v_add_f64 v[40:41], v[36:37], v[9:10]
	v_add_f64 v[31:32], v[31:32], -v[48:49]
	v_add_f64 v[31:32], v[38:39], v[31:32]
	v_add_f64 v[38:39], v[40:41], -v[36:37]
	;; [unrolled: 2-line block ×3, first 2 shown]
	v_add_f64 v[9:10], v[9:10], -v[38:39]
	v_add_f64 v[44:45], v[42:43], v[31:32]
	v_add_f64 v[36:37], v[36:37], -v[40:41]
	v_add_f64 v[38:39], v[44:45], -v[42:43]
	v_add_f64 v[9:10], v[9:10], v[36:37]
	v_add_f64 v[31:32], v[31:32], -v[38:39]
	v_add_f64 v[9:10], v[9:10], v[31:32]
	v_mov_b32_e32 v31, 0
	v_mov_b32_e32 v32, 0x7ff80000
	v_add_f64 v[9:10], v[44:45], v[9:10]
	v_cndmask_b32_e32 v9, v9, v34, vcc
	v_cndmask_b32_e32 v10, v10, v35, vcc
	v_cmp_ngt_f64_e32 vcc, 0, v[34:35]
	v_cndmask_b32_e32 v10, v64, v10, vcc
	v_cmp_nge_f64_e32 vcc, 0, v[34:35]
	v_cndmask_b32_e32 v33, 0, v9, vcc
	v_cmp_neq_f64_e32 vcc, 0, v[34:35]
	v_cndmask_b32_e32 v34, v65, v10, vcc
.LBB191_187:                            ;   in Loop: Header=BB191_145 Depth=1
	s_or_b64 exec, exec, s[8:9]
	v_cmp_o_f64_e32 vcc, v[1:2], v[3:4]
                                        ; implicit-def: $vgpr35_vgpr36
                                        ; implicit-def: $vgpr9_vgpr10
	s_and_saveexec_b64 s[8:9], vcc
	s_xor_b64 s[20:21], exec, s[8:9]
	s_cbranch_execz .LBB191_215
; %bb.188:                              ;   in Loop: Header=BB191_145 Depth=1
	v_cmp_lt_f64_e64 s[8:9], |v[1:2]|, |v[3:4]|
	v_and_b32_e32 v11, 0x7fffffff, v2
	v_and_b32_e32 v18, 0x7fffffff, v4
	s_mov_b32 s10, 0x85ebc8a0
	s_mov_b32 s11, 0x7fd1ccf3
	v_mov_b32_e32 v37, v3
                                        ; implicit-def: $vgpr35_vgpr36
                                        ; implicit-def: $vgpr9_vgpr10
	v_cndmask_b32_e64 v40, v18, v11, s[8:9]
	v_cndmask_b32_e64 v39, v3, v1, s[8:9]
	v_cmp_nlt_f64_e32 vcc, s[10:11], v[39:40]
	s_and_saveexec_b64 s[10:11], vcc
	s_xor_b64 s[86:87], exec, s[10:11]
	s_cbranch_execz .LBB191_212
; %bb.189:                              ;   in Loop: Header=BB191_145 Depth=1
	v_cndmask_b32_e64 v42, v11, v18, s[8:9]
	v_cndmask_b32_e64 v41, v1, v37, s[8:9]
	v_cmp_neq_f64_e32 vcc, 1.0, v[41:42]
                                        ; implicit-def: $vgpr35_vgpr36
                                        ; implicit-def: $vgpr9_vgpr10
	s_and_saveexec_b64 s[10:11], vcc
	s_xor_b64 s[44:45], exec, s[10:11]
	s_cbranch_execz .LBB191_205
; %bb.190:                              ;   in Loop: Header=BB191_145 Depth=1
	v_max_f64 v[9:10], v[39:40], v[39:40]
	v_max_f64 v[35:36], v[41:42], v[41:42]
	s_mov_b32 s10, 0x4ad4b81f
	s_mov_b32 s11, 0x358dee7a
	v_min_f64 v[37:38], v[35:36], v[9:10]
	v_max_f64 v[9:10], v[35:36], v[9:10]
                                        ; implicit-def: $vgpr35_vgpr36
	v_cmp_ngt_f64_e32 vcc, s[10:11], v[37:38]
	s_mov_b32 s10, 0xc57e649a
	s_mov_b32 s11, 0x4a511b0e
	v_cmp_nlt_f64_e64 s[10:11], s[10:11], v[9:10]
                                        ; implicit-def: $vgpr9_vgpr10
	s_and_b64 s[10:11], s[10:11], vcc
	s_and_saveexec_b64 s[12:13], s[10:11]
	s_xor_b64 s[46:47], exec, s[12:13]
	s_cbranch_execz .LBB191_202
; %bb.191:                              ;   in Loop: Header=BB191_145 Depth=1
	v_cmp_le_f64_e32 vcc, 1.0, v[41:42]
                                        ; implicit-def: $vgpr35_vgpr36
                                        ; implicit-def: $vgpr9_vgpr10
	s_and_saveexec_b64 s[10:11], vcc
	s_xor_b64 s[48:49], exec, s[10:11]
	s_cbranch_execz .LBB191_193
; %bb.192:                              ;   in Loop: Header=BB191_145 Depth=1
	v_add_f64 v[9:10], v[41:42], -1.0
	v_add_f64 v[35:36], v[41:42], 1.0
	s_mov_b32 s95, s27
	s_mov_b32 s82, s24
	;; [unrolled: 1-line block ×4, first 2 shown]
	v_cmp_class_f64_e64 s[50:51], v[3:4], s62
	v_mul_f64 v[9:10], v[9:10], v[35:36]
	v_fma_f64 v[36:37], v[39:40], v[39:40], v[9:10]
	v_add_f64 v[9:10], v[36:37], 1.0
	v_cmp_nge_f64_e64 s[12:13], -1.0, v[36:37]
	v_cmp_neq_f64_e64 s[14:15], s[14:15], v[36:37]
	v_frexp_mant_f64_e32 v[40:41], v[9:10]
	v_frexp_exp_i32_f64_e32 v11, v[9:10]
	v_add_f64 v[38:39], v[9:10], -1.0
	v_cmp_gt_f64_e32 vcc, s[26:27], v[40:41]
	v_add_f64 v[42:43], v[38:39], -v[9:10]
	v_add_f64 v[38:39], v[36:37], -v[38:39]
	v_subbrev_co_u32_e32 v11, vcc, 0, v11, vcc
	v_sub_u32_e32 v18, 0, v11
	v_ldexp_f64 v[9:10], v[9:10], v18
	v_add_f64 v[40:41], v[42:43], 1.0
	v_add_f64 v[42:43], v[9:10], 1.0
	v_add_f64 v[38:39], v[38:39], v[40:41]
	v_add_f64 v[48:49], v[9:10], -1.0
	v_add_f64 v[40:41], v[42:43], -1.0
	v_ldexp_f64 v[38:39], v[38:39], v18
	v_add_f64 v[50:51], v[48:49], 1.0
	v_add_f64 v[40:41], v[9:10], -v[40:41]
	v_add_f64 v[9:10], v[9:10], -v[50:51]
	v_add_f64 v[44:45], v[38:39], v[40:41]
	v_add_f64 v[50:51], v[38:39], v[9:10]
	;; [unrolled: 1-line block ×3, first 2 shown]
	v_rcp_f64_e32 v[46:47], v[40:41]
	v_add_f64 v[42:43], v[40:41], -v[42:43]
	v_add_f64 v[44:45], v[44:45], -v[42:43]
	v_fma_f64 v[52:53], -v[40:41], v[46:47], 1.0
	v_fma_f64 v[46:47], v[52:53], v[46:47], v[46:47]
	v_add_f64 v[52:53], v[48:49], v[50:51]
	v_fma_f64 v[9:10], -v[40:41], v[46:47], 1.0
	v_add_f64 v[48:49], v[52:53], -v[48:49]
	v_fma_f64 v[9:10], v[9:10], v[46:47], v[46:47]
	v_add_f64 v[48:49], v[50:51], -v[48:49]
	v_mul_f64 v[38:39], v[52:53], v[9:10]
	v_mul_f64 v[46:47], v[40:41], v[38:39]
	v_fma_f64 v[42:43], v[38:39], v[40:41], -v[46:47]
	v_fma_f64 v[54:55], v[38:39], v[44:45], v[42:43]
	v_add_f64 v[56:57], v[46:47], v[54:55]
	v_add_f64 v[42:43], v[52:53], -v[56:57]
	v_add_f64 v[46:47], v[56:57], -v[46:47]
	v_add_f64 v[52:53], v[52:53], -v[42:43]
	v_add_f64 v[46:47], v[46:47], -v[54:55]
	v_add_f64 v[50:51], v[52:53], -v[56:57]
	v_add_f64 v[48:49], v[48:49], v[50:51]
	v_max_f64 v[50:51], |v[1:2]|, |v[1:2]|
	v_add_f64 v[46:47], v[46:47], v[48:49]
	v_max_f64 v[48:49], |v[3:4]|, |v[3:4]|
	v_add_f64 v[52:53], v[42:43], v[46:47]
	v_max_f64 v[54:55], v[50:51], v[48:49]
	v_min_f64 v[48:49], v[50:51], v[48:49]
	v_mul_f64 v[50:51], v[9:10], v[52:53]
	v_add_f64 v[42:43], v[42:43], -v[52:53]
	v_div_scale_f64 v[56:57], s[10:11], v[54:55], v[54:55], v[48:49]
	s_mov_b32 s10, 0xaf56de9b
	s_mov_b32 s11, 0xbf67952d
	v_mul_f64 v[58:59], v[40:41], v[50:51]
	v_add_f64 v[42:43], v[46:47], v[42:43]
	v_fma_f64 v[40:41], v[50:51], v[40:41], -v[58:59]
	v_rcp_f64_e32 v[60:61], v[56:57]
	v_fma_f64 v[40:41], v[50:51], v[44:45], v[40:41]
	v_add_f64 v[44:45], v[58:59], v[40:41]
	v_fma_f64 v[70:71], -v[56:57], v[60:61], 1.0
	v_add_f64 v[72:73], v[52:53], -v[44:45]
	v_add_f64 v[46:47], v[44:45], -v[58:59]
	v_fma_f64 v[60:61], v[60:61], v[70:71], v[60:61]
	v_div_scale_f64 v[70:71], vcc, v[48:49], v[54:55], v[48:49]
	v_add_f64 v[52:53], v[52:53], -v[72:73]
	v_add_f64 v[40:41], v[46:47], -v[40:41]
	v_fma_f64 v[74:75], -v[56:57], v[60:61], 1.0
	v_add_f64 v[46:47], v[38:39], v[50:51]
	v_add_f64 v[44:45], v[52:53], -v[44:45]
	v_fma_f64 v[52:53], v[60:61], v[74:75], v[60:61]
	v_add_f64 v[38:39], v[46:47], -v[38:39]
	v_add_f64 v[42:43], v[42:43], v[44:45]
	v_mul_f64 v[44:45], v[70:71], v[52:53]
	v_add_f64 v[38:39], v[50:51], -v[38:39]
	v_add_f64 v[40:41], v[40:41], v[42:43]
	v_fma_f64 v[42:43], -v[56:57], v[44:45], v[70:71]
	v_add_f64 v[40:41], v[72:73], v[40:41]
	v_div_fmas_f64 v[42:43], v[42:43], v[52:53], v[44:45]
	v_cmp_gt_i32_e32 vcc, 0, v2
	v_cndmask_b32_e32 v18, v68, v69, vcc
	v_mul_f64 v[9:10], v[9:10], v[40:41]
	v_add_f64 v[9:10], v[38:39], v[9:10]
	v_div_fixup_f64 v[38:39], v[42:43], v[54:55], v[48:49]
	v_add_f64 v[40:41], v[46:47], v[9:10]
	v_mul_f64 v[42:43], v[38:39], v[38:39]
	v_mul_f64 v[44:45], v[40:41], v[40:41]
	v_fma_f64 v[48:49], v[42:43], s[54:55], v[21:22]
	v_fma_f64 v[50:51], v[44:45], s[28:29], v[19:20]
	v_mul_f64 v[52:53], v[40:41], v[44:45]
	v_fma_f64 v[48:49], v[42:43], v[48:49], s[52:53]
	v_cmp_class_f64_e64 s[52:53], v[1:2], s62
	v_ashrrev_i32_e32 v1, 31, v2
	v_and_b32_e32 v35, 0x54442d18, v1
	v_fma_f64 v[50:51], v[44:45], v[50:51], s[30:31]
	v_fma_f64 v[48:49], v[42:43], v[48:49], s[10:11]
	s_mov_b32 s10, 0xa595c56f
	s_mov_b32 s11, 0x3f7d6d43
	v_fma_f64 v[50:51], v[44:45], v[50:51], s[34:35]
	v_fma_f64 v[48:49], v[42:43], v[48:49], s[10:11]
	s_mov_b32 s10, 0xa57d9582
	s_mov_b32 s11, 0xbf8c6ea4
	v_fma_f64 v[50:51], v[44:45], v[50:51], s[36:37]
	v_fma_f64 v[48:49], v[42:43], v[48:49], s[10:11]
	s_mov_b32 s10, 0x5f08b19f
	s_mov_b32 s11, 0x3f967e29
	v_fma_f64 v[50:51], v[44:45], v[50:51], s[38:39]
	v_fma_f64 v[48:49], v[42:43], v[48:49], s[10:11]
	s_mov_b32 s10, 0xfc27006a
	s_mov_b32 s11, 0xbf9e9ae6
	v_fma_f64 v[44:45], v[44:45], v[50:51], s[94:95]
	v_ldexp_f64 v[50:51], v[40:41], 1
	v_fma_f64 v[48:49], v[42:43], v[48:49], s[10:11]
	s_mov_b32 s10, 0x5711927a
	s_mov_b32 s11, 0x3fa2c15b
	v_add_f64 v[40:41], v[40:41], -v[46:47]
	v_mul_f64 v[44:45], v[52:53], v[44:45]
	v_cvt_f64_i32_e32 v[52:53], v11
	v_fma_f64 v[48:49], v[42:43], v[48:49], s[10:11]
	s_mov_b32 s10, 0xe82d3ff0
	s_mov_b32 s11, 0xbfa59976
	v_mul_f64 v[54:55], v[52:53], s[40:41]
	v_add_f64 v[9:10], v[9:10], -v[40:41]
	v_cndmask_b32_e32 v11, v66, v67, vcc
	v_add_f64 v[46:47], v[50:51], v[44:45]
	v_fma_f64 v[48:49], v[42:43], v[48:49], s[10:11]
	s_mov_b32 s10, 0x6ef28734
	s_mov_b32 s11, 0x3fa82d5d
	v_ldexp_f64 v[9:10], v[9:10], 1
	v_add_f64 v[40:41], v[46:47], -v[50:51]
	v_fma_f64 v[50:51], v[52:53], s[40:41], -v[54:55]
	v_fma_f64 v[48:49], v[42:43], v[48:49], s[10:11]
	v_cmp_eq_f64_e64 s[10:11], 0, v[3:4]
	v_add_f64 v[40:41], v[44:45], -v[40:41]
	v_fma_f64 v[44:45], v[42:43], v[48:49], s[64:65]
	v_fma_f64 v[48:49], v[52:53], s[42:43], v[50:51]
	v_add_f64 v[9:10], v[9:10], v[40:41]
	v_fma_f64 v[40:41], v[42:43], v[44:45], s[66:67]
	v_add_f64 v[44:45], v[54:55], v[48:49]
	v_add_f64 v[50:51], v[46:47], v[9:10]
	v_fma_f64 v[40:41], v[42:43], v[40:41], s[68:69]
	v_add_f64 v[54:55], v[44:45], -v[54:55]
	v_add_f64 v[52:53], v[44:45], v[50:51]
	v_add_f64 v[46:47], v[50:51], -v[46:47]
	v_fma_f64 v[40:41], v[42:43], v[40:41], s[70:71]
	v_add_f64 v[48:49], v[48:49], -v[54:55]
	v_add_f64 v[56:57], v[52:53], -v[44:45]
	;; [unrolled: 1-line block ×3, first 2 shown]
	v_fma_f64 v[40:41], v[42:43], v[40:41], s[72:73]
	v_add_f64 v[58:59], v[52:53], -v[56:57]
	v_add_f64 v[46:47], v[50:51], -v[56:57]
	v_fma_f64 v[40:41], v[42:43], v[40:41], s[74:75]
	v_add_f64 v[50:51], v[48:49], v[9:10]
	v_add_f64 v[44:45], v[44:45], -v[58:59]
	v_fma_f64 v[40:41], v[42:43], v[40:41], s[76:77]
	v_add_f64 v[44:45], v[46:47], v[44:45]
	;; [unrolled: 3-line block ×3, first 2 shown]
	v_add_f64 v[50:51], v[50:51], -v[46:47]
	v_fma_f64 v[40:41], v[42:43], v[40:41], s[80:81]
	v_add_f64 v[9:10], v[9:10], -v[46:47]
	v_add_f64 v[54:55], v[52:53], v[44:45]
	v_mul_f64 v[40:41], v[42:43], v[40:41]
	v_add_f64 v[42:43], v[48:49], -v[50:51]
	v_add_f64 v[46:47], v[54:55], -v[52:53]
	v_fma_f64 v[38:39], v[38:39], v[40:41], v[38:39]
	v_add_f64 v[9:10], v[9:10], v[42:43]
	v_add_f64 v[40:41], v[44:45], -v[46:47]
	v_add_f64 v[42:43], -v[38:39], s[24:25]
	v_add_f64 v[9:10], v[9:10], v[40:41]
	v_cndmask_b32_e64 v39, v39, v43, s[8:9]
	v_cndmask_b32_e64 v38, v38, v42, s[8:9]
	v_add_f64 v[40:41], -v[38:39], s[82:83]
	v_add_f64 v[9:10], v[54:55], v[9:10]
	v_cndmask_b32_e32 v38, v38, v40, vcc
	v_and_b32_e32 v40, 0x400921fb, v1
	v_mul_f64 v[1:2], v[9:10], 0.5
	v_cndmask_b32_e32 v10, v39, v41, vcc
	v_bfi_b32 v9, s61, v18, v4
	v_cndmask_b32_e64 v18, v38, v35, s[10:11]
	v_cndmask_b32_e64 v10, v10, v40, s[10:11]
	s_and_b64 s[10:11], s[12:13], s[14:15]
	s_and_b64 vcc, s[50:51], s[52:53]
	s_mov_b32 s52, 0x69efb384
	v_cndmask_b32_e64 v35, 0, v1, s[10:11]
	v_cmp_ngt_f64_e64 s[10:11], -1.0, v[36:37]
	v_cndmask_b32_e64 v2, v63, v2, s[14:15]
	s_mov_b32 s53, 0x3f4b2bb0
	v_cndmask_b32_e32 v10, v10, v9, vcc
	v_cndmask_b32_e32 v9, v18, v11, vcc
                                        ; implicit-def: $vgpr39_vgpr40
                                        ; implicit-def: $vgpr41_vgpr42
	v_cndmask_b32_e64 v1, v64, v2, s[10:11]
	v_cmp_neq_f64_e64 s[10:11], -1.0, v[36:37]
	v_cndmask_b32_e64 v36, v65, v1, s[10:11]
.LBB191_193:                            ;   in Loop: Header=BB191_145 Depth=1
	s_andn2_saveexec_b64 s[48:49], s[48:49]
	s_cbranch_execz .LBB191_201
; %bb.194:                              ;   in Loop: Header=BB191_145 Depth=1
	v_mul_f64 v[9:10], v[39:40], v[39:40]
	s_mov_b32 s10, 0x66666666
	s_mov_b32 s11, 0x3fe66666
                                        ; implicit-def: $vgpr35_vgpr36
	v_fma_f64 v[37:38], v[41:42], v[41:42], v[9:10]
                                        ; implicit-def: $vgpr9_vgpr10
	v_cmp_ge_f64_e32 vcc, s[10:11], v[37:38]
	s_and_saveexec_b64 s[10:11], vcc
	s_xor_b64 s[14:15], exec, s[10:11]
	s_cbranch_execz .LBB191_196
; %bb.195:                              ;   in Loop: Header=BB191_145 Depth=1
	v_frexp_mant_f64_e32 v[9:10], v[37:38]
	v_max_f64 v[43:44], |v[3:4]|, |v[3:4]|
	v_max_f64 v[45:46], |v[1:2]|, |v[1:2]|
	s_mov_b32 s95, s27
	s_mov_b32 s82, s24
	v_cmp_class_f64_e64 s[50:51], v[3:4], s62
	v_cmp_gt_f64_e64 s[10:11], s[26:27], v[9:10]
	v_cndmask_b32_e64 v11, 0, 1, s[10:11]
	v_ldexp_f64 v[9:10], v[9:10], v11
	v_frexp_exp_i32_f64_e32 v11, v[37:38]
	v_add_f64 v[35:36], v[9:10], 1.0
	v_add_f64 v[49:50], v[9:10], -1.0
	v_rcp_f64_e32 v[39:40], v[35:36]
	v_add_f64 v[53:54], v[35:36], -1.0
	v_add_f64 v[9:10], v[9:10], -v[53:54]
	v_fma_f64 v[41:42], -v[35:36], v[39:40], 1.0
	v_fma_f64 v[39:40], v[41:42], v[39:40], v[39:40]
	v_max_f64 v[41:42], v[45:46], v[43:44]
	v_min_f64 v[43:44], v[45:46], v[43:44]
	v_fma_f64 v[45:46], -v[35:36], v[39:40], 1.0
	v_div_scale_f64 v[47:48], s[12:13], v[41:42], v[41:42], v[43:44]
	s_mov_b32 s12, 0xaf56de9b
	s_mov_b32 s13, 0xbf67952d
	v_fma_f64 v[39:40], v[45:46], v[39:40], v[39:40]
	v_mul_f64 v[45:46], v[49:50], v[39:40]
	v_rcp_f64_e32 v[51:52], v[47:48]
	v_mul_f64 v[55:56], v[35:36], v[45:46]
	v_fma_f64 v[35:36], v[45:46], v[35:36], -v[55:56]
	v_fma_f64 v[53:54], -v[47:48], v[51:52], 1.0
	v_fma_f64 v[9:10], v[45:46], v[9:10], v[35:36]
	v_fma_f64 v[35:36], v[51:52], v[53:54], v[51:52]
	v_div_scale_f64 v[53:54], vcc, v[43:44], v[41:42], v[43:44]
	v_add_f64 v[51:52], v[55:56], v[9:10]
	v_fma_f64 v[57:58], -v[47:48], v[35:36], 1.0
	v_add_f64 v[59:60], v[49:50], -v[51:52]
	v_add_f64 v[55:56], v[51:52], -v[55:56]
	v_fma_f64 v[35:36], v[35:36], v[57:58], v[35:36]
	v_add_f64 v[49:50], v[49:50], -v[59:60]
	v_add_f64 v[9:10], v[55:56], -v[9:10]
	v_mul_f64 v[57:58], v[53:54], v[35:36]
	v_add_f64 v[49:50], v[49:50], -v[51:52]
	v_fma_f64 v[47:48], -v[47:48], v[57:58], v[53:54]
	v_add_f64 v[9:10], v[9:10], v[49:50]
	v_div_fmas_f64 v[35:36], v[47:48], v[35:36], v[57:58]
	v_subbrev_co_u32_e64 v11, vcc, 0, v11, s[10:11]
	s_mov_b32 s10, 0xe82d3ff0
	s_mov_b32 s11, 0xbfa59976
	v_cmp_gt_i32_e32 vcc, 0, v2
	v_add_f64 v[9:10], v[59:60], v[9:10]
	v_mul_f64 v[9:10], v[39:40], v[9:10]
	v_div_fixup_f64 v[35:36], v[35:36], v[41:42], v[43:44]
	v_add_f64 v[39:40], v[45:46], v[9:10]
	v_mul_f64 v[41:42], v[35:36], v[35:36]
	v_mul_f64 v[43:44], v[39:40], v[39:40]
	v_fma_f64 v[47:48], v[41:42], s[54:55], v[21:22]
	v_fma_f64 v[49:50], v[43:44], s[28:29], v[19:20]
	v_mul_f64 v[51:52], v[39:40], v[43:44]
	v_fma_f64 v[47:48], v[41:42], v[47:48], s[52:53]
	v_cmp_class_f64_e64 s[52:53], v[1:2], s62
	v_ashrrev_i32_e32 v1, 31, v2
	v_and_b32_e32 v18, 0x54442d18, v1
	v_fma_f64 v[49:50], v[43:44], v[49:50], s[30:31]
	v_fma_f64 v[47:48], v[41:42], v[47:48], s[12:13]
	s_mov_b32 s12, 0xa595c56f
	s_mov_b32 s13, 0x3f7d6d43
	v_fma_f64 v[49:50], v[43:44], v[49:50], s[34:35]
	v_fma_f64 v[47:48], v[41:42], v[47:48], s[12:13]
	s_mov_b32 s12, 0xa57d9582
	s_mov_b32 s13, 0xbf8c6ea4
	v_fma_f64 v[49:50], v[43:44], v[49:50], s[36:37]
	v_fma_f64 v[47:48], v[41:42], v[47:48], s[12:13]
	s_mov_b32 s12, 0x5f08b19f
	s_mov_b32 s13, 0x3f967e29
	v_fma_f64 v[49:50], v[43:44], v[49:50], s[38:39]
	v_fma_f64 v[47:48], v[41:42], v[47:48], s[12:13]
	s_mov_b32 s12, 0xfc27006a
	s_mov_b32 s13, 0xbf9e9ae6
	v_fma_f64 v[43:44], v[43:44], v[49:50], s[94:95]
	v_ldexp_f64 v[49:50], v[39:40], 1
	v_fma_f64 v[47:48], v[41:42], v[47:48], s[12:13]
	s_mov_b32 s12, 0x5711927a
	s_mov_b32 s13, 0x3fa2c15b
	v_add_f64 v[39:40], v[39:40], -v[45:46]
	v_mul_f64 v[43:44], v[51:52], v[43:44]
	v_cvt_f64_i32_e32 v[51:52], v11
	v_fma_f64 v[47:48], v[41:42], v[47:48], s[12:13]
	v_cmp_neq_f64_e64 s[12:13], 0, v[37:38]
	v_cndmask_b32_e32 v11, v66, v67, vcc
	v_mul_f64 v[53:54], v[51:52], s[40:41]
	v_add_f64 v[9:10], v[9:10], -v[39:40]
	v_add_f64 v[45:46], v[49:50], v[43:44]
	v_fma_f64 v[47:48], v[41:42], v[47:48], s[10:11]
	s_mov_b32 s10, 0x6ef28734
	s_mov_b32 s11, 0x3fa82d5d
	v_ldexp_f64 v[9:10], v[9:10], 1
	v_add_f64 v[39:40], v[45:46], -v[49:50]
	v_fma_f64 v[49:50], v[51:52], s[40:41], -v[53:54]
	v_fma_f64 v[47:48], v[41:42], v[47:48], s[10:11]
	v_cmp_eq_f64_e64 s[10:11], 0, v[3:4]
	v_add_f64 v[39:40], v[43:44], -v[39:40]
	v_fma_f64 v[43:44], v[41:42], v[47:48], s[64:65]
	v_fma_f64 v[47:48], v[51:52], s[42:43], v[49:50]
	v_add_f64 v[9:10], v[9:10], v[39:40]
	v_fma_f64 v[39:40], v[41:42], v[43:44], s[66:67]
	v_add_f64 v[43:44], v[53:54], v[47:48]
	v_add_f64 v[49:50], v[45:46], v[9:10]
	v_fma_f64 v[39:40], v[41:42], v[39:40], s[68:69]
	v_add_f64 v[53:54], v[43:44], -v[53:54]
	v_add_f64 v[51:52], v[43:44], v[49:50]
	v_add_f64 v[45:46], v[49:50], -v[45:46]
	v_fma_f64 v[39:40], v[41:42], v[39:40], s[70:71]
	v_add_f64 v[47:48], v[47:48], -v[53:54]
	v_add_f64 v[55:56], v[51:52], -v[43:44]
	;; [unrolled: 1-line block ×3, first 2 shown]
	v_fma_f64 v[39:40], v[41:42], v[39:40], s[72:73]
	v_add_f64 v[57:58], v[51:52], -v[55:56]
	v_add_f64 v[45:46], v[49:50], -v[55:56]
	v_fma_f64 v[39:40], v[41:42], v[39:40], s[74:75]
	v_add_f64 v[49:50], v[47:48], v[9:10]
	v_add_f64 v[43:44], v[43:44], -v[57:58]
	v_fma_f64 v[39:40], v[41:42], v[39:40], s[76:77]
	v_add_f64 v[43:44], v[45:46], v[43:44]
	;; [unrolled: 3-line block ×3, first 2 shown]
	v_add_f64 v[49:50], v[49:50], -v[45:46]
	v_fma_f64 v[39:40], v[41:42], v[39:40], s[80:81]
	v_add_f64 v[9:10], v[9:10], -v[45:46]
	v_add_f64 v[53:54], v[51:52], v[43:44]
	v_mul_f64 v[39:40], v[41:42], v[39:40]
	v_add_f64 v[41:42], v[47:48], -v[49:50]
	v_add_f64 v[45:46], v[53:54], -v[51:52]
	v_fma_f64 v[35:36], v[35:36], v[39:40], v[35:36]
	v_add_f64 v[9:10], v[9:10], v[41:42]
	v_add_f64 v[39:40], v[43:44], -v[45:46]
	v_add_f64 v[41:42], -v[35:36], s[24:25]
	v_add_f64 v[9:10], v[9:10], v[39:40]
	v_cndmask_b32_e64 v36, v36, v42, s[8:9]
	v_cndmask_b32_e64 v35, v35, v41, s[8:9]
	v_add_f64 v[39:40], -v[35:36], s[82:83]
	v_and_b32_e32 v41, 0x400921fb, v1
	v_add_f64 v[9:10], v[53:54], v[9:10]
	v_cndmask_b32_e32 v35, v35, v39, vcc
	v_cndmask_b32_e32 v39, v68, v69, vcc
	v_cndmask_b32_e64 v18, v35, v18, s[10:11]
	v_mul_f64 v[1:2], v[9:10], 0.5
	v_cndmask_b32_e32 v10, v36, v40, vcc
	v_bfi_b32 v9, s61, v39, v4
	v_cndmask_b32_e64 v10, v10, v41, s[10:11]
	s_and_b64 vcc, s[50:51], s[52:53]
	s_mov_b32 s52, 0x69efb384
	s_mov_b32 s53, 0x3f4b2bb0
	v_cndmask_b32_e32 v10, v10, v9, vcc
	v_cndmask_b32_e64 v36, v65, v2, s[12:13]
	v_cndmask_b32_e64 v35, 0, v1, s[12:13]
	v_cndmask_b32_e32 v9, v18, v11, vcc
                                        ; implicit-def: $vgpr41_vgpr42
                                        ; implicit-def: $vgpr39_vgpr40
.LBB191_196:                            ;   in Loop: Header=BB191_145 Depth=1
	s_andn2_saveexec_b64 s[50:51], s[14:15]
	s_cbranch_execz .LBB191_200
; %bb.197:                              ;   in Loop: Header=BB191_145 Depth=1
	v_and_b32_e32 v18, 0x7ffffff8, v42
	v_and_b32_e32 v36, 0x7ffffff8, v40
	v_mov_b32_e32 v35, v17
	v_add_f64 v[9:10], v[41:42], -v[17:18]
	v_add_f64 v[37:38], v[39:40], -v[35:36]
	v_mov_b32_e32 v41, v17
	v_mov_b32_e32 v49, v17
	v_add_f64 v[45:46], v[17:18], v[17:18]
	v_add_f64 v[47:48], v[35:36], v[35:36]
	v_mul_f64 v[35:36], v[35:36], v[35:36]
	s_mov_b64 s[52:53], 0
	v_and_b32_e32 v42, -8, v10
	v_and_b32_e32 v50, -8, v38
	v_add_f64 v[55:56], v[9:10], -v[41:42]
	v_add_f64 v[57:58], v[37:38], -v[49:50]
	v_add_f64 v[59:60], v[41:42], v[41:42]
	v_add_f64 v[61:62], v[49:50], v[49:50]
	v_mul_f64 v[9:10], v[17:18], v[17:18]
	v_mul_f64 v[39:40], v[45:46], v[41:42]
	;; [unrolled: 1-line block ×11, first 2 shown]
.LBB191_198:                            ;   Parent Loop BB191_145 Depth=1
                                        ; =>  This Inner Loop Header: Depth=2
	v_cmp_nlt_f64_e32 vcc, v[9:10], v[35:36]
	v_cndmask_b32_e32 v58, v10, v36, vcc
	v_cndmask_b32_e32 v57, v9, v35, vcc
	v_cmp_nlt_f64_e64 s[10:11], v[57:58], v[39:40]
	v_cndmask_b32_e32 v10, v36, v10, vcc
	v_cndmask_b32_e32 v9, v35, v9, vcc
	v_cndmask_b32_e64 v60, v58, v40, s[10:11]
	v_cndmask_b32_e64 v59, v57, v39, s[10:11]
	v_cmp_nlt_f64_e64 s[12:13], v[59:60], v[37:38]
	v_cndmask_b32_e64 v36, v40, v58, s[10:11]
	v_cndmask_b32_e64 v35, v39, v57, s[10:11]
	s_and_b64 s[54:55], vcc, s[10:11]
	v_cndmask_b32_e64 v62, v60, v38, s[12:13]
	v_cndmask_b32_e64 v61, v59, v37, s[12:13]
	v_cmp_nlt_f64_e64 s[14:15], v[61:62], v[43:44]
	v_cndmask_b32_e64 v40, v38, v60, s[12:13]
	v_cndmask_b32_e64 v39, v37, v59, s[12:13]
	;; [unrolled: 1-line block ×4, first 2 shown]
	v_cmp_nlt_f64_e32 vcc, v[57:58], v[49:50]
	v_cndmask_b32_e64 v38, v44, v62, s[14:15]
	v_cndmask_b32_e64 v37, v43, v61, s[14:15]
	s_and_b64 s[14:15], s[12:13], s[14:15]
	v_cndmask_b32_e32 v60, v58, v50, vcc
	v_cndmask_b32_e32 v59, v57, v49, vcc
	v_cmp_nlt_f64_e64 s[10:11], v[59:60], v[53:54]
	v_cndmask_b32_e32 v44, v50, v58, vcc
	v_cndmask_b32_e32 v43, v49, v57, vcc
	v_cndmask_b32_e64 v58, v60, v54, s[10:11]
	v_cndmask_b32_e64 v57, v59, v53, s[10:11]
	v_cmp_nlt_f64_e64 s[12:13], v[57:58], v[51:52]
	v_cndmask_b32_e64 v50, v54, v60, s[10:11]
	v_cndmask_b32_e64 v49, v53, v59, s[10:11]
	s_and_b64 s[10:11], vcc, s[10:11]
	v_cndmask_b32_e64 v60, v58, v52, s[12:13]
	v_cndmask_b32_e64 v59, v57, v51, s[12:13]
	v_cmp_nlt_f64_e32 vcc, v[59:60], v[47:48]
	v_cndmask_b32_e64 v54, v52, v58, s[12:13]
	v_cndmask_b32_e64 v53, v51, v57, s[12:13]
	s_and_b64 s[12:13], s[10:11], s[12:13]
	v_cndmask_b32_e32 v58, v60, v48, vcc
	v_cndmask_b32_e32 v57, v59, v47, vcc
	v_cmp_nlt_f64_e64 s[10:11], v[57:58], v[45:46]
	v_cndmask_b32_e32 v52, v48, v60, vcc
	v_cndmask_b32_e32 v51, v47, v59, vcc
	s_and_b64 s[12:13], s[12:13], vcc
	v_cndmask_b32_e64 v60, v58, v46, s[10:11]
	v_cndmask_b32_e64 v59, v57, v45, s[10:11]
	v_cmp_nlt_f64_e32 vcc, v[59:60], v[41:42]
	v_cndmask_b32_e64 v48, v46, v58, s[10:11]
	v_cndmask_b32_e64 v47, v45, v57, s[10:11]
	s_and_b64 s[12:13], s[12:13], s[10:11]
	v_cndmask_b32_e32 v62, v60, v42, vcc
	v_cndmask_b32_e32 v61, v59, v41, vcc
	v_cmp_nlt_f64_e64 s[10:11], v[61:62], v[55:56]
	s_and_b64 s[12:13], s[12:13], vcc
	v_cndmask_b32_e32 v46, v42, v60, vcc
	v_cndmask_b32_e32 v45, v41, v59, vcc
	v_cndmask_b32_e64 v58, v62, v56, s[10:11]
	v_cndmask_b32_e64 v57, v61, v55, s[10:11]
	;; [unrolled: 1-line block ×4, first 2 shown]
	s_and_b64 s[10:11], s[12:13], s[10:11]
	s_and_b64 s[10:11], s[10:11], s[14:15]
	;; [unrolled: 1-line block ×3, first 2 shown]
	s_and_b64 s[10:11], exec, s[10:11]
	v_mov_b32_e32 v55, v57
	s_or_b64 s[52:53], s[10:11], s[52:53]
	v_mov_b32_e32 v56, v58
	s_andn2_b64 exec, exec, s[52:53]
	s_cbranch_execnz .LBB191_198
; %bb.199:                              ;   in Loop: Header=BB191_145 Depth=1
	s_or_b64 exec, exec, s[52:53]
	v_add_f64 v[9:10], v[9:10], -1.0
	s_mov_b32 s95, s27
	s_mov_b32 s82, s24
	;; [unrolled: 1-line block ×4, first 2 shown]
	v_cmp_class_f64_e64 s[54:55], v[1:2], s62
	v_cmp_class_f64_e64 s[52:53], v[3:4], s62
	v_add_f64 v[9:10], v[9:10], v[35:36]
	v_add_f64 v[9:10], v[9:10], v[39:40]
	;; [unrolled: 1-line block ×11, first 2 shown]
	v_add_f64 v[10:11], v[36:37], 1.0
	v_cmp_nge_f64_e64 s[12:13], -1.0, v[36:37]
	v_cmp_neq_f64_e64 s[14:15], s[14:15], v[36:37]
	v_frexp_mant_f64_e32 v[40:41], v[10:11]
	v_frexp_exp_i32_f64_e32 v9, v[10:11]
	v_add_f64 v[38:39], v[10:11], -1.0
	v_cmp_gt_f64_e32 vcc, s[26:27], v[40:41]
	v_add_f64 v[42:43], v[38:39], -v[10:11]
	v_add_f64 v[38:39], v[36:37], -v[38:39]
	v_subbrev_co_u32_e32 v9, vcc, 0, v9, vcc
	v_sub_u32_e32 v18, 0, v9
	v_ldexp_f64 v[10:11], v[10:11], v18
	v_add_f64 v[40:41], v[42:43], 1.0
	v_add_f64 v[42:43], v[10:11], 1.0
	v_add_f64 v[38:39], v[38:39], v[40:41]
	v_add_f64 v[48:49], v[10:11], -1.0
	v_add_f64 v[40:41], v[42:43], -1.0
	v_ldexp_f64 v[38:39], v[38:39], v18
	v_add_f64 v[50:51], v[48:49], 1.0
	v_add_f64 v[40:41], v[10:11], -v[40:41]
	v_add_f64 v[10:11], v[10:11], -v[50:51]
	v_add_f64 v[40:41], v[38:39], v[40:41]
	v_add_f64 v[10:11], v[38:39], v[10:11]
	v_add_f64 v[44:45], v[42:43], v[40:41]
	v_add_f64 v[50:51], v[48:49], v[10:11]
	v_rcp_f64_e32 v[46:47], v[44:45]
	v_add_f64 v[42:43], v[44:45], -v[42:43]
	v_add_f64 v[48:49], v[50:51], -v[48:49]
	;; [unrolled: 1-line block ×4, first 2 shown]
	v_fma_f64 v[52:53], -v[44:45], v[46:47], 1.0
	v_fma_f64 v[46:47], v[52:53], v[46:47], v[46:47]
	v_fma_f64 v[38:39], -v[44:45], v[46:47], 1.0
	v_fma_f64 v[38:39], v[38:39], v[46:47], v[46:47]
	v_mul_f64 v[46:47], v[50:51], v[38:39]
	v_mul_f64 v[52:53], v[44:45], v[46:47]
	v_fma_f64 v[42:43], v[46:47], v[44:45], -v[52:53]
	v_fma_f64 v[42:43], v[46:47], v[40:41], v[42:43]
	v_add_f64 v[54:55], v[52:53], v[42:43]
	v_add_f64 v[56:57], v[50:51], -v[54:55]
	v_add_f64 v[48:49], v[54:55], -v[52:53]
	;; [unrolled: 1-line block ×4, first 2 shown]
	v_max_f64 v[48:49], |v[1:2]|, |v[1:2]|
	v_ashrrev_i32_e32 v1, 31, v2
	v_and_b32_e32 v35, 0x54442d18, v1
	v_add_f64 v[50:51], v[50:51], -v[54:55]
	v_add_f64 v[10:11], v[10:11], v[50:51]
	v_add_f64 v[10:11], v[42:43], v[10:11]
	v_max_f64 v[42:43], |v[3:4]|, |v[3:4]|
	v_add_f64 v[50:51], v[56:57], v[10:11]
	v_max_f64 v[52:53], v[48:49], v[42:43]
	v_min_f64 v[42:43], v[48:49], v[42:43]
	v_mul_f64 v[48:49], v[38:39], v[50:51]
	v_add_f64 v[56:57], v[56:57], -v[50:51]
	v_div_scale_f64 v[54:55], s[10:11], v[52:53], v[52:53], v[42:43]
	s_mov_b32 s10, 0xb5e68a13
	s_mov_b32 s11, 0x3eeba404
	v_mul_f64 v[58:59], v[44:45], v[48:49]
	v_add_f64 v[10:11], v[10:11], v[56:57]
	v_fma_f64 v[44:45], v[48:49], v[44:45], -v[58:59]
	v_rcp_f64_e32 v[60:61], v[54:55]
	v_fma_f64 v[40:41], v[48:49], v[40:41], v[44:45]
	v_add_f64 v[44:45], v[58:59], v[40:41]
	v_fma_f64 v[70:71], -v[54:55], v[60:61], 1.0
	v_add_f64 v[72:73], v[50:51], -v[44:45]
	v_add_f64 v[56:57], v[44:45], -v[58:59]
	v_fma_f64 v[60:61], v[60:61], v[70:71], v[60:61]
	v_div_scale_f64 v[70:71], vcc, v[42:43], v[52:53], v[42:43]
	v_add_f64 v[50:51], v[50:51], -v[72:73]
	v_add_f64 v[40:41], v[56:57], -v[40:41]
	v_fma_f64 v[74:75], -v[54:55], v[60:61], 1.0
	v_add_f64 v[56:57], v[46:47], v[48:49]
	v_add_f64 v[44:45], v[50:51], -v[44:45]
	v_fma_f64 v[50:51], v[60:61], v[74:75], v[60:61]
	v_add_f64 v[46:47], v[56:57], -v[46:47]
	v_add_f64 v[10:11], v[10:11], v[44:45]
	v_mul_f64 v[44:45], v[70:71], v[50:51]
	v_add_f64 v[10:11], v[40:41], v[10:11]
	v_fma_f64 v[40:41], -v[54:55], v[44:45], v[70:71]
	v_add_f64 v[10:11], v[72:73], v[10:11]
	v_div_fmas_f64 v[40:41], v[40:41], v[50:51], v[44:45]
	v_add_f64 v[44:45], v[48:49], -v[46:47]
	v_cmp_gt_i32_e32 vcc, 0, v2
	v_cndmask_b32_e32 v18, v68, v69, vcc
	v_mul_f64 v[10:11], v[38:39], v[10:11]
	v_add_f64 v[10:11], v[44:45], v[10:11]
	v_div_fixup_f64 v[38:39], v[40:41], v[52:53], v[42:43]
	v_cvt_f64_i32_e32 v[52:53], v9
	v_mul_f64 v[54:55], v[52:53], s[40:41]
	v_add_f64 v[40:41], v[56:57], v[10:11]
	v_mul_f64 v[42:43], v[38:39], v[38:39]
	v_mul_f64 v[44:45], v[40:41], v[40:41]
	v_fma_f64 v[46:47], v[42:43], s[10:11], v[21:22]
	s_mov_b32 s10, 0x69efb384
	s_mov_b32 s11, 0x3f4b2bb0
	v_fma_f64 v[48:49], v[44:45], s[28:29], v[19:20]
	v_mul_f64 v[50:51], v[40:41], v[44:45]
	v_fma_f64 v[46:47], v[42:43], v[46:47], s[10:11]
	s_mov_b32 s10, 0xaf56de9b
	s_mov_b32 s11, 0xbf67952d
	v_fma_f64 v[48:49], v[44:45], v[48:49], s[30:31]
	v_fma_f64 v[46:47], v[42:43], v[46:47], s[10:11]
	s_mov_b32 s10, 0xa595c56f
	s_mov_b32 s11, 0x3f7d6d43
	v_fma_f64 v[48:49], v[44:45], v[48:49], s[34:35]
	;; [unrolled: 4-line block ×5, first 2 shown]
	v_ldexp_f64 v[48:49], v[40:41], 1
	v_fma_f64 v[46:47], v[42:43], v[46:47], s[10:11]
	s_mov_b32 s10, 0x5711927a
	s_mov_b32 s11, 0x3fa2c15b
	v_add_f64 v[40:41], v[40:41], -v[56:57]
	v_mul_f64 v[44:45], v[50:51], v[44:45]
	v_fma_f64 v[46:47], v[42:43], v[46:47], s[10:11]
	s_mov_b32 s10, 0xe82d3ff0
	s_mov_b32 s11, 0xbfa59976
	v_add_f64 v[9:10], v[10:11], -v[40:41]
	v_cndmask_b32_e32 v11, v66, v67, vcc
	v_add_f64 v[50:51], v[48:49], v[44:45]
	v_fma_f64 v[46:47], v[42:43], v[46:47], s[10:11]
	s_mov_b32 s10, 0x6ef28734
	s_mov_b32 s11, 0x3fa82d5d
	v_ldexp_f64 v[9:10], v[9:10], 1
	v_add_f64 v[40:41], v[50:51], -v[48:49]
	v_fma_f64 v[48:49], v[52:53], s[40:41], -v[54:55]
	v_fma_f64 v[46:47], v[42:43], v[46:47], s[10:11]
	v_cmp_eq_f64_e64 s[10:11], 0, v[3:4]
	v_add_f64 v[40:41], v[44:45], -v[40:41]
	v_fma_f64 v[44:45], v[42:43], v[46:47], s[64:65]
	v_fma_f64 v[46:47], v[52:53], s[42:43], v[48:49]
	v_add_f64 v[9:10], v[9:10], v[40:41]
	v_fma_f64 v[40:41], v[42:43], v[44:45], s[66:67]
	v_add_f64 v[44:45], v[54:55], v[46:47]
	v_add_f64 v[48:49], v[50:51], v[9:10]
	v_fma_f64 v[40:41], v[42:43], v[40:41], s[68:69]
	v_add_f64 v[54:55], v[44:45], -v[54:55]
	v_add_f64 v[52:53], v[44:45], v[48:49]
	v_add_f64 v[50:51], v[48:49], -v[50:51]
	v_fma_f64 v[40:41], v[42:43], v[40:41], s[70:71]
	v_add_f64 v[46:47], v[46:47], -v[54:55]
	v_add_f64 v[56:57], v[52:53], -v[44:45]
	;; [unrolled: 1-line block ×3, first 2 shown]
	v_fma_f64 v[40:41], v[42:43], v[40:41], s[72:73]
	v_add_f64 v[58:59], v[52:53], -v[56:57]
	v_add_f64 v[48:49], v[48:49], -v[56:57]
	v_fma_f64 v[40:41], v[42:43], v[40:41], s[74:75]
	v_add_f64 v[50:51], v[46:47], v[9:10]
	v_add_f64 v[44:45], v[44:45], -v[58:59]
	v_fma_f64 v[40:41], v[42:43], v[40:41], s[76:77]
	v_add_f64 v[44:45], v[48:49], v[44:45]
	;; [unrolled: 3-line block ×3, first 2 shown]
	v_add_f64 v[50:51], v[50:51], -v[48:49]
	v_fma_f64 v[40:41], v[42:43], v[40:41], s[80:81]
	v_add_f64 v[9:10], v[9:10], -v[48:49]
	v_add_f64 v[54:55], v[52:53], v[44:45]
	v_mul_f64 v[40:41], v[42:43], v[40:41]
	v_add_f64 v[42:43], v[46:47], -v[50:51]
	v_add_f64 v[46:47], v[54:55], -v[52:53]
	v_fma_f64 v[38:39], v[38:39], v[40:41], v[38:39]
	v_add_f64 v[9:10], v[9:10], v[42:43]
	v_add_f64 v[40:41], v[44:45], -v[46:47]
	v_add_f64 v[42:43], -v[38:39], s[24:25]
	v_add_f64 v[9:10], v[9:10], v[40:41]
	v_cndmask_b32_e64 v39, v39, v43, s[8:9]
	v_cndmask_b32_e64 v38, v38, v42, s[8:9]
	v_add_f64 v[40:41], -v[38:39], s[82:83]
	v_add_f64 v[9:10], v[54:55], v[9:10]
	v_cndmask_b32_e32 v38, v38, v40, vcc
	v_and_b32_e32 v40, 0x400921fb, v1
	v_mul_f64 v[1:2], v[9:10], 0.5
	v_cndmask_b32_e32 v10, v39, v41, vcc
	v_bfi_b32 v9, s61, v18, v4
	v_cndmask_b32_e64 v18, v38, v35, s[10:11]
	v_cndmask_b32_e64 v10, v10, v40, s[10:11]
	s_and_b64 s[10:11], s[12:13], s[14:15]
	s_and_b64 vcc, s[52:53], s[54:55]
	s_mov_b32 s52, 0x69efb384
	v_cndmask_b32_e64 v35, 0, v1, s[10:11]
	v_cmp_ngt_f64_e64 s[10:11], -1.0, v[36:37]
	v_cndmask_b32_e64 v2, v63, v2, s[14:15]
	s_mov_b32 s54, 0xb5e68a13
	s_mov_b32 s53, 0x3f4b2bb0
	;; [unrolled: 1-line block ×3, first 2 shown]
	v_cndmask_b32_e32 v10, v10, v9, vcc
	v_cndmask_b32_e32 v9, v18, v11, vcc
	v_cndmask_b32_e64 v1, v64, v2, s[10:11]
	v_cmp_neq_f64_e64 s[10:11], -1.0, v[36:37]
	v_cndmask_b32_e64 v36, v65, v1, s[10:11]
.LBB191_200:                            ;   in Loop: Header=BB191_145 Depth=1
	s_or_b64 exec, exec, s[50:51]
.LBB191_201:                            ;   in Loop: Header=BB191_145 Depth=1
	s_or_b64 exec, exec, s[48:49]
.LBB191_202:                            ;   in Loop: Header=BB191_145 Depth=1
	s_andn2_saveexec_b64 s[14:15], s[46:47]
	s_cbranch_execz .LBB191_204
; %bb.203:                              ;   in Loop: Header=BB191_145 Depth=1
	v_max_f64 v[9:10], |v[3:4]|, |v[3:4]|
	v_max_f64 v[38:39], |v[1:2]|, |v[1:2]|
	v_cmp_class_f64_e64 s[46:47], v[1:2], s62
	v_cmp_class_f64_e64 s[48:49], v[3:4], s62
	s_mov_b32 s95, s27
	s_mov_b32 s82, s24
	v_max_f64 v[40:41], v[38:39], v[9:10]
	v_min_f64 v[9:10], v[38:39], v[9:10]
	v_frexp_exp_i32_f64_e32 v11, v[40:41]
	v_sub_u32_e32 v18, 0, v11
	v_ldexp_f64 v[35:36], |v[3:4]|, v18
	v_ldexp_f64 v[42:43], |v[1:2]|, v18
	v_mul_f64 v[35:36], v[35:36], v[35:36]
	v_fma_f64 v[35:36], v[42:43], v[42:43], v[35:36]
	v_rsq_f64_e32 v[42:43], v[35:36]
	v_cmp_eq_f64_e32 vcc, 0, v[35:36]
	v_mul_f64 v[44:45], v[35:36], v[42:43]
	v_mul_f64 v[42:43], v[42:43], 0.5
	v_fma_f64 v[46:47], -v[42:43], v[44:45], 0.5
	v_fma_f64 v[44:45], v[44:45], v[46:47], v[44:45]
	v_fma_f64 v[42:43], v[42:43], v[46:47], v[42:43]
	v_fma_f64 v[46:47], -v[44:45], v[44:45], v[35:36]
	v_fma_f64 v[42:43], v[46:47], v[42:43], v[44:45]
	v_cndmask_b32_e32 v36, v43, v36, vcc
	v_cndmask_b32_e32 v35, v42, v35, vcc
	v_ldexp_f64 v[35:36], v[35:36], v11
	s_or_b64 vcc, s[48:49], s[46:47]
	v_cndmask_b32_e32 v37, v36, v63, vcc
	v_cndmask_b32_e64 v36, v35, 0, vcc
	v_frexp_mant_f64_e32 v[42:43], v[36:37]
	v_cmp_gt_f64_e64 s[10:11], s[26:27], v[42:43]
	v_cndmask_b32_e64 v1, 0, 1, s[10:11]
	v_ldexp_f64 v[42:43], v[42:43], v1
	v_frexp_exp_i32_f64_e32 v1, v[36:37]
	v_add_f64 v[44:45], v[42:43], 1.0
	v_add_f64 v[50:51], v[42:43], -1.0
	v_rcp_f64_e32 v[46:47], v[44:45]
	v_add_f64 v[54:55], v[44:45], -1.0
	v_add_f64 v[42:43], v[42:43], -v[54:55]
	v_fma_f64 v[48:49], -v[44:45], v[46:47], 1.0
	v_fma_f64 v[38:39], v[48:49], v[46:47], v[46:47]
	v_div_scale_f64 v[46:47], s[12:13], v[40:41], v[40:41], v[9:10]
	s_mov_b32 s12, 0xaf56de9b
	s_mov_b32 s13, 0xbf67952d
	v_fma_f64 v[48:49], -v[44:45], v[38:39], 1.0
	v_fma_f64 v[38:39], v[48:49], v[38:39], v[38:39]
	v_rcp_f64_e32 v[48:49], v[46:47]
	v_mul_f64 v[52:53], v[50:51], v[38:39]
	v_mul_f64 v[56:57], v[44:45], v[52:53]
	v_fma_f64 v[58:59], -v[46:47], v[48:49], 1.0
	v_fma_f64 v[44:45], v[52:53], v[44:45], -v[56:57]
	v_fma_f64 v[48:49], v[48:49], v[58:59], v[48:49]
	v_fma_f64 v[42:43], v[52:53], v[42:43], v[44:45]
	v_div_scale_f64 v[44:45], vcc, v[9:10], v[40:41], v[9:10]
	v_fma_f64 v[54:55], -v[46:47], v[48:49], 1.0
	v_add_f64 v[58:59], v[56:57], v[42:43]
	v_fma_f64 v[48:49], v[48:49], v[54:55], v[48:49]
	v_add_f64 v[54:55], v[50:51], -v[58:59]
	v_add_f64 v[56:57], v[58:59], -v[56:57]
	v_mul_f64 v[60:61], v[44:45], v[48:49]
	v_add_f64 v[50:51], v[50:51], -v[54:55]
	v_add_f64 v[42:43], v[56:57], -v[42:43]
	v_fma_f64 v[44:45], -v[46:47], v[60:61], v[44:45]
	v_add_f64 v[46:47], v[50:51], -v[58:59]
	v_div_fmas_f64 v[44:45], v[44:45], v[48:49], v[60:61]
	v_subbrev_co_u32_e64 v1, vcc, 0, v1, s[10:11]
	s_mov_b32 s10, 0x6ef28734
	s_mov_b32 s11, 0x3fa82d5d
	v_add_f64 v[42:43], v[42:43], v[46:47]
	v_cmp_gt_i32_e32 vcc, 0, v2
	v_cndmask_b32_e32 v35, v68, v69, vcc
	v_cndmask_b32_e32 v11, v66, v67, vcc
	v_bfi_b32 v35, s61, v35, v4
	v_add_f64 v[42:43], v[54:55], v[42:43]
	v_div_fixup_f64 v[9:10], v[44:45], v[40:41], v[9:10]
	v_mul_f64 v[38:39], v[38:39], v[42:43]
	v_mul_f64 v[40:41], v[9:10], v[9:10]
	v_add_f64 v[42:43], v[52:53], v[38:39]
	v_fma_f64 v[44:45], v[40:41], s[54:55], v[21:22]
	v_mul_f64 v[46:47], v[42:43], v[42:43]
	v_fma_f64 v[44:45], v[40:41], v[44:45], s[52:53]
	v_fma_f64 v[48:49], v[46:47], s[28:29], v[19:20]
	v_mul_f64 v[50:51], v[42:43], v[46:47]
	v_fma_f64 v[44:45], v[40:41], v[44:45], s[12:13]
	s_mov_b32 s12, 0xa595c56f
	s_mov_b32 s13, 0x3f7d6d43
	v_fma_f64 v[48:49], v[46:47], v[48:49], s[30:31]
	v_fma_f64 v[44:45], v[40:41], v[44:45], s[12:13]
	s_mov_b32 s12, 0xa57d9582
	s_mov_b32 s13, 0xbf8c6ea4
	v_fma_f64 v[48:49], v[46:47], v[48:49], s[34:35]
	;; [unrolled: 4-line block ×5, first 2 shown]
	v_ldexp_f64 v[48:49], v[42:43], 1
	v_add_f64 v[42:43], v[42:43], -v[52:53]
	v_fma_f64 v[44:45], v[40:41], v[44:45], s[12:13]
	s_mov_b32 s12, 0xe82d3ff0
	s_mov_b32 s13, 0xbfa59976
	v_cvt_f64_i32_e32 v[52:53], v1
	v_ashrrev_i32_e32 v1, 31, v2
	v_mul_f64 v[46:47], v[50:51], v[46:47]
	v_and_b32_e32 v18, 0x54442d18, v1
	v_mul_f64 v[54:55], v[52:53], s[40:41]
	v_fma_f64 v[44:45], v[40:41], v[44:45], s[12:13]
	v_add_f64 v[38:39], v[38:39], -v[42:43]
	v_cmp_class_f64_e64 s[12:13], v[36:37], s62
	v_add_f64 v[50:51], v[48:49], v[46:47]
	v_fma_f64 v[44:45], v[40:41], v[44:45], s[10:11]
	v_ldexp_f64 v[38:39], v[38:39], 1
	v_cmp_eq_f64_e64 s[10:11], 0, v[3:4]
	v_add_f64 v[42:43], v[50:51], -v[48:49]
	v_fma_f64 v[48:49], v[52:53], s[40:41], -v[54:55]
	v_fma_f64 v[44:45], v[40:41], v[44:45], s[64:65]
	v_add_f64 v[42:43], v[46:47], -v[42:43]
	v_fma_f64 v[46:47], v[52:53], s[42:43], v[48:49]
	v_fma_f64 v[44:45], v[40:41], v[44:45], s[66:67]
	v_add_f64 v[38:39], v[38:39], v[42:43]
	v_fma_f64 v[42:43], v[40:41], v[44:45], s[68:69]
	v_add_f64 v[44:45], v[54:55], v[46:47]
	v_add_f64 v[48:49], v[50:51], v[38:39]
	v_fma_f64 v[42:43], v[40:41], v[42:43], s[70:71]
	v_add_f64 v[54:55], v[44:45], -v[54:55]
	v_add_f64 v[52:53], v[44:45], v[48:49]
	v_add_f64 v[50:51], v[48:49], -v[50:51]
	v_fma_f64 v[42:43], v[40:41], v[42:43], s[72:73]
	v_add_f64 v[46:47], v[46:47], -v[54:55]
	v_add_f64 v[56:57], v[52:53], -v[44:45]
	;; [unrolled: 1-line block ×3, first 2 shown]
	v_fma_f64 v[42:43], v[40:41], v[42:43], s[74:75]
	v_add_f64 v[58:59], v[52:53], -v[56:57]
	v_add_f64 v[48:49], v[48:49], -v[56:57]
	v_add_f64 v[50:51], v[46:47], v[38:39]
	v_fma_f64 v[42:43], v[40:41], v[42:43], s[76:77]
	v_add_f64 v[44:45], v[44:45], -v[58:59]
	v_fma_f64 v[42:43], v[40:41], v[42:43], s[78:79]
	v_add_f64 v[44:45], v[48:49], v[44:45]
	v_add_f64 v[48:49], v[50:51], -v[46:47]
	v_fma_f64 v[42:43], v[40:41], v[42:43], s[80:81]
	v_add_f64 v[44:45], v[50:51], v[44:45]
	v_add_f64 v[38:39], v[38:39], -v[48:49]
	v_mul_f64 v[40:41], v[40:41], v[42:43]
	v_add_f64 v[42:43], v[50:51], -v[48:49]
	v_add_f64 v[50:51], v[52:53], v[44:45]
	v_fma_f64 v[9:10], v[9:10], v[40:41], v[9:10]
	v_add_f64 v[40:41], v[46:47], -v[42:43]
	v_add_f64 v[42:43], v[50:51], -v[52:53]
	v_add_f64 v[46:47], -v[9:10], s[24:25]
	v_add_f64 v[38:39], v[38:39], v[40:41]
	v_add_f64 v[40:41], v[44:45], -v[42:43]
	v_cndmask_b32_e64 v10, v10, v47, s[8:9]
	v_cndmask_b32_e64 v9, v9, v46, s[8:9]
	v_add_f64 v[42:43], -v[9:10], s[82:83]
	v_add_f64 v[38:39], v[38:39], v[40:41]
	v_and_b32_e32 v40, 0x400921fb, v1
	v_cndmask_b32_e32 v9, v9, v42, vcc
	v_cndmask_b32_e32 v10, v10, v43, vcc
	v_cndmask_b32_e64 v9, v9, v18, s[10:11]
	v_add_f64 v[1:2], v[50:51], v[38:39]
	v_cndmask_b32_e64 v10, v10, v40, s[10:11]
	v_cmp_ngt_f64_e64 s[10:11], 0, v[36:37]
	s_and_b64 vcc, s[48:49], s[46:47]
	v_cndmask_b32_e32 v10, v10, v35, vcc
	v_cndmask_b32_e32 v9, v9, v11, vcc
	v_cndmask_b32_e64 v2, v2, v37, s[12:13]
	v_cndmask_b32_e64 v1, v1, v36, s[12:13]
	;; [unrolled: 1-line block ×3, first 2 shown]
	v_cmp_nge_f64_e64 s[10:11], 0, v[36:37]
	v_cndmask_b32_e64 v35, 0, v1, s[10:11]
	v_cmp_neq_f64_e64 s[10:11], 0, v[36:37]
	v_cndmask_b32_e64 v36, v65, v2, s[10:11]
.LBB191_204:                            ;   in Loop: Header=BB191_145 Depth=1
	s_or_b64 exec, exec, s[14:15]
                                        ; implicit-def: $vgpr39_vgpr40
.LBB191_205:                            ;   in Loop: Header=BB191_145 Depth=1
	s_andn2_saveexec_b64 s[14:15], s[44:45]
	s_cbranch_execz .LBB191_211
; %bb.206:                              ;   in Loop: Header=BB191_145 Depth=1
	s_mov_b32 s10, 0x6a3f9475
	s_mov_b32 s11, 0x20ca2fe7
	v_cmp_ngt_f64_e32 vcc, s[10:11], v[39:40]
                                        ; implicit-def: $vgpr35_vgpr36
                                        ; implicit-def: $vgpr9_vgpr10
	s_and_saveexec_b64 s[10:11], vcc
	s_xor_b64 s[44:45], exec, s[10:11]
	s_cbranch_execz .LBB191_208
; %bb.207:                              ;   in Loop: Header=BB191_145 Depth=1
	v_mul_f64 v[9:10], v[39:40], v[39:40]
	s_mov_b32 s95, s27
	s_mov_b32 s82, s24
	;; [unrolled: 1-line block ×3, first 2 shown]
	v_cmp_class_f64_e64 s[46:47], v[3:4], s62
	v_cmp_class_f64_e64 s[48:49], v[1:2], s62
	s_mov_b32 s13, 0x7ff00000
	v_add_f64 v[35:36], v[9:10], 1.0
	v_cmp_neq_f64_e64 s[12:13], s[12:13], v[9:10]
	v_frexp_mant_f64_e32 v[39:40], v[35:36]
	v_frexp_exp_i32_f64_e32 v11, v[35:36]
	v_add_f64 v[37:38], v[35:36], -1.0
	v_cmp_gt_f64_e32 vcc, s[26:27], v[39:40]
	v_add_f64 v[41:42], v[37:38], -v[35:36]
	v_add_f64 v[37:38], v[9:10], -v[37:38]
	v_subbrev_co_u32_e32 v11, vcc, 0, v11, vcc
	v_sub_u32_e32 v18, 0, v11
	v_ldexp_f64 v[35:36], v[35:36], v18
	v_add_f64 v[39:40], v[41:42], 1.0
	v_add_f64 v[41:42], v[35:36], 1.0
	v_add_f64 v[37:38], v[37:38], v[39:40]
	v_add_f64 v[47:48], v[35:36], -1.0
	v_add_f64 v[39:40], v[41:42], -1.0
	v_ldexp_f64 v[37:38], v[37:38], v18
	v_add_f64 v[49:50], v[47:48], 1.0
	v_add_f64 v[39:40], v[35:36], -v[39:40]
	v_add_f64 v[35:36], v[35:36], -v[49:50]
	v_add_f64 v[39:40], v[37:38], v[39:40]
	v_add_f64 v[35:36], v[37:38], v[35:36]
	;; [unrolled: 1-line block ×4, first 2 shown]
	v_rcp_f64_e32 v[45:46], v[43:44]
	v_add_f64 v[41:42], v[41:42], -v[43:44]
	v_add_f64 v[47:48], v[47:48], -v[49:50]
	v_add_f64 v[39:40], v[39:40], v[41:42]
	v_add_f64 v[35:36], v[35:36], v[47:48]
	v_fma_f64 v[51:52], -v[43:44], v[45:46], 1.0
	v_fma_f64 v[45:46], v[51:52], v[45:46], v[45:46]
	v_fma_f64 v[37:38], -v[43:44], v[45:46], 1.0
	v_fma_f64 v[37:38], v[37:38], v[45:46], v[45:46]
	v_mul_f64 v[45:46], v[49:50], v[37:38]
	v_mul_f64 v[51:52], v[43:44], v[45:46]
	v_fma_f64 v[41:42], v[45:46], v[43:44], -v[51:52]
	v_fma_f64 v[41:42], v[45:46], v[39:40], v[41:42]
	v_add_f64 v[53:54], v[51:52], v[41:42]
	v_add_f64 v[55:56], v[49:50], -v[53:54]
	v_add_f64 v[47:48], v[53:54], -v[51:52]
	v_add_f64 v[49:50], v[49:50], -v[55:56]
	v_add_f64 v[41:42], v[47:48], -v[41:42]
	v_max_f64 v[47:48], |v[1:2]|, |v[1:2]|
	v_ashrrev_i32_e32 v1, 31, v2
	v_and_b32_e32 v18, 0x54442d18, v1
	v_add_f64 v[49:50], v[49:50], -v[53:54]
	v_add_f64 v[35:36], v[35:36], v[49:50]
	v_add_f64 v[35:36], v[41:42], v[35:36]
	v_max_f64 v[41:42], |v[3:4]|, |v[3:4]|
	v_add_f64 v[49:50], v[55:56], v[35:36]
	v_max_f64 v[51:52], v[47:48], v[41:42]
	v_min_f64 v[41:42], v[47:48], v[41:42]
	v_mul_f64 v[47:48], v[37:38], v[49:50]
	v_add_f64 v[55:56], v[55:56], -v[49:50]
	v_div_scale_f64 v[53:54], s[10:11], v[51:52], v[51:52], v[41:42]
	s_mov_b32 s10, 0xaf56de9b
	s_mov_b32 s11, 0xbf67952d
	v_mul_f64 v[57:58], v[43:44], v[47:48]
	v_add_f64 v[35:36], v[35:36], v[55:56]
	v_fma_f64 v[43:44], v[47:48], v[43:44], -v[57:58]
	v_rcp_f64_e32 v[59:60], v[53:54]
	v_fma_f64 v[39:40], v[47:48], v[39:40], v[43:44]
	v_add_f64 v[43:44], v[57:58], v[39:40]
	v_fma_f64 v[61:62], -v[53:54], v[59:60], 1.0
	v_add_f64 v[70:71], v[49:50], -v[43:44]
	v_add_f64 v[55:56], v[43:44], -v[57:58]
	v_fma_f64 v[59:60], v[59:60], v[61:62], v[59:60]
	v_div_scale_f64 v[61:62], vcc, v[41:42], v[51:52], v[41:42]
	v_add_f64 v[49:50], v[49:50], -v[70:71]
	v_add_f64 v[39:40], v[55:56], -v[39:40]
	v_fma_f64 v[72:73], -v[53:54], v[59:60], 1.0
	v_add_f64 v[55:56], v[45:46], v[47:48]
	v_add_f64 v[43:44], v[49:50], -v[43:44]
	v_fma_f64 v[49:50], v[59:60], v[72:73], v[59:60]
	v_add_f64 v[45:46], v[55:56], -v[45:46]
	v_add_f64 v[35:36], v[35:36], v[43:44]
	v_mul_f64 v[43:44], v[61:62], v[49:50]
	v_add_f64 v[35:36], v[39:40], v[35:36]
	v_fma_f64 v[39:40], -v[53:54], v[43:44], v[61:62]
	v_add_f64 v[35:36], v[70:71], v[35:36]
	v_div_fmas_f64 v[39:40], v[39:40], v[49:50], v[43:44]
	v_add_f64 v[43:44], v[47:48], -v[45:46]
	v_cmp_gt_i32_e32 vcc, 0, v2
	v_mul_f64 v[35:36], v[37:38], v[35:36]
	v_add_f64 v[35:36], v[43:44], v[35:36]
	v_div_fixup_f64 v[37:38], v[39:40], v[51:52], v[41:42]
	v_cvt_f64_i32_e32 v[51:52], v11
	v_cndmask_b32_e32 v11, v66, v67, vcc
	v_mul_f64 v[53:54], v[51:52], s[40:41]
	v_add_f64 v[39:40], v[55:56], v[35:36]
	v_mul_f64 v[41:42], v[37:38], v[37:38]
	v_mul_f64 v[43:44], v[39:40], v[39:40]
	v_fma_f64 v[45:46], v[41:42], s[54:55], v[21:22]
	v_fma_f64 v[47:48], v[43:44], s[28:29], v[19:20]
	v_mul_f64 v[49:50], v[39:40], v[43:44]
	v_fma_f64 v[45:46], v[41:42], v[45:46], s[52:53]
	v_fma_f64 v[47:48], v[43:44], v[47:48], s[30:31]
	v_fma_f64 v[45:46], v[41:42], v[45:46], s[10:11]
	s_mov_b32 s10, 0xa595c56f
	s_mov_b32 s11, 0x3f7d6d43
	v_fma_f64 v[47:48], v[43:44], v[47:48], s[34:35]
	v_fma_f64 v[45:46], v[41:42], v[45:46], s[10:11]
	s_mov_b32 s10, 0xa57d9582
	s_mov_b32 s11, 0xbf8c6ea4
	v_fma_f64 v[47:48], v[43:44], v[47:48], s[36:37]
	v_fma_f64 v[45:46], v[41:42], v[45:46], s[10:11]
	;; [unrolled: 4-line block ×3, first 2 shown]
	s_mov_b32 s10, 0xfc27006a
	s_mov_b32 s11, 0xbf9e9ae6
	v_fma_f64 v[43:44], v[43:44], v[47:48], s[94:95]
	v_ldexp_f64 v[47:48], v[39:40], 1
	v_fma_f64 v[45:46], v[41:42], v[45:46], s[10:11]
	s_mov_b32 s10, 0x5711927a
	s_mov_b32 s11, 0x3fa2c15b
	v_add_f64 v[39:40], v[39:40], -v[55:56]
	v_mul_f64 v[43:44], v[49:50], v[43:44]
	v_fma_f64 v[45:46], v[41:42], v[45:46], s[10:11]
	s_mov_b32 s10, 0xe82d3ff0
	s_mov_b32 s11, 0xbfa59976
	v_add_f64 v[35:36], v[35:36], -v[39:40]
	v_add_f64 v[49:50], v[47:48], v[43:44]
	v_fma_f64 v[45:46], v[41:42], v[45:46], s[10:11]
	s_mov_b32 s10, 0x6ef28734
	s_mov_b32 s11, 0x3fa82d5d
	v_ldexp_f64 v[35:36], v[35:36], 1
	v_add_f64 v[39:40], v[49:50], -v[47:48]
	v_fma_f64 v[47:48], v[51:52], s[40:41], -v[53:54]
	v_fma_f64 v[45:46], v[41:42], v[45:46], s[10:11]
	v_cmp_eq_f64_e64 s[10:11], 0, v[3:4]
	v_add_f64 v[39:40], v[43:44], -v[39:40]
	v_fma_f64 v[43:44], v[41:42], v[45:46], s[64:65]
	v_fma_f64 v[45:46], v[51:52], s[42:43], v[47:48]
	v_add_f64 v[35:36], v[35:36], v[39:40]
	v_fma_f64 v[39:40], v[41:42], v[43:44], s[66:67]
	v_add_f64 v[43:44], v[53:54], v[45:46]
	v_add_f64 v[47:48], v[49:50], v[35:36]
	v_fma_f64 v[39:40], v[41:42], v[39:40], s[68:69]
	v_add_f64 v[53:54], v[43:44], -v[53:54]
	v_add_f64 v[51:52], v[43:44], v[47:48]
	v_add_f64 v[49:50], v[47:48], -v[49:50]
	v_fma_f64 v[39:40], v[41:42], v[39:40], s[70:71]
	v_add_f64 v[45:46], v[45:46], -v[53:54]
	v_add_f64 v[55:56], v[51:52], -v[43:44]
	;; [unrolled: 1-line block ×3, first 2 shown]
	v_fma_f64 v[39:40], v[41:42], v[39:40], s[72:73]
	v_add_f64 v[57:58], v[51:52], -v[55:56]
	v_add_f64 v[47:48], v[47:48], -v[55:56]
	v_fma_f64 v[39:40], v[41:42], v[39:40], s[74:75]
	v_add_f64 v[49:50], v[45:46], v[35:36]
	v_add_f64 v[43:44], v[43:44], -v[57:58]
	v_fma_f64 v[39:40], v[41:42], v[39:40], s[76:77]
	v_add_f64 v[43:44], v[47:48], v[43:44]
	;; [unrolled: 3-line block ×3, first 2 shown]
	v_add_f64 v[49:50], v[49:50], -v[47:48]
	v_fma_f64 v[39:40], v[41:42], v[39:40], s[80:81]
	v_add_f64 v[35:36], v[35:36], -v[47:48]
	v_add_f64 v[53:54], v[51:52], v[43:44]
	v_mul_f64 v[39:40], v[41:42], v[39:40]
	v_add_f64 v[41:42], v[45:46], -v[49:50]
	v_add_f64 v[45:46], v[53:54], -v[51:52]
	v_fma_f64 v[37:38], v[37:38], v[39:40], v[37:38]
	v_add_f64 v[35:36], v[35:36], v[41:42]
	v_add_f64 v[39:40], v[43:44], -v[45:46]
	v_add_f64 v[41:42], -v[37:38], s[24:25]
	v_add_f64 v[35:36], v[35:36], v[39:40]
	v_cndmask_b32_e64 v38, v38, v42, s[8:9]
	v_cndmask_b32_e64 v37, v37, v41, s[8:9]
	v_add_f64 v[39:40], -v[37:38], s[82:83]
	v_and_b32_e32 v41, 0x400921fb, v1
	v_add_f64 v[35:36], v[53:54], v[35:36]
	v_cndmask_b32_e32 v37, v37, v39, vcc
	v_cndmask_b32_e32 v39, v68, v69, vcc
	;; [unrolled: 1-line block ×3, first 2 shown]
	v_bfi_b32 v9, s61, v39, v4
	v_mul_f64 v[1:2], v[35:36], 0.5
	v_cndmask_b32_e64 v18, v37, v18, s[10:11]
	v_cndmask_b32_e64 v10, v10, v41, s[10:11]
	s_and_b64 vcc, s[46:47], s[48:49]
	v_cndmask_b32_e32 v10, v10, v9, vcc
	v_cndmask_b32_e32 v9, v18, v11, vcc
                                        ; implicit-def: $vgpr39_vgpr40
	v_cndmask_b32_e64 v36, v63, v2, s[12:13]
	v_cndmask_b32_e64 v35, 0, v1, s[12:13]
.LBB191_208:                            ;   in Loop: Header=BB191_145 Depth=1
	s_andn2_saveexec_b64 s[12:13], s[44:45]
	s_cbranch_execz .LBB191_210
; %bb.209:                              ;   in Loop: Header=BB191_145 Depth=1
	v_max_f64 v[9:10], |v[3:4]|, |v[3:4]|
	v_max_f64 v[35:36], |v[1:2]|, |v[1:2]|
	s_mov_b32 s82, s24
	v_cmp_class_f64_e64 s[44:45], v[3:4], s62
	v_cmp_class_f64_e64 s[46:47], v[1:2], s62
	v_ashrrev_i32_e32 v11, 31, v2
	v_max_f64 v[37:38], v[35:36], v[9:10]
	v_min_f64 v[9:10], v[35:36], v[9:10]
	v_div_scale_f64 v[35:36], s[10:11], v[37:38], v[37:38], v[9:10]
	s_mov_b32 s10, 0xaf56de9b
	s_mov_b32 s11, 0xbf67952d
	v_rcp_f64_e32 v[41:42], v[35:36]
	v_fma_f64 v[43:44], -v[35:36], v[41:42], 1.0
	v_fma_f64 v[41:42], v[41:42], v[43:44], v[41:42]
	v_div_scale_f64 v[43:44], vcc, v[9:10], v[37:38], v[9:10]
	v_fma_f64 v[45:46], -v[35:36], v[41:42], 1.0
	v_fma_f64 v[41:42], v[41:42], v[45:46], v[41:42]
	v_mul_f64 v[45:46], v[43:44], v[41:42]
	v_fma_f64 v[35:36], -v[35:36], v[45:46], v[43:44]
	v_div_fmas_f64 v[35:36], v[35:36], v[41:42], v[45:46]
	v_mul_f64 v[41:42], v[39:40], 0.5
	v_cmp_gt_i32_e32 vcc, 0, v2
	v_cndmask_b32_e32 v1, v68, v69, vcc
	v_and_b32_e32 v2, 0x400921fb, v11
	v_cndmask_b32_e32 v18, v66, v67, vcc
	v_bfi_b32 v1, s61, v1, v4
	v_div_fixup_f64 v[9:10], v[35:36], v[37:38], v[9:10]
	v_mul_f64 v[35:36], v[9:10], v[9:10]
	v_fma_f64 v[37:38], v[35:36], s[54:55], v[21:22]
	v_fma_f64 v[37:38], v[35:36], v[37:38], s[52:53]
	v_fma_f64 v[37:38], v[35:36], v[37:38], s[10:11]
	s_mov_b32 s10, 0xa595c56f
	s_mov_b32 s11, 0x3f7d6d43
	v_fma_f64 v[37:38], v[35:36], v[37:38], s[10:11]
	s_mov_b32 s10, 0xa57d9582
	s_mov_b32 s11, 0xbf8c6ea4
	v_fma_f64 v[37:38], v[35:36], v[37:38], s[10:11]
	;; [unrolled: 3-line block ×7, first 2 shown]
	v_cmp_eq_f64_e64 s[10:11], 0, v[3:4]
	v_fma_f64 v[37:38], v[35:36], v[37:38], s[64:65]
	v_fma_f64 v[37:38], v[35:36], v[37:38], s[66:67]
	;; [unrolled: 1-line block ×9, first 2 shown]
	v_mul_f64 v[35:36], v[35:36], v[37:38]
	v_and_b32_e32 v38, 0x54442d18, v11
	v_fma_f64 v[9:10], v[9:10], v[35:36], v[9:10]
	v_add_f64 v[35:36], -v[9:10], s[24:25]
	v_cndmask_b32_e64 v10, v10, v36, s[8:9]
	v_cndmask_b32_e64 v9, v9, v35, s[8:9]
	v_add_f64 v[36:37], -v[9:10], s[82:83]
	v_cndmask_b32_e32 v9, v9, v36, vcc
	v_mul_f64 v[35:36], v[39:40], v[41:42]
	v_cndmask_b32_e32 v10, v10, v37, vcc
	v_cndmask_b32_e64 v9, v9, v38, s[10:11]
	v_cndmask_b32_e64 v2, v10, v2, s[10:11]
	s_and_b64 vcc, s[44:45], s[46:47]
	v_cndmask_b32_e32 v10, v2, v1, vcc
	v_cndmask_b32_e32 v9, v9, v18, vcc
.LBB191_210:                            ;   in Loop: Header=BB191_145 Depth=1
	s_or_b64 exec, exec, s[12:13]
.LBB191_211:                            ;   in Loop: Header=BB191_145 Depth=1
	s_or_b64 exec, exec, s[14:15]
.LBB191_212:                            ;   in Loop: Header=BB191_145 Depth=1
	s_andn2_saveexec_b64 s[12:13], s[86:87]
	s_cbranch_execz .LBB191_214
; %bb.213:                              ;   in Loop: Header=BB191_145 Depth=1
	v_div_scale_f64 v[9:10], s[10:11], s[88:89], s[88:89], v[1:2]
	v_div_scale_f64 v[35:36], s[10:11], s[88:89], s[88:89], v[3:4]
	;; [unrolled: 1-line block ×3, first 2 shown]
	s_mov_b32 s95, s27
	s_mov_b32 s82, s24
	v_cmp_class_f64_e64 s[44:45], v[1:2], s62
	v_rcp_f64_e32 v[37:38], v[9:10]
	v_rcp_f64_e32 v[39:40], v[35:36]
	v_fma_f64 v[41:42], -v[9:10], v[37:38], 1.0
	v_fma_f64 v[43:44], -v[35:36], v[39:40], 1.0
	v_fma_f64 v[37:38], v[37:38], v[41:42], v[37:38]
	v_div_scale_f64 v[41:42], vcc, v[1:2], s[88:89], v[1:2]
	v_fma_f64 v[39:40], v[39:40], v[43:44], v[39:40]
	v_fma_f64 v[43:44], -v[9:10], v[37:38], 1.0
	v_fma_f64 v[47:48], -v[35:36], v[39:40], 1.0
	v_fma_f64 v[37:38], v[37:38], v[43:44], v[37:38]
	v_fma_f64 v[39:40], v[39:40], v[47:48], v[39:40]
	v_mul_f64 v[43:44], v[41:42], v[37:38]
	v_mul_f64 v[47:48], v[45:46], v[39:40]
	v_fma_f64 v[9:10], -v[9:10], v[43:44], v[41:42]
	v_fma_f64 v[35:36], -v[35:36], v[47:48], v[45:46]
	v_div_fmas_f64 v[9:10], v[9:10], v[37:38], v[43:44]
	s_mov_b64 vcc, s[10:11]
	v_div_fmas_f64 v[35:36], v[35:36], v[39:40], v[47:48]
	v_max_f64 v[46:47], |v[1:2]|, |v[1:2]|
	v_div_fixup_f64 v[9:10], v[9:10], s[88:89], v[1:2]
	v_ashrrev_i32_e32 v1, 31, v2
	v_div_fixup_f64 v[35:36], v[35:36], s[88:89], v[3:4]
	v_cmp_class_f64_e64 s[10:11], v[9:10], s62
	v_max_f64 v[37:38], |v[9:10]|, |v[35:36]|
	v_cmp_class_f64_e64 s[14:15], v[35:36], s62
	v_frexp_exp_i32_f64_e32 v11, v[37:38]
	v_sub_u32_e32 v18, 0, v11
	v_ldexp_f64 v[37:38], |v[35:36]|, v18
	v_ldexp_f64 v[39:40], |v[9:10]|, v18
	v_mul_f64 v[37:38], v[37:38], v[37:38]
	v_fma_f64 v[37:38], v[39:40], v[39:40], v[37:38]
	v_rsq_f64_e32 v[39:40], v[37:38]
	v_cmp_eq_f64_e32 vcc, 0, v[37:38]
	v_mul_f64 v[41:42], v[37:38], v[39:40]
	v_mul_f64 v[39:40], v[39:40], 0.5
	v_fma_f64 v[43:44], -v[39:40], v[41:42], 0.5
	v_fma_f64 v[41:42], v[41:42], v[43:44], v[41:42]
	v_fma_f64 v[39:40], v[39:40], v[43:44], v[39:40]
	v_fma_f64 v[43:44], -v[41:42], v[41:42], v[37:38]
	v_fma_f64 v[39:40], v[43:44], v[39:40], v[41:42]
	v_max_f64 v[44:45], |v[3:4]|, |v[3:4]|
	v_cndmask_b32_e32 v38, v40, v38, vcc
	v_cndmask_b32_e32 v37, v39, v37, vcc
	v_ldexp_f64 v[37:38], v[37:38], v11
	v_cmp_o_f64_e32 vcc, v[9:10], v[35:36]
	v_and_b32_e32 v35, 0x54442d18, v1
	v_cndmask_b32_e32 v9, 0, v37, vcc
	v_cndmask_b32_e32 v10, v64, v38, vcc
	s_or_b64 vcc, s[14:15], s[10:11]
	v_cndmask_b32_e32 v37, v10, v63, vcc
	v_cndmask_b32_e64 v36, v9, 0, vcc
	v_frexp_mant_f64_e32 v[9:10], v[36:37]
	v_cmp_gt_f64_e64 s[10:11], s[26:27], v[9:10]
	v_cndmask_b32_e64 v11, 0, 1, s[10:11]
	v_ldexp_f64 v[9:10], v[9:10], v11
	v_frexp_exp_i32_f64_e32 v11, v[36:37]
	v_add_f64 v[38:39], v[9:10], 1.0
	v_add_f64 v[50:51], v[9:10], -1.0
	v_rcp_f64_e32 v[40:41], v[38:39]
	v_add_f64 v[54:55], v[38:39], -1.0
	v_add_f64 v[9:10], v[9:10], -v[54:55]
	v_fma_f64 v[42:43], -v[38:39], v[40:41], 1.0
	v_fma_f64 v[40:41], v[42:43], v[40:41], v[40:41]
	v_max_f64 v[42:43], v[46:47], v[44:45]
	v_min_f64 v[44:45], v[46:47], v[44:45]
	v_fma_f64 v[46:47], -v[38:39], v[40:41], 1.0
	v_div_scale_f64 v[48:49], s[14:15], v[42:43], v[42:43], v[44:45]
	s_mov_b32 s14, 0xaf56de9b
	s_mov_b32 s15, 0xbf67952d
	v_fma_f64 v[40:41], v[46:47], v[40:41], v[40:41]
	v_mul_f64 v[46:47], v[50:51], v[40:41]
	v_rcp_f64_e32 v[52:53], v[48:49]
	v_mul_f64 v[56:57], v[38:39], v[46:47]
	v_fma_f64 v[38:39], v[46:47], v[38:39], -v[56:57]
	v_fma_f64 v[54:55], -v[48:49], v[52:53], 1.0
	v_fma_f64 v[9:10], v[46:47], v[9:10], v[38:39]
	v_fma_f64 v[38:39], v[52:53], v[54:55], v[52:53]
	v_div_scale_f64 v[54:55], vcc, v[44:45], v[42:43], v[44:45]
	v_add_f64 v[52:53], v[56:57], v[9:10]
	v_fma_f64 v[58:59], -v[48:49], v[38:39], 1.0
	v_add_f64 v[60:61], v[50:51], -v[52:53]
	v_add_f64 v[56:57], v[52:53], -v[56:57]
	v_fma_f64 v[38:39], v[38:39], v[58:59], v[38:39]
	v_add_f64 v[50:51], v[50:51], -v[60:61]
	v_add_f64 v[9:10], v[56:57], -v[9:10]
	v_mul_f64 v[58:59], v[54:55], v[38:39]
	v_add_f64 v[50:51], v[50:51], -v[52:53]
	v_fma_f64 v[48:49], -v[48:49], v[58:59], v[54:55]
	v_add_f64 v[9:10], v[9:10], v[50:51]
	v_div_fmas_f64 v[38:39], v[48:49], v[38:39], v[58:59]
	v_subbrev_co_u32_e64 v11, vcc, 0, v11, s[10:11]
	s_mov_b32 s10, 0xe82d3ff0
	s_mov_b32 s11, 0xbfa59976
	v_cmp_class_f64_e64 vcc, v[36:37], s62
	v_add_f64 v[9:10], v[60:61], v[9:10]
	v_mul_f64 v[9:10], v[40:41], v[9:10]
	v_div_fixup_f64 v[38:39], v[38:39], v[42:43], v[44:45]
	v_add_f64 v[40:41], v[46:47], v[9:10]
	v_mul_f64 v[42:43], v[38:39], v[38:39]
	v_mul_f64 v[44:45], v[40:41], v[40:41]
	v_fma_f64 v[48:49], v[42:43], s[54:55], v[21:22]
	v_fma_f64 v[50:51], v[44:45], s[28:29], v[19:20]
	v_mul_f64 v[52:53], v[40:41], v[44:45]
	v_fma_f64 v[48:49], v[42:43], v[48:49], s[52:53]
	v_fma_f64 v[50:51], v[44:45], v[50:51], s[30:31]
	;; [unrolled: 1-line block ×3, first 2 shown]
	s_mov_b32 s14, 0xa595c56f
	s_mov_b32 s15, 0x3f7d6d43
	v_fma_f64 v[50:51], v[44:45], v[50:51], s[34:35]
	v_fma_f64 v[48:49], v[42:43], v[48:49], s[14:15]
	s_mov_b32 s14, 0xa57d9582
	s_mov_b32 s15, 0xbf8c6ea4
	v_fma_f64 v[50:51], v[44:45], v[50:51], s[36:37]
	v_fma_f64 v[48:49], v[42:43], v[48:49], s[14:15]
	;; [unrolled: 4-line block ×3, first 2 shown]
	s_mov_b32 s14, 0xfc27006a
	s_mov_b32 s15, 0xbf9e9ae6
	v_fma_f64 v[44:45], v[44:45], v[50:51], s[94:95]
	v_ldexp_f64 v[50:51], v[40:41], 1
	v_fma_f64 v[48:49], v[42:43], v[48:49], s[14:15]
	s_mov_b32 s14, 0x5711927a
	s_mov_b32 s15, 0x3fa2c15b
	v_add_f64 v[40:41], v[40:41], -v[46:47]
	v_mul_f64 v[44:45], v[52:53], v[44:45]
	v_cvt_f64_i32_e32 v[52:53], v11
	v_fma_f64 v[48:49], v[42:43], v[48:49], s[14:15]
	v_cmp_class_f64_e64 s[14:15], v[3:4], s62
	v_mul_f64 v[54:55], v[52:53], s[40:41]
	v_add_f64 v[9:10], v[9:10], -v[40:41]
	v_add_f64 v[46:47], v[50:51], v[44:45]
	v_fma_f64 v[48:49], v[42:43], v[48:49], s[10:11]
	s_mov_b32 s10, 0x6ef28734
	s_mov_b32 s11, 0x3fa82d5d
	v_ldexp_f64 v[9:10], v[9:10], 1
	v_add_f64 v[40:41], v[46:47], -v[50:51]
	v_fma_f64 v[50:51], v[52:53], s[40:41], -v[54:55]
	v_fma_f64 v[48:49], v[42:43], v[48:49], s[10:11]
	v_cmp_eq_f64_e64 s[10:11], 0, v[3:4]
	v_add_f64 v[40:41], v[44:45], -v[40:41]
	v_fma_f64 v[44:45], v[42:43], v[48:49], s[64:65]
	v_fma_f64 v[48:49], v[52:53], s[42:43], v[50:51]
	v_add_f64 v[9:10], v[9:10], v[40:41]
	v_fma_f64 v[40:41], v[42:43], v[44:45], s[66:67]
	v_add_f64 v[44:45], v[54:55], v[48:49]
	v_add_f64 v[50:51], v[46:47], v[9:10]
	v_fma_f64 v[40:41], v[42:43], v[40:41], s[68:69]
	v_add_f64 v[54:55], v[44:45], -v[54:55]
	v_add_f64 v[52:53], v[44:45], v[50:51]
	v_add_f64 v[46:47], v[50:51], -v[46:47]
	v_fma_f64 v[40:41], v[42:43], v[40:41], s[70:71]
	v_add_f64 v[48:49], v[48:49], -v[54:55]
	v_add_f64 v[56:57], v[52:53], -v[44:45]
	;; [unrolled: 1-line block ×3, first 2 shown]
	v_fma_f64 v[40:41], v[42:43], v[40:41], s[72:73]
	v_add_f64 v[58:59], v[52:53], -v[56:57]
	v_add_f64 v[46:47], v[50:51], -v[56:57]
	v_fma_f64 v[40:41], v[42:43], v[40:41], s[74:75]
	v_add_f64 v[50:51], v[48:49], v[9:10]
	v_add_f64 v[44:45], v[44:45], -v[58:59]
	v_fma_f64 v[40:41], v[42:43], v[40:41], s[76:77]
	v_add_f64 v[44:45], v[46:47], v[44:45]
	;; [unrolled: 3-line block ×3, first 2 shown]
	v_add_f64 v[50:51], v[50:51], -v[46:47]
	v_fma_f64 v[40:41], v[42:43], v[40:41], s[80:81]
	v_add_f64 v[9:10], v[9:10], -v[46:47]
	v_add_f64 v[54:55], v[52:53], v[44:45]
	v_mul_f64 v[40:41], v[42:43], v[40:41]
	v_add_f64 v[42:43], v[48:49], -v[50:51]
	v_add_f64 v[46:47], v[54:55], -v[52:53]
	v_fma_f64 v[38:39], v[38:39], v[40:41], v[38:39]
	v_add_f64 v[9:10], v[9:10], v[42:43]
	v_add_f64 v[40:41], v[44:45], -v[46:47]
	v_add_f64 v[42:43], -v[38:39], s[24:25]
	v_add_f64 v[9:10], v[9:10], v[40:41]
	v_cndmask_b32_e64 v39, v39, v43, s[8:9]
	v_cndmask_b32_e64 v38, v38, v42, s[8:9]
	v_add_f64 v[40:41], -v[38:39], s[82:83]
	v_cmp_gt_i32_e64 s[8:9], 0, v2
	v_cndmask_b32_e64 v11, v66, v67, s[8:9]
	v_cndmask_b32_e64 v18, v68, v69, s[8:9]
	v_add_f64 v[9:10], v[54:55], v[9:10]
	v_cndmask_b32_e64 v38, v38, v40, s[8:9]
	v_and_b32_e32 v40, 0x400921fb, v1
	v_cndmask_b32_e32 v2, v10, v37, vcc
	v_cndmask_b32_e32 v1, v9, v36, vcc
	v_add_f64 v[1:2], v[1:2], 1.0
	v_cndmask_b32_e64 v10, v39, v41, s[8:9]
	v_cmp_ngt_f64_e64 s[8:9], 0, v[36:37]
	v_bfi_b32 v9, s61, v18, v4
	v_cndmask_b32_e64 v18, v38, v35, s[10:11]
	v_cndmask_b32_e64 v10, v10, v40, s[10:11]
	s_and_b64 vcc, s[14:15], s[44:45]
	v_cndmask_b32_e32 v10, v10, v9, vcc
	v_cndmask_b32_e32 v9, v18, v11, vcc
	v_cndmask_b32_e64 v2, v64, v2, s[8:9]
	v_cmp_nge_f64_e64 s[8:9], 0, v[36:37]
	v_cndmask_b32_e64 v35, 0, v1, s[8:9]
	v_cmp_neq_f64_e64 s[8:9], 0, v[36:37]
	v_cndmask_b32_e64 v36, v65, v2, s[8:9]
.LBB191_214:                            ;   in Loop: Header=BB191_145 Depth=1
	s_or_b64 exec, exec, s[12:13]
.LBB191_215:                            ;   in Loop: Header=BB191_145 Depth=1
	s_andn2_saveexec_b64 s[8:9], s[20:21]
	s_cbranch_execz .LBB191_221
; %bb.216:                              ;   in Loop: Header=BB191_145 Depth=1
	v_cmp_nlt_f64_e64 s[10:11], |v[1:2]|, s[84:85]
	v_cmp_nlt_f64_e64 s[12:13], |v[3:4]|, s[84:85]
                                        ; implicit-def: $vgpr36_vgpr37
	s_or_b64 s[10:11], s[12:13], s[10:11]
	s_and_saveexec_b64 s[12:13], s[10:11]
	s_xor_b64 s[10:11], exec, s[12:13]
	s_cbranch_execz .LBB191_218
; %bb.217:                              ;   in Loop: Header=BB191_145 Depth=1
	v_mul_f64 v[1:2], v[1:2], v[1:2]
	v_fma_f64 v[36:37], v[3:4], v[3:4], v[1:2]
.LBB191_218:                            ;   in Loop: Header=BB191_145 Depth=1
	s_andn2_saveexec_b64 s[10:11], s[10:11]
	s_cbranch_execz .LBB191_220
; %bb.219:                              ;   in Loop: Header=BB191_145 Depth=1
	v_mul_f64 v[1:2], v[1:2], 4.0
	v_mul_f64 v[9:10], v[3:4], 4.0
	v_mul_f64 v[1:2], v[1:2], v[1:2]
	v_fma_f64 v[1:2], v[9:10], v[9:10], v[1:2]
	v_ldexp_f64 v[36:37], v[1:2], -4
.LBB191_220:                            ;   in Loop: Header=BB191_145 Depth=1
	s_or_b64 exec, exec, s[10:11]
	v_frexp_mant_f64_e32 v[1:2], v[36:37]
	s_mov_b32 s95, s27
	v_cmp_gt_f64_e32 vcc, s[26:27], v[1:2]
	v_cndmask_b32_e64 v3, 0, 1, vcc
	v_ldexp_f64 v[1:2], v[1:2], v3
	v_frexp_exp_i32_f64_e32 v3, v[36:37]
	v_add_f64 v[9:10], v[1:2], 1.0
	v_add_f64 v[42:43], v[1:2], -1.0
	v_subbrev_co_u32_e32 v3, vcc, 0, v3, vcc
	v_cmp_class_f64_e64 vcc, v[36:37], s62
	v_rcp_f64_e32 v[38:39], v[9:10]
	v_add_f64 v[44:45], v[9:10], -1.0
	v_add_f64 v[1:2], v[1:2], -v[44:45]
	v_fma_f64 v[40:41], -v[9:10], v[38:39], 1.0
	v_fma_f64 v[38:39], v[40:41], v[38:39], v[38:39]
	v_fma_f64 v[40:41], -v[9:10], v[38:39], 1.0
	v_fma_f64 v[38:39], v[40:41], v[38:39], v[38:39]
	v_mul_f64 v[40:41], v[42:43], v[38:39]
	v_mul_f64 v[46:47], v[9:10], v[40:41]
	v_fma_f64 v[9:10], v[40:41], v[9:10], -v[46:47]
	v_fma_f64 v[1:2], v[40:41], v[1:2], v[9:10]
	v_add_f64 v[9:10], v[46:47], v[1:2]
	v_add_f64 v[44:45], v[42:43], -v[9:10]
	v_add_f64 v[46:47], v[9:10], -v[46:47]
	;; [unrolled: 1-line block ×5, first 2 shown]
	v_add_f64 v[1:2], v[1:2], v[9:10]
	v_add_f64 v[1:2], v[44:45], v[1:2]
	v_mul_f64 v[1:2], v[38:39], v[1:2]
	v_add_f64 v[9:10], v[40:41], v[1:2]
	v_mul_f64 v[38:39], v[9:10], v[9:10]
	v_fma_f64 v[42:43], v[38:39], s[28:29], v[19:20]
	v_mul_f64 v[44:45], v[9:10], v[38:39]
	v_fma_f64 v[42:43], v[38:39], v[42:43], s[30:31]
	v_fma_f64 v[42:43], v[38:39], v[42:43], s[34:35]
	v_fma_f64 v[42:43], v[38:39], v[42:43], s[36:37]
	v_fma_f64 v[42:43], v[38:39], v[42:43], s[38:39]
	v_fma_f64 v[38:39], v[38:39], v[42:43], s[94:95]
	v_ldexp_f64 v[42:43], v[9:10], 1
	v_add_f64 v[9:10], v[9:10], -v[40:41]
	v_mul_f64 v[38:39], v[44:45], v[38:39]
	v_cvt_f64_i32_e32 v[44:45], v3
	v_add_f64 v[1:2], v[1:2], -v[9:10]
	v_mul_f64 v[46:47], v[44:45], s[40:41]
	v_add_f64 v[40:41], v[42:43], v[38:39]
	v_ldexp_f64 v[1:2], v[1:2], 1
	v_add_f64 v[9:10], v[40:41], -v[42:43]
	v_fma_f64 v[42:43], v[44:45], s[40:41], -v[46:47]
	v_add_f64 v[9:10], v[38:39], -v[9:10]
	v_fma_f64 v[38:39], v[44:45], s[42:43], v[42:43]
	v_add_f64 v[1:2], v[1:2], v[9:10]
	v_add_f64 v[9:10], v[46:47], v[38:39]
	;; [unrolled: 1-line block ×3, first 2 shown]
	v_add_f64 v[46:47], v[9:10], -v[46:47]
	v_add_f64 v[44:45], v[9:10], v[42:43]
	v_add_f64 v[40:41], v[42:43], -v[40:41]
	v_add_f64 v[38:39], v[38:39], -v[46:47]
	;; [unrolled: 1-line block ×6, first 2 shown]
	v_add_f64 v[42:43], v[38:39], v[1:2]
	v_add_f64 v[9:10], v[9:10], -v[50:51]
	v_add_f64 v[9:10], v[40:41], v[9:10]
	v_add_f64 v[40:41], v[42:43], -v[38:39]
	;; [unrolled: 2-line block ×3, first 2 shown]
	v_add_f64 v[1:2], v[1:2], -v[40:41]
	v_add_f64 v[46:47], v[44:45], v[9:10]
	v_add_f64 v[38:39], v[38:39], -v[42:43]
	v_add_f64 v[40:41], v[46:47], -v[44:45]
	v_add_f64 v[1:2], v[1:2], v[38:39]
	v_add_f64 v[9:10], v[9:10], -v[40:41]
	v_add_f64 v[1:2], v[1:2], v[9:10]
	v_mov_b32_e32 v9, 0
	v_mov_b32_e32 v10, 0x7ff80000
	v_add_f64 v[1:2], v[46:47], v[1:2]
	v_cndmask_b32_e32 v1, v1, v36, vcc
	v_cndmask_b32_e32 v2, v2, v37, vcc
	v_cmp_ngt_f64_e32 vcc, 0, v[36:37]
	v_cndmask_b32_e32 v2, v64, v2, vcc
	v_cmp_nge_f64_e32 vcc, 0, v[36:37]
	v_cndmask_b32_e32 v35, 0, v1, vcc
	v_cmp_neq_f64_e32 vcc, 0, v[36:37]
	v_cndmask_b32_e32 v36, v65, v2, vcc
.LBB191_221:                            ;   in Loop: Header=BB191_145 Depth=1
	s_or_b64 exec, exec, s[8:9]
	v_cmp_o_f64_e32 vcc, v[13:14], v[15:16]
                                        ; implicit-def: $vgpr37_vgpr38
                                        ; implicit-def: $vgpr1_vgpr2
	s_and_saveexec_b64 s[8:9], vcc
	s_xor_b64 s[20:21], exec, s[8:9]
	s_cbranch_execz .LBB191_249
; %bb.222:                              ;   in Loop: Header=BB191_145 Depth=1
	v_cmp_lt_f64_e64 s[8:9], |v[13:14]|, |v[15:16]|
	v_and_b32_e32 v3, 0x7fffffff, v14
	v_and_b32_e32 v11, 0x7fffffff, v16
	s_mov_b32 s10, 0x85ebc8a0
	s_mov_b32 s11, 0x7fd1ccf3
	v_mov_b32_e32 v18, v15
                                        ; implicit-def: $vgpr37_vgpr38
                                        ; implicit-def: $vgpr1_vgpr2
	v_cndmask_b32_e64 v42, v11, v3, s[8:9]
	v_cndmask_b32_e64 v41, v15, v13, s[8:9]
	v_cmp_nlt_f64_e32 vcc, s[10:11], v[41:42]
	s_and_saveexec_b64 s[10:11], vcc
	s_xor_b64 s[44:45], exec, s[10:11]
	s_cbranch_execz .LBB191_246
; %bb.223:                              ;   in Loop: Header=BB191_145 Depth=1
	v_cndmask_b32_e64 v44, v3, v11, s[8:9]
	v_cndmask_b32_e64 v43, v13, v18, s[8:9]
	v_cmp_neq_f64_e32 vcc, 1.0, v[43:44]
                                        ; implicit-def: $vgpr37_vgpr38
                                        ; implicit-def: $vgpr1_vgpr2
	s_and_saveexec_b64 s[10:11], vcc
	s_xor_b64 s[46:47], exec, s[10:11]
	s_cbranch_execz .LBB191_239
; %bb.224:                              ;   in Loop: Header=BB191_145 Depth=1
	v_max_f64 v[1:2], v[41:42], v[41:42]
	v_max_f64 v[37:38], v[43:44], v[43:44]
	s_mov_b32 s10, 0x4ad4b81f
	s_mov_b32 s11, 0x358dee7a
	v_min_f64 v[39:40], v[37:38], v[1:2]
	v_max_f64 v[1:2], v[37:38], v[1:2]
                                        ; implicit-def: $vgpr37_vgpr38
	v_cmp_ngt_f64_e32 vcc, s[10:11], v[39:40]
	s_mov_b32 s10, 0xc57e649a
	s_mov_b32 s11, 0x4a511b0e
	v_cmp_nlt_f64_e64 s[10:11], s[10:11], v[1:2]
                                        ; implicit-def: $vgpr1_vgpr2
	s_and_b64 s[10:11], s[10:11], vcc
	s_and_saveexec_b64 s[12:13], s[10:11]
	s_xor_b64 s[86:87], exec, s[12:13]
	s_cbranch_execz .LBB191_236
; %bb.225:                              ;   in Loop: Header=BB191_145 Depth=1
	v_cmp_le_f64_e32 vcc, 1.0, v[43:44]
                                        ; implicit-def: $vgpr37_vgpr38
                                        ; implicit-def: $vgpr1_vgpr2
	s_and_saveexec_b64 s[10:11], vcc
	s_xor_b64 s[48:49], exec, s[10:11]
	s_cbranch_execz .LBB191_227
; %bb.226:                              ;   in Loop: Header=BB191_145 Depth=1
	v_add_f64 v[1:2], v[43:44], -1.0
	v_add_f64 v[37:38], v[43:44], 1.0
	s_mov_b32 s95, s27
	s_mov_b32 s82, s24
	;; [unrolled: 1-line block ×4, first 2 shown]
	v_cmp_class_f64_e64 s[50:51], v[15:16], s62
	v_mul_f64 v[1:2], v[1:2], v[37:38]
	v_fma_f64 v[38:39], v[41:42], v[41:42], v[1:2]
	v_add_f64 v[2:3], v[38:39], 1.0
	v_cmp_nge_f64_e64 s[12:13], -1.0, v[38:39]
	v_cmp_neq_f64_e64 s[14:15], s[14:15], v[38:39]
	v_frexp_mant_f64_e32 v[42:43], v[2:3]
	v_frexp_exp_i32_f64_e32 v1, v[2:3]
	v_add_f64 v[40:41], v[2:3], -1.0
	v_cmp_gt_f64_e32 vcc, s[26:27], v[42:43]
	v_add_f64 v[44:45], v[40:41], -v[2:3]
	v_add_f64 v[40:41], v[38:39], -v[40:41]
	v_subbrev_co_u32_e32 v1, vcc, 0, v1, vcc
	v_sub_u32_e32 v11, 0, v1
	v_ldexp_f64 v[2:3], v[2:3], v11
	v_add_f64 v[42:43], v[44:45], 1.0
	v_add_f64 v[44:45], v[2:3], 1.0
	v_add_f64 v[40:41], v[40:41], v[42:43]
	v_add_f64 v[50:51], v[2:3], -1.0
	v_add_f64 v[42:43], v[44:45], -1.0
	v_ldexp_f64 v[40:41], v[40:41], v11
	v_add_f64 v[52:53], v[50:51], 1.0
	v_add_f64 v[42:43], v[2:3], -v[42:43]
	v_add_f64 v[2:3], v[2:3], -v[52:53]
	v_add_f64 v[42:43], v[40:41], v[42:43]
	v_add_f64 v[2:3], v[40:41], v[2:3]
	;; [unrolled: 1-line block ×4, first 2 shown]
	v_rcp_f64_e32 v[48:49], v[46:47]
	v_add_f64 v[44:45], v[46:47], -v[44:45]
	v_add_f64 v[50:51], v[52:53], -v[50:51]
	;; [unrolled: 1-line block ×4, first 2 shown]
	v_fma_f64 v[54:55], -v[46:47], v[48:49], 1.0
	v_fma_f64 v[48:49], v[54:55], v[48:49], v[48:49]
	v_fma_f64 v[40:41], -v[46:47], v[48:49], 1.0
	v_fma_f64 v[40:41], v[40:41], v[48:49], v[48:49]
	v_mul_f64 v[48:49], v[52:53], v[40:41]
	v_mul_f64 v[54:55], v[46:47], v[48:49]
	v_fma_f64 v[44:45], v[48:49], v[46:47], -v[54:55]
	v_fma_f64 v[44:45], v[48:49], v[42:43], v[44:45]
	v_add_f64 v[56:57], v[54:55], v[44:45]
	v_add_f64 v[58:59], v[52:53], -v[56:57]
	v_add_f64 v[50:51], v[56:57], -v[54:55]
	;; [unrolled: 1-line block ×4, first 2 shown]
	v_max_f64 v[50:51], |v[13:14]|, |v[13:14]|
	v_add_f64 v[52:53], v[52:53], -v[56:57]
	v_add_f64 v[2:3], v[2:3], v[52:53]
	v_add_f64 v[2:3], v[44:45], v[2:3]
	v_max_f64 v[44:45], |v[15:16]|, |v[15:16]|
	v_add_f64 v[52:53], v[58:59], v[2:3]
	v_max_f64 v[54:55], v[50:51], v[44:45]
	v_min_f64 v[44:45], v[50:51], v[44:45]
	v_mul_f64 v[50:51], v[40:41], v[52:53]
	v_add_f64 v[58:59], v[58:59], -v[52:53]
	v_div_scale_f64 v[56:57], s[10:11], v[54:55], v[54:55], v[44:45]
	s_mov_b32 s10, 0xaf56de9b
	s_mov_b32 s11, 0xbf67952d
	v_mul_f64 v[60:61], v[46:47], v[50:51]
	v_add_f64 v[2:3], v[2:3], v[58:59]
	v_fma_f64 v[46:47], v[50:51], v[46:47], -v[60:61]
	v_rcp_f64_e32 v[70:71], v[56:57]
	v_fma_f64 v[42:43], v[50:51], v[42:43], v[46:47]
	v_add_f64 v[46:47], v[60:61], v[42:43]
	v_fma_f64 v[72:73], -v[56:57], v[70:71], 1.0
	v_add_f64 v[74:75], v[52:53], -v[46:47]
	v_add_f64 v[58:59], v[46:47], -v[60:61]
	v_fma_f64 v[70:71], v[70:71], v[72:73], v[70:71]
	v_div_scale_f64 v[72:73], vcc, v[44:45], v[54:55], v[44:45]
	v_add_f64 v[52:53], v[52:53], -v[74:75]
	v_add_f64 v[42:43], v[58:59], -v[42:43]
	v_fma_f64 v[76:77], -v[56:57], v[70:71], 1.0
	v_add_f64 v[58:59], v[48:49], v[50:51]
	v_add_f64 v[46:47], v[52:53], -v[46:47]
	v_fma_f64 v[52:53], v[70:71], v[76:77], v[70:71]
	v_add_f64 v[48:49], v[58:59], -v[48:49]
	v_add_f64 v[2:3], v[2:3], v[46:47]
	v_mul_f64 v[46:47], v[72:73], v[52:53]
	v_add_f64 v[2:3], v[42:43], v[2:3]
	v_fma_f64 v[42:43], -v[56:57], v[46:47], v[72:73]
	v_add_f64 v[2:3], v[74:75], v[2:3]
	v_div_fmas_f64 v[42:43], v[42:43], v[52:53], v[46:47]
	v_add_f64 v[46:47], v[50:51], -v[48:49]
	v_cmp_gt_i32_e32 vcc, 0, v14
	v_cndmask_b32_e32 v18, v68, v69, vcc
	v_cndmask_b32_e32 v11, v66, v67, vcc
	v_mul_f64 v[2:3], v[40:41], v[2:3]
	v_add_f64 v[2:3], v[46:47], v[2:3]
	v_div_fixup_f64 v[40:41], v[42:43], v[54:55], v[44:45]
	v_cvt_f64_i32_e32 v[54:55], v1
	v_mul_f64 v[56:57], v[54:55], s[40:41]
	v_add_f64 v[42:43], v[58:59], v[2:3]
	v_mul_f64 v[44:45], v[40:41], v[40:41]
	v_mul_f64 v[46:47], v[42:43], v[42:43]
	v_fma_f64 v[48:49], v[44:45], s[54:55], v[21:22]
	v_fma_f64 v[50:51], v[46:47], s[28:29], v[19:20]
	v_mul_f64 v[52:53], v[42:43], v[46:47]
	v_fma_f64 v[48:49], v[44:45], v[48:49], s[52:53]
	v_cmp_class_f64_e64 s[52:53], v[13:14], s62
	v_fma_f64 v[50:51], v[46:47], v[50:51], s[30:31]
	v_fma_f64 v[48:49], v[44:45], v[48:49], s[10:11]
	s_mov_b32 s10, 0xa595c56f
	s_mov_b32 s11, 0x3f7d6d43
	v_fma_f64 v[50:51], v[46:47], v[50:51], s[34:35]
	v_fma_f64 v[48:49], v[44:45], v[48:49], s[10:11]
	s_mov_b32 s10, 0xa57d9582
	s_mov_b32 s11, 0xbf8c6ea4
	;; [unrolled: 4-line block ×4, first 2 shown]
	v_fma_f64 v[46:47], v[46:47], v[50:51], s[94:95]
	v_ldexp_f64 v[50:51], v[42:43], 1
	v_fma_f64 v[48:49], v[44:45], v[48:49], s[10:11]
	s_mov_b32 s10, 0x5711927a
	s_mov_b32 s11, 0x3fa2c15b
	v_add_f64 v[42:43], v[42:43], -v[58:59]
	v_mul_f64 v[46:47], v[52:53], v[46:47]
	v_fma_f64 v[48:49], v[44:45], v[48:49], s[10:11]
	s_mov_b32 s10, 0xe82d3ff0
	s_mov_b32 s11, 0xbfa59976
	v_add_f64 v[1:2], v[2:3], -v[42:43]
	v_ashrrev_i32_e32 v3, 31, v14
	v_and_b32_e32 v37, 0x54442d18, v3
	v_add_f64 v[52:53], v[50:51], v[46:47]
	v_and_b32_e32 v3, 0x400921fb, v3
	v_fma_f64 v[48:49], v[44:45], v[48:49], s[10:11]
	s_mov_b32 s10, 0x6ef28734
	s_mov_b32 s11, 0x3fa82d5d
	v_ldexp_f64 v[1:2], v[1:2], 1
	v_add_f64 v[42:43], v[52:53], -v[50:51]
	v_fma_f64 v[50:51], v[54:55], s[40:41], -v[56:57]
	v_fma_f64 v[48:49], v[44:45], v[48:49], s[10:11]
	v_cmp_eq_f64_e64 s[10:11], 0, v[15:16]
	v_add_f64 v[42:43], v[46:47], -v[42:43]
	v_fma_f64 v[46:47], v[44:45], v[48:49], s[64:65]
	v_fma_f64 v[48:49], v[54:55], s[42:43], v[50:51]
	v_add_f64 v[1:2], v[1:2], v[42:43]
	v_fma_f64 v[42:43], v[44:45], v[46:47], s[66:67]
	v_add_f64 v[46:47], v[56:57], v[48:49]
	v_add_f64 v[50:51], v[52:53], v[1:2]
	v_fma_f64 v[42:43], v[44:45], v[42:43], s[68:69]
	v_add_f64 v[56:57], v[46:47], -v[56:57]
	v_add_f64 v[54:55], v[46:47], v[50:51]
	v_add_f64 v[52:53], v[50:51], -v[52:53]
	v_fma_f64 v[42:43], v[44:45], v[42:43], s[70:71]
	v_add_f64 v[48:49], v[48:49], -v[56:57]
	v_add_f64 v[58:59], v[54:55], -v[46:47]
	;; [unrolled: 1-line block ×3, first 2 shown]
	v_fma_f64 v[42:43], v[44:45], v[42:43], s[72:73]
	v_add_f64 v[60:61], v[54:55], -v[58:59]
	v_add_f64 v[50:51], v[50:51], -v[58:59]
	v_fma_f64 v[42:43], v[44:45], v[42:43], s[74:75]
	v_add_f64 v[52:53], v[48:49], v[1:2]
	v_add_f64 v[46:47], v[46:47], -v[60:61]
	v_fma_f64 v[42:43], v[44:45], v[42:43], s[76:77]
	v_add_f64 v[46:47], v[50:51], v[46:47]
	;; [unrolled: 3-line block ×3, first 2 shown]
	v_add_f64 v[52:53], v[52:53], -v[50:51]
	v_fma_f64 v[42:43], v[44:45], v[42:43], s[80:81]
	v_add_f64 v[1:2], v[1:2], -v[50:51]
	v_add_f64 v[56:57], v[54:55], v[46:47]
	v_mul_f64 v[42:43], v[44:45], v[42:43]
	v_add_f64 v[44:45], v[48:49], -v[52:53]
	v_add_f64 v[48:49], v[56:57], -v[54:55]
	v_fma_f64 v[40:41], v[40:41], v[42:43], v[40:41]
	v_add_f64 v[1:2], v[1:2], v[44:45]
	v_add_f64 v[42:43], v[46:47], -v[48:49]
	v_add_f64 v[44:45], -v[40:41], s[24:25]
	v_add_f64 v[1:2], v[1:2], v[42:43]
	v_cndmask_b32_e64 v41, v41, v45, s[8:9]
	v_cndmask_b32_e64 v40, v40, v44, s[8:9]
	v_add_f64 v[42:43], -v[40:41], s[82:83]
	v_add_f64 v[1:2], v[56:57], v[1:2]
	v_cndmask_b32_e32 v40, v40, v42, vcc
	v_mul_f64 v[13:14], v[1:2], 0.5
	v_cndmask_b32_e32 v2, v41, v43, vcc
	v_bfi_b32 v1, s61, v18, v16
	v_cndmask_b32_e64 v18, v40, v37, s[10:11]
	v_cndmask_b32_e64 v2, v2, v3, s[10:11]
	s_and_b64 s[10:11], s[12:13], s[14:15]
	s_and_b64 vcc, s[50:51], s[52:53]
	v_cndmask_b32_e32 v2, v2, v1, vcc
	v_cndmask_b32_e64 v37, 0, v13, s[10:11]
	v_cmp_ngt_f64_e64 s[10:11], -1.0, v[38:39]
	v_cndmask_b32_e64 v1, v63, v14, s[14:15]
	s_mov_b32 s52, 0x69efb384
	s_mov_b32 s53, 0x3f4b2bb0
                                        ; implicit-def: $vgpr41_vgpr42
                                        ; implicit-def: $vgpr43_vgpr44
	v_cndmask_b32_e64 v1, v64, v1, s[10:11]
	v_cmp_neq_f64_e64 s[10:11], -1.0, v[38:39]
	v_cndmask_b32_e64 v38, v65, v1, s[10:11]
	v_cndmask_b32_e32 v1, v18, v11, vcc
.LBB191_227:                            ;   in Loop: Header=BB191_145 Depth=1
	s_andn2_saveexec_b64 s[48:49], s[48:49]
	s_cbranch_execz .LBB191_235
; %bb.228:                              ;   in Loop: Header=BB191_145 Depth=1
	v_mul_f64 v[1:2], v[41:42], v[41:42]
	s_mov_b32 s10, 0x66666666
	s_mov_b32 s11, 0x3fe66666
                                        ; implicit-def: $vgpr37_vgpr38
	v_fma_f64 v[39:40], v[43:44], v[43:44], v[1:2]
                                        ; implicit-def: $vgpr1_vgpr2
	v_cmp_ge_f64_e32 vcc, s[10:11], v[39:40]
	s_and_saveexec_b64 s[10:11], vcc
	s_xor_b64 s[14:15], exec, s[10:11]
	s_cbranch_execz .LBB191_230
; %bb.229:                              ;   in Loop: Header=BB191_145 Depth=1
	v_frexp_mant_f64_e32 v[1:2], v[39:40]
	v_max_f64 v[45:46], |v[15:16]|, |v[15:16]|
	v_max_f64 v[47:48], |v[13:14]|, |v[13:14]|
	s_mov_b32 s95, s27
	s_mov_b32 s82, s24
	v_cmp_class_f64_e64 s[50:51], v[15:16], s62
	v_cmp_gt_f64_e64 s[10:11], s[26:27], v[1:2]
	v_cndmask_b32_e64 v3, 0, 1, s[10:11]
	v_ldexp_f64 v[1:2], v[1:2], v3
	v_frexp_exp_i32_f64_e32 v3, v[39:40]
	v_add_f64 v[37:38], v[1:2], 1.0
	v_add_f64 v[51:52], v[1:2], -1.0
	v_rcp_f64_e32 v[41:42], v[37:38]
	v_add_f64 v[55:56], v[37:38], -1.0
	v_add_f64 v[1:2], v[1:2], -v[55:56]
	v_fma_f64 v[43:44], -v[37:38], v[41:42], 1.0
	v_fma_f64 v[41:42], v[43:44], v[41:42], v[41:42]
	v_max_f64 v[43:44], v[47:48], v[45:46]
	v_min_f64 v[45:46], v[47:48], v[45:46]
	v_fma_f64 v[47:48], -v[37:38], v[41:42], 1.0
	v_div_scale_f64 v[49:50], s[12:13], v[43:44], v[43:44], v[45:46]
	s_mov_b32 s12, 0xaf56de9b
	s_mov_b32 s13, 0xbf67952d
	v_fma_f64 v[41:42], v[47:48], v[41:42], v[41:42]
	v_mul_f64 v[47:48], v[51:52], v[41:42]
	v_rcp_f64_e32 v[53:54], v[49:50]
	v_mul_f64 v[57:58], v[37:38], v[47:48]
	v_fma_f64 v[37:38], v[47:48], v[37:38], -v[57:58]
	v_fma_f64 v[55:56], -v[49:50], v[53:54], 1.0
	v_fma_f64 v[1:2], v[47:48], v[1:2], v[37:38]
	v_fma_f64 v[37:38], v[53:54], v[55:56], v[53:54]
	v_div_scale_f64 v[55:56], vcc, v[45:46], v[43:44], v[45:46]
	v_add_f64 v[53:54], v[57:58], v[1:2]
	v_fma_f64 v[59:60], -v[49:50], v[37:38], 1.0
	v_add_f64 v[61:62], v[51:52], -v[53:54]
	v_add_f64 v[57:58], v[53:54], -v[57:58]
	v_fma_f64 v[37:38], v[37:38], v[59:60], v[37:38]
	v_add_f64 v[51:52], v[51:52], -v[61:62]
	v_add_f64 v[1:2], v[57:58], -v[1:2]
	v_mul_f64 v[59:60], v[55:56], v[37:38]
	v_add_f64 v[51:52], v[51:52], -v[53:54]
	v_fma_f64 v[49:50], -v[49:50], v[59:60], v[55:56]
	v_add_f64 v[1:2], v[1:2], v[51:52]
	v_div_fmas_f64 v[37:38], v[49:50], v[37:38], v[59:60]
	v_subbrev_co_u32_e64 v3, vcc, 0, v3, s[10:11]
	s_mov_b32 s10, 0xe82d3ff0
	s_mov_b32 s11, 0xbfa59976
	v_cmp_gt_i32_e32 vcc, 0, v14
	v_add_f64 v[1:2], v[61:62], v[1:2]
	v_cndmask_b32_e32 v11, v66, v67, vcc
	v_mul_f64 v[1:2], v[41:42], v[1:2]
	v_div_fixup_f64 v[37:38], v[37:38], v[43:44], v[45:46]
	v_add_f64 v[41:42], v[47:48], v[1:2]
	v_mul_f64 v[43:44], v[37:38], v[37:38]
	v_mul_f64 v[45:46], v[41:42], v[41:42]
	v_fma_f64 v[49:50], v[43:44], s[54:55], v[21:22]
	v_fma_f64 v[51:52], v[45:46], s[28:29], v[19:20]
	v_mul_f64 v[53:54], v[41:42], v[45:46]
	v_fma_f64 v[49:50], v[43:44], v[49:50], s[52:53]
	v_cmp_class_f64_e64 s[52:53], v[13:14], s62
	v_fma_f64 v[51:52], v[45:46], v[51:52], s[30:31]
	v_fma_f64 v[49:50], v[43:44], v[49:50], s[12:13]
	s_mov_b32 s12, 0xa595c56f
	s_mov_b32 s13, 0x3f7d6d43
	v_fma_f64 v[51:52], v[45:46], v[51:52], s[34:35]
	v_fma_f64 v[49:50], v[43:44], v[49:50], s[12:13]
	s_mov_b32 s12, 0xa57d9582
	s_mov_b32 s13, 0xbf8c6ea4
	;; [unrolled: 4-line block ×4, first 2 shown]
	v_fma_f64 v[45:46], v[45:46], v[51:52], s[94:95]
	v_ldexp_f64 v[51:52], v[41:42], 1
	v_fma_f64 v[49:50], v[43:44], v[49:50], s[12:13]
	s_mov_b32 s12, 0x5711927a
	s_mov_b32 s13, 0x3fa2c15b
	v_add_f64 v[41:42], v[41:42], -v[47:48]
	v_mul_f64 v[45:46], v[53:54], v[45:46]
	v_cvt_f64_i32_e32 v[53:54], v3
	v_fma_f64 v[49:50], v[43:44], v[49:50], s[12:13]
	v_ashrrev_i32_e32 v3, 31, v14
	v_cmp_neq_f64_e64 s[12:13], 0, v[39:40]
	v_mul_f64 v[55:56], v[53:54], s[40:41]
	v_add_f64 v[1:2], v[1:2], -v[41:42]
	v_and_b32_e32 v18, 0x54442d18, v3
	v_add_f64 v[47:48], v[51:52], v[45:46]
	v_and_b32_e32 v3, 0x400921fb, v3
	v_fma_f64 v[49:50], v[43:44], v[49:50], s[10:11]
	s_mov_b32 s10, 0x6ef28734
	s_mov_b32 s11, 0x3fa82d5d
	v_ldexp_f64 v[1:2], v[1:2], 1
	v_add_f64 v[41:42], v[47:48], -v[51:52]
	v_fma_f64 v[51:52], v[53:54], s[40:41], -v[55:56]
	v_fma_f64 v[49:50], v[43:44], v[49:50], s[10:11]
	v_cmp_eq_f64_e64 s[10:11], 0, v[15:16]
	v_add_f64 v[41:42], v[45:46], -v[41:42]
	v_fma_f64 v[45:46], v[43:44], v[49:50], s[64:65]
	v_fma_f64 v[49:50], v[53:54], s[42:43], v[51:52]
	v_add_f64 v[1:2], v[1:2], v[41:42]
	v_fma_f64 v[41:42], v[43:44], v[45:46], s[66:67]
	v_add_f64 v[45:46], v[55:56], v[49:50]
	v_add_f64 v[51:52], v[47:48], v[1:2]
	v_fma_f64 v[41:42], v[43:44], v[41:42], s[68:69]
	v_add_f64 v[55:56], v[45:46], -v[55:56]
	v_add_f64 v[53:54], v[45:46], v[51:52]
	v_add_f64 v[47:48], v[51:52], -v[47:48]
	v_fma_f64 v[41:42], v[43:44], v[41:42], s[70:71]
	v_add_f64 v[49:50], v[49:50], -v[55:56]
	v_add_f64 v[57:58], v[53:54], -v[45:46]
	;; [unrolled: 1-line block ×3, first 2 shown]
	v_fma_f64 v[41:42], v[43:44], v[41:42], s[72:73]
	v_add_f64 v[59:60], v[53:54], -v[57:58]
	v_add_f64 v[47:48], v[51:52], -v[57:58]
	v_fma_f64 v[41:42], v[43:44], v[41:42], s[74:75]
	v_add_f64 v[51:52], v[49:50], v[1:2]
	v_add_f64 v[45:46], v[45:46], -v[59:60]
	v_fma_f64 v[41:42], v[43:44], v[41:42], s[76:77]
	v_add_f64 v[45:46], v[47:48], v[45:46]
	v_add_f64 v[47:48], v[51:52], -v[49:50]
	v_fma_f64 v[41:42], v[43:44], v[41:42], s[78:79]
	v_add_f64 v[45:46], v[51:52], v[45:46]
	v_add_f64 v[51:52], v[51:52], -v[47:48]
	v_fma_f64 v[41:42], v[43:44], v[41:42], s[80:81]
	v_add_f64 v[1:2], v[1:2], -v[47:48]
	v_add_f64 v[55:56], v[53:54], v[45:46]
	v_mul_f64 v[41:42], v[43:44], v[41:42]
	v_add_f64 v[43:44], v[49:50], -v[51:52]
	v_add_f64 v[47:48], v[55:56], -v[53:54]
	v_fma_f64 v[37:38], v[37:38], v[41:42], v[37:38]
	v_add_f64 v[1:2], v[1:2], v[43:44]
	v_add_f64 v[41:42], v[45:46], -v[47:48]
	v_add_f64 v[43:44], -v[37:38], s[24:25]
	v_add_f64 v[1:2], v[1:2], v[41:42]
	v_cndmask_b32_e64 v38, v38, v44, s[8:9]
	v_cndmask_b32_e64 v37, v37, v43, s[8:9]
	v_add_f64 v[41:42], -v[37:38], s[82:83]
                                        ; implicit-def: $vgpr43_vgpr44
	v_add_f64 v[1:2], v[55:56], v[1:2]
	v_cndmask_b32_e32 v37, v37, v41, vcc
	v_cndmask_b32_e32 v41, v68, v69, vcc
	v_cndmask_b32_e64 v18, v37, v18, s[10:11]
	v_mul_f64 v[13:14], v[1:2], 0.5
	v_cndmask_b32_e32 v2, v38, v42, vcc
	v_bfi_b32 v1, s61, v41, v16
	v_cndmask_b32_e64 v2, v2, v3, s[10:11]
	s_and_b64 vcc, s[50:51], s[52:53]
	s_mov_b32 s52, 0x69efb384
	s_mov_b32 s53, 0x3f4b2bb0
	v_cndmask_b32_e32 v2, v2, v1, vcc
	v_cndmask_b32_e64 v38, v65, v14, s[12:13]
	v_cndmask_b32_e64 v37, 0, v13, s[12:13]
	v_cndmask_b32_e32 v1, v18, v11, vcc
                                        ; implicit-def: $vgpr41_vgpr42
.LBB191_230:                            ;   in Loop: Header=BB191_145 Depth=1
	s_andn2_saveexec_b64 s[50:51], s[14:15]
	s_cbranch_execz .LBB191_234
; %bb.231:                              ;   in Loop: Header=BB191_145 Depth=1
	v_and_b32_e32 v18, 0x7ffffff8, v44
	v_and_b32_e32 v38, 0x7ffffff8, v42
	v_mov_b32_e32 v37, v17
	v_add_f64 v[1:2], v[43:44], -v[17:18]
	v_add_f64 v[39:40], v[41:42], -v[37:38]
	v_mov_b32_e32 v43, v17
	v_mov_b32_e32 v51, v17
	v_add_f64 v[47:48], v[17:18], v[17:18]
	v_add_f64 v[49:50], v[37:38], v[37:38]
	v_mul_f64 v[37:38], v[37:38], v[37:38]
	s_mov_b64 s[52:53], 0
	v_and_b32_e32 v44, -8, v2
	v_and_b32_e32 v52, -8, v40
	v_add_f64 v[57:58], v[1:2], -v[43:44]
	v_add_f64 v[59:60], v[39:40], -v[51:52]
	v_add_f64 v[61:62], v[43:44], v[43:44]
	v_add_f64 v[70:71], v[51:52], v[51:52]
	v_mul_f64 v[1:2], v[17:18], v[17:18]
	v_mul_f64 v[41:42], v[47:48], v[43:44]
	;; [unrolled: 1-line block ×11, first 2 shown]
.LBB191_232:                            ;   Parent Loop BB191_145 Depth=1
                                        ; =>  This Inner Loop Header: Depth=2
	v_cmp_nlt_f64_e32 vcc, v[1:2], v[37:38]
	v_cndmask_b32_e32 v60, v2, v38, vcc
	v_cndmask_b32_e32 v59, v1, v37, vcc
	v_cmp_nlt_f64_e64 s[10:11], v[59:60], v[41:42]
	v_cndmask_b32_e32 v2, v38, v2, vcc
	v_cndmask_b32_e32 v1, v37, v1, vcc
	v_cndmask_b32_e64 v62, v60, v42, s[10:11]
	v_cndmask_b32_e64 v61, v59, v41, s[10:11]
	v_cmp_nlt_f64_e64 s[12:13], v[61:62], v[39:40]
	v_cndmask_b32_e64 v38, v42, v60, s[10:11]
	v_cndmask_b32_e64 v37, v41, v59, s[10:11]
	s_and_b64 s[54:55], vcc, s[10:11]
	v_cndmask_b32_e64 v71, v62, v40, s[12:13]
	v_cndmask_b32_e64 v70, v61, v39, s[12:13]
	v_cmp_nlt_f64_e64 s[14:15], v[70:71], v[45:46]
	v_cndmask_b32_e64 v42, v40, v62, s[12:13]
	v_cndmask_b32_e64 v41, v39, v61, s[12:13]
	;; [unrolled: 1-line block ×4, first 2 shown]
	v_cmp_nlt_f64_e32 vcc, v[59:60], v[51:52]
	v_cndmask_b32_e64 v40, v46, v71, s[14:15]
	v_cndmask_b32_e64 v39, v45, v70, s[14:15]
	s_and_b64 s[14:15], s[12:13], s[14:15]
	v_cndmask_b32_e32 v62, v60, v52, vcc
	v_cndmask_b32_e32 v61, v59, v51, vcc
	v_cmp_nlt_f64_e64 s[10:11], v[61:62], v[55:56]
	v_cndmask_b32_e32 v46, v52, v60, vcc
	v_cndmask_b32_e32 v45, v51, v59, vcc
	v_cndmask_b32_e64 v60, v62, v56, s[10:11]
	v_cndmask_b32_e64 v59, v61, v55, s[10:11]
	v_cmp_nlt_f64_e64 s[12:13], v[59:60], v[53:54]
	v_cndmask_b32_e64 v52, v56, v62, s[10:11]
	v_cndmask_b32_e64 v51, v55, v61, s[10:11]
	s_and_b64 s[10:11], vcc, s[10:11]
	v_cndmask_b32_e64 v62, v60, v54, s[12:13]
	v_cndmask_b32_e64 v61, v59, v53, s[12:13]
	v_cmp_nlt_f64_e32 vcc, v[61:62], v[49:50]
	v_cndmask_b32_e64 v56, v54, v60, s[12:13]
	v_cndmask_b32_e64 v55, v53, v59, s[12:13]
	s_and_b64 s[12:13], s[10:11], s[12:13]
	v_cndmask_b32_e32 v60, v62, v50, vcc
	v_cndmask_b32_e32 v59, v61, v49, vcc
	v_cmp_nlt_f64_e64 s[10:11], v[59:60], v[47:48]
	v_cndmask_b32_e32 v54, v50, v62, vcc
	v_cndmask_b32_e32 v53, v49, v61, vcc
	s_and_b64 s[12:13], s[12:13], vcc
	v_cndmask_b32_e64 v62, v60, v48, s[10:11]
	v_cndmask_b32_e64 v61, v59, v47, s[10:11]
	v_cmp_nlt_f64_e32 vcc, v[61:62], v[43:44]
	v_cndmask_b32_e64 v50, v48, v60, s[10:11]
	v_cndmask_b32_e64 v49, v47, v59, s[10:11]
	s_and_b64 s[12:13], s[12:13], s[10:11]
	v_cndmask_b32_e32 v71, v62, v44, vcc
	v_cndmask_b32_e32 v70, v61, v43, vcc
	v_cmp_nlt_f64_e64 s[10:11], v[70:71], v[57:58]
	s_and_b64 s[12:13], s[12:13], vcc
	v_cndmask_b32_e32 v48, v44, v62, vcc
	v_cndmask_b32_e32 v47, v43, v61, vcc
	v_cndmask_b32_e64 v60, v71, v58, s[10:11]
	v_cndmask_b32_e64 v59, v70, v57, s[10:11]
	;; [unrolled: 1-line block ×4, first 2 shown]
	s_and_b64 s[10:11], s[12:13], s[10:11]
	s_and_b64 s[10:11], s[10:11], s[14:15]
	;; [unrolled: 1-line block ×3, first 2 shown]
	s_and_b64 s[10:11], exec, s[10:11]
	v_mov_b32_e32 v57, v59
	s_or_b64 s[52:53], s[10:11], s[52:53]
	v_mov_b32_e32 v58, v60
	s_andn2_b64 exec, exec, s[52:53]
	s_cbranch_execnz .LBB191_232
; %bb.233:                              ;   in Loop: Header=BB191_145 Depth=1
	s_or_b64 exec, exec, s[52:53]
	v_add_f64 v[1:2], v[1:2], -1.0
	s_mov_b32 s95, s27
	s_mov_b32 s82, s24
	;; [unrolled: 1-line block ×4, first 2 shown]
	v_cmp_class_f64_e64 s[54:55], v[13:14], s62
	v_cmp_class_f64_e64 s[52:53], v[15:16], s62
	v_add_f64 v[1:2], v[1:2], v[37:38]
	v_add_f64 v[1:2], v[1:2], v[41:42]
	;; [unrolled: 1-line block ×11, first 2 shown]
	v_add_f64 v[2:3], v[38:39], 1.0
	v_cmp_nge_f64_e64 s[12:13], -1.0, v[38:39]
	v_cmp_neq_f64_e64 s[14:15], s[14:15], v[38:39]
	v_frexp_mant_f64_e32 v[42:43], v[2:3]
	v_frexp_exp_i32_f64_e32 v1, v[2:3]
	v_add_f64 v[40:41], v[2:3], -1.0
	v_cmp_gt_f64_e32 vcc, s[26:27], v[42:43]
	v_add_f64 v[44:45], v[40:41], -v[2:3]
	v_add_f64 v[40:41], v[38:39], -v[40:41]
	v_subbrev_co_u32_e32 v1, vcc, 0, v1, vcc
	v_sub_u32_e32 v11, 0, v1
	v_ldexp_f64 v[2:3], v[2:3], v11
	v_add_f64 v[42:43], v[44:45], 1.0
	v_add_f64 v[44:45], v[2:3], 1.0
	v_add_f64 v[40:41], v[40:41], v[42:43]
	v_add_f64 v[50:51], v[2:3], -1.0
	v_add_f64 v[42:43], v[44:45], -1.0
	v_ldexp_f64 v[40:41], v[40:41], v11
	v_add_f64 v[52:53], v[50:51], 1.0
	v_add_f64 v[42:43], v[2:3], -v[42:43]
	v_add_f64 v[2:3], v[2:3], -v[52:53]
	v_add_f64 v[42:43], v[40:41], v[42:43]
	v_add_f64 v[2:3], v[40:41], v[2:3]
	v_add_f64 v[46:47], v[44:45], v[42:43]
	v_add_f64 v[52:53], v[50:51], v[2:3]
	v_rcp_f64_e32 v[48:49], v[46:47]
	v_add_f64 v[44:45], v[46:47], -v[44:45]
	v_add_f64 v[50:51], v[52:53], -v[50:51]
	;; [unrolled: 1-line block ×4, first 2 shown]
	v_fma_f64 v[54:55], -v[46:47], v[48:49], 1.0
	v_fma_f64 v[48:49], v[54:55], v[48:49], v[48:49]
	v_fma_f64 v[40:41], -v[46:47], v[48:49], 1.0
	v_fma_f64 v[40:41], v[40:41], v[48:49], v[48:49]
	v_mul_f64 v[48:49], v[52:53], v[40:41]
	v_mul_f64 v[54:55], v[46:47], v[48:49]
	v_fma_f64 v[44:45], v[48:49], v[46:47], -v[54:55]
	v_fma_f64 v[44:45], v[48:49], v[42:43], v[44:45]
	v_add_f64 v[56:57], v[54:55], v[44:45]
	v_add_f64 v[58:59], v[52:53], -v[56:57]
	v_add_f64 v[50:51], v[56:57], -v[54:55]
	;; [unrolled: 1-line block ×4, first 2 shown]
	v_max_f64 v[50:51], |v[13:14]|, |v[13:14]|
	v_add_f64 v[52:53], v[52:53], -v[56:57]
	v_add_f64 v[2:3], v[2:3], v[52:53]
	v_add_f64 v[2:3], v[44:45], v[2:3]
	v_max_f64 v[44:45], |v[15:16]|, |v[15:16]|
	v_add_f64 v[52:53], v[58:59], v[2:3]
	v_max_f64 v[54:55], v[50:51], v[44:45]
	v_min_f64 v[44:45], v[50:51], v[44:45]
	v_mul_f64 v[50:51], v[40:41], v[52:53]
	v_add_f64 v[58:59], v[58:59], -v[52:53]
	v_div_scale_f64 v[56:57], s[10:11], v[54:55], v[54:55], v[44:45]
	s_mov_b32 s10, 0xb5e68a13
	s_mov_b32 s11, 0x3eeba404
	v_mul_f64 v[60:61], v[46:47], v[50:51]
	v_add_f64 v[2:3], v[2:3], v[58:59]
	v_fma_f64 v[46:47], v[50:51], v[46:47], -v[60:61]
	v_rcp_f64_e32 v[70:71], v[56:57]
	v_fma_f64 v[42:43], v[50:51], v[42:43], v[46:47]
	v_add_f64 v[46:47], v[60:61], v[42:43]
	v_fma_f64 v[72:73], -v[56:57], v[70:71], 1.0
	v_add_f64 v[74:75], v[52:53], -v[46:47]
	v_add_f64 v[58:59], v[46:47], -v[60:61]
	v_fma_f64 v[70:71], v[70:71], v[72:73], v[70:71]
	v_div_scale_f64 v[72:73], vcc, v[44:45], v[54:55], v[44:45]
	v_add_f64 v[52:53], v[52:53], -v[74:75]
	v_add_f64 v[42:43], v[58:59], -v[42:43]
	v_fma_f64 v[76:77], -v[56:57], v[70:71], 1.0
	v_add_f64 v[58:59], v[48:49], v[50:51]
	v_add_f64 v[46:47], v[52:53], -v[46:47]
	v_fma_f64 v[52:53], v[70:71], v[76:77], v[70:71]
	v_add_f64 v[48:49], v[58:59], -v[48:49]
	v_add_f64 v[2:3], v[2:3], v[46:47]
	v_mul_f64 v[46:47], v[72:73], v[52:53]
	v_add_f64 v[2:3], v[42:43], v[2:3]
	v_fma_f64 v[42:43], -v[56:57], v[46:47], v[72:73]
	v_add_f64 v[2:3], v[74:75], v[2:3]
	v_div_fmas_f64 v[42:43], v[42:43], v[52:53], v[46:47]
	v_add_f64 v[46:47], v[50:51], -v[48:49]
	v_cmp_gt_i32_e32 vcc, 0, v14
	v_cndmask_b32_e32 v18, v68, v69, vcc
	v_cndmask_b32_e32 v11, v66, v67, vcc
	v_mul_f64 v[2:3], v[40:41], v[2:3]
	v_add_f64 v[2:3], v[46:47], v[2:3]
	v_div_fixup_f64 v[40:41], v[42:43], v[54:55], v[44:45]
	v_cvt_f64_i32_e32 v[54:55], v1
	v_mul_f64 v[56:57], v[54:55], s[40:41]
	v_add_f64 v[42:43], v[58:59], v[2:3]
	v_mul_f64 v[44:45], v[40:41], v[40:41]
	v_mul_f64 v[46:47], v[42:43], v[42:43]
	v_fma_f64 v[48:49], v[44:45], s[10:11], v[21:22]
	s_mov_b32 s10, 0x69efb384
	s_mov_b32 s11, 0x3f4b2bb0
	v_fma_f64 v[50:51], v[46:47], s[28:29], v[19:20]
	v_mul_f64 v[52:53], v[42:43], v[46:47]
	v_fma_f64 v[48:49], v[44:45], v[48:49], s[10:11]
	s_mov_b32 s10, 0xaf56de9b
	s_mov_b32 s11, 0xbf67952d
	v_fma_f64 v[50:51], v[46:47], v[50:51], s[30:31]
	v_fma_f64 v[48:49], v[44:45], v[48:49], s[10:11]
	s_mov_b32 s10, 0xa595c56f
	s_mov_b32 s11, 0x3f7d6d43
	v_fma_f64 v[50:51], v[46:47], v[50:51], s[34:35]
	;; [unrolled: 4-line block ×5, first 2 shown]
	v_ldexp_f64 v[50:51], v[42:43], 1
	v_fma_f64 v[48:49], v[44:45], v[48:49], s[10:11]
	s_mov_b32 s10, 0x5711927a
	s_mov_b32 s11, 0x3fa2c15b
	v_add_f64 v[42:43], v[42:43], -v[58:59]
	v_mul_f64 v[46:47], v[52:53], v[46:47]
	v_fma_f64 v[48:49], v[44:45], v[48:49], s[10:11]
	s_mov_b32 s10, 0xe82d3ff0
	s_mov_b32 s11, 0xbfa59976
	v_add_f64 v[1:2], v[2:3], -v[42:43]
	v_ashrrev_i32_e32 v3, 31, v14
	v_and_b32_e32 v37, 0x54442d18, v3
	v_add_f64 v[52:53], v[50:51], v[46:47]
	v_and_b32_e32 v3, 0x400921fb, v3
	v_fma_f64 v[48:49], v[44:45], v[48:49], s[10:11]
	s_mov_b32 s10, 0x6ef28734
	s_mov_b32 s11, 0x3fa82d5d
	v_ldexp_f64 v[1:2], v[1:2], 1
	v_add_f64 v[42:43], v[52:53], -v[50:51]
	v_fma_f64 v[50:51], v[54:55], s[40:41], -v[56:57]
	v_fma_f64 v[48:49], v[44:45], v[48:49], s[10:11]
	v_cmp_eq_f64_e64 s[10:11], 0, v[15:16]
	v_add_f64 v[42:43], v[46:47], -v[42:43]
	v_fma_f64 v[46:47], v[44:45], v[48:49], s[64:65]
	v_fma_f64 v[48:49], v[54:55], s[42:43], v[50:51]
	v_add_f64 v[1:2], v[1:2], v[42:43]
	v_fma_f64 v[42:43], v[44:45], v[46:47], s[66:67]
	v_add_f64 v[46:47], v[56:57], v[48:49]
	v_add_f64 v[50:51], v[52:53], v[1:2]
	v_fma_f64 v[42:43], v[44:45], v[42:43], s[68:69]
	v_add_f64 v[56:57], v[46:47], -v[56:57]
	v_add_f64 v[54:55], v[46:47], v[50:51]
	v_add_f64 v[52:53], v[50:51], -v[52:53]
	v_fma_f64 v[42:43], v[44:45], v[42:43], s[70:71]
	v_add_f64 v[48:49], v[48:49], -v[56:57]
	v_add_f64 v[58:59], v[54:55], -v[46:47]
	v_add_f64 v[1:2], v[1:2], -v[52:53]
	v_fma_f64 v[42:43], v[44:45], v[42:43], s[72:73]
	v_add_f64 v[60:61], v[54:55], -v[58:59]
	v_add_f64 v[50:51], v[50:51], -v[58:59]
	v_fma_f64 v[42:43], v[44:45], v[42:43], s[74:75]
	v_add_f64 v[52:53], v[48:49], v[1:2]
	v_add_f64 v[46:47], v[46:47], -v[60:61]
	v_fma_f64 v[42:43], v[44:45], v[42:43], s[76:77]
	v_add_f64 v[46:47], v[50:51], v[46:47]
	v_add_f64 v[50:51], v[52:53], -v[48:49]
	v_fma_f64 v[42:43], v[44:45], v[42:43], s[78:79]
	v_add_f64 v[46:47], v[52:53], v[46:47]
	v_add_f64 v[52:53], v[52:53], -v[50:51]
	v_fma_f64 v[42:43], v[44:45], v[42:43], s[80:81]
	v_add_f64 v[1:2], v[1:2], -v[50:51]
	v_add_f64 v[56:57], v[54:55], v[46:47]
	v_mul_f64 v[42:43], v[44:45], v[42:43]
	v_add_f64 v[44:45], v[48:49], -v[52:53]
	v_add_f64 v[48:49], v[56:57], -v[54:55]
	v_fma_f64 v[40:41], v[40:41], v[42:43], v[40:41]
	v_add_f64 v[1:2], v[1:2], v[44:45]
	v_add_f64 v[42:43], v[46:47], -v[48:49]
	v_add_f64 v[44:45], -v[40:41], s[24:25]
	v_add_f64 v[1:2], v[1:2], v[42:43]
	v_cndmask_b32_e64 v41, v41, v45, s[8:9]
	v_cndmask_b32_e64 v40, v40, v44, s[8:9]
	v_add_f64 v[42:43], -v[40:41], s[82:83]
	v_add_f64 v[1:2], v[56:57], v[1:2]
	v_cndmask_b32_e32 v40, v40, v42, vcc
	v_mul_f64 v[13:14], v[1:2], 0.5
	v_cndmask_b32_e32 v2, v41, v43, vcc
	v_bfi_b32 v1, s61, v18, v16
	v_cndmask_b32_e64 v18, v40, v37, s[10:11]
	v_cndmask_b32_e64 v2, v2, v3, s[10:11]
	s_and_b64 s[10:11], s[12:13], s[14:15]
	s_and_b64 vcc, s[52:53], s[54:55]
	v_cndmask_b32_e32 v2, v2, v1, vcc
	v_cndmask_b32_e64 v37, 0, v13, s[10:11]
	v_cmp_ngt_f64_e64 s[10:11], -1.0, v[38:39]
	v_cndmask_b32_e64 v1, v63, v14, s[14:15]
	s_mov_b32 s52, 0x69efb384
	s_mov_b32 s54, 0xb5e68a13
	;; [unrolled: 1-line block ×4, first 2 shown]
	v_cndmask_b32_e64 v1, v64, v1, s[10:11]
	v_cmp_neq_f64_e64 s[10:11], -1.0, v[38:39]
	v_cndmask_b32_e64 v38, v65, v1, s[10:11]
	v_cndmask_b32_e32 v1, v18, v11, vcc
.LBB191_234:                            ;   in Loop: Header=BB191_145 Depth=1
	s_or_b64 exec, exec, s[50:51]
.LBB191_235:                            ;   in Loop: Header=BB191_145 Depth=1
	s_or_b64 exec, exec, s[48:49]
.LBB191_236:                            ;   in Loop: Header=BB191_145 Depth=1
	s_andn2_saveexec_b64 s[14:15], s[86:87]
	s_cbranch_execz .LBB191_238
; %bb.237:                              ;   in Loop: Header=BB191_145 Depth=1
	v_max_f64 v[1:2], |v[15:16]|, |v[15:16]|
	v_max_f64 v[40:41], |v[13:14]|, |v[13:14]|
	v_cmp_class_f64_e64 s[48:49], v[13:14], s62
	v_cmp_class_f64_e64 s[50:51], v[15:16], s62
	s_mov_b32 s95, s27
	s_mov_b32 s82, s24
	v_max_f64 v[42:43], v[40:41], v[1:2]
	v_min_f64 v[1:2], v[40:41], v[1:2]
	v_frexp_exp_i32_f64_e32 v3, v[42:43]
	v_sub_u32_e32 v11, 0, v3
	v_ldexp_f64 v[37:38], |v[15:16]|, v11
	v_ldexp_f64 v[44:45], |v[13:14]|, v11
	v_mul_f64 v[37:38], v[37:38], v[37:38]
	v_fma_f64 v[37:38], v[44:45], v[44:45], v[37:38]
	v_rsq_f64_e32 v[44:45], v[37:38]
	v_cmp_eq_f64_e32 vcc, 0, v[37:38]
	v_mul_f64 v[46:47], v[37:38], v[44:45]
	v_mul_f64 v[44:45], v[44:45], 0.5
	v_fma_f64 v[48:49], -v[44:45], v[46:47], 0.5
	v_fma_f64 v[46:47], v[46:47], v[48:49], v[46:47]
	v_fma_f64 v[44:45], v[44:45], v[48:49], v[44:45]
	v_fma_f64 v[48:49], -v[46:47], v[46:47], v[37:38]
	v_fma_f64 v[44:45], v[48:49], v[44:45], v[46:47]
	v_cndmask_b32_e32 v38, v45, v38, vcc
	v_cndmask_b32_e32 v37, v44, v37, vcc
	v_ldexp_f64 v[37:38], v[37:38], v3
	s_or_b64 vcc, s[50:51], s[48:49]
	v_cndmask_b32_e32 v39, v38, v63, vcc
	v_cndmask_b32_e64 v38, v37, 0, vcc
	v_frexp_mant_f64_e32 v[44:45], v[38:39]
	v_cmp_gt_f64_e64 s[10:11], s[26:27], v[44:45]
	v_cndmask_b32_e64 v3, 0, 1, s[10:11]
	v_ldexp_f64 v[44:45], v[44:45], v3
	v_frexp_exp_i32_f64_e32 v3, v[38:39]
	v_add_f64 v[46:47], v[44:45], 1.0
	v_add_f64 v[52:53], v[44:45], -1.0
	v_rcp_f64_e32 v[48:49], v[46:47]
	v_add_f64 v[56:57], v[46:47], -1.0
	v_add_f64 v[44:45], v[44:45], -v[56:57]
	v_fma_f64 v[50:51], -v[46:47], v[48:49], 1.0
	v_fma_f64 v[40:41], v[50:51], v[48:49], v[48:49]
	v_div_scale_f64 v[48:49], s[12:13], v[42:43], v[42:43], v[1:2]
	s_mov_b32 s12, 0xaf56de9b
	s_mov_b32 s13, 0xbf67952d
	v_fma_f64 v[50:51], -v[46:47], v[40:41], 1.0
	v_fma_f64 v[40:41], v[50:51], v[40:41], v[40:41]
	v_rcp_f64_e32 v[50:51], v[48:49]
	v_mul_f64 v[54:55], v[52:53], v[40:41]
	v_mul_f64 v[58:59], v[46:47], v[54:55]
	v_fma_f64 v[60:61], -v[48:49], v[50:51], 1.0
	v_fma_f64 v[46:47], v[54:55], v[46:47], -v[58:59]
	v_fma_f64 v[50:51], v[50:51], v[60:61], v[50:51]
	v_fma_f64 v[44:45], v[54:55], v[44:45], v[46:47]
	v_div_scale_f64 v[46:47], vcc, v[1:2], v[42:43], v[1:2]
	v_fma_f64 v[56:57], -v[48:49], v[50:51], 1.0
	v_add_f64 v[60:61], v[58:59], v[44:45]
	v_fma_f64 v[50:51], v[50:51], v[56:57], v[50:51]
	v_add_f64 v[56:57], v[52:53], -v[60:61]
	v_add_f64 v[58:59], v[60:61], -v[58:59]
	v_mul_f64 v[70:71], v[46:47], v[50:51]
	v_add_f64 v[52:53], v[52:53], -v[56:57]
	v_add_f64 v[44:45], v[58:59], -v[44:45]
	v_fma_f64 v[46:47], -v[48:49], v[70:71], v[46:47]
	v_add_f64 v[48:49], v[52:53], -v[60:61]
	v_div_fmas_f64 v[46:47], v[46:47], v[50:51], v[70:71]
	v_subbrev_co_u32_e64 v3, vcc, 0, v3, s[10:11]
	s_mov_b32 s10, 0x6ef28734
	s_mov_b32 s11, 0x3fa82d5d
	v_add_f64 v[44:45], v[44:45], v[48:49]
	v_cmp_gt_i32_e32 vcc, 0, v14
	v_cndmask_b32_e32 v37, v68, v69, vcc
	v_cndmask_b32_e32 v11, v66, v67, vcc
	v_bfi_b32 v37, s61, v37, v16
	v_add_f64 v[44:45], v[56:57], v[44:45]
	v_div_fixup_f64 v[1:2], v[46:47], v[42:43], v[1:2]
	v_mul_f64 v[40:41], v[40:41], v[44:45]
	v_mul_f64 v[42:43], v[1:2], v[1:2]
	v_add_f64 v[44:45], v[54:55], v[40:41]
	v_fma_f64 v[46:47], v[42:43], s[54:55], v[21:22]
	v_mul_f64 v[48:49], v[44:45], v[44:45]
	v_fma_f64 v[46:47], v[42:43], v[46:47], s[52:53]
	v_fma_f64 v[50:51], v[48:49], s[28:29], v[19:20]
	v_mul_f64 v[52:53], v[44:45], v[48:49]
	v_fma_f64 v[46:47], v[42:43], v[46:47], s[12:13]
	s_mov_b32 s12, 0xa595c56f
	s_mov_b32 s13, 0x3f7d6d43
	v_fma_f64 v[50:51], v[48:49], v[50:51], s[30:31]
	v_fma_f64 v[46:47], v[42:43], v[46:47], s[12:13]
	s_mov_b32 s12, 0xa57d9582
	s_mov_b32 s13, 0xbf8c6ea4
	v_fma_f64 v[50:51], v[48:49], v[50:51], s[34:35]
	;; [unrolled: 4-line block ×5, first 2 shown]
	v_ldexp_f64 v[50:51], v[44:45], 1
	v_add_f64 v[44:45], v[44:45], -v[54:55]
	v_fma_f64 v[46:47], v[42:43], v[46:47], s[12:13]
	s_mov_b32 s12, 0xe82d3ff0
	s_mov_b32 s13, 0xbfa59976
	v_cvt_f64_i32_e32 v[54:55], v3
	v_ashrrev_i32_e32 v3, 31, v14
	v_mul_f64 v[48:49], v[52:53], v[48:49]
	v_and_b32_e32 v18, 0x54442d18, v3
	v_mul_f64 v[56:57], v[54:55], s[40:41]
	v_fma_f64 v[46:47], v[42:43], v[46:47], s[12:13]
	v_add_f64 v[40:41], v[40:41], -v[44:45]
	v_and_b32_e32 v3, 0x400921fb, v3
	v_cmp_class_f64_e64 s[12:13], v[38:39], s62
	v_add_f64 v[52:53], v[50:51], v[48:49]
	v_fma_f64 v[46:47], v[42:43], v[46:47], s[10:11]
	v_ldexp_f64 v[40:41], v[40:41], 1
	v_cmp_eq_f64_e64 s[10:11], 0, v[15:16]
	v_add_f64 v[44:45], v[52:53], -v[50:51]
	v_fma_f64 v[50:51], v[54:55], s[40:41], -v[56:57]
	v_fma_f64 v[46:47], v[42:43], v[46:47], s[64:65]
	v_add_f64 v[44:45], v[48:49], -v[44:45]
	v_fma_f64 v[48:49], v[54:55], s[42:43], v[50:51]
	v_fma_f64 v[46:47], v[42:43], v[46:47], s[66:67]
	v_add_f64 v[40:41], v[40:41], v[44:45]
	v_fma_f64 v[44:45], v[42:43], v[46:47], s[68:69]
	v_add_f64 v[46:47], v[56:57], v[48:49]
	v_add_f64 v[50:51], v[52:53], v[40:41]
	v_fma_f64 v[44:45], v[42:43], v[44:45], s[70:71]
	v_add_f64 v[56:57], v[46:47], -v[56:57]
	v_add_f64 v[54:55], v[46:47], v[50:51]
	v_add_f64 v[52:53], v[50:51], -v[52:53]
	v_fma_f64 v[44:45], v[42:43], v[44:45], s[72:73]
	v_add_f64 v[48:49], v[48:49], -v[56:57]
	v_add_f64 v[58:59], v[54:55], -v[46:47]
	;; [unrolled: 1-line block ×3, first 2 shown]
	v_fma_f64 v[44:45], v[42:43], v[44:45], s[74:75]
	v_add_f64 v[60:61], v[54:55], -v[58:59]
	v_add_f64 v[50:51], v[50:51], -v[58:59]
	v_add_f64 v[52:53], v[48:49], v[40:41]
	v_fma_f64 v[44:45], v[42:43], v[44:45], s[76:77]
	v_add_f64 v[46:47], v[46:47], -v[60:61]
	v_fma_f64 v[44:45], v[42:43], v[44:45], s[78:79]
	v_add_f64 v[46:47], v[50:51], v[46:47]
	v_add_f64 v[50:51], v[52:53], -v[48:49]
	v_fma_f64 v[44:45], v[42:43], v[44:45], s[80:81]
	v_add_f64 v[46:47], v[52:53], v[46:47]
	v_add_f64 v[40:41], v[40:41], -v[50:51]
	v_mul_f64 v[42:43], v[42:43], v[44:45]
	v_add_f64 v[44:45], v[52:53], -v[50:51]
	v_add_f64 v[52:53], v[54:55], v[46:47]
	v_fma_f64 v[1:2], v[1:2], v[42:43], v[1:2]
	v_add_f64 v[42:43], v[48:49], -v[44:45]
	v_add_f64 v[44:45], v[52:53], -v[54:55]
	v_add_f64 v[48:49], -v[1:2], s[24:25]
	v_add_f64 v[40:41], v[40:41], v[42:43]
	v_add_f64 v[42:43], v[46:47], -v[44:45]
	v_cndmask_b32_e64 v2, v2, v49, s[8:9]
	v_cndmask_b32_e64 v1, v1, v48, s[8:9]
	v_add_f64 v[44:45], -v[1:2], s[82:83]
	v_add_f64 v[40:41], v[40:41], v[42:43]
	v_cndmask_b32_e32 v1, v1, v44, vcc
	v_cndmask_b32_e32 v2, v2, v45, vcc
	v_cndmask_b32_e64 v1, v1, v18, s[10:11]
	v_add_f64 v[13:14], v[52:53], v[40:41]
	v_cndmask_b32_e64 v2, v2, v3, s[10:11]
	v_cmp_ngt_f64_e64 s[10:11], 0, v[38:39]
	s_and_b64 vcc, s[50:51], s[48:49]
	v_cndmask_b32_e32 v2, v2, v37, vcc
	v_cndmask_b32_e32 v1, v1, v11, vcc
	v_cndmask_b32_e64 v3, v13, v38, s[12:13]
	v_cndmask_b32_e64 v13, v14, v39, s[12:13]
	;; [unrolled: 1-line block ×3, first 2 shown]
	v_cmp_nge_f64_e64 s[10:11], 0, v[38:39]
	v_cndmask_b32_e64 v37, 0, v3, s[10:11]
	v_cmp_neq_f64_e64 s[10:11], 0, v[38:39]
	v_cndmask_b32_e64 v38, v65, v13, s[10:11]
.LBB191_238:                            ;   in Loop: Header=BB191_145 Depth=1
	s_or_b64 exec, exec, s[14:15]
                                        ; implicit-def: $vgpr41_vgpr42
.LBB191_239:                            ;   in Loop: Header=BB191_145 Depth=1
	s_andn2_saveexec_b64 s[14:15], s[46:47]
	s_cbranch_execz .LBB191_245
; %bb.240:                              ;   in Loop: Header=BB191_145 Depth=1
	s_mov_b32 s10, 0x6a3f9475
	s_mov_b32 s11, 0x20ca2fe7
	v_cmp_ngt_f64_e32 vcc, s[10:11], v[41:42]
                                        ; implicit-def: $vgpr37_vgpr38
                                        ; implicit-def: $vgpr1_vgpr2
	s_and_saveexec_b64 s[10:11], vcc
	s_xor_b64 s[46:47], exec, s[10:11]
	s_cbranch_execz .LBB191_242
; %bb.241:                              ;   in Loop: Header=BB191_145 Depth=1
	v_mul_f64 v[1:2], v[41:42], v[41:42]
	s_mov_b32 s95, s27
	s_mov_b32 s82, s24
	;; [unrolled: 1-line block ×3, first 2 shown]
	v_cmp_class_f64_e64 s[48:49], v[15:16], s62
	v_cmp_class_f64_e64 s[50:51], v[13:14], s62
	s_mov_b32 s13, 0x7ff00000
	v_add_f64 v[37:38], v[1:2], 1.0
	v_cmp_neq_f64_e64 s[12:13], s[12:13], v[1:2]
	v_frexp_mant_f64_e32 v[41:42], v[37:38]
	v_frexp_exp_i32_f64_e32 v3, v[37:38]
	v_add_f64 v[39:40], v[37:38], -1.0
	v_cmp_gt_f64_e32 vcc, s[26:27], v[41:42]
	v_add_f64 v[43:44], v[39:40], -v[37:38]
	v_add_f64 v[39:40], v[1:2], -v[39:40]
	v_subbrev_co_u32_e32 v3, vcc, 0, v3, vcc
	v_sub_u32_e32 v11, 0, v3
	v_ldexp_f64 v[37:38], v[37:38], v11
	v_add_f64 v[41:42], v[43:44], 1.0
	v_add_f64 v[43:44], v[37:38], 1.0
	v_add_f64 v[39:40], v[39:40], v[41:42]
	v_add_f64 v[49:50], v[37:38], -1.0
	v_add_f64 v[41:42], v[43:44], -1.0
	v_ldexp_f64 v[39:40], v[39:40], v11
	v_add_f64 v[51:52], v[49:50], 1.0
	v_add_f64 v[41:42], v[37:38], -v[41:42]
	v_add_f64 v[37:38], v[37:38], -v[51:52]
	v_add_f64 v[41:42], v[39:40], v[41:42]
	v_add_f64 v[37:38], v[39:40], v[37:38]
	;; [unrolled: 1-line block ×4, first 2 shown]
	v_rcp_f64_e32 v[47:48], v[45:46]
	v_add_f64 v[43:44], v[43:44], -v[45:46]
	v_add_f64 v[49:50], v[49:50], -v[51:52]
	v_add_f64 v[41:42], v[41:42], v[43:44]
	v_add_f64 v[37:38], v[37:38], v[49:50]
	v_fma_f64 v[53:54], -v[45:46], v[47:48], 1.0
	v_fma_f64 v[47:48], v[53:54], v[47:48], v[47:48]
	v_fma_f64 v[39:40], -v[45:46], v[47:48], 1.0
	v_fma_f64 v[39:40], v[39:40], v[47:48], v[47:48]
	v_mul_f64 v[47:48], v[51:52], v[39:40]
	v_mul_f64 v[53:54], v[45:46], v[47:48]
	v_fma_f64 v[43:44], v[47:48], v[45:46], -v[53:54]
	v_fma_f64 v[43:44], v[47:48], v[41:42], v[43:44]
	v_add_f64 v[55:56], v[53:54], v[43:44]
	v_add_f64 v[57:58], v[51:52], -v[55:56]
	v_add_f64 v[49:50], v[55:56], -v[53:54]
	;; [unrolled: 1-line block ×4, first 2 shown]
	v_max_f64 v[49:50], |v[13:14]|, |v[13:14]|
	v_add_f64 v[51:52], v[51:52], -v[55:56]
	v_add_f64 v[37:38], v[37:38], v[51:52]
	v_add_f64 v[37:38], v[43:44], v[37:38]
	v_max_f64 v[43:44], |v[15:16]|, |v[15:16]|
	v_add_f64 v[51:52], v[57:58], v[37:38]
	v_max_f64 v[53:54], v[49:50], v[43:44]
	v_min_f64 v[43:44], v[49:50], v[43:44]
	v_mul_f64 v[49:50], v[39:40], v[51:52]
	v_add_f64 v[57:58], v[57:58], -v[51:52]
	v_div_scale_f64 v[55:56], s[10:11], v[53:54], v[53:54], v[43:44]
	s_mov_b32 s10, 0xaf56de9b
	s_mov_b32 s11, 0xbf67952d
	v_mul_f64 v[59:60], v[45:46], v[49:50]
	v_add_f64 v[37:38], v[37:38], v[57:58]
	v_fma_f64 v[45:46], v[49:50], v[45:46], -v[59:60]
	v_rcp_f64_e32 v[61:62], v[55:56]
	v_fma_f64 v[41:42], v[49:50], v[41:42], v[45:46]
	v_add_f64 v[45:46], v[59:60], v[41:42]
	v_fma_f64 v[70:71], -v[55:56], v[61:62], 1.0
	v_add_f64 v[72:73], v[51:52], -v[45:46]
	v_add_f64 v[57:58], v[45:46], -v[59:60]
	v_fma_f64 v[61:62], v[61:62], v[70:71], v[61:62]
	v_div_scale_f64 v[70:71], vcc, v[43:44], v[53:54], v[43:44]
	v_add_f64 v[51:52], v[51:52], -v[72:73]
	v_add_f64 v[41:42], v[57:58], -v[41:42]
	v_fma_f64 v[74:75], -v[55:56], v[61:62], 1.0
	v_add_f64 v[57:58], v[47:48], v[49:50]
	v_add_f64 v[45:46], v[51:52], -v[45:46]
	v_fma_f64 v[51:52], v[61:62], v[74:75], v[61:62]
	v_add_f64 v[47:48], v[57:58], -v[47:48]
	v_add_f64 v[37:38], v[37:38], v[45:46]
	v_mul_f64 v[45:46], v[70:71], v[51:52]
	v_add_f64 v[37:38], v[41:42], v[37:38]
	v_fma_f64 v[41:42], -v[55:56], v[45:46], v[70:71]
	v_add_f64 v[37:38], v[72:73], v[37:38]
	v_div_fmas_f64 v[41:42], v[41:42], v[51:52], v[45:46]
	v_add_f64 v[45:46], v[49:50], -v[47:48]
	v_cmp_gt_i32_e32 vcc, 0, v14
	v_cndmask_b32_e32 v11, v66, v67, vcc
	v_mul_f64 v[37:38], v[39:40], v[37:38]
	v_add_f64 v[37:38], v[45:46], v[37:38]
	v_div_fixup_f64 v[39:40], v[41:42], v[53:54], v[43:44]
	v_cvt_f64_i32_e32 v[53:54], v3
	v_ashrrev_i32_e32 v3, 31, v14
	v_and_b32_e32 v18, 0x54442d18, v3
	v_and_b32_e32 v3, 0x400921fb, v3
	v_mul_f64 v[55:56], v[53:54], s[40:41]
	v_add_f64 v[41:42], v[57:58], v[37:38]
	v_mul_f64 v[43:44], v[39:40], v[39:40]
	v_mul_f64 v[45:46], v[41:42], v[41:42]
	v_fma_f64 v[47:48], v[43:44], s[54:55], v[21:22]
	v_fma_f64 v[49:50], v[45:46], s[28:29], v[19:20]
	v_mul_f64 v[51:52], v[41:42], v[45:46]
	v_fma_f64 v[47:48], v[43:44], v[47:48], s[52:53]
	v_fma_f64 v[49:50], v[45:46], v[49:50], s[30:31]
	;; [unrolled: 1-line block ×3, first 2 shown]
	s_mov_b32 s10, 0xa595c56f
	s_mov_b32 s11, 0x3f7d6d43
	v_fma_f64 v[49:50], v[45:46], v[49:50], s[34:35]
	v_fma_f64 v[47:48], v[43:44], v[47:48], s[10:11]
	s_mov_b32 s10, 0xa57d9582
	s_mov_b32 s11, 0xbf8c6ea4
	v_fma_f64 v[49:50], v[45:46], v[49:50], s[36:37]
	v_fma_f64 v[47:48], v[43:44], v[47:48], s[10:11]
	;; [unrolled: 4-line block ×3, first 2 shown]
	s_mov_b32 s10, 0xfc27006a
	s_mov_b32 s11, 0xbf9e9ae6
	v_fma_f64 v[45:46], v[45:46], v[49:50], s[94:95]
	v_ldexp_f64 v[49:50], v[41:42], 1
	v_fma_f64 v[47:48], v[43:44], v[47:48], s[10:11]
	s_mov_b32 s10, 0x5711927a
	s_mov_b32 s11, 0x3fa2c15b
	v_add_f64 v[41:42], v[41:42], -v[57:58]
	v_mul_f64 v[45:46], v[51:52], v[45:46]
	v_fma_f64 v[47:48], v[43:44], v[47:48], s[10:11]
	s_mov_b32 s10, 0xe82d3ff0
	s_mov_b32 s11, 0xbfa59976
	v_add_f64 v[37:38], v[37:38], -v[41:42]
	v_add_f64 v[51:52], v[49:50], v[45:46]
	v_fma_f64 v[47:48], v[43:44], v[47:48], s[10:11]
	s_mov_b32 s10, 0x6ef28734
	s_mov_b32 s11, 0x3fa82d5d
	v_ldexp_f64 v[37:38], v[37:38], 1
	v_add_f64 v[41:42], v[51:52], -v[49:50]
	v_fma_f64 v[49:50], v[53:54], s[40:41], -v[55:56]
	v_fma_f64 v[47:48], v[43:44], v[47:48], s[10:11]
	v_cmp_eq_f64_e64 s[10:11], 0, v[15:16]
	v_add_f64 v[41:42], v[45:46], -v[41:42]
	v_fma_f64 v[45:46], v[43:44], v[47:48], s[64:65]
	v_fma_f64 v[47:48], v[53:54], s[42:43], v[49:50]
	v_add_f64 v[37:38], v[37:38], v[41:42]
	v_fma_f64 v[41:42], v[43:44], v[45:46], s[66:67]
	v_add_f64 v[45:46], v[55:56], v[47:48]
	v_add_f64 v[49:50], v[51:52], v[37:38]
	v_fma_f64 v[41:42], v[43:44], v[41:42], s[68:69]
	v_add_f64 v[55:56], v[45:46], -v[55:56]
	v_add_f64 v[53:54], v[45:46], v[49:50]
	v_add_f64 v[51:52], v[49:50], -v[51:52]
	v_fma_f64 v[41:42], v[43:44], v[41:42], s[70:71]
	v_add_f64 v[47:48], v[47:48], -v[55:56]
	v_add_f64 v[57:58], v[53:54], -v[45:46]
	;; [unrolled: 1-line block ×3, first 2 shown]
	v_fma_f64 v[41:42], v[43:44], v[41:42], s[72:73]
	v_add_f64 v[59:60], v[53:54], -v[57:58]
	v_add_f64 v[49:50], v[49:50], -v[57:58]
	v_fma_f64 v[41:42], v[43:44], v[41:42], s[74:75]
	v_add_f64 v[51:52], v[47:48], v[37:38]
	v_add_f64 v[45:46], v[45:46], -v[59:60]
	v_fma_f64 v[41:42], v[43:44], v[41:42], s[76:77]
	v_add_f64 v[45:46], v[49:50], v[45:46]
	;; [unrolled: 3-line block ×3, first 2 shown]
	v_add_f64 v[51:52], v[51:52], -v[49:50]
	v_fma_f64 v[41:42], v[43:44], v[41:42], s[80:81]
	v_add_f64 v[37:38], v[37:38], -v[49:50]
	v_add_f64 v[55:56], v[53:54], v[45:46]
	v_mul_f64 v[41:42], v[43:44], v[41:42]
	v_add_f64 v[43:44], v[47:48], -v[51:52]
	v_add_f64 v[47:48], v[55:56], -v[53:54]
	v_fma_f64 v[39:40], v[39:40], v[41:42], v[39:40]
	v_add_f64 v[37:38], v[37:38], v[43:44]
	v_add_f64 v[41:42], v[45:46], -v[47:48]
	v_add_f64 v[43:44], -v[39:40], s[24:25]
	v_add_f64 v[37:38], v[37:38], v[41:42]
	v_cndmask_b32_e64 v40, v40, v44, s[8:9]
	v_cndmask_b32_e64 v39, v39, v43, s[8:9]
	v_add_f64 v[41:42], -v[39:40], s[82:83]
	v_add_f64 v[37:38], v[55:56], v[37:38]
	v_cndmask_b32_e32 v39, v39, v41, vcc
	v_cndmask_b32_e32 v41, v68, v69, vcc
	v_cndmask_b32_e32 v2, v40, v42, vcc
	v_bfi_b32 v1, s61, v41, v16
	v_mul_f64 v[13:14], v[37:38], 0.5
	v_cndmask_b32_e64 v18, v39, v18, s[10:11]
	v_cndmask_b32_e64 v2, v2, v3, s[10:11]
	s_and_b64 vcc, s[48:49], s[50:51]
	v_cndmask_b32_e32 v2, v2, v1, vcc
	v_cndmask_b32_e32 v1, v18, v11, vcc
                                        ; implicit-def: $vgpr41_vgpr42
	v_cndmask_b32_e64 v38, v63, v14, s[12:13]
	v_cndmask_b32_e64 v37, 0, v13, s[12:13]
.LBB191_242:                            ;   in Loop: Header=BB191_145 Depth=1
	s_andn2_saveexec_b64 s[12:13], s[46:47]
	s_cbranch_execz .LBB191_244
; %bb.243:                              ;   in Loop: Header=BB191_145 Depth=1
	v_max_f64 v[1:2], |v[15:16]|, |v[15:16]|
	v_max_f64 v[37:38], |v[13:14]|, |v[13:14]|
	s_mov_b32 s82, s24
	v_cmp_class_f64_e64 s[46:47], v[15:16], s62
	v_cmp_class_f64_e64 s[48:49], v[13:14], s62
	v_ashrrev_i32_e32 v3, 31, v14
	v_and_b32_e32 v18, 0x54442d18, v3
	v_and_b32_e32 v3, 0x400921fb, v3
	v_max_f64 v[39:40], v[37:38], v[1:2]
	v_min_f64 v[1:2], v[37:38], v[1:2]
	v_div_scale_f64 v[37:38], s[10:11], v[39:40], v[39:40], v[1:2]
	s_mov_b32 s10, 0xaf56de9b
	s_mov_b32 s11, 0xbf67952d
	v_rcp_f64_e32 v[43:44], v[37:38]
	v_fma_f64 v[45:46], -v[37:38], v[43:44], 1.0
	v_fma_f64 v[43:44], v[43:44], v[45:46], v[43:44]
	v_div_scale_f64 v[45:46], vcc, v[1:2], v[39:40], v[1:2]
	v_fma_f64 v[47:48], -v[37:38], v[43:44], 1.0
	v_fma_f64 v[43:44], v[43:44], v[47:48], v[43:44]
	v_mul_f64 v[47:48], v[45:46], v[43:44]
	v_fma_f64 v[37:38], -v[37:38], v[47:48], v[45:46]
	v_div_fmas_f64 v[37:38], v[37:38], v[43:44], v[47:48]
	v_mul_f64 v[43:44], v[41:42], 0.5
	v_cmp_gt_i32_e32 vcc, 0, v14
	v_cndmask_b32_e32 v13, v68, v69, vcc
	v_cndmask_b32_e32 v11, v66, v67, vcc
	v_bfi_b32 v13, s61, v13, v16
	v_div_fixup_f64 v[1:2], v[37:38], v[39:40], v[1:2]
	v_mul_f64 v[37:38], v[1:2], v[1:2]
	v_fma_f64 v[39:40], v[37:38], s[54:55], v[21:22]
	v_fma_f64 v[39:40], v[37:38], v[39:40], s[52:53]
	;; [unrolled: 1-line block ×3, first 2 shown]
	s_mov_b32 s10, 0xa595c56f
	s_mov_b32 s11, 0x3f7d6d43
	v_fma_f64 v[39:40], v[37:38], v[39:40], s[10:11]
	s_mov_b32 s10, 0xa57d9582
	s_mov_b32 s11, 0xbf8c6ea4
	v_fma_f64 v[39:40], v[37:38], v[39:40], s[10:11]
	;; [unrolled: 3-line block ×7, first 2 shown]
	v_cmp_eq_f64_e64 s[10:11], 0, v[15:16]
	v_fma_f64 v[39:40], v[37:38], v[39:40], s[64:65]
	v_fma_f64 v[39:40], v[37:38], v[39:40], s[66:67]
	;; [unrolled: 1-line block ×9, first 2 shown]
	v_mul_f64 v[37:38], v[37:38], v[39:40]
	v_fma_f64 v[1:2], v[1:2], v[37:38], v[1:2]
	v_add_f64 v[37:38], -v[1:2], s[24:25]
	v_cndmask_b32_e64 v2, v2, v38, s[8:9]
	v_cndmask_b32_e64 v1, v1, v37, s[8:9]
	v_add_f64 v[38:39], -v[1:2], s[82:83]
	v_cndmask_b32_e32 v1, v1, v38, vcc
	v_mul_f64 v[37:38], v[41:42], v[43:44]
	v_cndmask_b32_e32 v2, v2, v39, vcc
	v_cndmask_b32_e64 v1, v1, v18, s[10:11]
	v_cndmask_b32_e64 v2, v2, v3, s[10:11]
	s_and_b64 vcc, s[46:47], s[48:49]
	v_cndmask_b32_e32 v2, v2, v13, vcc
	v_cndmask_b32_e32 v1, v1, v11, vcc
.LBB191_244:                            ;   in Loop: Header=BB191_145 Depth=1
	s_or_b64 exec, exec, s[12:13]
.LBB191_245:                            ;   in Loop: Header=BB191_145 Depth=1
	s_or_b64 exec, exec, s[14:15]
.LBB191_246:                            ;   in Loop: Header=BB191_145 Depth=1
	s_andn2_saveexec_b64 s[12:13], s[44:45]
	s_cbranch_execz .LBB191_248
; %bb.247:                              ;   in Loop: Header=BB191_145 Depth=1
	v_div_scale_f64 v[1:2], s[10:11], s[88:89], s[88:89], v[13:14]
	v_div_scale_f64 v[37:38], s[10:11], s[88:89], s[88:89], v[15:16]
	;; [unrolled: 1-line block ×3, first 2 shown]
	s_mov_b32 s95, s27
	s_mov_b32 s82, s24
	v_cmp_class_f64_e64 s[44:45], v[13:14], s62
	v_rcp_f64_e32 v[39:40], v[1:2]
	v_rcp_f64_e32 v[41:42], v[37:38]
	v_fma_f64 v[43:44], -v[1:2], v[39:40], 1.0
	v_fma_f64 v[45:46], -v[37:38], v[41:42], 1.0
	v_fma_f64 v[39:40], v[39:40], v[43:44], v[39:40]
	v_div_scale_f64 v[43:44], vcc, v[13:14], s[88:89], v[13:14]
	v_fma_f64 v[41:42], v[41:42], v[45:46], v[41:42]
	v_fma_f64 v[45:46], -v[1:2], v[39:40], 1.0
	v_fma_f64 v[49:50], -v[37:38], v[41:42], 1.0
	v_fma_f64 v[39:40], v[39:40], v[45:46], v[39:40]
	v_fma_f64 v[41:42], v[41:42], v[49:50], v[41:42]
	v_mul_f64 v[45:46], v[43:44], v[39:40]
	v_mul_f64 v[49:50], v[47:48], v[41:42]
	v_fma_f64 v[1:2], -v[1:2], v[45:46], v[43:44]
	v_fma_f64 v[37:38], -v[37:38], v[49:50], v[47:48]
	v_div_fmas_f64 v[1:2], v[1:2], v[39:40], v[45:46]
	s_mov_b64 vcc, s[10:11]
	v_div_fmas_f64 v[37:38], v[37:38], v[41:42], v[49:50]
	v_max_f64 v[48:49], |v[13:14]|, |v[13:14]|
	v_div_fixup_f64 v[1:2], v[1:2], s[88:89], v[13:14]
	v_div_fixup_f64 v[37:38], v[37:38], s[88:89], v[15:16]
	v_cmp_class_f64_e64 s[10:11], v[1:2], s62
	v_max_f64 v[39:40], |v[1:2]|, |v[37:38]|
	v_cmp_class_f64_e64 s[14:15], v[37:38], s62
	v_frexp_exp_i32_f64_e32 v3, v[39:40]
	v_sub_u32_e32 v11, 0, v3
	v_ldexp_f64 v[39:40], |v[37:38]|, v11
	v_ldexp_f64 v[41:42], |v[1:2]|, v11
	v_mul_f64 v[39:40], v[39:40], v[39:40]
	v_fma_f64 v[39:40], v[41:42], v[41:42], v[39:40]
	v_rsq_f64_e32 v[41:42], v[39:40]
	v_cmp_eq_f64_e32 vcc, 0, v[39:40]
	v_mul_f64 v[43:44], v[39:40], v[41:42]
	v_mul_f64 v[41:42], v[41:42], 0.5
	v_fma_f64 v[45:46], -v[41:42], v[43:44], 0.5
	v_fma_f64 v[43:44], v[43:44], v[45:46], v[43:44]
	v_fma_f64 v[41:42], v[41:42], v[45:46], v[41:42]
	v_fma_f64 v[45:46], -v[43:44], v[43:44], v[39:40]
	v_fma_f64 v[41:42], v[45:46], v[41:42], v[43:44]
	v_max_f64 v[46:47], |v[15:16]|, |v[15:16]|
	v_cndmask_b32_e32 v40, v42, v40, vcc
	v_cndmask_b32_e32 v39, v41, v39, vcc
	v_ldexp_f64 v[39:40], v[39:40], v3
	v_cmp_o_f64_e32 vcc, v[1:2], v[37:38]
	v_cndmask_b32_e32 v1, 0, v39, vcc
	v_cndmask_b32_e32 v2, v64, v40, vcc
	s_or_b64 vcc, s[14:15], s[10:11]
	v_cndmask_b32_e32 v39, v2, v63, vcc
	v_cndmask_b32_e64 v38, v1, 0, vcc
	v_frexp_mant_f64_e32 v[1:2], v[38:39]
	v_cmp_gt_f64_e64 s[10:11], s[26:27], v[1:2]
	v_cndmask_b32_e64 v3, 0, 1, s[10:11]
	v_ldexp_f64 v[1:2], v[1:2], v3
	v_frexp_exp_i32_f64_e32 v3, v[38:39]
	v_add_f64 v[40:41], v[1:2], 1.0
	v_add_f64 v[52:53], v[1:2], -1.0
	v_rcp_f64_e32 v[42:43], v[40:41]
	v_add_f64 v[56:57], v[40:41], -1.0
	v_add_f64 v[1:2], v[1:2], -v[56:57]
	v_fma_f64 v[44:45], -v[40:41], v[42:43], 1.0
	v_fma_f64 v[42:43], v[44:45], v[42:43], v[42:43]
	v_max_f64 v[44:45], v[48:49], v[46:47]
	v_min_f64 v[46:47], v[48:49], v[46:47]
	v_fma_f64 v[48:49], -v[40:41], v[42:43], 1.0
	v_div_scale_f64 v[50:51], s[14:15], v[44:45], v[44:45], v[46:47]
	s_mov_b32 s14, 0xaf56de9b
	s_mov_b32 s15, 0xbf67952d
	v_fma_f64 v[42:43], v[48:49], v[42:43], v[42:43]
	v_mul_f64 v[48:49], v[52:53], v[42:43]
	v_rcp_f64_e32 v[54:55], v[50:51]
	v_mul_f64 v[58:59], v[40:41], v[48:49]
	v_fma_f64 v[40:41], v[48:49], v[40:41], -v[58:59]
	v_fma_f64 v[56:57], -v[50:51], v[54:55], 1.0
	v_fma_f64 v[1:2], v[48:49], v[1:2], v[40:41]
	v_fma_f64 v[40:41], v[54:55], v[56:57], v[54:55]
	v_div_scale_f64 v[56:57], vcc, v[46:47], v[44:45], v[46:47]
	v_add_f64 v[54:55], v[58:59], v[1:2]
	v_fma_f64 v[60:61], -v[50:51], v[40:41], 1.0
	v_add_f64 v[70:71], v[52:53], -v[54:55]
	v_add_f64 v[58:59], v[54:55], -v[58:59]
	v_fma_f64 v[40:41], v[40:41], v[60:61], v[40:41]
	v_add_f64 v[52:53], v[52:53], -v[70:71]
	v_add_f64 v[1:2], v[58:59], -v[1:2]
	v_mul_f64 v[60:61], v[56:57], v[40:41]
	v_add_f64 v[52:53], v[52:53], -v[54:55]
	v_fma_f64 v[50:51], -v[50:51], v[60:61], v[56:57]
	v_add_f64 v[1:2], v[1:2], v[52:53]
	v_div_fmas_f64 v[40:41], v[50:51], v[40:41], v[60:61]
	v_subbrev_co_u32_e64 v3, vcc, 0, v3, s[10:11]
	s_mov_b32 s10, 0xe82d3ff0
	s_mov_b32 s11, 0xbfa59976
	v_cmp_class_f64_e64 vcc, v[38:39], s62
	v_add_f64 v[1:2], v[70:71], v[1:2]
	v_mul_f64 v[1:2], v[42:43], v[1:2]
	v_div_fixup_f64 v[40:41], v[40:41], v[44:45], v[46:47]
	v_add_f64 v[42:43], v[48:49], v[1:2]
	v_mul_f64 v[44:45], v[40:41], v[40:41]
	v_mul_f64 v[46:47], v[42:43], v[42:43]
	v_fma_f64 v[50:51], v[44:45], s[54:55], v[21:22]
	v_fma_f64 v[52:53], v[46:47], s[28:29], v[19:20]
	v_mul_f64 v[54:55], v[42:43], v[46:47]
	v_fma_f64 v[50:51], v[44:45], v[50:51], s[52:53]
	v_fma_f64 v[52:53], v[46:47], v[52:53], s[30:31]
	;; [unrolled: 1-line block ×3, first 2 shown]
	s_mov_b32 s14, 0xa595c56f
	s_mov_b32 s15, 0x3f7d6d43
	v_fma_f64 v[52:53], v[46:47], v[52:53], s[34:35]
	v_fma_f64 v[50:51], v[44:45], v[50:51], s[14:15]
	s_mov_b32 s14, 0xa57d9582
	s_mov_b32 s15, 0xbf8c6ea4
	v_fma_f64 v[52:53], v[46:47], v[52:53], s[36:37]
	v_fma_f64 v[50:51], v[44:45], v[50:51], s[14:15]
	;; [unrolled: 4-line block ×3, first 2 shown]
	s_mov_b32 s14, 0xfc27006a
	s_mov_b32 s15, 0xbf9e9ae6
	v_fma_f64 v[46:47], v[46:47], v[52:53], s[94:95]
	v_ldexp_f64 v[52:53], v[42:43], 1
	v_fma_f64 v[50:51], v[44:45], v[50:51], s[14:15]
	s_mov_b32 s14, 0x5711927a
	s_mov_b32 s15, 0x3fa2c15b
	v_add_f64 v[42:43], v[42:43], -v[48:49]
	v_mul_f64 v[46:47], v[54:55], v[46:47]
	v_cvt_f64_i32_e32 v[54:55], v3
	v_fma_f64 v[50:51], v[44:45], v[50:51], s[14:15]
	v_cmp_class_f64_e64 s[14:15], v[15:16], s62
	v_ashrrev_i32_e32 v3, 31, v14
	v_mul_f64 v[56:57], v[54:55], s[40:41]
	v_add_f64 v[1:2], v[1:2], -v[42:43]
	v_and_b32_e32 v37, 0x54442d18, v3
	v_add_f64 v[48:49], v[52:53], v[46:47]
	v_and_b32_e32 v3, 0x400921fb, v3
	v_fma_f64 v[50:51], v[44:45], v[50:51], s[10:11]
	s_mov_b32 s10, 0x6ef28734
	s_mov_b32 s11, 0x3fa82d5d
	v_ldexp_f64 v[1:2], v[1:2], 1
	v_add_f64 v[42:43], v[48:49], -v[52:53]
	v_fma_f64 v[52:53], v[54:55], s[40:41], -v[56:57]
	v_fma_f64 v[50:51], v[44:45], v[50:51], s[10:11]
	v_cmp_eq_f64_e64 s[10:11], 0, v[15:16]
	v_add_f64 v[42:43], v[46:47], -v[42:43]
	v_fma_f64 v[46:47], v[44:45], v[50:51], s[64:65]
	v_fma_f64 v[50:51], v[54:55], s[42:43], v[52:53]
	v_add_f64 v[1:2], v[1:2], v[42:43]
	v_fma_f64 v[42:43], v[44:45], v[46:47], s[66:67]
	v_add_f64 v[46:47], v[56:57], v[50:51]
	v_add_f64 v[52:53], v[48:49], v[1:2]
	v_fma_f64 v[42:43], v[44:45], v[42:43], s[68:69]
	v_add_f64 v[56:57], v[46:47], -v[56:57]
	v_add_f64 v[54:55], v[46:47], v[52:53]
	v_add_f64 v[48:49], v[52:53], -v[48:49]
	v_fma_f64 v[42:43], v[44:45], v[42:43], s[70:71]
	v_add_f64 v[50:51], v[50:51], -v[56:57]
	v_add_f64 v[58:59], v[54:55], -v[46:47]
	;; [unrolled: 1-line block ×3, first 2 shown]
	v_fma_f64 v[42:43], v[44:45], v[42:43], s[72:73]
	v_add_f64 v[60:61], v[54:55], -v[58:59]
	v_add_f64 v[48:49], v[52:53], -v[58:59]
	v_fma_f64 v[42:43], v[44:45], v[42:43], s[74:75]
	v_add_f64 v[52:53], v[50:51], v[1:2]
	v_add_f64 v[46:47], v[46:47], -v[60:61]
	v_fma_f64 v[42:43], v[44:45], v[42:43], s[76:77]
	v_add_f64 v[46:47], v[48:49], v[46:47]
	;; [unrolled: 3-line block ×3, first 2 shown]
	v_add_f64 v[52:53], v[52:53], -v[48:49]
	v_fma_f64 v[42:43], v[44:45], v[42:43], s[80:81]
	v_add_f64 v[1:2], v[1:2], -v[48:49]
	v_add_f64 v[56:57], v[54:55], v[46:47]
	v_mul_f64 v[42:43], v[44:45], v[42:43]
	v_add_f64 v[44:45], v[50:51], -v[52:53]
	v_add_f64 v[48:49], v[56:57], -v[54:55]
	v_fma_f64 v[40:41], v[40:41], v[42:43], v[40:41]
	v_add_f64 v[1:2], v[1:2], v[44:45]
	v_add_f64 v[42:43], v[46:47], -v[48:49]
	v_add_f64 v[44:45], -v[40:41], s[24:25]
	v_add_f64 v[1:2], v[1:2], v[42:43]
	v_cndmask_b32_e64 v41, v41, v45, s[8:9]
	v_cndmask_b32_e64 v40, v40, v44, s[8:9]
	v_add_f64 v[42:43], -v[40:41], s[82:83]
	v_cmp_gt_i32_e64 s[8:9], 0, v14
	v_cndmask_b32_e64 v11, v66, v67, s[8:9]
	v_cndmask_b32_e64 v18, v68, v69, s[8:9]
	v_add_f64 v[1:2], v[56:57], v[1:2]
	v_cndmask_b32_e64 v40, v40, v42, s[8:9]
	v_cndmask_b32_e32 v2, v2, v39, vcc
	v_cndmask_b32_e32 v1, v1, v38, vcc
	v_add_f64 v[13:14], v[1:2], 1.0
	v_cndmask_b32_e64 v2, v41, v43, s[8:9]
	v_cmp_ngt_f64_e64 s[8:9], 0, v[38:39]
	v_bfi_b32 v1, s61, v18, v16
	v_cndmask_b32_e64 v2, v2, v3, s[10:11]
	s_and_b64 vcc, s[14:15], s[44:45]
	v_cndmask_b32_e32 v2, v2, v1, vcc
	v_cndmask_b32_e64 v18, v40, v37, s[10:11]
	v_cndmask_b32_e64 v1, v64, v14, s[8:9]
	v_cmp_nge_f64_e64 s[8:9], 0, v[38:39]
	v_cndmask_b32_e64 v37, 0, v13, s[8:9]
	v_cmp_neq_f64_e64 s[8:9], 0, v[38:39]
	v_cndmask_b32_e64 v38, v65, v1, s[8:9]
	v_cndmask_b32_e32 v1, v18, v11, vcc
.LBB191_248:                            ;   in Loop: Header=BB191_145 Depth=1
	s_or_b64 exec, exec, s[12:13]
.LBB191_249:                            ;   in Loop: Header=BB191_145 Depth=1
	s_andn2_saveexec_b64 s[8:9], s[20:21]
	s_cbranch_execz .LBB191_255
; %bb.250:                              ;   in Loop: Header=BB191_145 Depth=1
	v_cmp_nlt_f64_e64 s[10:11], |v[13:14]|, s[84:85]
	v_cmp_nlt_f64_e64 s[12:13], |v[15:16]|, s[84:85]
                                        ; implicit-def: $vgpr38_vgpr39
	s_or_b64 s[10:11], s[12:13], s[10:11]
	s_and_saveexec_b64 s[12:13], s[10:11]
	s_xor_b64 s[10:11], exec, s[12:13]
	s_cbranch_execz .LBB191_252
; %bb.251:                              ;   in Loop: Header=BB191_145 Depth=1
	v_mul_f64 v[1:2], v[13:14], v[13:14]
	v_fma_f64 v[38:39], v[15:16], v[15:16], v[1:2]
.LBB191_252:                            ;   in Loop: Header=BB191_145 Depth=1
	s_andn2_saveexec_b64 s[10:11], s[10:11]
	s_cbranch_execz .LBB191_254
; %bb.253:                              ;   in Loop: Header=BB191_145 Depth=1
	v_mul_f64 v[1:2], v[13:14], 4.0
	v_mul_f64 v[13:14], v[15:16], 4.0
	v_mul_f64 v[1:2], v[1:2], v[1:2]
	v_fma_f64 v[1:2], v[13:14], v[13:14], v[1:2]
	v_ldexp_f64 v[38:39], v[1:2], -4
.LBB191_254:                            ;   in Loop: Header=BB191_145 Depth=1
	s_or_b64 exec, exec, s[10:11]
	v_frexp_mant_f64_e32 v[1:2], v[38:39]
	s_mov_b32 s95, s27
	v_cmp_gt_f64_e32 vcc, s[26:27], v[1:2]
	v_cndmask_b32_e64 v3, 0, 1, vcc
	v_ldexp_f64 v[1:2], v[1:2], v3
	v_frexp_exp_i32_f64_e32 v3, v[38:39]
	v_add_f64 v[13:14], v[1:2], 1.0
	v_add_f64 v[44:45], v[1:2], -1.0
	v_subbrev_co_u32_e32 v3, vcc, 0, v3, vcc
	v_cmp_class_f64_e64 vcc, v[38:39], s62
	v_rcp_f64_e32 v[40:41], v[13:14]
	v_add_f64 v[46:47], v[13:14], -1.0
	v_add_f64 v[1:2], v[1:2], -v[46:47]
	v_fma_f64 v[42:43], -v[13:14], v[40:41], 1.0
	v_fma_f64 v[40:41], v[42:43], v[40:41], v[40:41]
	v_fma_f64 v[42:43], -v[13:14], v[40:41], 1.0
	v_fma_f64 v[40:41], v[42:43], v[40:41], v[40:41]
	v_mul_f64 v[42:43], v[44:45], v[40:41]
	v_mul_f64 v[48:49], v[13:14], v[42:43]
	v_fma_f64 v[13:14], v[42:43], v[13:14], -v[48:49]
	v_fma_f64 v[1:2], v[42:43], v[1:2], v[13:14]
	v_add_f64 v[13:14], v[48:49], v[1:2]
	v_add_f64 v[46:47], v[44:45], -v[13:14]
	v_add_f64 v[48:49], v[13:14], -v[48:49]
	;; [unrolled: 1-line block ×5, first 2 shown]
	v_add_f64 v[1:2], v[1:2], v[13:14]
	v_add_f64 v[1:2], v[46:47], v[1:2]
	v_mul_f64 v[1:2], v[40:41], v[1:2]
	v_add_f64 v[13:14], v[42:43], v[1:2]
	v_mul_f64 v[40:41], v[13:14], v[13:14]
	v_fma_f64 v[44:45], v[40:41], s[28:29], v[19:20]
	v_mul_f64 v[46:47], v[13:14], v[40:41]
	v_fma_f64 v[44:45], v[40:41], v[44:45], s[30:31]
	v_fma_f64 v[44:45], v[40:41], v[44:45], s[34:35]
	;; [unrolled: 1-line block ×5, first 2 shown]
	v_ldexp_f64 v[44:45], v[13:14], 1
	v_add_f64 v[13:14], v[13:14], -v[42:43]
	v_mul_f64 v[40:41], v[46:47], v[40:41]
	v_cvt_f64_i32_e32 v[46:47], v3
	v_add_f64 v[1:2], v[1:2], -v[13:14]
	v_mul_f64 v[48:49], v[46:47], s[40:41]
	v_add_f64 v[42:43], v[44:45], v[40:41]
	v_ldexp_f64 v[1:2], v[1:2], 1
	v_add_f64 v[13:14], v[42:43], -v[44:45]
	v_fma_f64 v[44:45], v[46:47], s[40:41], -v[48:49]
	v_add_f64 v[13:14], v[40:41], -v[13:14]
	v_fma_f64 v[40:41], v[46:47], s[42:43], v[44:45]
	v_add_f64 v[1:2], v[1:2], v[13:14]
	v_add_f64 v[13:14], v[48:49], v[40:41]
	v_add_f64 v[44:45], v[42:43], v[1:2]
	v_add_f64 v[48:49], v[13:14], -v[48:49]
	v_add_f64 v[46:47], v[13:14], v[44:45]
	v_add_f64 v[42:43], v[44:45], -v[42:43]
	v_add_f64 v[40:41], v[40:41], -v[48:49]
	;; [unrolled: 1-line block ×6, first 2 shown]
	v_add_f64 v[44:45], v[40:41], v[1:2]
	v_add_f64 v[13:14], v[13:14], -v[52:53]
	v_add_f64 v[13:14], v[42:43], v[13:14]
	v_add_f64 v[42:43], v[44:45], -v[40:41]
	;; [unrolled: 2-line block ×3, first 2 shown]
	v_add_f64 v[1:2], v[1:2], -v[42:43]
	v_add_f64 v[48:49], v[46:47], v[13:14]
	v_add_f64 v[40:41], v[40:41], -v[44:45]
	v_add_f64 v[42:43], v[48:49], -v[46:47]
	v_add_f64 v[1:2], v[1:2], v[40:41]
	v_add_f64 v[13:14], v[13:14], -v[42:43]
	v_add_f64 v[1:2], v[1:2], v[13:14]
	v_add_f64 v[13:14], v[48:49], v[1:2]
	v_mov_b32_e32 v1, 0
	v_mov_b32_e32 v2, 0x7ff80000
	v_cndmask_b32_e32 v3, v13, v38, vcc
	v_cndmask_b32_e32 v11, v14, v39, vcc
	v_cmp_ngt_f64_e32 vcc, 0, v[38:39]
	v_cndmask_b32_e32 v11, v64, v11, vcc
	v_cmp_nge_f64_e32 vcc, 0, v[38:39]
	v_cndmask_b32_e32 v37, 0, v3, vcc
	v_cmp_neq_f64_e32 vcc, 0, v[38:39]
	v_cndmask_b32_e32 v38, v65, v11, vcc
.LBB191_255:                            ;   in Loop: Header=BB191_145 Depth=1
	s_or_b64 exec, exec, s[8:9]
	v_cmp_o_f64_e32 vcc, v[5:6], v[7:8]
                                        ; implicit-def: $vgpr41_vgpr42
                                        ; implicit-def: $vgpr39_vgpr40
	s_and_saveexec_b64 s[8:9], vcc
	s_xor_b64 s[20:21], exec, s[8:9]
	s_cbranch_execnz .LBB191_261
; %bb.256:                              ;   in Loop: Header=BB191_145 Depth=1
	s_andn2_saveexec_b64 s[8:9], s[20:21]
	s_cbranch_execnz .LBB191_288
.LBB191_257:                            ;   in Loop: Header=BB191_145 Depth=1
	s_or_b64 exec, exec, s[8:9]
	s_and_saveexec_b64 s[8:9], s[0:1]
	s_xor_b64 s[0:1], exec, s[8:9]
	s_cbranch_execnz .LBB191_293
.LBB191_258:                            ;   in Loop: Header=BB191_145 Depth=1
	s_or_b64 exec, exec, s[0:1]
	s_and_saveexec_b64 s[0:1], s[2:3]
	s_cbranch_execnz .LBB191_294
.LBB191_259:                            ;   in Loop: Header=BB191_145 Depth=1
	s_or_b64 exec, exec, s[0:1]
	s_and_saveexec_b64 s[0:1], s[4:5]
	s_cbranch_execnz .LBB191_295
.LBB191_260:                            ;   in Loop: Header=BB191_145 Depth=1
	s_or_b64 exec, exec, s[0:1]
	s_and_saveexec_b64 s[0:1], s[6:7]
	s_cbranch_execz .LBB191_144
	s_branch .LBB191_296
.LBB191_261:                            ;   in Loop: Header=BB191_145 Depth=1
	v_cmp_lt_f64_e64 s[8:9], |v[5:6]|, |v[7:8]|
	v_and_b32_e32 v3, 0x7fffffff, v6
	v_and_b32_e32 v11, 0x7fffffff, v8
	s_mov_b32 s10, 0x85ebc8a0
	s_mov_b32 s11, 0x7fd1ccf3
	v_mov_b32_e32 v13, v7
                                        ; implicit-def: $vgpr41_vgpr42
                                        ; implicit-def: $vgpr39_vgpr40
	v_cndmask_b32_e64 v44, v11, v3, s[8:9]
	v_cndmask_b32_e64 v43, v7, v5, s[8:9]
	v_cmp_nlt_f64_e32 vcc, s[10:11], v[43:44]
	s_and_saveexec_b64 s[10:11], vcc
	s_xor_b64 s[44:45], exec, s[10:11]
	s_cbranch_execz .LBB191_285
; %bb.262:                              ;   in Loop: Header=BB191_145 Depth=1
	v_cndmask_b32_e64 v46, v3, v11, s[8:9]
	v_cndmask_b32_e64 v45, v5, v13, s[8:9]
	v_cmp_neq_f64_e32 vcc, 1.0, v[45:46]
                                        ; implicit-def: $vgpr41_vgpr42
                                        ; implicit-def: $vgpr39_vgpr40
	s_and_saveexec_b64 s[10:11], vcc
	s_xor_b64 s[46:47], exec, s[10:11]
	s_cbranch_execz .LBB191_278
; %bb.263:                              ;   in Loop: Header=BB191_145 Depth=1
	v_max_f64 v[13:14], v[43:44], v[43:44]
	v_max_f64 v[39:40], v[45:46], v[45:46]
	s_mov_b32 s10, 0x4ad4b81f
	s_mov_b32 s11, 0x358dee7a
	v_min_f64 v[41:42], v[39:40], v[13:14]
	v_max_f64 v[13:14], v[39:40], v[13:14]
                                        ; implicit-def: $vgpr39_vgpr40
	v_cmp_ngt_f64_e32 vcc, s[10:11], v[41:42]
	s_mov_b32 s10, 0xc57e649a
	s_mov_b32 s11, 0x4a511b0e
	v_cmp_nlt_f64_e64 s[10:11], s[10:11], v[13:14]
                                        ; implicit-def: $vgpr41_vgpr42
	s_and_b64 s[10:11], s[10:11], vcc
	s_and_saveexec_b64 s[12:13], s[10:11]
	s_xor_b64 s[86:87], exec, s[12:13]
	s_cbranch_execz .LBB191_275
; %bb.264:                              ;   in Loop: Header=BB191_145 Depth=1
	v_cmp_le_f64_e32 vcc, 1.0, v[45:46]
                                        ; implicit-def: $vgpr41_vgpr42
                                        ; implicit-def: $vgpr39_vgpr40
	s_and_saveexec_b64 s[10:11], vcc
	s_xor_b64 s[48:49], exec, s[10:11]
	s_cbranch_execz .LBB191_266
; %bb.265:                              ;   in Loop: Header=BB191_145 Depth=1
	v_add_f64 v[13:14], v[45:46], -1.0
	v_add_f64 v[39:40], v[45:46], 1.0
	s_mov_b32 s95, s27
	s_mov_b32 s82, s24
	;; [unrolled: 1-line block ×4, first 2 shown]
	v_cmp_class_f64_e64 s[50:51], v[7:8], s62
	v_mul_f64 v[13:14], v[13:14], v[39:40]
	v_fma_f64 v[13:14], v[43:44], v[43:44], v[13:14]
	v_add_f64 v[39:40], v[13:14], 1.0
	v_cmp_nge_f64_e64 s[12:13], -1.0, v[13:14]
	v_cmp_neq_f64_e64 s[14:15], s[14:15], v[13:14]
	v_frexp_mant_f64_e32 v[43:44], v[39:40]
	v_frexp_exp_i32_f64_e32 v3, v[39:40]
	v_add_f64 v[41:42], v[39:40], -1.0
	v_cmp_gt_f64_e32 vcc, s[26:27], v[43:44]
	v_add_f64 v[45:46], v[41:42], -v[39:40]
	v_add_f64 v[41:42], v[13:14], -v[41:42]
	v_subbrev_co_u32_e32 v3, vcc, 0, v3, vcc
	v_sub_u32_e32 v11, 0, v3
	v_ldexp_f64 v[39:40], v[39:40], v11
	v_add_f64 v[43:44], v[45:46], 1.0
	v_add_f64 v[45:46], v[39:40], 1.0
	v_add_f64 v[41:42], v[41:42], v[43:44]
	v_add_f64 v[51:52], v[39:40], -1.0
	v_add_f64 v[43:44], v[45:46], -1.0
	v_ldexp_f64 v[41:42], v[41:42], v11
	v_add_f64 v[53:54], v[51:52], 1.0
	v_add_f64 v[43:44], v[39:40], -v[43:44]
	v_add_f64 v[39:40], v[39:40], -v[53:54]
	v_add_f64 v[43:44], v[41:42], v[43:44]
	v_add_f64 v[39:40], v[41:42], v[39:40]
	;; [unrolled: 1-line block ×4, first 2 shown]
	v_rcp_f64_e32 v[49:50], v[47:48]
	v_add_f64 v[45:46], v[47:48], -v[45:46]
	v_add_f64 v[51:52], v[53:54], -v[51:52]
	v_add_f64 v[43:44], v[43:44], -v[45:46]
	v_add_f64 v[39:40], v[39:40], -v[51:52]
	v_fma_f64 v[55:56], -v[47:48], v[49:50], 1.0
	v_fma_f64 v[49:50], v[55:56], v[49:50], v[49:50]
	v_fma_f64 v[41:42], -v[47:48], v[49:50], 1.0
	v_fma_f64 v[41:42], v[41:42], v[49:50], v[49:50]
	v_mul_f64 v[49:50], v[53:54], v[41:42]
	v_mul_f64 v[55:56], v[47:48], v[49:50]
	v_fma_f64 v[45:46], v[49:50], v[47:48], -v[55:56]
	v_fma_f64 v[45:46], v[49:50], v[43:44], v[45:46]
	v_add_f64 v[57:58], v[55:56], v[45:46]
	v_add_f64 v[59:60], v[53:54], -v[57:58]
	v_add_f64 v[51:52], v[57:58], -v[55:56]
	;; [unrolled: 1-line block ×4, first 2 shown]
	v_max_f64 v[51:52], |v[5:6]|, |v[5:6]|
	v_add_f64 v[53:54], v[53:54], -v[57:58]
	v_add_f64 v[39:40], v[39:40], v[53:54]
	v_add_f64 v[39:40], v[45:46], v[39:40]
	v_max_f64 v[45:46], |v[7:8]|, |v[7:8]|
	v_add_f64 v[53:54], v[59:60], v[39:40]
	v_max_f64 v[55:56], v[51:52], v[45:46]
	v_min_f64 v[45:46], v[51:52], v[45:46]
	v_mul_f64 v[51:52], v[41:42], v[53:54]
	v_add_f64 v[59:60], v[59:60], -v[53:54]
	v_div_scale_f64 v[57:58], s[10:11], v[55:56], v[55:56], v[45:46]
	s_mov_b32 s10, 0xaf56de9b
	s_mov_b32 s11, 0xbf67952d
	v_mul_f64 v[61:62], v[47:48], v[51:52]
	v_add_f64 v[39:40], v[39:40], v[59:60]
	v_fma_f64 v[47:48], v[51:52], v[47:48], -v[61:62]
	v_rcp_f64_e32 v[70:71], v[57:58]
	v_fma_f64 v[43:44], v[51:52], v[43:44], v[47:48]
	v_add_f64 v[47:48], v[61:62], v[43:44]
	v_fma_f64 v[72:73], -v[57:58], v[70:71], 1.0
	v_add_f64 v[74:75], v[53:54], -v[47:48]
	v_add_f64 v[59:60], v[47:48], -v[61:62]
	v_fma_f64 v[70:71], v[70:71], v[72:73], v[70:71]
	v_div_scale_f64 v[72:73], vcc, v[45:46], v[55:56], v[45:46]
	v_add_f64 v[53:54], v[53:54], -v[74:75]
	v_add_f64 v[43:44], v[59:60], -v[43:44]
	v_fma_f64 v[76:77], -v[57:58], v[70:71], 1.0
	v_add_f64 v[59:60], v[49:50], v[51:52]
	v_add_f64 v[47:48], v[53:54], -v[47:48]
	v_fma_f64 v[53:54], v[70:71], v[76:77], v[70:71]
	v_add_f64 v[49:50], v[59:60], -v[49:50]
	v_add_f64 v[39:40], v[39:40], v[47:48]
	v_mul_f64 v[47:48], v[72:73], v[53:54]
	v_add_f64 v[39:40], v[43:44], v[39:40]
	v_fma_f64 v[43:44], -v[57:58], v[47:48], v[72:73]
	v_add_f64 v[39:40], v[74:75], v[39:40]
	v_div_fmas_f64 v[43:44], v[43:44], v[53:54], v[47:48]
	v_add_f64 v[47:48], v[51:52], -v[49:50]
	v_cmp_gt_i32_e32 vcc, 0, v6
	v_cndmask_b32_e32 v15, v68, v69, vcc
	v_cndmask_b32_e32 v11, v66, v67, vcc
	v_bfi_b32 v15, s61, v15, v8
	v_mul_f64 v[39:40], v[41:42], v[39:40]
	v_add_f64 v[39:40], v[47:48], v[39:40]
	v_div_fixup_f64 v[41:42], v[43:44], v[55:56], v[45:46]
	v_cvt_f64_i32_e32 v[55:56], v3
	v_ashrrev_i32_e32 v3, 31, v6
	v_and_b32_e32 v18, 0x54442d18, v3
	v_and_b32_e32 v3, 0x400921fb, v3
	v_mul_f64 v[57:58], v[55:56], s[40:41]
	v_add_f64 v[43:44], v[59:60], v[39:40]
	v_mul_f64 v[45:46], v[41:42], v[41:42]
	v_mul_f64 v[47:48], v[43:44], v[43:44]
	v_fma_f64 v[49:50], v[45:46], s[54:55], v[21:22]
	v_fma_f64 v[51:52], v[47:48], s[28:29], v[19:20]
	v_mul_f64 v[53:54], v[43:44], v[47:48]
	v_fma_f64 v[49:50], v[45:46], v[49:50], s[52:53]
	v_cmp_class_f64_e64 s[52:53], v[5:6], s62
	v_fma_f64 v[51:52], v[47:48], v[51:52], s[30:31]
	v_fma_f64 v[49:50], v[45:46], v[49:50], s[10:11]
	s_mov_b32 s10, 0xa595c56f
	s_mov_b32 s11, 0x3f7d6d43
	v_fma_f64 v[51:52], v[47:48], v[51:52], s[34:35]
	v_fma_f64 v[49:50], v[45:46], v[49:50], s[10:11]
	s_mov_b32 s10, 0xa57d9582
	s_mov_b32 s11, 0xbf8c6ea4
	;; [unrolled: 4-line block ×4, first 2 shown]
	v_fma_f64 v[47:48], v[47:48], v[51:52], s[94:95]
	v_ldexp_f64 v[51:52], v[43:44], 1
	v_fma_f64 v[49:50], v[45:46], v[49:50], s[10:11]
	s_mov_b32 s10, 0x5711927a
	s_mov_b32 s11, 0x3fa2c15b
	v_add_f64 v[43:44], v[43:44], -v[59:60]
	v_mul_f64 v[47:48], v[53:54], v[47:48]
	v_fma_f64 v[49:50], v[45:46], v[49:50], s[10:11]
	s_mov_b32 s10, 0xe82d3ff0
	s_mov_b32 s11, 0xbfa59976
	v_add_f64 v[39:40], v[39:40], -v[43:44]
	v_add_f64 v[53:54], v[51:52], v[47:48]
	v_fma_f64 v[49:50], v[45:46], v[49:50], s[10:11]
	s_mov_b32 s10, 0x6ef28734
	s_mov_b32 s11, 0x3fa82d5d
	v_ldexp_f64 v[39:40], v[39:40], 1
	v_add_f64 v[43:44], v[53:54], -v[51:52]
	v_fma_f64 v[51:52], v[55:56], s[40:41], -v[57:58]
	v_fma_f64 v[49:50], v[45:46], v[49:50], s[10:11]
	v_cmp_eq_f64_e64 s[10:11], 0, v[7:8]
	v_add_f64 v[43:44], v[47:48], -v[43:44]
	v_fma_f64 v[47:48], v[45:46], v[49:50], s[64:65]
	v_fma_f64 v[49:50], v[55:56], s[42:43], v[51:52]
	v_add_f64 v[39:40], v[39:40], v[43:44]
	v_fma_f64 v[43:44], v[45:46], v[47:48], s[66:67]
	v_add_f64 v[47:48], v[57:58], v[49:50]
	v_add_f64 v[51:52], v[53:54], v[39:40]
	v_fma_f64 v[43:44], v[45:46], v[43:44], s[68:69]
	v_add_f64 v[57:58], v[47:48], -v[57:58]
	v_add_f64 v[55:56], v[47:48], v[51:52]
	v_add_f64 v[53:54], v[51:52], -v[53:54]
	v_fma_f64 v[43:44], v[45:46], v[43:44], s[70:71]
	v_add_f64 v[49:50], v[49:50], -v[57:58]
	v_add_f64 v[59:60], v[55:56], -v[47:48]
	;; [unrolled: 1-line block ×3, first 2 shown]
	v_fma_f64 v[43:44], v[45:46], v[43:44], s[72:73]
	v_add_f64 v[61:62], v[55:56], -v[59:60]
	v_add_f64 v[51:52], v[51:52], -v[59:60]
	v_fma_f64 v[43:44], v[45:46], v[43:44], s[74:75]
	v_add_f64 v[53:54], v[49:50], v[39:40]
	v_add_f64 v[47:48], v[47:48], -v[61:62]
	v_fma_f64 v[43:44], v[45:46], v[43:44], s[76:77]
	v_add_f64 v[47:48], v[51:52], v[47:48]
	;; [unrolled: 3-line block ×3, first 2 shown]
	v_add_f64 v[53:54], v[53:54], -v[51:52]
	v_fma_f64 v[43:44], v[45:46], v[43:44], s[80:81]
	v_add_f64 v[39:40], v[39:40], -v[51:52]
	v_add_f64 v[57:58], v[55:56], v[47:48]
	v_mul_f64 v[43:44], v[45:46], v[43:44]
	v_add_f64 v[45:46], v[49:50], -v[53:54]
	v_add_f64 v[49:50], v[57:58], -v[55:56]
	v_fma_f64 v[41:42], v[41:42], v[43:44], v[41:42]
	v_add_f64 v[39:40], v[39:40], v[45:46]
	v_add_f64 v[43:44], v[47:48], -v[49:50]
	v_add_f64 v[45:46], -v[41:42], s[24:25]
	v_add_f64 v[39:40], v[39:40], v[43:44]
	v_cndmask_b32_e64 v42, v42, v46, s[8:9]
	v_cndmask_b32_e64 v41, v41, v45, s[8:9]
	v_add_f64 v[43:44], -v[41:42], s[82:83]
                                        ; implicit-def: $vgpr45_vgpr46
	v_add_f64 v[39:40], v[57:58], v[39:40]
	v_cndmask_b32_e32 v41, v41, v43, vcc
	v_cndmask_b32_e64 v18, v41, v18, s[10:11]
	v_mul_f64 v[5:6], v[39:40], 0.5
	v_cndmask_b32_e32 v39, v42, v44, vcc
	v_cndmask_b32_e64 v3, v39, v3, s[10:11]
	s_and_b64 s[10:11], s[12:13], s[14:15]
	s_and_b64 vcc, s[50:51], s[52:53]
	v_cndmask_b32_e32 v40, v3, v15, vcc
	s_mov_b32 s52, 0x69efb384
	s_mov_b32 s53, 0x3f4b2bb0
	v_cndmask_b32_e64 v41, 0, v5, s[10:11]
	v_cmp_ngt_f64_e64 s[10:11], -1.0, v[13:14]
	v_cndmask_b32_e64 v3, v63, v6, s[14:15]
	v_cndmask_b32_e32 v39, v18, v11, vcc
                                        ; implicit-def: $vgpr43_vgpr44
	v_cndmask_b32_e64 v3, v64, v3, s[10:11]
	v_cmp_neq_f64_e64 s[10:11], -1.0, v[13:14]
	v_cndmask_b32_e64 v42, v65, v3, s[10:11]
.LBB191_266:                            ;   in Loop: Header=BB191_145 Depth=1
	s_andn2_saveexec_b64 s[48:49], s[48:49]
	s_cbranch_execz .LBB191_274
; %bb.267:                              ;   in Loop: Header=BB191_145 Depth=1
	v_mul_f64 v[13:14], v[43:44], v[43:44]
	s_mov_b32 s10, 0x66666666
	s_mov_b32 s11, 0x3fe66666
                                        ; implicit-def: $vgpr41_vgpr42
                                        ; implicit-def: $vgpr39_vgpr40
	v_fma_f64 v[13:14], v[45:46], v[45:46], v[13:14]
	v_cmp_ge_f64_e32 vcc, s[10:11], v[13:14]
	s_and_saveexec_b64 s[10:11], vcc
	s_xor_b64 s[14:15], exec, s[10:11]
	s_cbranch_execz .LBB191_269
; %bb.268:                              ;   in Loop: Header=BB191_145 Depth=1
	v_frexp_mant_f64_e32 v[39:40], v[13:14]
	v_max_f64 v[47:48], |v[7:8]|, |v[7:8]|
	v_max_f64 v[49:50], |v[5:6]|, |v[5:6]|
	s_mov_b32 s95, s27
	s_mov_b32 s82, s24
	v_cmp_class_f64_e64 s[50:51], v[7:8], s62
	v_cmp_gt_f64_e64 s[10:11], s[26:27], v[39:40]
	v_cndmask_b32_e64 v3, 0, 1, s[10:11]
	v_ldexp_f64 v[39:40], v[39:40], v3
	v_frexp_exp_i32_f64_e32 v3, v[13:14]
	v_add_f64 v[41:42], v[39:40], 1.0
	v_add_f64 v[53:54], v[39:40], -1.0
	v_rcp_f64_e32 v[43:44], v[41:42]
	v_add_f64 v[57:58], v[41:42], -1.0
	v_add_f64 v[39:40], v[39:40], -v[57:58]
	v_fma_f64 v[45:46], -v[41:42], v[43:44], 1.0
	v_fma_f64 v[43:44], v[45:46], v[43:44], v[43:44]
	v_max_f64 v[45:46], v[49:50], v[47:48]
	v_min_f64 v[47:48], v[49:50], v[47:48]
	v_fma_f64 v[49:50], -v[41:42], v[43:44], 1.0
	v_div_scale_f64 v[51:52], s[12:13], v[45:46], v[45:46], v[47:48]
	s_mov_b32 s12, 0xaf56de9b
	s_mov_b32 s13, 0xbf67952d
	v_fma_f64 v[43:44], v[49:50], v[43:44], v[43:44]
	v_mul_f64 v[49:50], v[53:54], v[43:44]
	v_rcp_f64_e32 v[55:56], v[51:52]
	v_mul_f64 v[59:60], v[41:42], v[49:50]
	v_fma_f64 v[41:42], v[49:50], v[41:42], -v[59:60]
	v_fma_f64 v[57:58], -v[51:52], v[55:56], 1.0
	v_fma_f64 v[39:40], v[49:50], v[39:40], v[41:42]
	v_fma_f64 v[41:42], v[55:56], v[57:58], v[55:56]
	v_div_scale_f64 v[57:58], vcc, v[47:48], v[45:46], v[47:48]
	v_add_f64 v[55:56], v[59:60], v[39:40]
	v_fma_f64 v[61:62], -v[51:52], v[41:42], 1.0
	v_add_f64 v[70:71], v[53:54], -v[55:56]
	v_add_f64 v[59:60], v[55:56], -v[59:60]
	v_fma_f64 v[41:42], v[41:42], v[61:62], v[41:42]
	v_add_f64 v[53:54], v[53:54], -v[70:71]
	v_add_f64 v[39:40], v[59:60], -v[39:40]
	v_mul_f64 v[61:62], v[57:58], v[41:42]
	v_add_f64 v[53:54], v[53:54], -v[55:56]
	v_fma_f64 v[51:52], -v[51:52], v[61:62], v[57:58]
	v_add_f64 v[39:40], v[39:40], v[53:54]
	v_div_fmas_f64 v[41:42], v[51:52], v[41:42], v[61:62]
	v_subbrev_co_u32_e64 v3, vcc, 0, v3, s[10:11]
	s_mov_b32 s10, 0xe82d3ff0
	s_mov_b32 s11, 0xbfa59976
	v_cmp_gt_i32_e32 vcc, 0, v6
	v_add_f64 v[39:40], v[70:71], v[39:40]
	v_cndmask_b32_e32 v11, v66, v67, vcc
	v_mul_f64 v[39:40], v[43:44], v[39:40]
	v_div_fixup_f64 v[41:42], v[41:42], v[45:46], v[47:48]
	v_add_f64 v[43:44], v[49:50], v[39:40]
	v_mul_f64 v[45:46], v[41:42], v[41:42]
	v_mul_f64 v[47:48], v[43:44], v[43:44]
	v_fma_f64 v[51:52], v[45:46], s[54:55], v[21:22]
	v_fma_f64 v[53:54], v[47:48], s[28:29], v[19:20]
	v_mul_f64 v[55:56], v[43:44], v[47:48]
	v_fma_f64 v[51:52], v[45:46], v[51:52], s[52:53]
	v_cmp_class_f64_e64 s[52:53], v[5:6], s62
	v_fma_f64 v[53:54], v[47:48], v[53:54], s[30:31]
	v_fma_f64 v[51:52], v[45:46], v[51:52], s[12:13]
	s_mov_b32 s12, 0xa595c56f
	s_mov_b32 s13, 0x3f7d6d43
	v_fma_f64 v[53:54], v[47:48], v[53:54], s[34:35]
	v_fma_f64 v[51:52], v[45:46], v[51:52], s[12:13]
	s_mov_b32 s12, 0xa57d9582
	s_mov_b32 s13, 0xbf8c6ea4
	;; [unrolled: 4-line block ×4, first 2 shown]
	v_fma_f64 v[47:48], v[47:48], v[53:54], s[94:95]
	v_ldexp_f64 v[53:54], v[43:44], 1
	v_fma_f64 v[51:52], v[45:46], v[51:52], s[12:13]
	s_mov_b32 s12, 0x5711927a
	s_mov_b32 s13, 0x3fa2c15b
	v_add_f64 v[43:44], v[43:44], -v[49:50]
	v_mul_f64 v[47:48], v[55:56], v[47:48]
	v_cvt_f64_i32_e32 v[55:56], v3
	v_fma_f64 v[51:52], v[45:46], v[51:52], s[12:13]
	v_ashrrev_i32_e32 v3, 31, v6
	v_cmp_neq_f64_e64 s[12:13], 0, v[13:14]
	v_mul_f64 v[57:58], v[55:56], s[40:41]
	v_add_f64 v[39:40], v[39:40], -v[43:44]
	v_and_b32_e32 v15, 0x54442d18, v3
	v_add_f64 v[49:50], v[53:54], v[47:48]
	v_and_b32_e32 v3, 0x400921fb, v3
	v_fma_f64 v[51:52], v[45:46], v[51:52], s[10:11]
	s_mov_b32 s10, 0x6ef28734
	s_mov_b32 s11, 0x3fa82d5d
	v_ldexp_f64 v[39:40], v[39:40], 1
	v_add_f64 v[43:44], v[49:50], -v[53:54]
	v_fma_f64 v[53:54], v[55:56], s[40:41], -v[57:58]
	v_fma_f64 v[51:52], v[45:46], v[51:52], s[10:11]
	v_cmp_eq_f64_e64 s[10:11], 0, v[7:8]
	v_add_f64 v[43:44], v[47:48], -v[43:44]
	v_fma_f64 v[47:48], v[45:46], v[51:52], s[64:65]
	v_fma_f64 v[51:52], v[55:56], s[42:43], v[53:54]
	v_add_f64 v[39:40], v[39:40], v[43:44]
	v_fma_f64 v[43:44], v[45:46], v[47:48], s[66:67]
	v_add_f64 v[47:48], v[57:58], v[51:52]
	v_add_f64 v[53:54], v[49:50], v[39:40]
	v_fma_f64 v[43:44], v[45:46], v[43:44], s[68:69]
	v_add_f64 v[57:58], v[47:48], -v[57:58]
	v_add_f64 v[55:56], v[47:48], v[53:54]
	v_add_f64 v[49:50], v[53:54], -v[49:50]
	v_fma_f64 v[43:44], v[45:46], v[43:44], s[70:71]
	v_add_f64 v[51:52], v[51:52], -v[57:58]
	v_add_f64 v[59:60], v[55:56], -v[47:48]
	;; [unrolled: 1-line block ×3, first 2 shown]
	v_fma_f64 v[43:44], v[45:46], v[43:44], s[72:73]
	v_add_f64 v[61:62], v[55:56], -v[59:60]
	v_add_f64 v[49:50], v[53:54], -v[59:60]
	v_fma_f64 v[43:44], v[45:46], v[43:44], s[74:75]
	v_add_f64 v[53:54], v[51:52], v[39:40]
	v_add_f64 v[47:48], v[47:48], -v[61:62]
	v_fma_f64 v[43:44], v[45:46], v[43:44], s[76:77]
	v_add_f64 v[47:48], v[49:50], v[47:48]
	;; [unrolled: 3-line block ×3, first 2 shown]
	v_add_f64 v[53:54], v[53:54], -v[49:50]
	v_fma_f64 v[43:44], v[45:46], v[43:44], s[80:81]
	v_add_f64 v[39:40], v[39:40], -v[49:50]
	v_add_f64 v[57:58], v[55:56], v[47:48]
	v_mul_f64 v[43:44], v[45:46], v[43:44]
	v_add_f64 v[45:46], v[51:52], -v[53:54]
	v_add_f64 v[49:50], v[57:58], -v[55:56]
	v_fma_f64 v[41:42], v[41:42], v[43:44], v[41:42]
	v_add_f64 v[39:40], v[39:40], v[45:46]
	v_add_f64 v[43:44], v[47:48], -v[49:50]
	v_add_f64 v[45:46], -v[41:42], s[24:25]
	v_add_f64 v[39:40], v[39:40], v[43:44]
	v_cndmask_b32_e64 v42, v42, v46, s[8:9]
	v_cndmask_b32_e64 v41, v41, v45, s[8:9]
	v_add_f64 v[43:44], -v[41:42], s[82:83]
                                        ; implicit-def: $vgpr45_vgpr46
	v_add_f64 v[39:40], v[57:58], v[39:40]
	v_cndmask_b32_e32 v18, v41, v43, vcc
	v_cndmask_b32_e32 v41, v68, v69, vcc
	;; [unrolled: 1-line block ×3, first 2 shown]
	v_bfi_b32 v13, s61, v41, v8
	v_mul_f64 v[5:6], v[39:40], 0.5
	v_cndmask_b32_e64 v15, v18, v15, s[10:11]
	v_cndmask_b32_e64 v3, v14, v3, s[10:11]
	s_and_b64 vcc, s[50:51], s[52:53]
	s_mov_b32 s52, 0x69efb384
	s_mov_b32 s53, 0x3f4b2bb0
	v_cndmask_b32_e32 v40, v3, v13, vcc
	v_cndmask_b32_e32 v39, v15, v11, vcc
	v_cndmask_b32_e64 v42, v65, v6, s[12:13]
	v_cndmask_b32_e64 v41, 0, v5, s[12:13]
                                        ; implicit-def: $vgpr43_vgpr44
.LBB191_269:                            ;   in Loop: Header=BB191_145 Depth=1
	s_andn2_saveexec_b64 s[50:51], s[14:15]
	s_cbranch_execz .LBB191_273
; %bb.270:                              ;   in Loop: Header=BB191_145 Depth=1
	v_and_b32_e32 v18, 0x7ffffff8, v46
	v_and_b32_e32 v40, 0x7ffffff8, v44
	v_mov_b32_e32 v39, v17
	v_add_f64 v[13:14], v[45:46], -v[17:18]
	v_add_f64 v[41:42], v[43:44], -v[39:40]
	v_mov_b32_e32 v45, v17
	v_mov_b32_e32 v53, v17
	v_add_f64 v[49:50], v[17:18], v[17:18]
	v_add_f64 v[51:52], v[39:40], v[39:40]
	v_mul_f64 v[39:40], v[39:40], v[39:40]
	s_mov_b64 s[52:53], 0
	v_and_b32_e32 v46, -8, v14
	v_and_b32_e32 v54, -8, v42
	v_add_f64 v[59:60], v[13:14], -v[45:46]
	v_add_f64 v[61:62], v[41:42], -v[53:54]
	v_add_f64 v[70:71], v[45:46], v[45:46]
	v_add_f64 v[72:73], v[53:54], v[53:54]
	v_mul_f64 v[13:14], v[17:18], v[17:18]
	v_mul_f64 v[43:44], v[49:50], v[45:46]
	;; [unrolled: 1-line block ×11, first 2 shown]
.LBB191_271:                            ;   Parent Loop BB191_145 Depth=1
                                        ; =>  This Inner Loop Header: Depth=2
	v_cmp_nlt_f64_e32 vcc, v[13:14], v[39:40]
	v_cndmask_b32_e32 v62, v14, v40, vcc
	v_cndmask_b32_e32 v61, v13, v39, vcc
	v_cmp_nlt_f64_e64 s[10:11], v[61:62], v[43:44]
	v_cndmask_b32_e32 v14, v40, v14, vcc
	v_cndmask_b32_e32 v13, v39, v13, vcc
	v_cndmask_b32_e64 v71, v62, v44, s[10:11]
	v_cndmask_b32_e64 v70, v61, v43, s[10:11]
	v_cmp_nlt_f64_e64 s[12:13], v[70:71], v[41:42]
	v_cndmask_b32_e64 v40, v44, v62, s[10:11]
	v_cndmask_b32_e64 v39, v43, v61, s[10:11]
	s_and_b64 s[54:55], vcc, s[10:11]
	v_cndmask_b32_e64 v73, v71, v42, s[12:13]
	v_cndmask_b32_e64 v72, v70, v41, s[12:13]
	v_cmp_nlt_f64_e64 s[14:15], v[72:73], v[47:48]
	v_cndmask_b32_e64 v44, v42, v71, s[12:13]
	v_cndmask_b32_e64 v43, v41, v70, s[12:13]
	;; [unrolled: 1-line block ×4, first 2 shown]
	v_cmp_nlt_f64_e32 vcc, v[61:62], v[53:54]
	v_cndmask_b32_e64 v42, v48, v73, s[14:15]
	v_cndmask_b32_e64 v41, v47, v72, s[14:15]
	s_and_b64 s[14:15], s[12:13], s[14:15]
	v_cndmask_b32_e32 v71, v62, v54, vcc
	v_cndmask_b32_e32 v70, v61, v53, vcc
	v_cmp_nlt_f64_e64 s[10:11], v[70:71], v[57:58]
	v_cndmask_b32_e32 v48, v54, v62, vcc
	v_cndmask_b32_e32 v47, v53, v61, vcc
	v_cndmask_b32_e64 v62, v71, v58, s[10:11]
	v_cndmask_b32_e64 v61, v70, v57, s[10:11]
	v_cmp_nlt_f64_e64 s[12:13], v[61:62], v[55:56]
	v_cndmask_b32_e64 v54, v58, v71, s[10:11]
	v_cndmask_b32_e64 v53, v57, v70, s[10:11]
	s_and_b64 s[10:11], vcc, s[10:11]
	v_cndmask_b32_e64 v71, v62, v56, s[12:13]
	v_cndmask_b32_e64 v70, v61, v55, s[12:13]
	v_cmp_nlt_f64_e32 vcc, v[70:71], v[51:52]
	v_cndmask_b32_e64 v58, v56, v62, s[12:13]
	v_cndmask_b32_e64 v57, v55, v61, s[12:13]
	s_and_b64 s[12:13], s[10:11], s[12:13]
	v_cndmask_b32_e32 v62, v71, v52, vcc
	v_cndmask_b32_e32 v61, v70, v51, vcc
	v_cmp_nlt_f64_e64 s[10:11], v[61:62], v[49:50]
	v_cndmask_b32_e32 v56, v52, v71, vcc
	v_cndmask_b32_e32 v55, v51, v70, vcc
	s_and_b64 s[12:13], s[12:13], vcc
	v_cndmask_b32_e64 v71, v62, v50, s[10:11]
	v_cndmask_b32_e64 v70, v61, v49, s[10:11]
	v_cmp_nlt_f64_e32 vcc, v[70:71], v[45:46]
	v_cndmask_b32_e64 v52, v50, v62, s[10:11]
	v_cndmask_b32_e64 v51, v49, v61, s[10:11]
	s_and_b64 s[12:13], s[12:13], s[10:11]
	v_cndmask_b32_e32 v73, v71, v46, vcc
	v_cndmask_b32_e32 v72, v70, v45, vcc
	v_cmp_nlt_f64_e64 s[10:11], v[72:73], v[59:60]
	s_and_b64 s[12:13], s[12:13], vcc
	v_cndmask_b32_e32 v50, v46, v71, vcc
	v_cndmask_b32_e32 v49, v45, v70, vcc
	v_cndmask_b32_e64 v62, v73, v60, s[10:11]
	v_cndmask_b32_e64 v61, v72, v59, s[10:11]
	;; [unrolled: 1-line block ×4, first 2 shown]
	s_and_b64 s[10:11], s[12:13], s[10:11]
	s_and_b64 s[10:11], s[10:11], s[14:15]
	s_and_b64 s[10:11], s[10:11], s[54:55]
	s_and_b64 s[10:11], exec, s[10:11]
	v_mov_b32_e32 v59, v61
	s_or_b64 s[52:53], s[10:11], s[52:53]
	v_mov_b32_e32 v60, v62
	s_andn2_b64 exec, exec, s[52:53]
	s_cbranch_execnz .LBB191_271
; %bb.272:                              ;   in Loop: Header=BB191_145 Depth=1
	s_or_b64 exec, exec, s[52:53]
	v_add_f64 v[13:14], v[13:14], -1.0
	s_mov_b32 s95, s27
	s_mov_b32 s82, s24
	;; [unrolled: 1-line block ×4, first 2 shown]
	v_cmp_class_f64_e64 s[54:55], v[5:6], s62
	v_cmp_class_f64_e64 s[52:53], v[7:8], s62
	v_add_f64 v[13:14], v[13:14], v[39:40]
	v_add_f64 v[13:14], v[13:14], v[43:44]
	;; [unrolled: 1-line block ×11, first 2 shown]
	v_add_f64 v[39:40], v[13:14], 1.0
	v_cmp_nge_f64_e64 s[12:13], -1.0, v[13:14]
	v_cmp_neq_f64_e64 s[14:15], s[14:15], v[13:14]
	v_frexp_mant_f64_e32 v[43:44], v[39:40]
	v_frexp_exp_i32_f64_e32 v3, v[39:40]
	v_add_f64 v[41:42], v[39:40], -1.0
	v_cmp_gt_f64_e32 vcc, s[26:27], v[43:44]
	v_add_f64 v[45:46], v[41:42], -v[39:40]
	v_add_f64 v[41:42], v[13:14], -v[41:42]
	v_subbrev_co_u32_e32 v3, vcc, 0, v3, vcc
	v_sub_u32_e32 v11, 0, v3
	v_ldexp_f64 v[39:40], v[39:40], v11
	v_add_f64 v[43:44], v[45:46], 1.0
	v_add_f64 v[45:46], v[39:40], 1.0
	v_add_f64 v[41:42], v[41:42], v[43:44]
	v_add_f64 v[51:52], v[39:40], -1.0
	v_add_f64 v[43:44], v[45:46], -1.0
	v_ldexp_f64 v[41:42], v[41:42], v11
	v_add_f64 v[53:54], v[51:52], 1.0
	v_add_f64 v[43:44], v[39:40], -v[43:44]
	v_add_f64 v[39:40], v[39:40], -v[53:54]
	v_add_f64 v[43:44], v[41:42], v[43:44]
	v_add_f64 v[39:40], v[41:42], v[39:40]
	;; [unrolled: 1-line block ×4, first 2 shown]
	v_rcp_f64_e32 v[49:50], v[47:48]
	v_add_f64 v[45:46], v[47:48], -v[45:46]
	v_add_f64 v[51:52], v[53:54], -v[51:52]
	;; [unrolled: 1-line block ×4, first 2 shown]
	v_fma_f64 v[55:56], -v[47:48], v[49:50], 1.0
	v_fma_f64 v[49:50], v[55:56], v[49:50], v[49:50]
	v_fma_f64 v[41:42], -v[47:48], v[49:50], 1.0
	v_fma_f64 v[41:42], v[41:42], v[49:50], v[49:50]
	v_mul_f64 v[49:50], v[53:54], v[41:42]
	v_mul_f64 v[55:56], v[47:48], v[49:50]
	v_fma_f64 v[45:46], v[49:50], v[47:48], -v[55:56]
	v_fma_f64 v[45:46], v[49:50], v[43:44], v[45:46]
	v_add_f64 v[57:58], v[55:56], v[45:46]
	v_add_f64 v[59:60], v[53:54], -v[57:58]
	v_add_f64 v[51:52], v[57:58], -v[55:56]
	;; [unrolled: 1-line block ×4, first 2 shown]
	v_max_f64 v[51:52], |v[5:6]|, |v[5:6]|
	v_add_f64 v[53:54], v[53:54], -v[57:58]
	v_add_f64 v[39:40], v[39:40], v[53:54]
	v_add_f64 v[39:40], v[45:46], v[39:40]
	v_max_f64 v[45:46], |v[7:8]|, |v[7:8]|
	v_add_f64 v[53:54], v[59:60], v[39:40]
	v_max_f64 v[55:56], v[51:52], v[45:46]
	v_min_f64 v[45:46], v[51:52], v[45:46]
	v_mul_f64 v[51:52], v[41:42], v[53:54]
	v_add_f64 v[59:60], v[59:60], -v[53:54]
	v_div_scale_f64 v[57:58], s[10:11], v[55:56], v[55:56], v[45:46]
	s_mov_b32 s10, 0xb5e68a13
	s_mov_b32 s11, 0x3eeba404
	v_mul_f64 v[61:62], v[47:48], v[51:52]
	v_add_f64 v[39:40], v[39:40], v[59:60]
	v_fma_f64 v[47:48], v[51:52], v[47:48], -v[61:62]
	v_rcp_f64_e32 v[70:71], v[57:58]
	v_fma_f64 v[43:44], v[51:52], v[43:44], v[47:48]
	v_add_f64 v[47:48], v[61:62], v[43:44]
	v_fma_f64 v[72:73], -v[57:58], v[70:71], 1.0
	v_add_f64 v[74:75], v[53:54], -v[47:48]
	v_add_f64 v[59:60], v[47:48], -v[61:62]
	v_fma_f64 v[70:71], v[70:71], v[72:73], v[70:71]
	v_div_scale_f64 v[72:73], vcc, v[45:46], v[55:56], v[45:46]
	v_add_f64 v[53:54], v[53:54], -v[74:75]
	v_add_f64 v[43:44], v[59:60], -v[43:44]
	v_fma_f64 v[76:77], -v[57:58], v[70:71], 1.0
	v_add_f64 v[59:60], v[49:50], v[51:52]
	v_add_f64 v[47:48], v[53:54], -v[47:48]
	v_fma_f64 v[53:54], v[70:71], v[76:77], v[70:71]
	v_add_f64 v[49:50], v[59:60], -v[49:50]
	v_add_f64 v[39:40], v[39:40], v[47:48]
	v_mul_f64 v[47:48], v[72:73], v[53:54]
	v_add_f64 v[39:40], v[43:44], v[39:40]
	v_fma_f64 v[43:44], -v[57:58], v[47:48], v[72:73]
	v_add_f64 v[39:40], v[74:75], v[39:40]
	v_div_fmas_f64 v[43:44], v[43:44], v[53:54], v[47:48]
	v_add_f64 v[47:48], v[51:52], -v[49:50]
	v_cmp_gt_i32_e32 vcc, 0, v6
	v_cndmask_b32_e32 v15, v68, v69, vcc
	v_cndmask_b32_e32 v11, v66, v67, vcc
	v_bfi_b32 v15, s61, v15, v8
	v_mul_f64 v[39:40], v[41:42], v[39:40]
	v_add_f64 v[39:40], v[47:48], v[39:40]
	v_div_fixup_f64 v[41:42], v[43:44], v[55:56], v[45:46]
	v_cvt_f64_i32_e32 v[55:56], v3
	v_ashrrev_i32_e32 v3, 31, v6
	v_and_b32_e32 v18, 0x54442d18, v3
	v_and_b32_e32 v3, 0x400921fb, v3
	v_mul_f64 v[57:58], v[55:56], s[40:41]
	v_add_f64 v[43:44], v[59:60], v[39:40]
	v_mul_f64 v[45:46], v[41:42], v[41:42]
	v_mul_f64 v[47:48], v[43:44], v[43:44]
	v_fma_f64 v[49:50], v[45:46], s[10:11], v[21:22]
	s_mov_b32 s10, 0x69efb384
	s_mov_b32 s11, 0x3f4b2bb0
	v_fma_f64 v[51:52], v[47:48], s[28:29], v[19:20]
	v_mul_f64 v[53:54], v[43:44], v[47:48]
	v_fma_f64 v[49:50], v[45:46], v[49:50], s[10:11]
	s_mov_b32 s10, 0xaf56de9b
	s_mov_b32 s11, 0xbf67952d
	v_fma_f64 v[51:52], v[47:48], v[51:52], s[30:31]
	v_fma_f64 v[49:50], v[45:46], v[49:50], s[10:11]
	s_mov_b32 s10, 0xa595c56f
	s_mov_b32 s11, 0x3f7d6d43
	v_fma_f64 v[51:52], v[47:48], v[51:52], s[34:35]
	;; [unrolled: 4-line block ×5, first 2 shown]
	v_ldexp_f64 v[51:52], v[43:44], 1
	v_fma_f64 v[49:50], v[45:46], v[49:50], s[10:11]
	s_mov_b32 s10, 0x5711927a
	s_mov_b32 s11, 0x3fa2c15b
	v_add_f64 v[43:44], v[43:44], -v[59:60]
	v_mul_f64 v[47:48], v[53:54], v[47:48]
	v_fma_f64 v[49:50], v[45:46], v[49:50], s[10:11]
	s_mov_b32 s10, 0xe82d3ff0
	s_mov_b32 s11, 0xbfa59976
	v_add_f64 v[39:40], v[39:40], -v[43:44]
	v_add_f64 v[53:54], v[51:52], v[47:48]
	v_fma_f64 v[49:50], v[45:46], v[49:50], s[10:11]
	s_mov_b32 s10, 0x6ef28734
	s_mov_b32 s11, 0x3fa82d5d
	v_ldexp_f64 v[39:40], v[39:40], 1
	v_add_f64 v[43:44], v[53:54], -v[51:52]
	v_fma_f64 v[51:52], v[55:56], s[40:41], -v[57:58]
	v_fma_f64 v[49:50], v[45:46], v[49:50], s[10:11]
	v_cmp_eq_f64_e64 s[10:11], 0, v[7:8]
	v_add_f64 v[43:44], v[47:48], -v[43:44]
	v_fma_f64 v[47:48], v[45:46], v[49:50], s[64:65]
	v_fma_f64 v[49:50], v[55:56], s[42:43], v[51:52]
	v_add_f64 v[39:40], v[39:40], v[43:44]
	v_fma_f64 v[43:44], v[45:46], v[47:48], s[66:67]
	v_add_f64 v[47:48], v[57:58], v[49:50]
	v_add_f64 v[51:52], v[53:54], v[39:40]
	v_fma_f64 v[43:44], v[45:46], v[43:44], s[68:69]
	v_add_f64 v[57:58], v[47:48], -v[57:58]
	v_add_f64 v[55:56], v[47:48], v[51:52]
	v_add_f64 v[53:54], v[51:52], -v[53:54]
	v_fma_f64 v[43:44], v[45:46], v[43:44], s[70:71]
	v_add_f64 v[49:50], v[49:50], -v[57:58]
	v_add_f64 v[59:60], v[55:56], -v[47:48]
	v_add_f64 v[39:40], v[39:40], -v[53:54]
	v_fma_f64 v[43:44], v[45:46], v[43:44], s[72:73]
	v_add_f64 v[61:62], v[55:56], -v[59:60]
	v_add_f64 v[51:52], v[51:52], -v[59:60]
	v_fma_f64 v[43:44], v[45:46], v[43:44], s[74:75]
	v_add_f64 v[53:54], v[49:50], v[39:40]
	v_add_f64 v[47:48], v[47:48], -v[61:62]
	v_fma_f64 v[43:44], v[45:46], v[43:44], s[76:77]
	v_add_f64 v[47:48], v[51:52], v[47:48]
	;; [unrolled: 3-line block ×3, first 2 shown]
	v_add_f64 v[53:54], v[53:54], -v[51:52]
	v_fma_f64 v[43:44], v[45:46], v[43:44], s[80:81]
	v_add_f64 v[39:40], v[39:40], -v[51:52]
	v_add_f64 v[57:58], v[55:56], v[47:48]
	v_mul_f64 v[43:44], v[45:46], v[43:44]
	v_add_f64 v[45:46], v[49:50], -v[53:54]
	v_add_f64 v[49:50], v[57:58], -v[55:56]
	v_fma_f64 v[41:42], v[41:42], v[43:44], v[41:42]
	v_add_f64 v[39:40], v[39:40], v[45:46]
	v_add_f64 v[43:44], v[47:48], -v[49:50]
	v_add_f64 v[45:46], -v[41:42], s[24:25]
	v_add_f64 v[39:40], v[39:40], v[43:44]
	v_cndmask_b32_e64 v42, v42, v46, s[8:9]
	v_cndmask_b32_e64 v41, v41, v45, s[8:9]
	v_add_f64 v[43:44], -v[41:42], s[82:83]
	v_add_f64 v[39:40], v[57:58], v[39:40]
	v_cndmask_b32_e32 v41, v41, v43, vcc
	v_cndmask_b32_e64 v18, v41, v18, s[10:11]
	v_mul_f64 v[5:6], v[39:40], 0.5
	v_cndmask_b32_e32 v39, v42, v44, vcc
	v_cndmask_b32_e64 v3, v39, v3, s[10:11]
	s_and_b64 s[10:11], s[12:13], s[14:15]
	s_and_b64 vcc, s[52:53], s[54:55]
	v_cndmask_b32_e32 v40, v3, v15, vcc
	s_mov_b32 s52, 0x69efb384
	s_mov_b32 s54, 0xb5e68a13
	v_cndmask_b32_e64 v41, 0, v5, s[10:11]
	v_cmp_ngt_f64_e64 s[10:11], -1.0, v[13:14]
	v_cndmask_b32_e64 v3, v63, v6, s[14:15]
	s_mov_b32 s53, 0x3f4b2bb0
	s_mov_b32 s55, 0x3eeba404
	v_cndmask_b32_e32 v39, v18, v11, vcc
	v_cndmask_b32_e64 v3, v64, v3, s[10:11]
	v_cmp_neq_f64_e64 s[10:11], -1.0, v[13:14]
	v_cndmask_b32_e64 v42, v65, v3, s[10:11]
.LBB191_273:                            ;   in Loop: Header=BB191_145 Depth=1
	s_or_b64 exec, exec, s[50:51]
.LBB191_274:                            ;   in Loop: Header=BB191_145 Depth=1
	s_or_b64 exec, exec, s[48:49]
.LBB191_275:                            ;   in Loop: Header=BB191_145 Depth=1
	s_andn2_saveexec_b64 s[14:15], s[86:87]
	s_cbranch_execz .LBB191_277
; %bb.276:                              ;   in Loop: Header=BB191_145 Depth=1
	v_max_f64 v[39:40], |v[7:8]|, |v[7:8]|
	v_max_f64 v[41:42], |v[5:6]|, |v[5:6]|
	v_cmp_class_f64_e64 s[48:49], v[5:6], s62
	v_cmp_class_f64_e64 s[50:51], v[7:8], s62
	s_mov_b32 s95, s27
	s_mov_b32 s82, s24
	v_max_f64 v[43:44], v[41:42], v[39:40]
	v_min_f64 v[39:40], v[41:42], v[39:40]
	v_frexp_exp_i32_f64_e32 v3, v[43:44]
	v_sub_u32_e32 v11, 0, v3
	v_ldexp_f64 v[13:14], |v[7:8]|, v11
	v_ldexp_f64 v[45:46], |v[5:6]|, v11
	v_mul_f64 v[13:14], v[13:14], v[13:14]
	v_fma_f64 v[13:14], v[45:46], v[45:46], v[13:14]
	v_rsq_f64_e32 v[45:46], v[13:14]
	v_cmp_eq_f64_e32 vcc, 0, v[13:14]
	v_mul_f64 v[47:48], v[13:14], v[45:46]
	v_mul_f64 v[45:46], v[45:46], 0.5
	v_fma_f64 v[49:50], -v[45:46], v[47:48], 0.5
	v_fma_f64 v[47:48], v[47:48], v[49:50], v[47:48]
	v_fma_f64 v[45:46], v[45:46], v[49:50], v[45:46]
	v_fma_f64 v[49:50], -v[47:48], v[47:48], v[13:14]
	v_fma_f64 v[45:46], v[49:50], v[45:46], v[47:48]
	v_cndmask_b32_e32 v14, v46, v14, vcc
	v_cndmask_b32_e32 v13, v45, v13, vcc
	v_ldexp_f64 v[13:14], v[13:14], v3
	s_or_b64 vcc, s[50:51], s[48:49]
	v_cndmask_b32_e32 v14, v14, v63, vcc
	v_cndmask_b32_e64 v13, v13, 0, vcc
	v_frexp_mant_f64_e32 v[45:46], v[13:14]
	v_cmp_gt_f64_e64 s[10:11], s[26:27], v[45:46]
	v_cndmask_b32_e64 v3, 0, 1, s[10:11]
	v_ldexp_f64 v[45:46], v[45:46], v3
	v_frexp_exp_i32_f64_e32 v3, v[13:14]
	v_add_f64 v[47:48], v[45:46], 1.0
	v_add_f64 v[53:54], v[45:46], -1.0
	v_rcp_f64_e32 v[49:50], v[47:48]
	v_add_f64 v[57:58], v[47:48], -1.0
	v_add_f64 v[45:46], v[45:46], -v[57:58]
	v_fma_f64 v[51:52], -v[47:48], v[49:50], 1.0
	v_fma_f64 v[41:42], v[51:52], v[49:50], v[49:50]
	v_div_scale_f64 v[49:50], s[12:13], v[43:44], v[43:44], v[39:40]
	s_mov_b32 s12, 0xaf56de9b
	s_mov_b32 s13, 0xbf67952d
	v_fma_f64 v[51:52], -v[47:48], v[41:42], 1.0
	v_fma_f64 v[41:42], v[51:52], v[41:42], v[41:42]
	v_rcp_f64_e32 v[51:52], v[49:50]
	v_mul_f64 v[55:56], v[53:54], v[41:42]
	v_mul_f64 v[59:60], v[47:48], v[55:56]
	v_fma_f64 v[61:62], -v[49:50], v[51:52], 1.0
	v_fma_f64 v[47:48], v[55:56], v[47:48], -v[59:60]
	v_fma_f64 v[51:52], v[51:52], v[61:62], v[51:52]
	v_fma_f64 v[45:46], v[55:56], v[45:46], v[47:48]
	v_div_scale_f64 v[47:48], vcc, v[39:40], v[43:44], v[39:40]
	v_fma_f64 v[57:58], -v[49:50], v[51:52], 1.0
	v_add_f64 v[61:62], v[59:60], v[45:46]
	v_fma_f64 v[51:52], v[51:52], v[57:58], v[51:52]
	v_add_f64 v[57:58], v[53:54], -v[61:62]
	v_add_f64 v[59:60], v[61:62], -v[59:60]
	v_mul_f64 v[70:71], v[47:48], v[51:52]
	v_add_f64 v[53:54], v[53:54], -v[57:58]
	v_add_f64 v[45:46], v[59:60], -v[45:46]
	v_fma_f64 v[47:48], -v[49:50], v[70:71], v[47:48]
	v_add_f64 v[49:50], v[53:54], -v[61:62]
	v_div_fmas_f64 v[47:48], v[47:48], v[51:52], v[70:71]
	v_subbrev_co_u32_e64 v3, vcc, 0, v3, s[10:11]
	s_mov_b32 s10, 0x6ef28734
	s_mov_b32 s11, 0x3fa82d5d
	v_add_f64 v[45:46], v[45:46], v[49:50]
	v_cmp_gt_i32_e32 vcc, 0, v6
	v_cndmask_b32_e32 v11, v66, v67, vcc
	v_add_f64 v[45:46], v[57:58], v[45:46]
	v_div_fixup_f64 v[39:40], v[47:48], v[43:44], v[39:40]
	v_mul_f64 v[41:42], v[41:42], v[45:46]
	v_mul_f64 v[43:44], v[39:40], v[39:40]
	v_add_f64 v[45:46], v[55:56], v[41:42]
	v_fma_f64 v[47:48], v[43:44], s[54:55], v[21:22]
	v_mul_f64 v[49:50], v[45:46], v[45:46]
	v_fma_f64 v[47:48], v[43:44], v[47:48], s[52:53]
	v_fma_f64 v[51:52], v[49:50], s[28:29], v[19:20]
	v_mul_f64 v[53:54], v[45:46], v[49:50]
	v_fma_f64 v[47:48], v[43:44], v[47:48], s[12:13]
	s_mov_b32 s12, 0xa595c56f
	s_mov_b32 s13, 0x3f7d6d43
	v_fma_f64 v[51:52], v[49:50], v[51:52], s[30:31]
	v_fma_f64 v[47:48], v[43:44], v[47:48], s[12:13]
	s_mov_b32 s12, 0xa57d9582
	s_mov_b32 s13, 0xbf8c6ea4
	v_fma_f64 v[51:52], v[49:50], v[51:52], s[34:35]
	;; [unrolled: 4-line block ×5, first 2 shown]
	v_ldexp_f64 v[51:52], v[45:46], 1
	v_add_f64 v[45:46], v[45:46], -v[55:56]
	v_fma_f64 v[47:48], v[43:44], v[47:48], s[12:13]
	s_mov_b32 s12, 0xe82d3ff0
	s_mov_b32 s13, 0xbfa59976
	v_cvt_f64_i32_e32 v[55:56], v3
	v_ashrrev_i32_e32 v3, 31, v6
	v_mul_f64 v[49:50], v[53:54], v[49:50]
	v_and_b32_e32 v15, 0x54442d18, v3
	v_mul_f64 v[57:58], v[55:56], s[40:41]
	v_fma_f64 v[47:48], v[43:44], v[47:48], s[12:13]
	v_add_f64 v[41:42], v[41:42], -v[45:46]
	v_and_b32_e32 v3, 0x400921fb, v3
	v_cmp_class_f64_e64 s[12:13], v[13:14], s62
	v_add_f64 v[53:54], v[51:52], v[49:50]
	v_fma_f64 v[47:48], v[43:44], v[47:48], s[10:11]
	v_ldexp_f64 v[41:42], v[41:42], 1
	v_cmp_eq_f64_e64 s[10:11], 0, v[7:8]
	v_add_f64 v[45:46], v[53:54], -v[51:52]
	v_fma_f64 v[51:52], v[55:56], s[40:41], -v[57:58]
	v_fma_f64 v[47:48], v[43:44], v[47:48], s[64:65]
	v_add_f64 v[45:46], v[49:50], -v[45:46]
	v_fma_f64 v[49:50], v[55:56], s[42:43], v[51:52]
	v_fma_f64 v[47:48], v[43:44], v[47:48], s[66:67]
	v_add_f64 v[41:42], v[41:42], v[45:46]
	v_fma_f64 v[45:46], v[43:44], v[47:48], s[68:69]
	v_add_f64 v[47:48], v[57:58], v[49:50]
	v_add_f64 v[51:52], v[53:54], v[41:42]
	v_fma_f64 v[45:46], v[43:44], v[45:46], s[70:71]
	v_add_f64 v[57:58], v[47:48], -v[57:58]
	v_add_f64 v[55:56], v[47:48], v[51:52]
	v_add_f64 v[53:54], v[51:52], -v[53:54]
	v_fma_f64 v[45:46], v[43:44], v[45:46], s[72:73]
	v_add_f64 v[49:50], v[49:50], -v[57:58]
	v_add_f64 v[59:60], v[55:56], -v[47:48]
	;; [unrolled: 1-line block ×3, first 2 shown]
	v_fma_f64 v[45:46], v[43:44], v[45:46], s[74:75]
	v_add_f64 v[61:62], v[55:56], -v[59:60]
	v_add_f64 v[51:52], v[51:52], -v[59:60]
	v_add_f64 v[53:54], v[49:50], v[41:42]
	v_fma_f64 v[45:46], v[43:44], v[45:46], s[76:77]
	v_add_f64 v[47:48], v[47:48], -v[61:62]
	v_fma_f64 v[45:46], v[43:44], v[45:46], s[78:79]
	v_add_f64 v[47:48], v[51:52], v[47:48]
	v_add_f64 v[51:52], v[53:54], -v[49:50]
	v_fma_f64 v[45:46], v[43:44], v[45:46], s[80:81]
	v_add_f64 v[47:48], v[53:54], v[47:48]
	v_add_f64 v[41:42], v[41:42], -v[51:52]
	v_mul_f64 v[43:44], v[43:44], v[45:46]
	v_add_f64 v[45:46], v[53:54], -v[51:52]
	v_add_f64 v[53:54], v[55:56], v[47:48]
	v_fma_f64 v[39:40], v[39:40], v[43:44], v[39:40]
	v_add_f64 v[43:44], v[49:50], -v[45:46]
	v_add_f64 v[45:46], v[53:54], -v[55:56]
	v_add_f64 v[49:50], -v[39:40], s[24:25]
	v_add_f64 v[41:42], v[41:42], v[43:44]
	v_add_f64 v[43:44], v[47:48], -v[45:46]
	v_cndmask_b32_e64 v40, v40, v50, s[8:9]
	v_cndmask_b32_e64 v39, v39, v49, s[8:9]
	v_add_f64 v[45:46], -v[39:40], s[82:83]
	v_add_f64 v[41:42], v[41:42], v[43:44]
	v_cndmask_b32_e32 v18, v39, v45, vcc
	v_cndmask_b32_e32 v40, v40, v46, vcc
	v_cndmask_b32_e64 v15, v18, v15, s[10:11]
	v_add_f64 v[5:6], v[53:54], v[41:42]
	v_cndmask_b32_e64 v3, v40, v3, s[10:11]
	v_cmp_ngt_f64_e64 s[10:11], 0, v[13:14]
	v_cndmask_b32_e32 v39, v68, v69, vcc
	v_bfi_b32 v39, s61, v39, v8
	s_and_b64 vcc, s[50:51], s[48:49]
	v_cndmask_b32_e32 v40, v3, v39, vcc
	v_cndmask_b32_e32 v39, v15, v11, vcc
	v_cndmask_b32_e64 v3, v5, v13, s[12:13]
	v_cndmask_b32_e64 v5, v6, v14, s[12:13]
	;; [unrolled: 1-line block ×3, first 2 shown]
	v_cmp_nge_f64_e64 s[10:11], 0, v[13:14]
	v_cndmask_b32_e64 v41, 0, v3, s[10:11]
	v_cmp_neq_f64_e64 s[10:11], 0, v[13:14]
	v_cndmask_b32_e64 v42, v65, v5, s[10:11]
.LBB191_277:                            ;   in Loop: Header=BB191_145 Depth=1
	s_or_b64 exec, exec, s[14:15]
                                        ; implicit-def: $vgpr43_vgpr44
.LBB191_278:                            ;   in Loop: Header=BB191_145 Depth=1
	s_andn2_saveexec_b64 s[14:15], s[46:47]
	s_cbranch_execz .LBB191_284
; %bb.279:                              ;   in Loop: Header=BB191_145 Depth=1
	s_mov_b32 s10, 0x6a3f9475
	s_mov_b32 s11, 0x20ca2fe7
	v_cmp_ngt_f64_e32 vcc, s[10:11], v[43:44]
                                        ; implicit-def: $vgpr41_vgpr42
                                        ; implicit-def: $vgpr39_vgpr40
	s_and_saveexec_b64 s[10:11], vcc
	s_xor_b64 s[46:47], exec, s[10:11]
	s_cbranch_execz .LBB191_281
; %bb.280:                              ;   in Loop: Header=BB191_145 Depth=1
	v_mul_f64 v[13:14], v[43:44], v[43:44]
	s_mov_b32 s95, s27
	s_mov_b32 s82, s24
	;; [unrolled: 1-line block ×3, first 2 shown]
	v_cmp_class_f64_e64 s[48:49], v[7:8], s62
	v_cmp_class_f64_e64 s[50:51], v[5:6], s62
	s_mov_b32 s13, 0x7ff00000
	v_add_f64 v[39:40], v[13:14], 1.0
	v_cmp_neq_f64_e64 s[12:13], s[12:13], v[13:14]
	v_frexp_mant_f64_e32 v[43:44], v[39:40]
	v_frexp_exp_i32_f64_e32 v3, v[39:40]
	v_add_f64 v[41:42], v[39:40], -1.0
	v_cmp_gt_f64_e32 vcc, s[26:27], v[43:44]
	v_add_f64 v[45:46], v[41:42], -v[39:40]
	v_add_f64 v[41:42], v[13:14], -v[41:42]
	v_subbrev_co_u32_e32 v3, vcc, 0, v3, vcc
	v_sub_u32_e32 v11, 0, v3
	v_ldexp_f64 v[39:40], v[39:40], v11
	v_add_f64 v[43:44], v[45:46], 1.0
	v_add_f64 v[45:46], v[39:40], 1.0
	v_add_f64 v[41:42], v[41:42], v[43:44]
	v_add_f64 v[51:52], v[39:40], -1.0
	v_add_f64 v[43:44], v[45:46], -1.0
	v_ldexp_f64 v[41:42], v[41:42], v11
	v_add_f64 v[53:54], v[51:52], 1.0
	v_add_f64 v[43:44], v[39:40], -v[43:44]
	v_add_f64 v[39:40], v[39:40], -v[53:54]
	v_add_f64 v[43:44], v[41:42], v[43:44]
	v_add_f64 v[39:40], v[41:42], v[39:40]
	;; [unrolled: 1-line block ×4, first 2 shown]
	v_rcp_f64_e32 v[49:50], v[47:48]
	v_add_f64 v[45:46], v[45:46], -v[47:48]
	v_add_f64 v[51:52], v[51:52], -v[53:54]
	v_add_f64 v[43:44], v[43:44], v[45:46]
	v_add_f64 v[39:40], v[39:40], v[51:52]
	v_fma_f64 v[55:56], -v[47:48], v[49:50], 1.0
	v_fma_f64 v[49:50], v[55:56], v[49:50], v[49:50]
	v_fma_f64 v[41:42], -v[47:48], v[49:50], 1.0
	v_fma_f64 v[41:42], v[41:42], v[49:50], v[49:50]
	v_mul_f64 v[49:50], v[53:54], v[41:42]
	v_mul_f64 v[55:56], v[47:48], v[49:50]
	v_fma_f64 v[45:46], v[49:50], v[47:48], -v[55:56]
	v_fma_f64 v[45:46], v[49:50], v[43:44], v[45:46]
	v_add_f64 v[57:58], v[55:56], v[45:46]
	v_add_f64 v[59:60], v[53:54], -v[57:58]
	v_add_f64 v[51:52], v[57:58], -v[55:56]
	;; [unrolled: 1-line block ×4, first 2 shown]
	v_max_f64 v[51:52], |v[5:6]|, |v[5:6]|
	v_add_f64 v[53:54], v[53:54], -v[57:58]
	v_add_f64 v[39:40], v[39:40], v[53:54]
	v_add_f64 v[39:40], v[45:46], v[39:40]
	v_max_f64 v[45:46], |v[7:8]|, |v[7:8]|
	v_add_f64 v[53:54], v[59:60], v[39:40]
	v_max_f64 v[55:56], v[51:52], v[45:46]
	v_min_f64 v[45:46], v[51:52], v[45:46]
	v_mul_f64 v[51:52], v[41:42], v[53:54]
	v_add_f64 v[59:60], v[59:60], -v[53:54]
	v_div_scale_f64 v[57:58], s[10:11], v[55:56], v[55:56], v[45:46]
	s_mov_b32 s10, 0xaf56de9b
	s_mov_b32 s11, 0xbf67952d
	v_mul_f64 v[61:62], v[47:48], v[51:52]
	v_add_f64 v[39:40], v[39:40], v[59:60]
	v_fma_f64 v[47:48], v[51:52], v[47:48], -v[61:62]
	v_rcp_f64_e32 v[70:71], v[57:58]
	v_fma_f64 v[43:44], v[51:52], v[43:44], v[47:48]
	v_add_f64 v[47:48], v[61:62], v[43:44]
	v_fma_f64 v[72:73], -v[57:58], v[70:71], 1.0
	v_add_f64 v[74:75], v[53:54], -v[47:48]
	v_add_f64 v[59:60], v[47:48], -v[61:62]
	v_fma_f64 v[70:71], v[70:71], v[72:73], v[70:71]
	v_div_scale_f64 v[72:73], vcc, v[45:46], v[55:56], v[45:46]
	v_add_f64 v[53:54], v[53:54], -v[74:75]
	v_add_f64 v[43:44], v[59:60], -v[43:44]
	v_fma_f64 v[76:77], -v[57:58], v[70:71], 1.0
	v_add_f64 v[59:60], v[49:50], v[51:52]
	v_add_f64 v[47:48], v[53:54], -v[47:48]
	v_fma_f64 v[53:54], v[70:71], v[76:77], v[70:71]
	v_add_f64 v[49:50], v[59:60], -v[49:50]
	v_add_f64 v[39:40], v[39:40], v[47:48]
	v_mul_f64 v[47:48], v[72:73], v[53:54]
	v_add_f64 v[39:40], v[43:44], v[39:40]
	v_fma_f64 v[43:44], -v[57:58], v[47:48], v[72:73]
	v_add_f64 v[39:40], v[74:75], v[39:40]
	v_div_fmas_f64 v[43:44], v[43:44], v[53:54], v[47:48]
	v_add_f64 v[47:48], v[51:52], -v[49:50]
	v_cmp_gt_i32_e32 vcc, 0, v6
	v_cndmask_b32_e32 v11, v66, v67, vcc
	v_mul_f64 v[39:40], v[41:42], v[39:40]
	v_add_f64 v[39:40], v[47:48], v[39:40]
	v_div_fixup_f64 v[41:42], v[43:44], v[55:56], v[45:46]
	v_cvt_f64_i32_e32 v[55:56], v3
	v_ashrrev_i32_e32 v3, 31, v6
	v_and_b32_e32 v15, 0x54442d18, v3
	v_and_b32_e32 v3, 0x400921fb, v3
	v_mul_f64 v[57:58], v[55:56], s[40:41]
	v_add_f64 v[43:44], v[59:60], v[39:40]
	v_mul_f64 v[45:46], v[41:42], v[41:42]
	v_mul_f64 v[47:48], v[43:44], v[43:44]
	v_fma_f64 v[49:50], v[45:46], s[54:55], v[21:22]
	v_fma_f64 v[51:52], v[47:48], s[28:29], v[19:20]
	v_mul_f64 v[53:54], v[43:44], v[47:48]
	v_fma_f64 v[49:50], v[45:46], v[49:50], s[52:53]
	v_fma_f64 v[51:52], v[47:48], v[51:52], s[30:31]
	;; [unrolled: 1-line block ×3, first 2 shown]
	s_mov_b32 s10, 0xa595c56f
	s_mov_b32 s11, 0x3f7d6d43
	v_fma_f64 v[51:52], v[47:48], v[51:52], s[34:35]
	v_fma_f64 v[49:50], v[45:46], v[49:50], s[10:11]
	s_mov_b32 s10, 0xa57d9582
	s_mov_b32 s11, 0xbf8c6ea4
	v_fma_f64 v[51:52], v[47:48], v[51:52], s[36:37]
	v_fma_f64 v[49:50], v[45:46], v[49:50], s[10:11]
	;; [unrolled: 4-line block ×3, first 2 shown]
	s_mov_b32 s10, 0xfc27006a
	s_mov_b32 s11, 0xbf9e9ae6
	v_fma_f64 v[47:48], v[47:48], v[51:52], s[94:95]
	v_ldexp_f64 v[51:52], v[43:44], 1
	v_fma_f64 v[49:50], v[45:46], v[49:50], s[10:11]
	s_mov_b32 s10, 0x5711927a
	s_mov_b32 s11, 0x3fa2c15b
	v_add_f64 v[43:44], v[43:44], -v[59:60]
	v_mul_f64 v[47:48], v[53:54], v[47:48]
	v_fma_f64 v[49:50], v[45:46], v[49:50], s[10:11]
	s_mov_b32 s10, 0xe82d3ff0
	s_mov_b32 s11, 0xbfa59976
	v_add_f64 v[39:40], v[39:40], -v[43:44]
	v_add_f64 v[53:54], v[51:52], v[47:48]
	v_fma_f64 v[49:50], v[45:46], v[49:50], s[10:11]
	s_mov_b32 s10, 0x6ef28734
	s_mov_b32 s11, 0x3fa82d5d
	v_ldexp_f64 v[39:40], v[39:40], 1
	v_add_f64 v[43:44], v[53:54], -v[51:52]
	v_fma_f64 v[51:52], v[55:56], s[40:41], -v[57:58]
	v_fma_f64 v[49:50], v[45:46], v[49:50], s[10:11]
	v_cmp_eq_f64_e64 s[10:11], 0, v[7:8]
	v_add_f64 v[43:44], v[47:48], -v[43:44]
	v_fma_f64 v[47:48], v[45:46], v[49:50], s[64:65]
	v_fma_f64 v[49:50], v[55:56], s[42:43], v[51:52]
	v_add_f64 v[39:40], v[39:40], v[43:44]
	v_fma_f64 v[43:44], v[45:46], v[47:48], s[66:67]
	v_add_f64 v[47:48], v[57:58], v[49:50]
	v_add_f64 v[51:52], v[53:54], v[39:40]
	v_fma_f64 v[43:44], v[45:46], v[43:44], s[68:69]
	v_add_f64 v[57:58], v[47:48], -v[57:58]
	v_add_f64 v[55:56], v[47:48], v[51:52]
	v_add_f64 v[53:54], v[51:52], -v[53:54]
	v_fma_f64 v[43:44], v[45:46], v[43:44], s[70:71]
	v_add_f64 v[49:50], v[49:50], -v[57:58]
	v_add_f64 v[59:60], v[55:56], -v[47:48]
	;; [unrolled: 1-line block ×3, first 2 shown]
	v_fma_f64 v[43:44], v[45:46], v[43:44], s[72:73]
	v_add_f64 v[61:62], v[55:56], -v[59:60]
	v_add_f64 v[51:52], v[51:52], -v[59:60]
	v_fma_f64 v[43:44], v[45:46], v[43:44], s[74:75]
	v_add_f64 v[53:54], v[49:50], v[39:40]
	v_add_f64 v[47:48], v[47:48], -v[61:62]
	v_fma_f64 v[43:44], v[45:46], v[43:44], s[76:77]
	v_add_f64 v[47:48], v[51:52], v[47:48]
	;; [unrolled: 3-line block ×3, first 2 shown]
	v_add_f64 v[53:54], v[53:54], -v[51:52]
	v_fma_f64 v[43:44], v[45:46], v[43:44], s[80:81]
	v_add_f64 v[39:40], v[39:40], -v[51:52]
	v_add_f64 v[57:58], v[55:56], v[47:48]
	v_mul_f64 v[43:44], v[45:46], v[43:44]
	v_add_f64 v[45:46], v[49:50], -v[53:54]
	v_add_f64 v[49:50], v[57:58], -v[55:56]
	v_fma_f64 v[41:42], v[41:42], v[43:44], v[41:42]
	v_add_f64 v[39:40], v[39:40], v[45:46]
	v_add_f64 v[43:44], v[47:48], -v[49:50]
	v_add_f64 v[45:46], -v[41:42], s[24:25]
	v_add_f64 v[39:40], v[39:40], v[43:44]
	v_cndmask_b32_e64 v42, v42, v46, s[8:9]
	v_cndmask_b32_e64 v41, v41, v45, s[8:9]
	v_add_f64 v[43:44], -v[41:42], s[82:83]
	v_add_f64 v[39:40], v[57:58], v[39:40]
	v_cndmask_b32_e32 v18, v41, v43, vcc
	v_cndmask_b32_e32 v41, v68, v69, vcc
	;; [unrolled: 1-line block ×3, first 2 shown]
	v_bfi_b32 v13, s61, v41, v8
	v_mul_f64 v[5:6], v[39:40], 0.5
	v_cndmask_b32_e64 v15, v18, v15, s[10:11]
	v_cndmask_b32_e64 v3, v14, v3, s[10:11]
	s_and_b64 vcc, s[48:49], s[50:51]
	v_cndmask_b32_e32 v40, v3, v13, vcc
	v_cndmask_b32_e32 v39, v15, v11, vcc
                                        ; implicit-def: $vgpr43_vgpr44
	v_cndmask_b32_e64 v42, v63, v6, s[12:13]
	v_cndmask_b32_e64 v41, 0, v5, s[12:13]
.LBB191_281:                            ;   in Loop: Header=BB191_145 Depth=1
	s_andn2_saveexec_b64 s[12:13], s[46:47]
	s_cbranch_execz .LBB191_283
; %bb.282:                              ;   in Loop: Header=BB191_145 Depth=1
	v_max_f64 v[13:14], |v[7:8]|, |v[7:8]|
	v_max_f64 v[39:40], |v[5:6]|, |v[5:6]|
	s_mov_b32 s82, s24
	v_cmp_class_f64_e64 s[46:47], v[7:8], s62
	v_cmp_class_f64_e64 s[48:49], v[5:6], s62
	v_ashrrev_i32_e32 v3, 31, v6
	v_and_b32_e32 v15, 0x54442d18, v3
	v_and_b32_e32 v3, 0x400921fb, v3
	v_max_f64 v[41:42], v[39:40], v[13:14]
	v_min_f64 v[13:14], v[39:40], v[13:14]
	v_div_scale_f64 v[39:40], s[10:11], v[41:42], v[41:42], v[13:14]
	s_mov_b32 s10, 0xaf56de9b
	s_mov_b32 s11, 0xbf67952d
	v_rcp_f64_e32 v[45:46], v[39:40]
	v_fma_f64 v[47:48], -v[39:40], v[45:46], 1.0
	v_fma_f64 v[45:46], v[45:46], v[47:48], v[45:46]
	v_div_scale_f64 v[47:48], vcc, v[13:14], v[41:42], v[13:14]
	v_fma_f64 v[49:50], -v[39:40], v[45:46], 1.0
	v_fma_f64 v[45:46], v[45:46], v[49:50], v[45:46]
	v_mul_f64 v[49:50], v[47:48], v[45:46]
	v_fma_f64 v[39:40], -v[39:40], v[49:50], v[47:48]
	v_div_fmas_f64 v[39:40], v[39:40], v[45:46], v[49:50]
	v_cmp_gt_i32_e32 vcc, 0, v6
	v_cndmask_b32_e32 v5, v68, v69, vcc
	v_cndmask_b32_e32 v11, v66, v67, vcc
	v_bfi_b32 v5, s61, v5, v8
	v_div_fixup_f64 v[13:14], v[39:40], v[41:42], v[13:14]
	v_mul_f64 v[39:40], v[13:14], v[13:14]
	v_fma_f64 v[41:42], v[39:40], s[54:55], v[21:22]
	v_fma_f64 v[41:42], v[39:40], v[41:42], s[52:53]
	;; [unrolled: 1-line block ×3, first 2 shown]
	s_mov_b32 s10, 0xa595c56f
	s_mov_b32 s11, 0x3f7d6d43
	v_fma_f64 v[41:42], v[39:40], v[41:42], s[10:11]
	s_mov_b32 s10, 0xa57d9582
	s_mov_b32 s11, 0xbf8c6ea4
	v_fma_f64 v[41:42], v[39:40], v[41:42], s[10:11]
	;; [unrolled: 3-line block ×7, first 2 shown]
	v_cmp_eq_f64_e64 s[10:11], 0, v[7:8]
	v_fma_f64 v[41:42], v[39:40], v[41:42], s[64:65]
	v_fma_f64 v[41:42], v[39:40], v[41:42], s[66:67]
	v_fma_f64 v[41:42], v[39:40], v[41:42], s[68:69]
	v_fma_f64 v[41:42], v[39:40], v[41:42], s[70:71]
	v_fma_f64 v[41:42], v[39:40], v[41:42], s[72:73]
	v_fma_f64 v[41:42], v[39:40], v[41:42], s[74:75]
	v_fma_f64 v[41:42], v[39:40], v[41:42], s[76:77]
	v_fma_f64 v[41:42], v[39:40], v[41:42], s[78:79]
	v_fma_f64 v[41:42], v[39:40], v[41:42], s[80:81]
	v_mul_f64 v[39:40], v[39:40], v[41:42]
	v_mul_f64 v[41:42], v[43:44], 0.5
	v_fma_f64 v[13:14], v[13:14], v[39:40], v[13:14]
	v_mul_f64 v[41:42], v[43:44], v[41:42]
	v_add_f64 v[39:40], -v[13:14], s[24:25]
	v_cndmask_b32_e64 v14, v14, v40, s[8:9]
	v_cndmask_b32_e64 v13, v13, v39, s[8:9]
	v_add_f64 v[39:40], -v[13:14], s[82:83]
	v_cndmask_b32_e32 v13, v13, v39, vcc
	v_cndmask_b32_e32 v6, v14, v40, vcc
	v_cndmask_b32_e64 v13, v13, v15, s[10:11]
	v_cndmask_b32_e64 v3, v6, v3, s[10:11]
	s_and_b64 vcc, s[46:47], s[48:49]
	v_cndmask_b32_e32 v40, v3, v5, vcc
	v_cndmask_b32_e32 v39, v13, v11, vcc
.LBB191_283:                            ;   in Loop: Header=BB191_145 Depth=1
	s_or_b64 exec, exec, s[12:13]
.LBB191_284:                            ;   in Loop: Header=BB191_145 Depth=1
	s_or_b64 exec, exec, s[14:15]
.LBB191_285:                            ;   in Loop: Header=BB191_145 Depth=1
	s_andn2_saveexec_b64 s[12:13], s[44:45]
	s_cbranch_execz .LBB191_287
; %bb.286:                              ;   in Loop: Header=BB191_145 Depth=1
	v_div_scale_f64 v[13:14], s[10:11], s[88:89], s[88:89], v[5:6]
	v_div_scale_f64 v[39:40], s[10:11], s[88:89], s[88:89], v[7:8]
	;; [unrolled: 1-line block ×3, first 2 shown]
	s_mov_b32 s95, s27
	s_mov_b32 s82, s24
	v_cmp_class_f64_e64 s[44:45], v[5:6], s62
	v_rcp_f64_e32 v[41:42], v[13:14]
	v_rcp_f64_e32 v[43:44], v[39:40]
	v_fma_f64 v[45:46], -v[13:14], v[41:42], 1.0
	v_fma_f64 v[47:48], -v[39:40], v[43:44], 1.0
	v_fma_f64 v[41:42], v[41:42], v[45:46], v[41:42]
	v_div_scale_f64 v[45:46], vcc, v[5:6], s[88:89], v[5:6]
	v_fma_f64 v[43:44], v[43:44], v[47:48], v[43:44]
	v_fma_f64 v[47:48], -v[13:14], v[41:42], 1.0
	v_fma_f64 v[51:52], -v[39:40], v[43:44], 1.0
	v_fma_f64 v[41:42], v[41:42], v[47:48], v[41:42]
	v_fma_f64 v[43:44], v[43:44], v[51:52], v[43:44]
	v_mul_f64 v[47:48], v[45:46], v[41:42]
	v_mul_f64 v[51:52], v[49:50], v[43:44]
	v_fma_f64 v[13:14], -v[13:14], v[47:48], v[45:46]
	v_fma_f64 v[39:40], -v[39:40], v[51:52], v[49:50]
	v_max_f64 v[49:50], |v[5:6]|, |v[5:6]|
	v_div_fmas_f64 v[13:14], v[13:14], v[41:42], v[47:48]
	s_mov_b64 vcc, s[10:11]
	v_div_fmas_f64 v[39:40], v[39:40], v[43:44], v[51:52]
	v_div_fixup_f64 v[13:14], v[13:14], s[88:89], v[5:6]
	v_div_fixup_f64 v[39:40], v[39:40], s[88:89], v[7:8]
	v_cmp_class_f64_e64 s[10:11], v[13:14], s62
	v_max_f64 v[41:42], |v[13:14]|, |v[39:40]|
	v_cmp_class_f64_e64 s[14:15], v[39:40], s62
	v_frexp_exp_i32_f64_e32 v3, v[41:42]
	v_sub_u32_e32 v11, 0, v3
	v_ldexp_f64 v[41:42], |v[39:40]|, v11
	v_ldexp_f64 v[43:44], |v[13:14]|, v11
	v_mul_f64 v[41:42], v[41:42], v[41:42]
	v_fma_f64 v[41:42], v[43:44], v[43:44], v[41:42]
	v_rsq_f64_e32 v[43:44], v[41:42]
	v_cmp_eq_f64_e32 vcc, 0, v[41:42]
	v_mul_f64 v[45:46], v[41:42], v[43:44]
	v_mul_f64 v[43:44], v[43:44], 0.5
	v_fma_f64 v[47:48], -v[43:44], v[45:46], 0.5
	v_fma_f64 v[45:46], v[45:46], v[47:48], v[45:46]
	v_fma_f64 v[43:44], v[43:44], v[47:48], v[43:44]
	v_fma_f64 v[47:48], -v[45:46], v[45:46], v[41:42]
	v_fma_f64 v[43:44], v[47:48], v[43:44], v[45:46]
	v_max_f64 v[47:48], |v[7:8]|, |v[7:8]|
	v_cndmask_b32_e32 v42, v44, v42, vcc
	v_cndmask_b32_e32 v41, v43, v41, vcc
	v_ldexp_f64 v[41:42], v[41:42], v3
	v_cmp_o_f64_e32 vcc, v[13:14], v[39:40]
	v_cndmask_b32_e32 v3, 0, v41, vcc
	v_cndmask_b32_e32 v11, v64, v42, vcc
	s_or_b64 vcc, s[14:15], s[10:11]
	v_cndmask_b32_e32 v14, v11, v63, vcc
	v_cndmask_b32_e64 v13, v3, 0, vcc
	v_frexp_mant_f64_e32 v[39:40], v[13:14]
	v_cmp_gt_f64_e64 s[10:11], s[26:27], v[39:40]
	v_cndmask_b32_e64 v3, 0, 1, s[10:11]
	v_ldexp_f64 v[39:40], v[39:40], v3
	v_frexp_exp_i32_f64_e32 v3, v[13:14]
	v_add_f64 v[41:42], v[39:40], 1.0
	v_add_f64 v[53:54], v[39:40], -1.0
	v_rcp_f64_e32 v[43:44], v[41:42]
	v_add_f64 v[57:58], v[41:42], -1.0
	v_add_f64 v[39:40], v[39:40], -v[57:58]
	v_fma_f64 v[45:46], -v[41:42], v[43:44], 1.0
	v_fma_f64 v[43:44], v[45:46], v[43:44], v[43:44]
	v_max_f64 v[45:46], v[49:50], v[47:48]
	v_min_f64 v[47:48], v[49:50], v[47:48]
	v_fma_f64 v[49:50], -v[41:42], v[43:44], 1.0
	v_div_scale_f64 v[51:52], s[14:15], v[45:46], v[45:46], v[47:48]
	s_mov_b32 s14, 0xaf56de9b
	s_mov_b32 s15, 0xbf67952d
	v_fma_f64 v[43:44], v[49:50], v[43:44], v[43:44]
	v_mul_f64 v[49:50], v[53:54], v[43:44]
	v_rcp_f64_e32 v[55:56], v[51:52]
	v_mul_f64 v[59:60], v[41:42], v[49:50]
	v_fma_f64 v[41:42], v[49:50], v[41:42], -v[59:60]
	v_fma_f64 v[57:58], -v[51:52], v[55:56], 1.0
	v_fma_f64 v[39:40], v[49:50], v[39:40], v[41:42]
	v_fma_f64 v[41:42], v[55:56], v[57:58], v[55:56]
	v_div_scale_f64 v[57:58], vcc, v[47:48], v[45:46], v[47:48]
	v_add_f64 v[55:56], v[59:60], v[39:40]
	v_fma_f64 v[61:62], -v[51:52], v[41:42], 1.0
	v_add_f64 v[70:71], v[53:54], -v[55:56]
	v_add_f64 v[59:60], v[55:56], -v[59:60]
	v_fma_f64 v[41:42], v[41:42], v[61:62], v[41:42]
	v_add_f64 v[53:54], v[53:54], -v[70:71]
	v_add_f64 v[39:40], v[59:60], -v[39:40]
	v_mul_f64 v[61:62], v[57:58], v[41:42]
	v_add_f64 v[53:54], v[53:54], -v[55:56]
	v_fma_f64 v[51:52], -v[51:52], v[61:62], v[57:58]
	v_add_f64 v[39:40], v[39:40], v[53:54]
	v_div_fmas_f64 v[41:42], v[51:52], v[41:42], v[61:62]
	v_subbrev_co_u32_e64 v3, vcc, 0, v3, s[10:11]
	s_mov_b32 s10, 0xe82d3ff0
	s_mov_b32 s11, 0xbfa59976
	v_cmp_class_f64_e64 vcc, v[13:14], s62
	v_add_f64 v[39:40], v[70:71], v[39:40]
	v_mul_f64 v[39:40], v[43:44], v[39:40]
	v_div_fixup_f64 v[41:42], v[41:42], v[45:46], v[47:48]
	v_add_f64 v[43:44], v[49:50], v[39:40]
	v_mul_f64 v[45:46], v[41:42], v[41:42]
	v_mul_f64 v[47:48], v[43:44], v[43:44]
	v_fma_f64 v[51:52], v[45:46], s[54:55], v[21:22]
	v_fma_f64 v[53:54], v[47:48], s[28:29], v[19:20]
	v_mul_f64 v[55:56], v[43:44], v[47:48]
	v_fma_f64 v[51:52], v[45:46], v[51:52], s[52:53]
	v_fma_f64 v[53:54], v[47:48], v[53:54], s[30:31]
	;; [unrolled: 1-line block ×3, first 2 shown]
	s_mov_b32 s14, 0xa595c56f
	s_mov_b32 s15, 0x3f7d6d43
	v_fma_f64 v[53:54], v[47:48], v[53:54], s[34:35]
	v_fma_f64 v[51:52], v[45:46], v[51:52], s[14:15]
	s_mov_b32 s14, 0xa57d9582
	s_mov_b32 s15, 0xbf8c6ea4
	v_fma_f64 v[53:54], v[47:48], v[53:54], s[36:37]
	v_fma_f64 v[51:52], v[45:46], v[51:52], s[14:15]
	;; [unrolled: 4-line block ×3, first 2 shown]
	s_mov_b32 s14, 0xfc27006a
	s_mov_b32 s15, 0xbf9e9ae6
	v_fma_f64 v[47:48], v[47:48], v[53:54], s[94:95]
	v_ldexp_f64 v[53:54], v[43:44], 1
	v_fma_f64 v[51:52], v[45:46], v[51:52], s[14:15]
	s_mov_b32 s14, 0x5711927a
	s_mov_b32 s15, 0x3fa2c15b
	v_add_f64 v[43:44], v[43:44], -v[49:50]
	v_mul_f64 v[47:48], v[55:56], v[47:48]
	v_cvt_f64_i32_e32 v[55:56], v3
	v_fma_f64 v[51:52], v[45:46], v[51:52], s[14:15]
	v_cmp_class_f64_e64 s[14:15], v[7:8], s62
	v_ashrrev_i32_e32 v3, 31, v6
	v_mul_f64 v[57:58], v[55:56], s[40:41]
	v_add_f64 v[39:40], v[39:40], -v[43:44]
	v_and_b32_e32 v18, 0x54442d18, v3
	v_add_f64 v[49:50], v[53:54], v[47:48]
	v_and_b32_e32 v3, 0x400921fb, v3
	v_fma_f64 v[51:52], v[45:46], v[51:52], s[10:11]
	s_mov_b32 s10, 0x6ef28734
	s_mov_b32 s11, 0x3fa82d5d
	v_ldexp_f64 v[39:40], v[39:40], 1
	v_add_f64 v[43:44], v[49:50], -v[53:54]
	v_fma_f64 v[53:54], v[55:56], s[40:41], -v[57:58]
	v_fma_f64 v[51:52], v[45:46], v[51:52], s[10:11]
	v_cmp_eq_f64_e64 s[10:11], 0, v[7:8]
	v_add_f64 v[43:44], v[47:48], -v[43:44]
	v_fma_f64 v[47:48], v[45:46], v[51:52], s[64:65]
	v_fma_f64 v[51:52], v[55:56], s[42:43], v[53:54]
	v_add_f64 v[39:40], v[39:40], v[43:44]
	v_fma_f64 v[43:44], v[45:46], v[47:48], s[66:67]
	v_add_f64 v[47:48], v[57:58], v[51:52]
	v_add_f64 v[53:54], v[49:50], v[39:40]
	v_fma_f64 v[43:44], v[45:46], v[43:44], s[68:69]
	v_add_f64 v[57:58], v[47:48], -v[57:58]
	v_add_f64 v[55:56], v[47:48], v[53:54]
	v_add_f64 v[49:50], v[53:54], -v[49:50]
	v_fma_f64 v[43:44], v[45:46], v[43:44], s[70:71]
	v_add_f64 v[51:52], v[51:52], -v[57:58]
	v_add_f64 v[59:60], v[55:56], -v[47:48]
	;; [unrolled: 1-line block ×3, first 2 shown]
	v_fma_f64 v[43:44], v[45:46], v[43:44], s[72:73]
	v_add_f64 v[61:62], v[55:56], -v[59:60]
	v_add_f64 v[49:50], v[53:54], -v[59:60]
	v_fma_f64 v[43:44], v[45:46], v[43:44], s[74:75]
	v_add_f64 v[53:54], v[51:52], v[39:40]
	v_add_f64 v[47:48], v[47:48], -v[61:62]
	v_fma_f64 v[43:44], v[45:46], v[43:44], s[76:77]
	v_add_f64 v[47:48], v[49:50], v[47:48]
	;; [unrolled: 3-line block ×3, first 2 shown]
	v_add_f64 v[53:54], v[53:54], -v[49:50]
	v_fma_f64 v[43:44], v[45:46], v[43:44], s[80:81]
	v_add_f64 v[39:40], v[39:40], -v[49:50]
	v_add_f64 v[57:58], v[55:56], v[47:48]
	v_mul_f64 v[43:44], v[45:46], v[43:44]
	v_add_f64 v[45:46], v[51:52], -v[53:54]
	v_add_f64 v[49:50], v[57:58], -v[55:56]
	v_fma_f64 v[41:42], v[41:42], v[43:44], v[41:42]
	v_add_f64 v[39:40], v[39:40], v[45:46]
	v_add_f64 v[43:44], v[47:48], -v[49:50]
	v_add_f64 v[45:46], -v[41:42], s[24:25]
	v_add_f64 v[39:40], v[39:40], v[43:44]
	v_cndmask_b32_e64 v42, v42, v46, s[8:9]
	v_cndmask_b32_e64 v41, v41, v45, s[8:9]
	v_add_f64 v[43:44], -v[41:42], s[82:83]
	v_cmp_gt_i32_e64 s[8:9], 0, v6
	v_cndmask_b32_e64 v11, v66, v67, s[8:9]
	v_cndmask_b32_e64 v15, v68, v69, s[8:9]
	v_add_f64 v[39:40], v[57:58], v[39:40]
	v_bfi_b32 v15, s61, v15, v8
	v_cndmask_b32_e64 v41, v41, v43, s[8:9]
	v_cndmask_b32_e64 v18, v41, v18, s[10:11]
	v_cndmask_b32_e32 v6, v40, v14, vcc
	v_cndmask_b32_e32 v5, v39, v13, vcc
	v_add_f64 v[5:6], v[5:6], 1.0
	v_cndmask_b32_e64 v39, v42, v44, s[8:9]
	v_cmp_ngt_f64_e64 s[8:9], 0, v[13:14]
	v_cndmask_b32_e64 v3, v39, v3, s[10:11]
	s_and_b64 vcc, s[14:15], s[44:45]
	v_cndmask_b32_e32 v40, v3, v15, vcc
	v_cndmask_b32_e32 v39, v18, v11, vcc
	v_cndmask_b32_e64 v3, v64, v6, s[8:9]
	v_cmp_nge_f64_e64 s[8:9], 0, v[13:14]
	v_cndmask_b32_e64 v41, 0, v5, s[8:9]
	v_cmp_neq_f64_e64 s[8:9], 0, v[13:14]
	v_cndmask_b32_e64 v42, v65, v3, s[8:9]
.LBB191_287:                            ;   in Loop: Header=BB191_145 Depth=1
	s_or_b64 exec, exec, s[12:13]
	s_andn2_saveexec_b64 s[8:9], s[20:21]
	s_cbranch_execz .LBB191_257
.LBB191_288:                            ;   in Loop: Header=BB191_145 Depth=1
	v_cmp_nlt_f64_e64 s[10:11], |v[5:6]|, s[84:85]
	v_cmp_nlt_f64_e64 s[12:13], |v[7:8]|, s[84:85]
                                        ; implicit-def: $vgpr13_vgpr14
	s_or_b64 s[10:11], s[12:13], s[10:11]
	s_and_saveexec_b64 s[12:13], s[10:11]
	s_xor_b64 s[10:11], exec, s[12:13]
	s_cbranch_execz .LBB191_290
; %bb.289:                              ;   in Loop: Header=BB191_145 Depth=1
	v_mul_f64 v[5:6], v[5:6], v[5:6]
	v_fma_f64 v[13:14], v[7:8], v[7:8], v[5:6]
.LBB191_290:                            ;   in Loop: Header=BB191_145 Depth=1
	s_andn2_saveexec_b64 s[10:11], s[10:11]
	s_cbranch_execz .LBB191_292
; %bb.291:                              ;   in Loop: Header=BB191_145 Depth=1
	v_mul_f64 v[5:6], v[5:6], 4.0
	v_mul_f64 v[13:14], v[7:8], 4.0
	v_mul_f64 v[5:6], v[5:6], v[5:6]
	v_fma_f64 v[5:6], v[13:14], v[13:14], v[5:6]
	v_ldexp_f64 v[13:14], v[5:6], -4
.LBB191_292:                            ;   in Loop: Header=BB191_145 Depth=1
	s_or_b64 exec, exec, s[10:11]
	v_frexp_mant_f64_e32 v[5:6], v[13:14]
	s_mov_b32 s95, s27
	v_cmp_gt_f64_e32 vcc, s[26:27], v[5:6]
	v_cndmask_b32_e64 v3, 0, 1, vcc
	v_ldexp_f64 v[5:6], v[5:6], v3
	v_frexp_exp_i32_f64_e32 v3, v[13:14]
	v_add_f64 v[39:40], v[5:6], 1.0
	v_add_f64 v[45:46], v[5:6], -1.0
	v_subbrev_co_u32_e32 v3, vcc, 0, v3, vcc
	v_cmp_class_f64_e64 vcc, v[13:14], s62
	v_rcp_f64_e32 v[41:42], v[39:40]
	v_add_f64 v[47:48], v[39:40], -1.0
	v_add_f64 v[5:6], v[5:6], -v[47:48]
	v_fma_f64 v[43:44], -v[39:40], v[41:42], 1.0
	v_fma_f64 v[41:42], v[43:44], v[41:42], v[41:42]
	v_fma_f64 v[43:44], -v[39:40], v[41:42], 1.0
	v_fma_f64 v[41:42], v[43:44], v[41:42], v[41:42]
	v_mul_f64 v[43:44], v[45:46], v[41:42]
	v_mul_f64 v[49:50], v[39:40], v[43:44]
	v_fma_f64 v[39:40], v[43:44], v[39:40], -v[49:50]
	v_fma_f64 v[5:6], v[43:44], v[5:6], v[39:40]
	v_add_f64 v[39:40], v[49:50], v[5:6]
	v_add_f64 v[47:48], v[45:46], -v[39:40]
	v_add_f64 v[49:50], v[39:40], -v[49:50]
	;; [unrolled: 1-line block ×5, first 2 shown]
	v_add_f64 v[5:6], v[5:6], v[39:40]
	v_add_f64 v[5:6], v[47:48], v[5:6]
	v_mul_f64 v[5:6], v[41:42], v[5:6]
	v_add_f64 v[39:40], v[43:44], v[5:6]
	v_mul_f64 v[41:42], v[39:40], v[39:40]
	v_fma_f64 v[45:46], v[41:42], s[28:29], v[19:20]
	v_mul_f64 v[47:48], v[39:40], v[41:42]
	v_fma_f64 v[45:46], v[41:42], v[45:46], s[30:31]
	v_fma_f64 v[45:46], v[41:42], v[45:46], s[34:35]
	v_fma_f64 v[45:46], v[41:42], v[45:46], s[36:37]
	v_fma_f64 v[45:46], v[41:42], v[45:46], s[38:39]
	v_fma_f64 v[41:42], v[41:42], v[45:46], s[94:95]
	v_ldexp_f64 v[45:46], v[39:40], 1
	v_add_f64 v[39:40], v[39:40], -v[43:44]
	v_mul_f64 v[41:42], v[47:48], v[41:42]
	v_cvt_f64_i32_e32 v[47:48], v3
	v_add_f64 v[5:6], v[5:6], -v[39:40]
	v_mul_f64 v[49:50], v[47:48], s[40:41]
	v_add_f64 v[43:44], v[45:46], v[41:42]
	v_ldexp_f64 v[5:6], v[5:6], 1
	v_add_f64 v[39:40], v[43:44], -v[45:46]
	v_fma_f64 v[45:46], v[47:48], s[40:41], -v[49:50]
	v_add_f64 v[39:40], v[41:42], -v[39:40]
	v_fma_f64 v[41:42], v[47:48], s[42:43], v[45:46]
	v_add_f64 v[5:6], v[5:6], v[39:40]
	v_add_f64 v[39:40], v[49:50], v[41:42]
	;; [unrolled: 1-line block ×3, first 2 shown]
	v_add_f64 v[49:50], v[39:40], -v[49:50]
	v_add_f64 v[47:48], v[39:40], v[45:46]
	v_add_f64 v[43:44], v[45:46], -v[43:44]
	v_add_f64 v[41:42], v[41:42], -v[49:50]
	;; [unrolled: 1-line block ×6, first 2 shown]
	v_add_f64 v[45:46], v[41:42], v[5:6]
	v_add_f64 v[39:40], v[39:40], -v[53:54]
	v_add_f64 v[39:40], v[43:44], v[39:40]
	v_add_f64 v[43:44], v[45:46], -v[41:42]
	;; [unrolled: 2-line block ×3, first 2 shown]
	v_add_f64 v[5:6], v[5:6], -v[43:44]
	v_add_f64 v[49:50], v[47:48], v[39:40]
	v_add_f64 v[41:42], v[41:42], -v[45:46]
	v_add_f64 v[43:44], v[49:50], -v[47:48]
	v_add_f64 v[5:6], v[5:6], v[41:42]
	v_add_f64 v[39:40], v[39:40], -v[43:44]
	v_add_f64 v[5:6], v[5:6], v[39:40]
	v_mov_b32_e32 v39, 0
	v_mov_b32_e32 v40, 0x7ff80000
	v_add_f64 v[5:6], v[49:50], v[5:6]
	v_cndmask_b32_e32 v3, v5, v13, vcc
	v_cndmask_b32_e32 v5, v6, v14, vcc
	v_cmp_ngt_f64_e32 vcc, 0, v[13:14]
	v_cndmask_b32_e32 v5, v64, v5, vcc
	v_cmp_nge_f64_e32 vcc, 0, v[13:14]
	v_cndmask_b32_e32 v41, 0, v3, vcc
	v_cmp_neq_f64_e32 vcc, 0, v[13:14]
	v_cndmask_b32_e32 v42, v65, v5, vcc
	s_or_b64 exec, exec, s[8:9]
	s_and_saveexec_b64 s[8:9], s[0:1]
	s_xor_b64 s[0:1], exec, s[8:9]
	s_cbranch_execz .LBB191_258
.LBB191_293:                            ;   in Loop: Header=BB191_145 Depth=1
	v_bfi_b32 v32, s61, v32, v12
	v_fma_f64 v[5:6], v[31:32], 0, v[33:34]
	v_fma_f64 v[13:14], v[33:34], s[22:23], v[31:32]
	v_mov_b32_e32 v3, s57
	v_mul_f64 v[11:12], v[5:6], s[90:91]
	v_mul_f64 v[13:14], v[13:14], s[90:91]
	v_lshlrev_b64 v[5:6], 4, v[23:24]
	v_add_co_u32_e32 v5, vcc, s56, v5
	v_addc_co_u32_e32 v6, vcc, v3, v6, vcc
	global_store_dwordx4 v[5:6], v[11:14], off
	s_or_b64 exec, exec, s[0:1]
	s_and_saveexec_b64 s[0:1], s[2:3]
	s_cbranch_execz .LBB191_259
.LBB191_294:                            ;   in Loop: Header=BB191_145 Depth=1
	v_bfi_b32 v10, s61, v10, v4
	v_fma_f64 v[3:4], v[9:10], 0, v[35:36]
	v_fma_f64 v[5:6], v[35:36], s[22:23], v[9:10]
	v_lshlrev_b64 v[9:10], 4, v[25:26]
	v_mov_b32_e32 v7, s57
	v_add_co_u32_e32 v9, vcc, s56, v9
	v_addc_co_u32_e32 v10, vcc, v7, v10, vcc
	v_mul_f64 v[3:4], v[3:4], s[90:91]
	v_mul_f64 v[5:6], v[5:6], s[90:91]
	global_store_dwordx4 v[9:10], v[3:6], off
	s_or_b64 exec, exec, s[0:1]
	s_and_saveexec_b64 s[0:1], s[4:5]
	s_cbranch_execz .LBB191_260
.LBB191_295:                            ;   in Loop: Header=BB191_145 Depth=1
	v_bfi_b32 v2, s61, v2, v16
	v_fma_f64 v[3:4], v[1:2], 0, v[37:38]
	v_fma_f64 v[5:6], v[37:38], s[22:23], v[1:2]
	v_mov_b32_e32 v7, s57
	v_mul_f64 v[1:2], v[3:4], s[90:91]
	v_mul_f64 v[3:4], v[5:6], s[90:91]
	v_lshlrev_b64 v[5:6], 4, v[27:28]
	v_add_co_u32_e32 v5, vcc, s56, v5
	v_addc_co_u32_e32 v6, vcc, v7, v6, vcc
	global_store_dwordx4 v[5:6], v[1:4], off
	s_or_b64 exec, exec, s[0:1]
	s_and_saveexec_b64 s[0:1], s[6:7]
	s_cbranch_execz .LBB191_144
.LBB191_296:                            ;   in Loop: Header=BB191_145 Depth=1
	v_bfi_b32 v40, s61, v40, v8
	v_fma_f64 v[1:2], v[39:40], 0, v[41:42]
	v_fma_f64 v[3:4], v[41:42], s[22:23], v[39:40]
	v_lshlrev_b64 v[5:6], 4, v[29:30]
	v_mov_b32_e32 v7, s57
	v_add_co_u32_e32 v5, vcc, s56, v5
	v_addc_co_u32_e32 v6, vcc, v7, v6, vcc
	v_mul_f64 v[1:2], v[1:2], s[90:91]
	v_mul_f64 v[3:4], v[3:4], s[90:91]
	global_store_dwordx4 v[5:6], v[1:4], off
	s_branch .LBB191_144
.LBB191_297:
	s_endpgm
	.section	.rodata,"a",@progbits
	.p2align	6, 0x0
	.amdhsa_kernel _ZN2at6native12_GLOBAL__N_125multi_tensor_apply_kernelINS1_18TensorListMetadataILi2EEENS1_14UnaryOpFunctorIN3c107complexIdEELi2ELi1ELi1EEEJNS0_4Log2IS8_EEEEEvT_T0_DpT1_
		.amdhsa_group_segment_fixed_size 0
		.amdhsa_private_segment_fixed_size 0
		.amdhsa_kernarg_size 3408
		.amdhsa_user_sgpr_count 6
		.amdhsa_user_sgpr_private_segment_buffer 1
		.amdhsa_user_sgpr_dispatch_ptr 0
		.amdhsa_user_sgpr_queue_ptr 0
		.amdhsa_user_sgpr_kernarg_segment_ptr 1
		.amdhsa_user_sgpr_dispatch_id 0
		.amdhsa_user_sgpr_flat_scratch_init 0
		.amdhsa_user_sgpr_private_segment_size 0
		.amdhsa_uses_dynamic_stack 0
		.amdhsa_system_sgpr_private_segment_wavefront_offset 0
		.amdhsa_system_sgpr_workgroup_id_x 1
		.amdhsa_system_sgpr_workgroup_id_y 0
		.amdhsa_system_sgpr_workgroup_id_z 0
		.amdhsa_system_sgpr_workgroup_info 0
		.amdhsa_system_vgpr_workitem_id 0
		.amdhsa_next_free_vgpr 79
		.amdhsa_next_free_sgpr 96
		.amdhsa_reserve_vcc 1
		.amdhsa_reserve_flat_scratch 0
		.amdhsa_float_round_mode_32 0
		.amdhsa_float_round_mode_16_64 0
		.amdhsa_float_denorm_mode_32 3
		.amdhsa_float_denorm_mode_16_64 3
		.amdhsa_dx10_clamp 1
		.amdhsa_ieee_mode 1
		.amdhsa_fp16_overflow 0
		.amdhsa_exception_fp_ieee_invalid_op 0
		.amdhsa_exception_fp_denorm_src 0
		.amdhsa_exception_fp_ieee_div_zero 0
		.amdhsa_exception_fp_ieee_overflow 0
		.amdhsa_exception_fp_ieee_underflow 0
		.amdhsa_exception_fp_ieee_inexact 0
		.amdhsa_exception_int_div_zero 0
	.end_amdhsa_kernel
	.section	.text._ZN2at6native12_GLOBAL__N_125multi_tensor_apply_kernelINS1_18TensorListMetadataILi2EEENS1_14UnaryOpFunctorIN3c107complexIdEELi2ELi1ELi1EEEJNS0_4Log2IS8_EEEEEvT_T0_DpT1_,"axG",@progbits,_ZN2at6native12_GLOBAL__N_125multi_tensor_apply_kernelINS1_18TensorListMetadataILi2EEENS1_14UnaryOpFunctorIN3c107complexIdEELi2ELi1ELi1EEEJNS0_4Log2IS8_EEEEEvT_T0_DpT1_,comdat
.Lfunc_end191:
	.size	_ZN2at6native12_GLOBAL__N_125multi_tensor_apply_kernelINS1_18TensorListMetadataILi2EEENS1_14UnaryOpFunctorIN3c107complexIdEELi2ELi1ELi1EEEJNS0_4Log2IS8_EEEEEvT_T0_DpT1_, .Lfunc_end191-_ZN2at6native12_GLOBAL__N_125multi_tensor_apply_kernelINS1_18TensorListMetadataILi2EEENS1_14UnaryOpFunctorIN3c107complexIdEELi2ELi1ELi1EEEJNS0_4Log2IS8_EEEEEvT_T0_DpT1_
                                        ; -- End function
	.set _ZN2at6native12_GLOBAL__N_125multi_tensor_apply_kernelINS1_18TensorListMetadataILi2EEENS1_14UnaryOpFunctorIN3c107complexIdEELi2ELi1ELi1EEEJNS0_4Log2IS8_EEEEEvT_T0_DpT1_.num_vgpr, 79
	.set _ZN2at6native12_GLOBAL__N_125multi_tensor_apply_kernelINS1_18TensorListMetadataILi2EEENS1_14UnaryOpFunctorIN3c107complexIdEELi2ELi1ELi1EEEJNS0_4Log2IS8_EEEEEvT_T0_DpT1_.num_agpr, 0
	.set _ZN2at6native12_GLOBAL__N_125multi_tensor_apply_kernelINS1_18TensorListMetadataILi2EEENS1_14UnaryOpFunctorIN3c107complexIdEELi2ELi1ELi1EEEJNS0_4Log2IS8_EEEEEvT_T0_DpT1_.numbered_sgpr, 96
	.set _ZN2at6native12_GLOBAL__N_125multi_tensor_apply_kernelINS1_18TensorListMetadataILi2EEENS1_14UnaryOpFunctorIN3c107complexIdEELi2ELi1ELi1EEEJNS0_4Log2IS8_EEEEEvT_T0_DpT1_.num_named_barrier, 0
	.set _ZN2at6native12_GLOBAL__N_125multi_tensor_apply_kernelINS1_18TensorListMetadataILi2EEENS1_14UnaryOpFunctorIN3c107complexIdEELi2ELi1ELi1EEEJNS0_4Log2IS8_EEEEEvT_T0_DpT1_.private_seg_size, 0
	.set _ZN2at6native12_GLOBAL__N_125multi_tensor_apply_kernelINS1_18TensorListMetadataILi2EEENS1_14UnaryOpFunctorIN3c107complexIdEELi2ELi1ELi1EEEJNS0_4Log2IS8_EEEEEvT_T0_DpT1_.uses_vcc, 1
	.set _ZN2at6native12_GLOBAL__N_125multi_tensor_apply_kernelINS1_18TensorListMetadataILi2EEENS1_14UnaryOpFunctorIN3c107complexIdEELi2ELi1ELi1EEEJNS0_4Log2IS8_EEEEEvT_T0_DpT1_.uses_flat_scratch, 0
	.set _ZN2at6native12_GLOBAL__N_125multi_tensor_apply_kernelINS1_18TensorListMetadataILi2EEENS1_14UnaryOpFunctorIN3c107complexIdEELi2ELi1ELi1EEEJNS0_4Log2IS8_EEEEEvT_T0_DpT1_.has_dyn_sized_stack, 0
	.set _ZN2at6native12_GLOBAL__N_125multi_tensor_apply_kernelINS1_18TensorListMetadataILi2EEENS1_14UnaryOpFunctorIN3c107complexIdEELi2ELi1ELi1EEEJNS0_4Log2IS8_EEEEEvT_T0_DpT1_.has_recursion, 0
	.set _ZN2at6native12_GLOBAL__N_125multi_tensor_apply_kernelINS1_18TensorListMetadataILi2EEENS1_14UnaryOpFunctorIN3c107complexIdEELi2ELi1ELi1EEEJNS0_4Log2IS8_EEEEEvT_T0_DpT1_.has_indirect_call, 0
	.section	.AMDGPU.csdata,"",@progbits
; Kernel info:
; codeLenInByte = 88968
; TotalNumSgprs: 100
; NumVgprs: 79
; ScratchSize: 0
; MemoryBound: 1
; FloatMode: 240
; IeeeMode: 1
; LDSByteSize: 0 bytes/workgroup (compile time only)
; SGPRBlocks: 12
; VGPRBlocks: 19
; NumSGPRsForWavesPerEU: 100
; NumVGPRsForWavesPerEU: 79
; Occupancy: 3
; WaveLimiterHint : 0
; COMPUTE_PGM_RSRC2:SCRATCH_EN: 0
; COMPUTE_PGM_RSRC2:USER_SGPR: 6
; COMPUTE_PGM_RSRC2:TRAP_HANDLER: 0
; COMPUTE_PGM_RSRC2:TGID_X_EN: 1
; COMPUTE_PGM_RSRC2:TGID_Y_EN: 0
; COMPUTE_PGM_RSRC2:TGID_Z_EN: 0
; COMPUTE_PGM_RSRC2:TIDIG_COMP_CNT: 0
	.section	.text._ZN2at6native12_GLOBAL__N_125multi_tensor_apply_kernelINS1_18TensorListMetadataILi2EEENS1_14UnaryOpFunctorIN3c107complexIfEELi2ELi1ELi1EEEJNS0_4Log2IS8_EEEEEvT_T0_DpT1_,"axG",@progbits,_ZN2at6native12_GLOBAL__N_125multi_tensor_apply_kernelINS1_18TensorListMetadataILi2EEENS1_14UnaryOpFunctorIN3c107complexIfEELi2ELi1ELi1EEEJNS0_4Log2IS8_EEEEEvT_T0_DpT1_,comdat
	.globl	_ZN2at6native12_GLOBAL__N_125multi_tensor_apply_kernelINS1_18TensorListMetadataILi2EEENS1_14UnaryOpFunctorIN3c107complexIfEELi2ELi1ELi1EEEJNS0_4Log2IS8_EEEEEvT_T0_DpT1_ ; -- Begin function _ZN2at6native12_GLOBAL__N_125multi_tensor_apply_kernelINS1_18TensorListMetadataILi2EEENS1_14UnaryOpFunctorIN3c107complexIfEELi2ELi1ELi1EEEJNS0_4Log2IS8_EEEEEvT_T0_DpT1_
	.p2align	8
	.type	_ZN2at6native12_GLOBAL__N_125multi_tensor_apply_kernelINS1_18TensorListMetadataILi2EEENS1_14UnaryOpFunctorIN3c107complexIfEELi2ELi1ELi1EEEJNS0_4Log2IS8_EEEEEvT_T0_DpT1_,@function
_ZN2at6native12_GLOBAL__N_125multi_tensor_apply_kernelINS1_18TensorListMetadataILi2EEENS1_14UnaryOpFunctorIN3c107complexIfEELi2ELi1ELi1EEEJNS0_4Log2IS8_EEEEEvT_T0_DpT1_: ; @_ZN2at6native12_GLOBAL__N_125multi_tensor_apply_kernelINS1_18TensorListMetadataILi2EEENS1_14UnaryOpFunctorIN3c107complexIfEELi2ELi1ELi1EEEJNS0_4Log2IS8_EEEEEvT_T0_DpT1_
; %bb.0:
	v_mov_b32_e32 v1, s6
	global_load_ubyte v1, v1, s[4:5] offset:1536
	s_add_u32 s0, s4, s6
	s_mul_hi_u32 s2, s6, 3
	s_mul_i32 s6, s6, 3
	s_addc_u32 s7, s5, 0
	s_add_u32 s6, s0, s6
	s_addc_u32 s7, s7, s2
	s_load_dword s6, s[6:7], 0x740
	s_mov_b32 s1, 0
	s_mov_b32 s3, s1
	s_waitcnt lgkmcnt(0)
	s_ashr_i32 s7, s6, 31
	s_lshl_b64 s[14:15], s[6:7], 19
	s_waitcnt vmcnt(0)
	v_readfirstlane_b32 s0, v1
	s_lshl_b32 s0, s0, 3
	s_load_dwordx2 s[8:9], s[4:5], s0 offset:0x0
	s_load_dwordx2 s[10:11], s[4:5], s0 offset:0x400
	;; [unrolled: 1-line block ×3, first 2 shown]
	s_waitcnt lgkmcnt(0)
	s_add_u32 s33, s8, s14
	s_addc_u32 s34, s9, s15
	s_and_b32 s0, s33, 31
	s_add_u32 s35, s12, s14
	s_addc_u32 s36, s13, s15
	s_lshl_b64 s[6:7], s[6:7], 16
	s_and_b32 s2, s35, 31
	s_sub_u32 s6, s10, s6
	s_subb_u32 s7, s11, s7
	s_and_b32 s8, s10, 3
	s_mov_b32 s9, s1
	s_or_b64 s[2:3], s[2:3], s[8:9]
	s_or_b64 s[0:1], s[2:3], s[0:1]
	s_cmp_eq_u64 s[0:1], 0
	s_mov_b64 s[0:1], -1
	s_cbranch_scc0 .LBB192_141
; %bb.1:
	v_mov_b32_e32 v1, 0x10000
	v_mov_b32_e32 v2, 0
	v_cmp_lt_i64_e32 vcc, s[6:7], v[1:2]
	v_mov_b32_e32 v2, 0
	s_and_b64 s[0:1], vcc, exec
	s_cselect_b32 s9, s7, 0
	s_cselect_b32 s8, s6, 0x10000
	v_lshlrev_b32_e32 v1, 2, v0
	v_cmp_gt_i64_e32 vcc, s[8:9], v[1:2]
	s_and_saveexec_b64 s[10:11], vcc
	s_cbranch_execz .LBB192_140
; %bb.2:
	s_load_dword s0, s[4:5], 0xc5c
	v_mov_b32_e32 v1, v2
	v_mov_b32_e32 v10, v1
	s_mov_b64 s[12:13], 0
	v_mov_b32_e32 v13, s34
	s_brev_b32 s28, -2
	s_waitcnt lgkmcnt(0)
	s_and_b32 s29, s0, 0xffff
	s_mov_b32 s30, 0x77f684df
	s_mov_b32 s31, 0x358637bd
	;; [unrolled: 1-line block ×4, first 2 shown]
	v_mov_b32_e32 v14, 0x3f2aaada
	s_mov_b32 s39, 0x3f317218
	s_mov_b32 s40, 0x7f800000
	;; [unrolled: 1-line block ×3, first 2 shown]
	v_mov_b32_e32 v15, 0x3d29fb3f
	v_mov_b32_e32 v16, 0xbd97d4d7
	;; [unrolled: 1-line block ×6, first 2 shown]
	s_movk_i32 s42, 0x204
	s_mov_b32 s43, 0x3f333333
	s_mov_b32 s44, 0x800000
	;; [unrolled: 1-line block ×5, first 2 shown]
	s_brev_b32 s48, 4
	v_mov_b32_e32 v21, 0x7f800000
	v_mov_b32_e32 v22, 0x7fc00000
	;; [unrolled: 1-line block ×8, first 2 shown]
	s_branch .LBB192_5
.LBB192_3:                              ;   in Loop: Header=BB192_5 Depth=1
	s_or_b64 exec, exec, s[2:3]
	v_cmp_gt_f32_e32 vcc, s44, v1
	v_cndmask_b32_e64 v3, 0, 32, vcc
	v_ldexp_f32 v1, v1, v3
	v_log_f32_e32 v1, v1
	v_cndmask_b32_e32 v3, 0, v27, vcc
	v_mul_f32_e32 v32, 0x3f317217, v1
	v_fma_f32 v32, v1, s45, -v32
	v_fmac_f32_e32 v32, 0x3377d1cf, v1
	v_fmac_f32_e32 v32, 0x3f317217, v1
	v_cmp_lt_f32_e64 vcc, |v1|, s40
	v_cndmask_b32_e32 v1, v1, v32, vcc
	v_sub_f32_e32 v1, v1, v3
	v_mov_b32_e32 v32, 0x7fc00000
.LBB192_4:                              ;   in Loop: Header=BB192_5 Depth=1
	s_or_b64 exec, exec, s[0:1]
	v_bfi_b32 v3, s28, v31, v2
	v_fma_f32 v2, 0, v3, v7
	v_fmac_f32_e32 v3, 0x80000000, v7
	v_bfi_b32 v7, s28, v30, v8
	v_fma_f32 v8, 0, v7, v5
	v_fmac_f32_e32 v7, 0x80000000, v5
	;; [unrolled: 3-line block ×3, first 2 shown]
	v_add_co_u32_e32 v9, vcc, s29, v9
	v_mul_f32_e32 v34, 0x3fb8aa3b, v5
	v_bfi_b32 v5, s28, v32, v4
	v_addc_co_u32_e32 v10, vcc, 0, v10, vcc
	v_mul_f32_e32 v36, 0x3fb8aa3b, v7
	v_mul_f32_e32 v33, 0x3fb8aa3b, v6
	v_fma_f32 v4, 0, v5, v1
	v_fmac_f32_e32 v5, 0x80000000, v1
	v_mov_b32_e32 v1, s36
	v_lshlrev_b64 v[6:7], 2, v[9:10]
	v_add_co_u32_e32 v11, vcc, s35, v11
	v_addc_co_u32_e32 v12, vcc, v1, v12, vcc
	v_cmp_le_i64_e32 vcc, s[8:9], v[6:7]
	v_mul_f32_e32 v2, 0x3fb8aa3b, v2
	v_mul_f32_e32 v3, 0x3fb8aa3b, v3
	;; [unrolled: 1-line block ×5, first 2 shown]
	s_or_b64 s[12:13], vcc, s[12:13]
	global_store_dwordx4 v[11:12], v[33:36], off
	global_store_dwordx4 v[11:12], v[2:5], off offset:16
	s_andn2_b64 exec, exec, s[12:13]
	s_cbranch_execz .LBB192_140
.LBB192_5:                              ; =>This Loop Header: Depth=1
                                        ;     Child Loop BB192_16 Depth 2
                                        ;     Child Loop BB192_50 Depth 2
	;; [unrolled: 1-line block ×4, first 2 shown]
	v_lshlrev_b64 v[11:12], 5, v[9:10]
	v_add_co_u32_e32 v28, vcc, s33, v11
	v_addc_co_u32_e32 v29, vcc, v13, v12, vcc
	global_load_dwordx4 v[5:8], v[28:29], off
	global_load_dwordx4 v[1:4], v[28:29], off offset:16
                                        ; implicit-def: $vgpr28
                                        ; implicit-def: $vgpr29
	s_waitcnt vmcnt(1)
	v_cmp_o_f32_e32 vcc, v6, v5
	s_and_saveexec_b64 s[0:1], vcc
	s_xor_b64 s[14:15], exec, s[0:1]
	s_cbranch_execz .LBB192_33
; %bb.6:                                ;   in Loop: Header=BB192_5 Depth=1
	v_cmp_lt_f32_e64 s[0:1], |v5|, |v6|
	v_cndmask_b32_e64 v30, |v6|, |v5|, s[0:1]
	v_cmp_nlt_f32_e32 vcc, s30, v30
                                        ; implicit-def: $vgpr28
                                        ; implicit-def: $vgpr29
	s_and_saveexec_b64 s[2:3], vcc
	s_xor_b64 s[16:17], exec, s[2:3]
	s_cbranch_execz .LBB192_30
; %bb.7:                                ;   in Loop: Header=BB192_5 Depth=1
	v_and_b32_e32 v28, 0x7fffffff, v6
	v_cndmask_b32_e64 v31, |v5|, v28, s[0:1]
	v_cmp_neq_f32_e32 vcc, 1.0, v31
                                        ; implicit-def: $vgpr28
                                        ; implicit-def: $vgpr29
	s_and_saveexec_b64 s[2:3], vcc
	s_xor_b64 s[18:19], exec, s[2:3]
	s_cbranch_execz .LBB192_23
; %bb.8:                                ;   in Loop: Header=BB192_5 Depth=1
	v_max_f32_e32 v28, v30, v30
	v_max_f32_e32 v29, v31, v31
	v_min_f32_e32 v32, v29, v28
	v_max_f32_e32 v28, v29, v28
	v_cmp_ngt_f32_e32 vcc, s31, v32
	v_cmp_nlt_f32_e64 s[2:3], s37, v28
	s_and_b64 s[2:3], s[2:3], vcc
                                        ; implicit-def: $vgpr28
                                        ; implicit-def: $vgpr29
	s_and_saveexec_b64 s[20:21], s[2:3]
	s_xor_b64 s[20:21], exec, s[20:21]
	s_cbranch_execz .LBB192_20
; %bb.9:                                ;   in Loop: Header=BB192_5 Depth=1
	v_cmp_le_f32_e32 vcc, 1.0, v31
                                        ; implicit-def: $vgpr28
                                        ; implicit-def: $vgpr29
	s_and_saveexec_b64 s[2:3], vcc
	s_xor_b64 s[22:23], exec, s[2:3]
	s_cbranch_execz .LBB192_11
; %bb.10:                               ;   in Loop: Header=BB192_5 Depth=1
	v_add_f32_e32 v28, -1.0, v31
	v_add_f32_e32 v29, 1.0, v31
	v_mul_f32_e32 v31, v28, v29
	v_fmac_f32_e32 v31, v30, v30
	v_add_f32_e32 v30, 1.0, v31
	v_cvt_f64_f32_e32 v[28:29], v30
	v_add_f32_e32 v32, -1.0, v30
	v_sub_f32_e32 v33, v32, v30
	v_sub_f32_e32 v32, v31, v32
	v_frexp_exp_i32_f64_e32 v28, v[28:29]
	v_frexp_mant_f32_e32 v29, v30
	v_cmp_gt_f32_e32 vcc, s38, v29
	v_add_f32_e32 v33, 1.0, v33
	v_add_f32_e32 v32, v32, v33
	v_cmp_gt_i32_e64 s[2:3], 0, v5
	v_cmp_class_f32_e64 s[24:25], v6, s42
	v_subbrev_co_u32_e32 v28, vcc, 0, v28, vcc
	v_sub_u32_e32 v29, 0, v28
	v_ldexp_f32 v30, v30, v29
	v_ldexp_f32 v29, v32, v29
	v_add_f32_e32 v32, -1.0, v30
	v_add_f32_e32 v35, 1.0, v30
	v_add_f32_e32 v33, 1.0, v32
	v_add_f32_e32 v36, -1.0, v35
	v_sub_f32_e32 v33, v30, v33
	v_sub_f32_e32 v30, v30, v36
	v_add_f32_e32 v33, v29, v33
	v_add_f32_e32 v29, v29, v30
	;; [unrolled: 1-line block ×3, first 2 shown]
	v_rcp_f32_e32 v36, v30
	v_add_f32_e32 v34, v32, v33
	v_sub_f32_e32 v32, v34, v32
	v_sub_f32_e32 v32, v33, v32
	;; [unrolled: 1-line block ×4, first 2 shown]
	v_mul_f32_e32 v33, v34, v36
	v_mul_f32_e32 v35, v30, v33
	v_fma_f32 v37, v33, v30, -v35
	v_fmac_f32_e32 v37, v33, v29
	v_add_f32_e32 v38, v35, v37
	v_sub_f32_e32 v39, v34, v38
	v_sub_f32_e32 v34, v34, v39
	;; [unrolled: 1-line block ×4, first 2 shown]
	v_add_f32_e32 v32, v32, v34
	v_sub_f32_e32 v34, v35, v37
	v_add_f32_e32 v32, v34, v32
	v_add_f32_e32 v34, v39, v32
	v_mul_f32_e32 v35, v36, v34
	v_mul_f32_e32 v37, v30, v35
	v_fma_f32 v30, v35, v30, -v37
	v_fmac_f32_e32 v30, v35, v29
	v_sub_f32_e32 v29, v39, v34
	v_add_f32_e32 v29, v32, v29
	v_add_f32_e32 v32, v37, v30
	v_sub_f32_e32 v38, v34, v32
	v_sub_f32_e32 v34, v34, v38
	;; [unrolled: 1-line block ×4, first 2 shown]
	v_add_f32_e32 v29, v29, v32
	v_sub_f32_e32 v30, v37, v30
	v_cvt_f32_i32_e32 v28, v28
	v_add_f32_e32 v29, v30, v29
	v_add_f32_e32 v30, v33, v35
	;; [unrolled: 1-line block ×3, first 2 shown]
	v_sub_f32_e32 v32, v30, v33
	v_mul_f32_e32 v29, v36, v29
	v_sub_f32_e32 v32, v35, v32
	v_add_f32_e32 v29, v32, v29
	v_mul_f32_e32 v35, 0x3f317218, v28
	v_add_f32_e32 v32, v30, v29
	v_fma_f32 v36, v28, s39, -v35
	v_mul_f32_e32 v33, v32, v32
	v_mov_b32_e32 v34, 0x3ecc95a3
	v_fmac_f32_e32 v36, 0xb102e308, v28
	v_sub_f32_e32 v28, v32, v30
	v_fmac_f32_e32 v34, 0x3e9b6dac, v33
	v_sub_f32_e32 v28, v29, v28
	v_add_f32_e32 v29, v35, v36
	v_fma_f32 v34, v33, v34, v14
	v_sub_f32_e32 v30, v29, v35
	v_ldexp_f32 v35, v32, 1
	v_mul_f32_e32 v32, v32, v33
	v_mul_f32_e32 v32, v32, v34
	v_add_f32_e32 v33, v35, v32
	v_sub_f32_e32 v34, v33, v35
	v_ldexp_f32 v28, v28, 1
	v_sub_f32_e32 v32, v32, v34
	v_add_f32_e32 v28, v28, v32
	v_add_f32_e32 v32, v33, v28
	v_sub_f32_e32 v33, v32, v33
	v_sub_f32_e32 v28, v28, v33
	v_add_f32_e32 v33, v29, v32
	v_sub_f32_e32 v34, v33, v29
	v_sub_f32_e32 v35, v33, v34
	;; [unrolled: 1-line block ×5, first 2 shown]
	v_add_f32_e32 v29, v32, v29
	v_add_f32_e32 v32, v30, v28
	v_sub_f32_e32 v34, v32, v30
	v_sub_f32_e32 v35, v32, v34
	;; [unrolled: 1-line block ×4, first 2 shown]
	v_add_f32_e32 v29, v32, v29
	v_add_f32_e32 v28, v28, v30
	;; [unrolled: 1-line block ×3, first 2 shown]
	v_sub_f32_e32 v32, v30, v33
	v_sub_f32_e32 v29, v29, v32
	v_add_f32_e32 v28, v28, v29
	v_add_f32_e32 v28, v30, v28
	v_cmp_neq_f32_e32 vcc, s40, v31
	v_cndmask_b32_e32 v28, v21, v28, vcc
	v_cmp_ngt_f32_e32 vcc, -1.0, v31
	v_cndmask_b32_e32 v28, v22, v28, vcc
	v_cmp_neq_f32_e32 vcc, -1.0, v31
	v_cndmask_b32_e32 v28, v23, v28, vcc
	v_cmp_lt_f32_e64 vcc, |v31|, s41
	v_max_f32_e64 v29, |v6|, |v6|
	v_max_f32_e64 v30, |v5|, |v5|
	v_cndmask_b32_e32 v28, v28, v31, vcc
	v_min_f32_e32 v31, v30, v29
	v_max_f32_e32 v29, v30, v29
	v_frexp_mant_f32_e32 v30, v29
	v_rcp_f32_e32 v30, v30
	v_frexp_exp_i32_f32_e32 v29, v29
	v_frexp_exp_i32_f32_e32 v32, v31
	v_frexp_mant_f32_e32 v31, v31
	v_mul_f32_e32 v30, v31, v30
	v_sub_u32_e32 v29, v32, v29
	v_ldexp_f32 v29, v30, v29
	v_mul_f32_e32 v30, v29, v29
	v_mov_b32_e32 v31, 0xbc7a590c
	v_fmac_f32_e32 v31, 0x3b2d2a58, v30
	v_fma_f32 v31, v30, v31, v15
	v_fma_f32 v31, v30, v31, v16
	;; [unrolled: 1-line block ×6, first 2 shown]
	v_mul_f32_e32 v30, v30, v31
	v_fmac_f32_e32 v29, v29, v30
	v_sub_f32_e32 v30, 0x3fc90fdb, v29
	v_cndmask_b32_e64 v29, v29, v30, s[0:1]
	v_sub_f32_e32 v30, 0x40490fdb, v29
	v_cmp_gt_f32_e32 vcc, 0, v5
	v_cndmask_b32_e32 v29, v29, v30, vcc
	v_cndmask_b32_e64 v30, 0, v24, s[2:3]
	v_cmp_eq_f32_e64 s[2:3], 0, v6
	v_cndmask_b32_e64 v29, v29, v30, s[2:3]
	v_cmp_class_f32_e64 s[2:3], v5, s42
	v_cndmask_b32_e32 v30, v25, v26, vcc
	s_and_b64 vcc, s[2:3], s[24:25]
	v_mul_f32_e32 v28, 0.5, v28
	v_cndmask_b32_e32 v29, v29, v30, vcc
                                        ; implicit-def: $vgpr30
                                        ; implicit-def: $vgpr31
.LBB192_11:                             ;   in Loop: Header=BB192_5 Depth=1
	s_andn2_saveexec_b64 s[22:23], s[22:23]
	s_cbranch_execz .LBB192_19
; %bb.12:                               ;   in Loop: Header=BB192_5 Depth=1
	v_mul_f32_e32 v32, v30, v30
	v_fmac_f32_e32 v32, v31, v31
	v_cmp_ge_f32_e32 vcc, s43, v32
                                        ; implicit-def: $vgpr28
                                        ; implicit-def: $vgpr29
	s_and_saveexec_b64 s[2:3], vcc
	s_xor_b64 s[24:25], exec, s[2:3]
	s_cbranch_execz .LBB192_14
; %bb.13:                               ;   in Loop: Header=BB192_5 Depth=1
	v_cmp_gt_f32_e32 vcc, s44, v32
	v_cndmask_b32_e64 v28, 0, 32, vcc
	v_ldexp_f32 v28, v32, v28
	v_log_f32_e32 v28, v28
	v_cndmask_b32_e32 v29, 0, v27, vcc
	v_cmp_gt_i32_e64 s[2:3], 0, v5
	v_cmp_class_f32_e64 s[26:27], v6, s42
	v_mul_f32_e32 v30, 0x3f317217, v28
	v_fma_f32 v30, v28, s45, -v30
	v_fmac_f32_e32 v30, 0x3377d1cf, v28
	v_fmac_f32_e32 v30, 0x3f317217, v28
	v_cmp_lt_f32_e64 vcc, |v28|, s40
	v_cndmask_b32_e32 v28, v28, v30, vcc
	v_sub_f32_e32 v28, v28, v29
	v_max_f32_e64 v29, |v6|, |v6|
	v_max_f32_e64 v30, |v5|, |v5|
	v_min_f32_e32 v31, v30, v29
	v_max_f32_e32 v29, v30, v29
	v_frexp_mant_f32_e32 v30, v29
	v_rcp_f32_e32 v30, v30
	v_frexp_exp_i32_f32_e32 v29, v29
	v_frexp_exp_i32_f32_e32 v32, v31
	v_frexp_mant_f32_e32 v31, v31
	v_mul_f32_e32 v30, v31, v30
	v_sub_u32_e32 v29, v32, v29
	v_ldexp_f32 v29, v30, v29
	v_mul_f32_e32 v30, v29, v29
	v_mov_b32_e32 v31, 0xbc7a590c
	v_fmac_f32_e32 v31, 0x3b2d2a58, v30
	v_fma_f32 v31, v30, v31, v15
	v_fma_f32 v31, v30, v31, v16
	;; [unrolled: 1-line block ×6, first 2 shown]
	v_mul_f32_e32 v30, v30, v31
	v_fmac_f32_e32 v29, v29, v30
	v_sub_f32_e32 v30, 0x3fc90fdb, v29
	v_cndmask_b32_e64 v29, v29, v30, s[0:1]
	v_sub_f32_e32 v30, 0x40490fdb, v29
	v_cmp_gt_f32_e32 vcc, 0, v5
	v_cndmask_b32_e32 v29, v29, v30, vcc
	v_cndmask_b32_e64 v30, 0, v24, s[2:3]
	v_cmp_eq_f32_e64 s[2:3], 0, v6
	v_cndmask_b32_e64 v29, v29, v30, s[2:3]
	v_cmp_class_f32_e64 s[2:3], v5, s42
	v_cndmask_b32_e32 v30, v25, v26, vcc
	s_and_b64 vcc, s[2:3], s[26:27]
	v_mul_f32_e32 v28, 0.5, v28
	v_cndmask_b32_e32 v29, v29, v30, vcc
                                        ; implicit-def: $vgpr31
                                        ; implicit-def: $vgpr30
.LBB192_14:                             ;   in Loop: Header=BB192_5 Depth=1
	s_andn2_saveexec_b64 s[24:25], s[24:25]
	s_cbranch_execz .LBB192_18
; %bb.15:                               ;   in Loop: Header=BB192_5 Depth=1
	v_and_b32_e32 v32, 0x7fff0000, v31
	v_sub_f32_e32 v28, v31, v32
	v_and_b32_e32 v36, 0xffff0000, v28
	v_and_b32_e32 v31, 0x7fff0000, v30
	v_sub_f32_e32 v38, v28, v36
	v_sub_f32_e32 v28, v30, v31
	v_and_b32_e32 v37, 0xffff0000, v28
	v_add_f32_e32 v33, v32, v32
	v_add_f32_e32 v40, v31, v31
	v_sub_f32_e32 v39, v28, v37
	v_mul_f32_e32 v28, v32, v32
	v_mul_f32_e32 v29, v31, v31
	;; [unrolled: 1-line block ×6, first 2 shown]
	v_add_f32_e32 v36, v36, v36
	v_add_f32_e32 v37, v37, v37
	v_mul_f32_e32 v34, v33, v38
	v_mul_f32_e32 v33, v40, v39
	v_mul_f32_e32 v36, v36, v38
	v_mul_f32_e32 v37, v37, v39
	v_mul_f32_e32 v38, v38, v38
	v_mul_f32_e32 v39, v39, v39
	s_mov_b64 s[26:27], 0
.LBB192_16:                             ;   Parent Loop BB192_5 Depth=1
                                        ; =>  This Inner Loop Header: Depth=2
	v_cmp_nlt_f32_e32 vcc, v28, v29
	v_mov_b32_e32 v40, v39
	v_cndmask_b32_e32 v39, v28, v29, vcc
	v_cmp_nlt_f32_e64 s[2:3], v39, v32
	v_cndmask_b32_e64 v41, v39, v32, s[2:3]
	v_cndmask_b32_e32 v28, v29, v28, vcc
	s_and_b64 s[50:51], vcc, s[2:3]
	v_cmp_nlt_f32_e32 vcc, v41, v31
	v_cndmask_b32_e64 v29, v32, v39, s[2:3]
	v_cndmask_b32_e32 v39, v41, v31, vcc
	v_cmp_nlt_f32_e64 s[2:3], v39, v35
	v_cndmask_b32_e32 v32, v31, v41, vcc
	v_cndmask_b32_e64 v41, v39, v35, s[2:3]
	s_and_b64 s[52:53], vcc, s[2:3]
	v_cmp_nlt_f32_e32 vcc, v41, v30
	v_cndmask_b32_e64 v31, v35, v39, s[2:3]
	v_cndmask_b32_e32 v39, v41, v30, vcc
	v_cmp_nlt_f32_e64 s[2:3], v39, v34
	v_cndmask_b32_e32 v35, v30, v41, vcc
	v_cndmask_b32_e64 v41, v39, v34, s[2:3]
	v_cndmask_b32_e64 v30, v34, v39, s[2:3]
	s_and_b64 s[2:3], vcc, s[2:3]
	v_cmp_nlt_f32_e32 vcc, v41, v33
	v_cndmask_b32_e32 v39, v41, v33, vcc
	v_cndmask_b32_e32 v34, v33, v41, vcc
	s_and_b64 s[2:3], s[2:3], vcc
	v_cmp_nlt_f32_e32 vcc, v39, v36
	v_cndmask_b32_e32 v41, v39, v36, vcc
	v_cndmask_b32_e32 v33, v36, v39, vcc
	s_and_b64 s[2:3], s[2:3], vcc
	;; [unrolled: 4-line block ×4, first 2 shown]
	v_cmp_nlt_f32_e32 vcc, v41, v40
	s_and_b64 s[2:3], s[2:3], vcc
	s_and_b64 s[2:3], s[2:3], s[52:53]
	s_and_b64 s[2:3], s[2:3], s[50:51]
	s_and_b64 s[2:3], exec, s[2:3]
	v_cndmask_b32_e32 v39, v41, v40, vcc
	s_or_b64 s[26:27], s[2:3], s[26:27]
	v_cndmask_b32_e32 v38, v40, v41, vcc
	s_andn2_b64 exec, exec, s[26:27]
	s_cbranch_execnz .LBB192_16
; %bb.17:                               ;   in Loop: Header=BB192_5 Depth=1
	s_or_b64 exec, exec, s[26:27]
	v_add_f32_e32 v28, -1.0, v28
	v_add_f32_e32 v28, v28, v29
	v_add_f32_e32 v28, v28, v32
	;; [unrolled: 1-line block ×11, first 2 shown]
	v_add_f32_e32 v31, 1.0, v30
	v_cvt_f64_f32_e32 v[28:29], v31
	v_add_f32_e32 v32, -1.0, v31
	v_sub_f32_e32 v33, v32, v31
	v_sub_f32_e32 v32, v30, v32
	v_frexp_exp_i32_f64_e32 v28, v[28:29]
	v_frexp_mant_f32_e32 v29, v31
	v_cmp_gt_f32_e32 vcc, s38, v29
	v_add_f32_e32 v33, 1.0, v33
	v_add_f32_e32 v32, v32, v33
	v_cmp_gt_i32_e64 s[2:3], 0, v5
	v_cmp_class_f32_e64 s[26:27], v6, s42
	v_subbrev_co_u32_e32 v28, vcc, 0, v28, vcc
	v_sub_u32_e32 v29, 0, v28
	v_ldexp_f32 v31, v31, v29
	v_ldexp_f32 v29, v32, v29
	v_add_f32_e32 v32, -1.0, v31
	v_add_f32_e32 v33, 1.0, v31
	v_add_f32_e32 v34, 1.0, v32
	v_add_f32_e32 v36, -1.0, v33
	v_sub_f32_e32 v34, v31, v34
	v_sub_f32_e32 v31, v31, v36
	v_add_f32_e32 v34, v29, v34
	v_add_f32_e32 v29, v29, v31
	;; [unrolled: 1-line block ×3, first 2 shown]
	v_rcp_f32_e32 v36, v31
	v_add_f32_e32 v35, v32, v34
	v_sub_f32_e32 v33, v31, v33
	v_sub_f32_e32 v32, v35, v32
	;; [unrolled: 1-line block ×3, first 2 shown]
	v_mul_f32_e32 v33, v35, v36
	v_sub_f32_e32 v32, v34, v32
	v_mul_f32_e32 v34, v31, v33
	v_fma_f32 v37, v33, v31, -v34
	v_fmac_f32_e32 v37, v33, v29
	v_add_f32_e32 v38, v34, v37
	v_sub_f32_e32 v39, v35, v38
	v_sub_f32_e32 v35, v35, v39
	;; [unrolled: 1-line block ×4, first 2 shown]
	v_add_f32_e32 v32, v32, v35
	v_sub_f32_e32 v34, v34, v37
	v_add_f32_e32 v32, v34, v32
	v_add_f32_e32 v34, v39, v32
	v_mul_f32_e32 v35, v36, v34
	v_mul_f32_e32 v37, v31, v35
	v_fma_f32 v31, v35, v31, -v37
	v_fmac_f32_e32 v31, v35, v29
	v_sub_f32_e32 v29, v39, v34
	v_add_f32_e32 v29, v32, v29
	v_add_f32_e32 v32, v37, v31
	v_sub_f32_e32 v38, v34, v32
	v_sub_f32_e32 v34, v34, v38
	v_sub_f32_e32 v37, v32, v37
	v_sub_f32_e32 v32, v34, v32
	v_add_f32_e32 v29, v29, v32
	v_sub_f32_e32 v31, v37, v31
	v_cvt_f32_i32_e32 v28, v28
	v_add_f32_e32 v29, v31, v29
	v_add_f32_e32 v31, v33, v35
	;; [unrolled: 1-line block ×3, first 2 shown]
	v_sub_f32_e32 v32, v31, v33
	v_mul_f32_e32 v29, v36, v29
	v_sub_f32_e32 v32, v35, v32
	v_add_f32_e32 v29, v32, v29
	v_mul_f32_e32 v35, 0x3f317218, v28
	v_add_f32_e32 v32, v31, v29
	v_fma_f32 v36, v28, s39, -v35
	v_mul_f32_e32 v33, v32, v32
	v_mov_b32_e32 v34, 0x3ecc95a3
	v_fmac_f32_e32 v36, 0xb102e308, v28
	v_sub_f32_e32 v28, v32, v31
	v_fmac_f32_e32 v34, 0x3e9b6dac, v33
	v_sub_f32_e32 v28, v29, v28
	v_add_f32_e32 v29, v35, v36
	v_fma_f32 v34, v33, v34, v14
	v_sub_f32_e32 v31, v29, v35
	v_ldexp_f32 v35, v32, 1
	v_mul_f32_e32 v32, v32, v33
	v_mul_f32_e32 v32, v32, v34
	v_add_f32_e32 v33, v35, v32
	v_sub_f32_e32 v34, v33, v35
	v_ldexp_f32 v28, v28, 1
	v_sub_f32_e32 v32, v32, v34
	v_add_f32_e32 v28, v28, v32
	v_add_f32_e32 v32, v33, v28
	v_sub_f32_e32 v33, v32, v33
	v_sub_f32_e32 v28, v28, v33
	v_add_f32_e32 v33, v29, v32
	v_sub_f32_e32 v34, v33, v29
	v_sub_f32_e32 v35, v33, v34
	;; [unrolled: 1-line block ×5, first 2 shown]
	v_add_f32_e32 v29, v32, v29
	v_add_f32_e32 v32, v31, v28
	v_sub_f32_e32 v34, v32, v31
	v_sub_f32_e32 v35, v32, v34
	v_sub_f32_e32 v31, v31, v35
	v_sub_f32_e32 v28, v28, v34
	v_add_f32_e32 v29, v32, v29
	v_add_f32_e32 v28, v28, v31
	v_add_f32_e32 v31, v33, v29
	v_sub_f32_e32 v32, v31, v33
	v_sub_f32_e32 v29, v29, v32
	v_add_f32_e32 v28, v28, v29
	v_add_f32_e32 v28, v31, v28
	v_cmp_neq_f32_e32 vcc, s40, v30
	v_cndmask_b32_e32 v28, v21, v28, vcc
	v_cmp_ngt_f32_e32 vcc, -1.0, v30
	v_cndmask_b32_e32 v28, v22, v28, vcc
	v_cmp_neq_f32_e32 vcc, -1.0, v30
	v_cndmask_b32_e32 v28, v23, v28, vcc
	v_cmp_lt_f32_e64 vcc, |v30|, s41
	v_cndmask_b32_e32 v28, v28, v30, vcc
	v_max_f32_e64 v29, |v6|, |v6|
	v_max_f32_e64 v30, |v5|, |v5|
	v_min_f32_e32 v31, v30, v29
	v_max_f32_e32 v29, v30, v29
	v_frexp_mant_f32_e32 v30, v29
	v_rcp_f32_e32 v30, v30
	v_frexp_exp_i32_f32_e32 v29, v29
	v_frexp_exp_i32_f32_e32 v32, v31
	v_frexp_mant_f32_e32 v31, v31
	v_mul_f32_e32 v30, v31, v30
	v_sub_u32_e32 v29, v32, v29
	v_ldexp_f32 v29, v30, v29
	v_mul_f32_e32 v30, v29, v29
	v_mov_b32_e32 v31, 0xbc7a590c
	v_fmac_f32_e32 v31, 0x3b2d2a58, v30
	v_fma_f32 v31, v30, v31, v15
	v_fma_f32 v31, v30, v31, v16
	;; [unrolled: 1-line block ×6, first 2 shown]
	v_mul_f32_e32 v30, v30, v31
	v_fmac_f32_e32 v29, v29, v30
	v_sub_f32_e32 v30, 0x3fc90fdb, v29
	v_cndmask_b32_e64 v29, v29, v30, s[0:1]
	v_sub_f32_e32 v30, 0x40490fdb, v29
	v_cmp_gt_f32_e32 vcc, 0, v5
	v_cndmask_b32_e32 v29, v29, v30, vcc
	v_cndmask_b32_e64 v30, 0, v24, s[2:3]
	v_cmp_eq_f32_e64 s[2:3], 0, v6
	v_cndmask_b32_e64 v29, v29, v30, s[2:3]
	v_cmp_class_f32_e64 s[2:3], v5, s42
	v_cndmask_b32_e32 v30, v25, v26, vcc
	s_and_b64 vcc, s[2:3], s[26:27]
	v_mul_f32_e32 v28, 0.5, v28
	v_cndmask_b32_e32 v29, v29, v30, vcc
.LBB192_18:                             ;   in Loop: Header=BB192_5 Depth=1
	s_or_b64 exec, exec, s[24:25]
.LBB192_19:                             ;   in Loop: Header=BB192_5 Depth=1
	s_or_b64 exec, exec, s[22:23]
.LBB192_20:                             ;   in Loop: Header=BB192_5 Depth=1
	s_andn2_saveexec_b64 s[20:21], s[20:21]
	s_cbranch_execz .LBB192_22
; %bb.21:                               ;   in Loop: Header=BB192_5 Depth=1
	v_max_f32_e64 v30, |v6|, |v6|
	v_max_f32_e64 v31, |v5|, |v5|
	v_max_f32_e32 v32, v31, v30
	v_cvt_f64_f32_e32 v[28:29], v32
	v_cmp_neq_f32_e32 vcc, s40, v32
	v_cmp_gt_i32_e64 s[2:3], 0, v5
	v_cmp_class_f32_e64 s[22:23], v6, s42
	v_frexp_exp_i32_f64_e32 v28, v[28:29]
	v_min_f32_e32 v29, v31, v30
	v_frexp_mant_f32_e32 v31, v32
	v_rcp_f32_e32 v31, v31
	v_frexp_exp_i32_f32_e32 v33, v29
	v_frexp_mant_f32_e32 v29, v29
	v_frexp_exp_i32_f32_e32 v30, v32
	v_mul_f32_e32 v29, v29, v31
	v_sub_u32_e32 v34, 0, v28
	v_ldexp_f32 v35, |v5|, v34
	v_ldexp_f32 v34, |v6|, v34
	v_mul_f32_e32 v34, v34, v34
	v_fmac_f32_e32 v34, v35, v35
	v_sqrt_f32_e32 v34, v34
	v_sub_u32_e32 v30, v33, v30
	v_ldexp_f32 v29, v29, v30
	v_mul_f32_e32 v30, v29, v29
	v_ldexp_f32 v28, v34, v28
	v_cndmask_b32_e32 v28, v21, v28, vcc
	v_cmp_gt_f32_e32 vcc, s44, v28
	v_cndmask_b32_e64 v31, 0, 32, vcc
	v_ldexp_f32 v28, v28, v31
	v_log_f32_e32 v28, v28
	v_cndmask_b32_e32 v31, 0, v27, vcc
	v_mul_f32_e32 v32, 0x3f317217, v28
	v_fma_f32 v32, v28, s45, -v32
	v_fmac_f32_e32 v32, 0x3377d1cf, v28
	v_fmac_f32_e32 v32, 0x3f317217, v28
	v_cmp_lt_f32_e64 vcc, |v28|, s40
	v_cndmask_b32_e32 v28, v28, v32, vcc
	v_sub_f32_e32 v28, v28, v31
	v_mov_b32_e32 v31, 0xbc7a590c
	v_fmac_f32_e32 v31, 0x3b2d2a58, v30
	v_fma_f32 v31, v30, v31, v15
	v_fma_f32 v31, v30, v31, v16
	;; [unrolled: 1-line block ×6, first 2 shown]
	v_mul_f32_e32 v30, v30, v31
	v_fmac_f32_e32 v29, v29, v30
	v_sub_f32_e32 v30, 0x3fc90fdb, v29
	v_cndmask_b32_e64 v29, v29, v30, s[0:1]
	v_sub_f32_e32 v30, 0x40490fdb, v29
	v_cmp_gt_f32_e32 vcc, 0, v5
	v_cndmask_b32_e32 v29, v29, v30, vcc
	v_cndmask_b32_e64 v30, 0, v24, s[2:3]
	v_cmp_eq_f32_e64 s[2:3], 0, v6
	v_cndmask_b32_e64 v29, v29, v30, s[2:3]
	v_cmp_class_f32_e64 s[2:3], v5, s42
	v_cndmask_b32_e32 v30, v25, v26, vcc
	s_and_b64 vcc, s[2:3], s[22:23]
	v_cndmask_b32_e32 v29, v29, v30, vcc
.LBB192_22:                             ;   in Loop: Header=BB192_5 Depth=1
	s_or_b64 exec, exec, s[20:21]
                                        ; implicit-def: $vgpr30
.LBB192_23:                             ;   in Loop: Header=BB192_5 Depth=1
	s_andn2_saveexec_b64 s[18:19], s[18:19]
	s_cbranch_execz .LBB192_29
; %bb.24:                               ;   in Loop: Header=BB192_5 Depth=1
	v_cmp_ngt_f32_e32 vcc, s46, v30
                                        ; implicit-def: $vgpr28
                                        ; implicit-def: $vgpr29
	s_and_saveexec_b64 s[2:3], vcc
	s_xor_b64 s[20:21], exec, s[2:3]
	s_cbranch_execz .LBB192_26
; %bb.25:                               ;   in Loop: Header=BB192_5 Depth=1
	v_mul_f32_e32 v30, v30, v30
	v_add_f32_e32 v31, 1.0, v30
	v_cvt_f64_f32_e32 v[28:29], v31
	v_add_f32_e32 v32, -1.0, v31
	v_sub_f32_e32 v33, v32, v31
	v_sub_f32_e32 v32, v30, v32
	v_frexp_exp_i32_f64_e32 v28, v[28:29]
	v_frexp_mant_f32_e32 v29, v31
	v_cmp_gt_f32_e32 vcc, s38, v29
	v_add_f32_e32 v33, 1.0, v33
	v_add_f32_e32 v32, v32, v33
	v_cmp_gt_i32_e64 s[2:3], 0, v5
	v_cmp_class_f32_e64 s[22:23], v6, s42
	v_subbrev_co_u32_e32 v28, vcc, 0, v28, vcc
	v_sub_u32_e32 v29, 0, v28
	v_ldexp_f32 v31, v31, v29
	v_ldexp_f32 v29, v32, v29
	v_add_f32_e32 v32, -1.0, v31
	v_add_f32_e32 v33, 1.0, v31
	v_add_f32_e32 v34, 1.0, v32
	v_add_f32_e32 v36, -1.0, v33
	v_sub_f32_e32 v34, v31, v34
	v_sub_f32_e32 v31, v31, v36
	v_add_f32_e32 v34, v29, v34
	v_add_f32_e32 v29, v29, v31
	;; [unrolled: 1-line block ×3, first 2 shown]
	v_rcp_f32_e32 v36, v31
	v_add_f32_e32 v35, v32, v34
	v_sub_f32_e32 v33, v33, v31
	v_sub_f32_e32 v32, v32, v35
	v_add_f32_e32 v29, v29, v33
	v_mul_f32_e32 v33, v35, v36
	v_add_f32_e32 v32, v34, v32
	v_mul_f32_e32 v34, v31, v33
	v_fma_f32 v37, v33, v31, -v34
	v_fmac_f32_e32 v37, v33, v29
	v_add_f32_e32 v38, v34, v37
	v_sub_f32_e32 v39, v35, v38
	v_sub_f32_e32 v35, v35, v39
	;; [unrolled: 1-line block ×4, first 2 shown]
	v_add_f32_e32 v32, v32, v35
	v_sub_f32_e32 v34, v34, v37
	v_add_f32_e32 v32, v34, v32
	v_add_f32_e32 v34, v39, v32
	v_mul_f32_e32 v35, v36, v34
	v_mul_f32_e32 v37, v31, v35
	v_fma_f32 v31, v35, v31, -v37
	v_fmac_f32_e32 v31, v35, v29
	v_sub_f32_e32 v29, v39, v34
	v_add_f32_e32 v29, v32, v29
	v_add_f32_e32 v32, v37, v31
	v_sub_f32_e32 v38, v34, v32
	v_sub_f32_e32 v34, v34, v38
	;; [unrolled: 1-line block ×4, first 2 shown]
	v_add_f32_e32 v29, v29, v32
	v_sub_f32_e32 v31, v37, v31
	v_cvt_f32_i32_e32 v28, v28
	v_add_f32_e32 v29, v31, v29
	v_add_f32_e32 v31, v33, v35
	;; [unrolled: 1-line block ×3, first 2 shown]
	v_sub_f32_e32 v32, v31, v33
	v_mul_f32_e32 v29, v36, v29
	v_sub_f32_e32 v32, v35, v32
	v_add_f32_e32 v29, v32, v29
	v_mul_f32_e32 v35, 0x3f317218, v28
	v_add_f32_e32 v32, v31, v29
	v_fma_f32 v36, v28, s39, -v35
	v_mul_f32_e32 v33, v32, v32
	v_mov_b32_e32 v34, 0x3ecc95a3
	v_fmac_f32_e32 v36, 0xb102e308, v28
	v_sub_f32_e32 v28, v32, v31
	v_fmac_f32_e32 v34, 0x3e9b6dac, v33
	v_sub_f32_e32 v28, v29, v28
	v_add_f32_e32 v29, v35, v36
	v_fma_f32 v34, v33, v34, v14
	v_sub_f32_e32 v31, v29, v35
	v_ldexp_f32 v35, v32, 1
	v_mul_f32_e32 v32, v32, v33
	v_mul_f32_e32 v32, v32, v34
	v_add_f32_e32 v33, v35, v32
	v_sub_f32_e32 v34, v33, v35
	v_ldexp_f32 v28, v28, 1
	v_sub_f32_e32 v32, v32, v34
	v_add_f32_e32 v28, v28, v32
	v_add_f32_e32 v32, v33, v28
	v_sub_f32_e32 v33, v32, v33
	v_sub_f32_e32 v28, v28, v33
	v_add_f32_e32 v33, v29, v32
	v_sub_f32_e32 v34, v33, v29
	v_sub_f32_e32 v35, v33, v34
	;; [unrolled: 1-line block ×5, first 2 shown]
	v_add_f32_e32 v29, v32, v29
	v_add_f32_e32 v32, v31, v28
	v_sub_f32_e32 v34, v32, v31
	v_sub_f32_e32 v35, v32, v34
	;; [unrolled: 1-line block ×4, first 2 shown]
	v_add_f32_e32 v29, v32, v29
	v_add_f32_e32 v28, v28, v31
	;; [unrolled: 1-line block ×3, first 2 shown]
	v_sub_f32_e32 v32, v31, v33
	v_sub_f32_e32 v29, v29, v32
	v_add_f32_e32 v28, v28, v29
	v_add_f32_e32 v28, v31, v28
	v_cmp_neq_f32_e32 vcc, s40, v30
	v_cndmask_b32_e32 v28, v21, v28, vcc
	v_cmp_lt_f32_e64 vcc, |v30|, s41
	v_cndmask_b32_e32 v28, v28, v30, vcc
	v_max_f32_e64 v29, |v6|, |v6|
	v_max_f32_e64 v30, |v5|, |v5|
	v_min_f32_e32 v31, v30, v29
	v_max_f32_e32 v29, v30, v29
	v_frexp_mant_f32_e32 v30, v29
	v_rcp_f32_e32 v30, v30
	v_frexp_exp_i32_f32_e32 v29, v29
	v_frexp_exp_i32_f32_e32 v32, v31
	v_frexp_mant_f32_e32 v31, v31
	v_mul_f32_e32 v30, v31, v30
	v_sub_u32_e32 v29, v32, v29
	v_ldexp_f32 v29, v30, v29
	v_mul_f32_e32 v30, v29, v29
	v_mov_b32_e32 v31, 0xbc7a590c
	v_fmac_f32_e32 v31, 0x3b2d2a58, v30
	v_fma_f32 v31, v30, v31, v15
	v_fma_f32 v31, v30, v31, v16
	;; [unrolled: 1-line block ×6, first 2 shown]
	v_mul_f32_e32 v30, v30, v31
	v_fmac_f32_e32 v29, v29, v30
	v_sub_f32_e32 v30, 0x3fc90fdb, v29
	v_cndmask_b32_e64 v29, v29, v30, s[0:1]
	v_sub_f32_e32 v30, 0x40490fdb, v29
	v_cmp_gt_f32_e32 vcc, 0, v5
	v_cndmask_b32_e32 v29, v29, v30, vcc
	v_cndmask_b32_e64 v30, 0, v24, s[2:3]
	v_cmp_eq_f32_e64 s[2:3], 0, v6
	v_cndmask_b32_e64 v29, v29, v30, s[2:3]
	v_cmp_class_f32_e64 s[2:3], v5, s42
	v_cndmask_b32_e32 v30, v25, v26, vcc
	s_and_b64 vcc, s[2:3], s[22:23]
	v_mul_f32_e32 v28, 0.5, v28
	v_cndmask_b32_e32 v29, v29, v30, vcc
                                        ; implicit-def: $vgpr30
.LBB192_26:                             ;   in Loop: Header=BB192_5 Depth=1
	s_andn2_saveexec_b64 s[20:21], s[20:21]
	s_cbranch_execz .LBB192_28
; %bb.27:                               ;   in Loop: Header=BB192_5 Depth=1
	v_mul_f32_e32 v28, 0.5, v30
	v_mul_f32_e32 v28, v30, v28
	v_max_f32_e64 v29, |v6|, |v6|
	v_max_f32_e64 v30, |v5|, |v5|
	v_min_f32_e32 v31, v30, v29
	v_max_f32_e32 v29, v30, v29
	v_frexp_mant_f32_e32 v30, v29
	v_rcp_f32_e32 v30, v30
	v_frexp_exp_i32_f32_e32 v29, v29
	v_frexp_exp_i32_f32_e32 v32, v31
	v_frexp_mant_f32_e32 v31, v31
	v_mul_f32_e32 v30, v31, v30
	v_sub_u32_e32 v29, v32, v29
	v_ldexp_f32 v29, v30, v29
	v_mul_f32_e32 v30, v29, v29
	v_mov_b32_e32 v31, 0xbc7a590c
	v_fmac_f32_e32 v31, 0x3b2d2a58, v30
	v_fma_f32 v31, v30, v31, v15
	v_fma_f32 v31, v30, v31, v16
	;; [unrolled: 1-line block ×6, first 2 shown]
	v_mul_f32_e32 v30, v30, v31
	v_fmac_f32_e32 v29, v29, v30
	v_sub_f32_e32 v30, 0x3fc90fdb, v29
	v_cndmask_b32_e64 v29, v29, v30, s[0:1]
	v_sub_f32_e32 v30, 0x40490fdb, v29
	v_cmp_gt_f32_e32 vcc, 0, v5
	v_cmp_gt_i32_e64 s[2:3], 0, v5
	v_cndmask_b32_e32 v29, v29, v30, vcc
	v_cndmask_b32_e64 v30, 0, v24, s[2:3]
	v_cmp_eq_f32_e64 s[2:3], 0, v6
	v_cndmask_b32_e64 v29, v29, v30, s[2:3]
	v_cmp_class_f32_e64 s[2:3], v5, s42
	v_cmp_class_f32_e64 s[22:23], v6, s42
	v_cndmask_b32_e32 v30, v25, v26, vcc
	s_and_b64 vcc, s[2:3], s[22:23]
	v_cndmask_b32_e32 v29, v29, v30, vcc
.LBB192_28:                             ;   in Loop: Header=BB192_5 Depth=1
	s_or_b64 exec, exec, s[20:21]
.LBB192_29:                             ;   in Loop: Header=BB192_5 Depth=1
	s_or_b64 exec, exec, s[18:19]
.LBB192_30:                             ;   in Loop: Header=BB192_5 Depth=1
	s_andn2_saveexec_b64 s[16:17], s[16:17]
	s_cbranch_execz .LBB192_32
; %bb.31:                               ;   in Loop: Header=BB192_5 Depth=1
	v_div_scale_f32 v28, s[2:3], s47, s47, v5
	v_div_scale_f32 v29, s[2:3], s47, s47, v6
	v_div_scale_f32 v30, vcc, v5, s47, v5
	v_div_scale_f32 v31, s[2:3], v6, s47, v6
	v_rcp_f32_e32 v32, v28
	v_rcp_f32_e32 v33, v29
	v_fma_f32 v34, -v28, v32, 1.0
	v_fmac_f32_e32 v32, v34, v32
	v_fma_f32 v35, -v29, v33, 1.0
	v_fmac_f32_e32 v33, v35, v33
	v_mul_f32_e32 v34, v30, v32
	v_mul_f32_e32 v35, v31, v33
	v_fma_f32 v36, -v28, v34, v30
	v_fma_f32 v37, -v29, v35, v31
	v_fmac_f32_e32 v34, v36, v32
	v_fmac_f32_e32 v35, v37, v33
	v_fma_f32 v28, -v28, v34, v30
	v_fma_f32 v29, -v29, v35, v31
	v_div_fmas_f32 v28, v28, v32, v34
	s_mov_b64 vcc, s[2:3]
	v_div_fmas_f32 v29, v29, v33, v35
	v_max_f32_e64 v30, |v6|, |v6|
	v_max_f32_e64 v31, |v5|, |v5|
	v_min_f32_e32 v33, v31, v30
	v_max_f32_e32 v30, v31, v30
	v_frexp_exp_i32_f32_e32 v31, v30
	v_frexp_exp_i32_f32_e32 v34, v33
	v_sub_u32_e32 v31, v34, v31
	v_frexp_mant_f32_e32 v30, v30
	v_rcp_f32_e32 v30, v30
	v_frexp_mant_f32_e32 v33, v33
	v_mov_b32_e32 v32, 0xbc7a590c
	v_cmp_class_f32_e64 s[2:3], v6, s42
	v_mul_f32_e32 v30, v33, v30
	v_div_fixup_f32 v34, v28, s47, v5
	v_ldexp_f32 v30, v30, v31
	v_div_fixup_f32 v35, v29, s47, v6
	v_max_f32_e64 v36, |v34|, |v35|
	v_cvt_f64_f32_e32 v[28:29], v36
	v_mul_f32_e32 v31, v30, v30
	v_fmac_f32_e32 v32, 0x3b2d2a58, v31
	v_cmp_neq_f32_e32 vcc, s40, v36
	v_frexp_exp_i32_f64_e32 v28, v[28:29]
	v_fma_f32 v29, v31, v32, v15
	v_fma_f32 v29, v31, v29, v16
	;; [unrolled: 1-line block ×6, first 2 shown]
	v_mul_f32_e32 v29, v31, v29
	v_sub_u32_e32 v32, 0, v28
	v_ldexp_f32 v33, |v34|, v32
	v_ldexp_f32 v32, |v35|, v32
	v_mul_f32_e32 v32, v32, v32
	v_fmac_f32_e32 v32, v33, v33
	v_sqrt_f32_e32 v32, v32
	v_fmac_f32_e32 v30, v30, v29
	v_sub_f32_e32 v29, 0x3fc90fdb, v30
	v_cndmask_b32_e64 v29, v30, v29, s[0:1]
	v_ldexp_f32 v28, v32, v28
	v_cndmask_b32_e32 v28, v21, v28, vcc
	v_cmp_gt_f32_e32 vcc, s44, v28
	v_cndmask_b32_e64 v31, 0, 32, vcc
	v_ldexp_f32 v28, v28, v31
	v_log_f32_e32 v28, v28
	v_cndmask_b32_e32 v31, 0, v27, vcc
	v_sub_f32_e32 v30, 0x40490fdb, v29
	v_cmp_gt_i32_e64 s[0:1], 0, v5
	v_mul_f32_e32 v32, 0x3f317217, v28
	v_fma_f32 v32, v28, s45, -v32
	v_fmac_f32_e32 v32, 0x3377d1cf, v28
	v_fmac_f32_e32 v32, 0x3f317217, v28
	v_cmp_lt_f32_e64 vcc, |v28|, s40
	v_cndmask_b32_e32 v28, v28, v32, vcc
	v_cmp_gt_f32_e32 vcc, 0, v5
	v_cndmask_b32_e32 v29, v29, v30, vcc
	v_cndmask_b32_e64 v30, 0, v24, s[0:1]
	v_cmp_eq_f32_e64 s[0:1], 0, v6
	v_cndmask_b32_e64 v29, v29, v30, s[0:1]
	v_cmp_class_f32_e64 s[0:1], v5, s42
	v_sub_f32_e32 v28, v28, v31
	v_cndmask_b32_e32 v30, v25, v26, vcc
	s_and_b64 vcc, s[0:1], s[2:3]
	v_add_f32_e32 v28, 1.0, v28
	v_cndmask_b32_e32 v29, v29, v30, vcc
.LBB192_32:                             ;   in Loop: Header=BB192_5 Depth=1
	s_or_b64 exec, exec, s[16:17]
.LBB192_33:                             ;   in Loop: Header=BB192_5 Depth=1
	s_andn2_saveexec_b64 s[0:1], s[14:15]
	s_cbranch_execz .LBB192_39
; %bb.34:                               ;   in Loop: Header=BB192_5 Depth=1
	v_cmp_nlt_f32_e64 s[2:3], |v5|, s48
	v_cmp_nlt_f32_e64 s[14:15], |v6|, s48
	s_or_b64 s[2:3], s[2:3], s[14:15]
                                        ; implicit-def: $vgpr28
	s_and_saveexec_b64 s[14:15], s[2:3]
	s_xor_b64 s[2:3], exec, s[14:15]
; %bb.35:                               ;   in Loop: Header=BB192_5 Depth=1
	v_mul_f32_e32 v28, v6, v6
	v_fmac_f32_e32 v28, v5, v5
; %bb.36:                               ;   in Loop: Header=BB192_5 Depth=1
	s_andn2_saveexec_b64 s[2:3], s[2:3]
; %bb.37:                               ;   in Loop: Header=BB192_5 Depth=1
	v_mul_f32_e32 v28, 4.0, v6
	v_mul_f32_e32 v5, 4.0, v5
	v_mul_f32_e32 v28, v28, v28
	v_fmac_f32_e32 v28, v5, v5
	v_mul_f32_e32 v28, 0x3d800000, v28
; %bb.38:                               ;   in Loop: Header=BB192_5 Depth=1
	s_or_b64 exec, exec, s[2:3]
	v_cmp_gt_f32_e32 vcc, s44, v28
	v_cndmask_b32_e64 v5, 0, 32, vcc
	v_ldexp_f32 v5, v28, v5
	v_log_f32_e32 v5, v5
	v_cndmask_b32_e32 v28, 0, v27, vcc
	v_mul_f32_e32 v29, 0x3f317217, v5
	v_fma_f32 v29, v5, s45, -v29
	v_fmac_f32_e32 v29, 0x3377d1cf, v5
	v_fmac_f32_e32 v29, 0x3f317217, v5
	v_cmp_lt_f32_e64 vcc, |v5|, s40
	v_cndmask_b32_e32 v5, v5, v29, vcc
	v_sub_f32_e32 v28, v5, v28
	v_mov_b32_e32 v29, 0x7fc00000
.LBB192_39:                             ;   in Loop: Header=BB192_5 Depth=1
	s_or_b64 exec, exec, s[0:1]
	v_cmp_o_f32_e32 vcc, v8, v7
                                        ; implicit-def: $vgpr5
                                        ; implicit-def: $vgpr30
	s_and_saveexec_b64 s[0:1], vcc
	s_xor_b64 s[14:15], exec, s[0:1]
	s_cbranch_execz .LBB192_67
; %bb.40:                               ;   in Loop: Header=BB192_5 Depth=1
	v_cmp_lt_f32_e64 s[0:1], |v7|, |v8|
	v_cndmask_b32_e64 v31, |v8|, |v7|, s[0:1]
	v_cmp_nlt_f32_e32 vcc, s30, v31
                                        ; implicit-def: $vgpr5
                                        ; implicit-def: $vgpr30
	s_and_saveexec_b64 s[2:3], vcc
	s_xor_b64 s[16:17], exec, s[2:3]
	s_cbranch_execz .LBB192_64
; %bb.41:                               ;   in Loop: Header=BB192_5 Depth=1
	v_and_b32_e32 v5, 0x7fffffff, v8
	v_cndmask_b32_e64 v32, |v7|, v5, s[0:1]
	v_cmp_neq_f32_e32 vcc, 1.0, v32
                                        ; implicit-def: $vgpr5
                                        ; implicit-def: $vgpr30
	s_and_saveexec_b64 s[2:3], vcc
	s_xor_b64 s[18:19], exec, s[2:3]
	s_cbranch_execz .LBB192_57
; %bb.42:                               ;   in Loop: Header=BB192_5 Depth=1
	v_max_f32_e32 v5, v31, v31
	v_max_f32_e32 v30, v32, v32
	v_min_f32_e32 v33, v30, v5
	v_max_f32_e32 v5, v30, v5
	v_cmp_ngt_f32_e32 vcc, s31, v33
	v_cmp_nlt_f32_e64 s[2:3], s37, v5
	s_and_b64 s[2:3], s[2:3], vcc
                                        ; implicit-def: $vgpr5
                                        ; implicit-def: $vgpr30
	s_and_saveexec_b64 s[20:21], s[2:3]
	s_xor_b64 s[20:21], exec, s[20:21]
	s_cbranch_execz .LBB192_54
; %bb.43:                               ;   in Loop: Header=BB192_5 Depth=1
	v_cmp_le_f32_e32 vcc, 1.0, v32
                                        ; implicit-def: $vgpr5
                                        ; implicit-def: $vgpr30
	s_and_saveexec_b64 s[2:3], vcc
	s_xor_b64 s[22:23], exec, s[2:3]
	s_cbranch_execz .LBB192_45
; %bb.44:                               ;   in Loop: Header=BB192_5 Depth=1
	v_add_f32_e32 v5, -1.0, v32
	v_add_f32_e32 v30, 1.0, v32
	v_mul_f32_e32 v5, v5, v30
	v_fmac_f32_e32 v5, v31, v31
	v_add_f32_e32 v32, 1.0, v5
	v_cvt_f64_f32_e32 v[30:31], v32
	v_add_f32_e32 v33, -1.0, v32
	v_sub_f32_e32 v34, v33, v32
	v_sub_f32_e32 v33, v5, v33
	v_frexp_exp_i32_f64_e32 v30, v[30:31]
	v_frexp_mant_f32_e32 v31, v32
	v_cmp_gt_f32_e32 vcc, s38, v31
	v_add_f32_e32 v34, 1.0, v34
	v_add_f32_e32 v33, v33, v34
	v_cmp_gt_i32_e64 s[2:3], 0, v7
	v_cmp_class_f32_e64 s[24:25], v8, s42
	v_subbrev_co_u32_e32 v30, vcc, 0, v30, vcc
	v_sub_u32_e32 v31, 0, v30
	v_ldexp_f32 v32, v32, v31
	v_ldexp_f32 v31, v33, v31
	v_add_f32_e32 v33, -1.0, v32
	v_add_f32_e32 v36, 1.0, v32
	v_add_f32_e32 v34, 1.0, v33
	v_add_f32_e32 v37, -1.0, v36
	v_sub_f32_e32 v34, v32, v34
	v_sub_f32_e32 v32, v32, v37
	v_add_f32_e32 v34, v31, v34
	v_add_f32_e32 v31, v31, v32
	;; [unrolled: 1-line block ×3, first 2 shown]
	v_rcp_f32_e32 v37, v32
	v_add_f32_e32 v35, v33, v34
	v_sub_f32_e32 v33, v35, v33
	v_sub_f32_e32 v33, v34, v33
	;; [unrolled: 1-line block ×4, first 2 shown]
	v_mul_f32_e32 v34, v35, v37
	v_mul_f32_e32 v36, v32, v34
	v_fma_f32 v38, v34, v32, -v36
	v_fmac_f32_e32 v38, v34, v31
	v_add_f32_e32 v39, v36, v38
	v_sub_f32_e32 v40, v35, v39
	v_sub_f32_e32 v35, v35, v40
	;; [unrolled: 1-line block ×4, first 2 shown]
	v_add_f32_e32 v33, v33, v35
	v_sub_f32_e32 v35, v36, v38
	v_add_f32_e32 v33, v35, v33
	v_add_f32_e32 v35, v40, v33
	v_mul_f32_e32 v36, v37, v35
	v_mul_f32_e32 v38, v32, v36
	v_fma_f32 v32, v36, v32, -v38
	v_fmac_f32_e32 v32, v36, v31
	v_sub_f32_e32 v31, v40, v35
	v_add_f32_e32 v31, v33, v31
	v_add_f32_e32 v33, v38, v32
	v_sub_f32_e32 v39, v35, v33
	v_sub_f32_e32 v35, v35, v39
	;; [unrolled: 1-line block ×4, first 2 shown]
	v_add_f32_e32 v31, v31, v33
	v_sub_f32_e32 v32, v38, v32
	v_cvt_f32_i32_e32 v30, v30
	v_add_f32_e32 v31, v32, v31
	v_add_f32_e32 v32, v34, v36
	;; [unrolled: 1-line block ×3, first 2 shown]
	v_sub_f32_e32 v33, v32, v34
	v_mul_f32_e32 v31, v37, v31
	v_sub_f32_e32 v33, v36, v33
	v_add_f32_e32 v31, v33, v31
	v_mul_f32_e32 v36, 0x3f317218, v30
	v_add_f32_e32 v33, v32, v31
	v_fma_f32 v37, v30, s39, -v36
	v_mul_f32_e32 v34, v33, v33
	v_mov_b32_e32 v35, 0x3ecc95a3
	v_fmac_f32_e32 v37, 0xb102e308, v30
	v_sub_f32_e32 v30, v33, v32
	v_fmac_f32_e32 v35, 0x3e9b6dac, v34
	v_sub_f32_e32 v30, v31, v30
	v_add_f32_e32 v31, v36, v37
	v_fma_f32 v35, v34, v35, v14
	v_sub_f32_e32 v32, v31, v36
	v_ldexp_f32 v36, v33, 1
	v_mul_f32_e32 v33, v33, v34
	v_mul_f32_e32 v33, v33, v35
	v_add_f32_e32 v34, v36, v33
	v_sub_f32_e32 v35, v34, v36
	v_ldexp_f32 v30, v30, 1
	v_sub_f32_e32 v33, v33, v35
	v_add_f32_e32 v30, v30, v33
	v_add_f32_e32 v33, v34, v30
	v_sub_f32_e32 v34, v33, v34
	v_sub_f32_e32 v30, v30, v34
	v_add_f32_e32 v34, v31, v33
	v_sub_f32_e32 v35, v34, v31
	v_sub_f32_e32 v36, v34, v35
	;; [unrolled: 1-line block ×5, first 2 shown]
	v_add_f32_e32 v31, v33, v31
	v_add_f32_e32 v33, v32, v30
	v_sub_f32_e32 v35, v33, v32
	v_sub_f32_e32 v36, v33, v35
	;; [unrolled: 1-line block ×4, first 2 shown]
	v_add_f32_e32 v31, v33, v31
	v_add_f32_e32 v30, v30, v32
	;; [unrolled: 1-line block ×3, first 2 shown]
	v_sub_f32_e32 v33, v32, v34
	v_sub_f32_e32 v31, v31, v33
	v_add_f32_e32 v30, v30, v31
	v_add_f32_e32 v30, v32, v30
	v_cmp_neq_f32_e32 vcc, s40, v5
	v_cndmask_b32_e32 v30, v21, v30, vcc
	v_cmp_ngt_f32_e32 vcc, -1.0, v5
	v_cndmask_b32_e32 v30, v22, v30, vcc
	v_cmp_neq_f32_e32 vcc, -1.0, v5
	v_cndmask_b32_e32 v30, v23, v30, vcc
	v_cmp_lt_f32_e64 vcc, |v5|, s41
	v_cndmask_b32_e32 v5, v30, v5, vcc
	v_max_f32_e64 v30, |v8|, |v8|
	v_max_f32_e64 v31, |v7|, |v7|
	v_min_f32_e32 v32, v31, v30
	v_max_f32_e32 v30, v31, v30
	v_frexp_mant_f32_e32 v31, v30
	v_rcp_f32_e32 v31, v31
	v_frexp_exp_i32_f32_e32 v30, v30
	v_frexp_exp_i32_f32_e32 v33, v32
	v_frexp_mant_f32_e32 v32, v32
	v_mul_f32_e32 v31, v32, v31
	v_sub_u32_e32 v30, v33, v30
	v_ldexp_f32 v30, v31, v30
	v_mul_f32_e32 v31, v30, v30
	v_mov_b32_e32 v32, 0xbc7a590c
	v_fmac_f32_e32 v32, 0x3b2d2a58, v31
	v_fma_f32 v32, v31, v32, v15
	v_fma_f32 v32, v31, v32, v16
	;; [unrolled: 1-line block ×6, first 2 shown]
	v_mul_f32_e32 v31, v31, v32
	v_fmac_f32_e32 v30, v30, v31
	v_sub_f32_e32 v31, 0x3fc90fdb, v30
	v_cndmask_b32_e64 v30, v30, v31, s[0:1]
	v_sub_f32_e32 v31, 0x40490fdb, v30
	v_cmp_gt_f32_e32 vcc, 0, v7
	v_cndmask_b32_e32 v30, v30, v31, vcc
	v_cndmask_b32_e64 v31, 0, v24, s[2:3]
	v_cmp_eq_f32_e64 s[2:3], 0, v8
	v_cndmask_b32_e64 v30, v30, v31, s[2:3]
	v_cmp_class_f32_e64 s[2:3], v7, s42
	v_cndmask_b32_e32 v31, v25, v26, vcc
	s_and_b64 vcc, s[2:3], s[24:25]
	v_mul_f32_e32 v5, 0.5, v5
	v_cndmask_b32_e32 v30, v30, v31, vcc
                                        ; implicit-def: $vgpr31
                                        ; implicit-def: $vgpr32
.LBB192_45:                             ;   in Loop: Header=BB192_5 Depth=1
	s_andn2_saveexec_b64 s[22:23], s[22:23]
	s_cbranch_execz .LBB192_53
; %bb.46:                               ;   in Loop: Header=BB192_5 Depth=1
	v_mul_f32_e32 v33, v31, v31
	v_fmac_f32_e32 v33, v32, v32
	v_cmp_ge_f32_e32 vcc, s43, v33
                                        ; implicit-def: $vgpr5
                                        ; implicit-def: $vgpr30
	s_and_saveexec_b64 s[2:3], vcc
	s_xor_b64 s[24:25], exec, s[2:3]
	s_cbranch_execz .LBB192_48
; %bb.47:                               ;   in Loop: Header=BB192_5 Depth=1
	v_cmp_gt_f32_e32 vcc, s44, v33
	v_cndmask_b32_e64 v5, 0, 32, vcc
	v_ldexp_f32 v5, v33, v5
	v_log_f32_e32 v5, v5
	v_cndmask_b32_e32 v30, 0, v27, vcc
	v_cmp_gt_i32_e64 s[2:3], 0, v7
	v_cmp_class_f32_e64 s[26:27], v8, s42
	v_mul_f32_e32 v31, 0x3f317217, v5
	v_fma_f32 v31, v5, s45, -v31
	v_fmac_f32_e32 v31, 0x3377d1cf, v5
	v_fmac_f32_e32 v31, 0x3f317217, v5
	v_cmp_lt_f32_e64 vcc, |v5|, s40
	v_cndmask_b32_e32 v5, v5, v31, vcc
	v_sub_f32_e32 v5, v5, v30
	v_max_f32_e64 v30, |v8|, |v8|
	v_max_f32_e64 v31, |v7|, |v7|
	v_min_f32_e32 v32, v31, v30
	v_max_f32_e32 v30, v31, v30
	v_frexp_mant_f32_e32 v31, v30
	v_rcp_f32_e32 v31, v31
	v_frexp_exp_i32_f32_e32 v30, v30
	v_frexp_exp_i32_f32_e32 v33, v32
	v_frexp_mant_f32_e32 v32, v32
	v_mul_f32_e32 v31, v32, v31
	v_sub_u32_e32 v30, v33, v30
	v_ldexp_f32 v30, v31, v30
	v_mul_f32_e32 v31, v30, v30
	v_mov_b32_e32 v32, 0xbc7a590c
	v_fmac_f32_e32 v32, 0x3b2d2a58, v31
	v_fma_f32 v32, v31, v32, v15
	v_fma_f32 v32, v31, v32, v16
	;; [unrolled: 1-line block ×6, first 2 shown]
	v_mul_f32_e32 v31, v31, v32
	v_fmac_f32_e32 v30, v30, v31
	v_sub_f32_e32 v31, 0x3fc90fdb, v30
	v_cndmask_b32_e64 v30, v30, v31, s[0:1]
	v_sub_f32_e32 v31, 0x40490fdb, v30
	v_cmp_gt_f32_e32 vcc, 0, v7
	v_cndmask_b32_e32 v30, v30, v31, vcc
	v_cndmask_b32_e64 v31, 0, v24, s[2:3]
	v_cmp_eq_f32_e64 s[2:3], 0, v8
	v_cndmask_b32_e64 v30, v30, v31, s[2:3]
	v_cmp_class_f32_e64 s[2:3], v7, s42
	v_cndmask_b32_e32 v31, v25, v26, vcc
	s_and_b64 vcc, s[2:3], s[26:27]
	v_mul_f32_e32 v5, 0.5, v5
	v_cndmask_b32_e32 v30, v30, v31, vcc
                                        ; implicit-def: $vgpr32
                                        ; implicit-def: $vgpr31
.LBB192_48:                             ;   in Loop: Header=BB192_5 Depth=1
	s_andn2_saveexec_b64 s[24:25], s[24:25]
	s_cbranch_execz .LBB192_52
; %bb.49:                               ;   in Loop: Header=BB192_5 Depth=1
	v_and_b32_e32 v33, 0x7fff0000, v32
	v_sub_f32_e32 v5, v32, v33
	v_and_b32_e32 v37, 0xffff0000, v5
	v_and_b32_e32 v32, 0x7fff0000, v31
	v_sub_f32_e32 v39, v5, v37
	v_sub_f32_e32 v5, v31, v32
	v_and_b32_e32 v38, 0xffff0000, v5
	v_add_f32_e32 v34, v33, v33
	v_add_f32_e32 v41, v32, v32
	v_sub_f32_e32 v40, v5, v38
	v_mul_f32_e32 v5, v33, v33
	v_mul_f32_e32 v30, v32, v32
	;; [unrolled: 1-line block ×6, first 2 shown]
	v_add_f32_e32 v37, v37, v37
	v_add_f32_e32 v38, v38, v38
	v_mul_f32_e32 v35, v34, v39
	v_mul_f32_e32 v34, v41, v40
	;; [unrolled: 1-line block ×6, first 2 shown]
	s_mov_b64 s[26:27], 0
.LBB192_50:                             ;   Parent Loop BB192_5 Depth=1
                                        ; =>  This Inner Loop Header: Depth=2
	v_cmp_nlt_f32_e32 vcc, v5, v30
	v_mov_b32_e32 v41, v40
	v_cndmask_b32_e32 v40, v5, v30, vcc
	v_cmp_nlt_f32_e64 s[2:3], v40, v33
	v_cndmask_b32_e64 v42, v40, v33, s[2:3]
	v_cndmask_b32_e32 v5, v30, v5, vcc
	s_and_b64 s[50:51], vcc, s[2:3]
	v_cmp_nlt_f32_e32 vcc, v42, v32
	v_cndmask_b32_e64 v30, v33, v40, s[2:3]
	v_cndmask_b32_e32 v40, v42, v32, vcc
	v_cmp_nlt_f32_e64 s[2:3], v40, v36
	v_cndmask_b32_e32 v33, v32, v42, vcc
	v_cndmask_b32_e64 v42, v40, v36, s[2:3]
	s_and_b64 s[52:53], vcc, s[2:3]
	v_cmp_nlt_f32_e32 vcc, v42, v31
	v_cndmask_b32_e64 v32, v36, v40, s[2:3]
	v_cndmask_b32_e32 v40, v42, v31, vcc
	v_cmp_nlt_f32_e64 s[2:3], v40, v35
	v_cndmask_b32_e32 v36, v31, v42, vcc
	v_cndmask_b32_e64 v42, v40, v35, s[2:3]
	v_cndmask_b32_e64 v31, v35, v40, s[2:3]
	s_and_b64 s[2:3], vcc, s[2:3]
	v_cmp_nlt_f32_e32 vcc, v42, v34
	v_cndmask_b32_e32 v40, v42, v34, vcc
	v_cndmask_b32_e32 v35, v34, v42, vcc
	s_and_b64 s[2:3], s[2:3], vcc
	v_cmp_nlt_f32_e32 vcc, v40, v37
	v_cndmask_b32_e32 v42, v40, v37, vcc
	v_cndmask_b32_e32 v34, v37, v40, vcc
	s_and_b64 s[2:3], s[2:3], vcc
	;; [unrolled: 4-line block ×4, first 2 shown]
	v_cmp_nlt_f32_e32 vcc, v42, v41
	s_and_b64 s[2:3], s[2:3], vcc
	s_and_b64 s[2:3], s[2:3], s[52:53]
	s_and_b64 s[2:3], s[2:3], s[50:51]
	s_and_b64 s[2:3], exec, s[2:3]
	v_cndmask_b32_e32 v40, v42, v41, vcc
	s_or_b64 s[26:27], s[2:3], s[26:27]
	v_cndmask_b32_e32 v39, v41, v42, vcc
	s_andn2_b64 exec, exec, s[26:27]
	s_cbranch_execnz .LBB192_50
; %bb.51:                               ;   in Loop: Header=BB192_5 Depth=1
	s_or_b64 exec, exec, s[26:27]
	v_add_f32_e32 v5, -1.0, v5
	v_add_f32_e32 v5, v5, v30
	v_add_f32_e32 v5, v5, v33
	;; [unrolled: 1-line block ×11, first 2 shown]
	v_add_f32_e32 v32, 1.0, v5
	v_cvt_f64_f32_e32 v[30:31], v32
	v_add_f32_e32 v33, -1.0, v32
	v_sub_f32_e32 v34, v33, v32
	v_sub_f32_e32 v33, v5, v33
	v_frexp_exp_i32_f64_e32 v30, v[30:31]
	v_frexp_mant_f32_e32 v31, v32
	v_cmp_gt_f32_e32 vcc, s38, v31
	v_add_f32_e32 v34, 1.0, v34
	v_add_f32_e32 v33, v33, v34
	v_cmp_gt_i32_e64 s[2:3], 0, v7
	v_cmp_class_f32_e64 s[26:27], v8, s42
	v_subbrev_co_u32_e32 v30, vcc, 0, v30, vcc
	v_sub_u32_e32 v31, 0, v30
	v_ldexp_f32 v32, v32, v31
	v_ldexp_f32 v31, v33, v31
	v_add_f32_e32 v33, -1.0, v32
	v_add_f32_e32 v34, 1.0, v32
	v_add_f32_e32 v35, 1.0, v33
	v_add_f32_e32 v37, -1.0, v34
	v_sub_f32_e32 v35, v32, v35
	v_sub_f32_e32 v32, v32, v37
	v_add_f32_e32 v35, v31, v35
	v_add_f32_e32 v31, v31, v32
	v_add_f32_e32 v32, v34, v31
	v_rcp_f32_e32 v37, v32
	v_add_f32_e32 v36, v33, v35
	v_sub_f32_e32 v34, v32, v34
	v_sub_f32_e32 v33, v36, v33
	;; [unrolled: 1-line block ×3, first 2 shown]
	v_mul_f32_e32 v34, v36, v37
	v_sub_f32_e32 v33, v35, v33
	v_mul_f32_e32 v35, v32, v34
	v_fma_f32 v38, v34, v32, -v35
	v_fmac_f32_e32 v38, v34, v31
	v_add_f32_e32 v39, v35, v38
	v_sub_f32_e32 v40, v36, v39
	v_sub_f32_e32 v36, v36, v40
	v_sub_f32_e32 v35, v39, v35
	v_sub_f32_e32 v36, v36, v39
	v_add_f32_e32 v33, v33, v36
	v_sub_f32_e32 v35, v35, v38
	v_add_f32_e32 v33, v35, v33
	v_add_f32_e32 v35, v40, v33
	v_mul_f32_e32 v36, v37, v35
	v_mul_f32_e32 v38, v32, v36
	v_fma_f32 v32, v36, v32, -v38
	v_fmac_f32_e32 v32, v36, v31
	v_sub_f32_e32 v31, v40, v35
	v_add_f32_e32 v31, v33, v31
	v_add_f32_e32 v33, v38, v32
	v_sub_f32_e32 v39, v35, v33
	v_sub_f32_e32 v35, v35, v39
	;; [unrolled: 1-line block ×4, first 2 shown]
	v_add_f32_e32 v31, v31, v33
	v_sub_f32_e32 v32, v38, v32
	v_cvt_f32_i32_e32 v30, v30
	v_add_f32_e32 v31, v32, v31
	v_add_f32_e32 v32, v34, v36
	;; [unrolled: 1-line block ×3, first 2 shown]
	v_sub_f32_e32 v33, v32, v34
	v_mul_f32_e32 v31, v37, v31
	v_sub_f32_e32 v33, v36, v33
	v_add_f32_e32 v31, v33, v31
	v_mul_f32_e32 v36, 0x3f317218, v30
	v_add_f32_e32 v33, v32, v31
	v_fma_f32 v37, v30, s39, -v36
	v_mul_f32_e32 v34, v33, v33
	v_mov_b32_e32 v35, 0x3ecc95a3
	v_fmac_f32_e32 v37, 0xb102e308, v30
	v_sub_f32_e32 v30, v33, v32
	v_fmac_f32_e32 v35, 0x3e9b6dac, v34
	v_sub_f32_e32 v30, v31, v30
	v_add_f32_e32 v31, v36, v37
	v_fma_f32 v35, v34, v35, v14
	v_sub_f32_e32 v32, v31, v36
	v_ldexp_f32 v36, v33, 1
	v_mul_f32_e32 v33, v33, v34
	v_mul_f32_e32 v33, v33, v35
	v_add_f32_e32 v34, v36, v33
	v_sub_f32_e32 v35, v34, v36
	v_ldexp_f32 v30, v30, 1
	v_sub_f32_e32 v33, v33, v35
	v_add_f32_e32 v30, v30, v33
	v_add_f32_e32 v33, v34, v30
	v_sub_f32_e32 v34, v33, v34
	v_sub_f32_e32 v30, v30, v34
	v_add_f32_e32 v34, v31, v33
	v_sub_f32_e32 v35, v34, v31
	v_sub_f32_e32 v36, v34, v35
	;; [unrolled: 1-line block ×5, first 2 shown]
	v_add_f32_e32 v31, v33, v31
	v_add_f32_e32 v33, v32, v30
	v_sub_f32_e32 v35, v33, v32
	v_sub_f32_e32 v36, v33, v35
	v_sub_f32_e32 v32, v32, v36
	v_sub_f32_e32 v30, v30, v35
	v_add_f32_e32 v31, v33, v31
	v_add_f32_e32 v30, v30, v32
	;; [unrolled: 1-line block ×3, first 2 shown]
	v_sub_f32_e32 v33, v32, v34
	v_sub_f32_e32 v31, v31, v33
	v_add_f32_e32 v30, v30, v31
	v_add_f32_e32 v30, v32, v30
	v_cmp_neq_f32_e32 vcc, s40, v5
	v_cndmask_b32_e32 v30, v21, v30, vcc
	v_cmp_ngt_f32_e32 vcc, -1.0, v5
	v_cndmask_b32_e32 v30, v22, v30, vcc
	v_cmp_neq_f32_e32 vcc, -1.0, v5
	v_cndmask_b32_e32 v30, v23, v30, vcc
	v_cmp_lt_f32_e64 vcc, |v5|, s41
	v_cndmask_b32_e32 v5, v30, v5, vcc
	v_max_f32_e64 v30, |v8|, |v8|
	v_max_f32_e64 v31, |v7|, |v7|
	v_min_f32_e32 v32, v31, v30
	v_max_f32_e32 v30, v31, v30
	v_frexp_mant_f32_e32 v31, v30
	v_rcp_f32_e32 v31, v31
	v_frexp_exp_i32_f32_e32 v30, v30
	v_frexp_exp_i32_f32_e32 v33, v32
	v_frexp_mant_f32_e32 v32, v32
	v_mul_f32_e32 v31, v32, v31
	v_sub_u32_e32 v30, v33, v30
	v_ldexp_f32 v30, v31, v30
	v_mul_f32_e32 v31, v30, v30
	v_mov_b32_e32 v32, 0xbc7a590c
	v_fmac_f32_e32 v32, 0x3b2d2a58, v31
	v_fma_f32 v32, v31, v32, v15
	v_fma_f32 v32, v31, v32, v16
	;; [unrolled: 1-line block ×6, first 2 shown]
	v_mul_f32_e32 v31, v31, v32
	v_fmac_f32_e32 v30, v30, v31
	v_sub_f32_e32 v31, 0x3fc90fdb, v30
	v_cndmask_b32_e64 v30, v30, v31, s[0:1]
	v_sub_f32_e32 v31, 0x40490fdb, v30
	v_cmp_gt_f32_e32 vcc, 0, v7
	v_cndmask_b32_e32 v30, v30, v31, vcc
	v_cndmask_b32_e64 v31, 0, v24, s[2:3]
	v_cmp_eq_f32_e64 s[2:3], 0, v8
	v_cndmask_b32_e64 v30, v30, v31, s[2:3]
	v_cmp_class_f32_e64 s[2:3], v7, s42
	v_cndmask_b32_e32 v31, v25, v26, vcc
	s_and_b64 vcc, s[2:3], s[26:27]
	v_mul_f32_e32 v5, 0.5, v5
	v_cndmask_b32_e32 v30, v30, v31, vcc
.LBB192_52:                             ;   in Loop: Header=BB192_5 Depth=1
	s_or_b64 exec, exec, s[24:25]
.LBB192_53:                             ;   in Loop: Header=BB192_5 Depth=1
	s_or_b64 exec, exec, s[22:23]
.LBB192_54:                             ;   in Loop: Header=BB192_5 Depth=1
	s_andn2_saveexec_b64 s[20:21], s[20:21]
	s_cbranch_execz .LBB192_56
; %bb.55:                               ;   in Loop: Header=BB192_5 Depth=1
	v_max_f32_e64 v5, |v8|, |v8|
	v_max_f32_e64 v32, |v7|, |v7|
	v_max_f32_e32 v33, v32, v5
	v_cvt_f64_f32_e32 v[30:31], v33
	v_min_f32_e32 v5, v32, v5
	v_frexp_mant_f32_e32 v32, v33
	v_rcp_f32_e32 v32, v32
	v_frexp_exp_i32_f64_e32 v30, v[30:31]
	v_cmp_neq_f32_e32 vcc, s40, v33
	v_frexp_exp_i32_f32_e32 v34, v5
	v_frexp_mant_f32_e32 v5, v5
	v_mul_f32_e32 v5, v5, v32
	v_frexp_exp_i32_f32_e32 v31, v33
	v_sub_u32_e32 v31, v34, v31
	v_ldexp_f32 v31, v5, v31
	v_sub_u32_e32 v35, 0, v30
	v_ldexp_f32 v36, |v7|, v35
	v_ldexp_f32 v35, |v8|, v35
	v_mul_f32_e32 v35, v35, v35
	v_fmac_f32_e32 v35, v36, v36
	v_sqrt_f32_e32 v35, v35
	v_cmp_gt_i32_e64 s[2:3], 0, v7
	v_cmp_class_f32_e64 s[22:23], v8, s42
	v_ldexp_f32 v30, v35, v30
	v_cndmask_b32_e32 v30, v21, v30, vcc
	v_cmp_gt_f32_e32 vcc, s44, v30
	v_cndmask_b32_e64 v32, 0, 32, vcc
	v_ldexp_f32 v30, v30, v32
	v_log_f32_e32 v30, v30
	v_cndmask_b32_e32 v5, 0, v27, vcc
	v_mul_f32_e32 v32, v31, v31
	v_mul_f32_e32 v33, 0x3f317217, v30
	v_fma_f32 v33, v30, s45, -v33
	v_fmac_f32_e32 v33, 0x3377d1cf, v30
	v_fmac_f32_e32 v33, 0x3f317217, v30
	v_cmp_lt_f32_e64 vcc, |v30|, s40
	v_cndmask_b32_e32 v30, v30, v33, vcc
	v_sub_f32_e32 v5, v30, v5
	v_mov_b32_e32 v30, 0xbc7a590c
	v_fmac_f32_e32 v30, 0x3b2d2a58, v32
	v_fma_f32 v30, v32, v30, v15
	v_fma_f32 v30, v32, v30, v16
	;; [unrolled: 1-line block ×6, first 2 shown]
	v_mul_f32_e32 v30, v32, v30
	v_fmac_f32_e32 v31, v31, v30
	v_sub_f32_e32 v30, 0x3fc90fdb, v31
	v_cndmask_b32_e64 v30, v31, v30, s[0:1]
	v_sub_f32_e32 v31, 0x40490fdb, v30
	v_cmp_gt_f32_e32 vcc, 0, v7
	v_cndmask_b32_e32 v30, v30, v31, vcc
	v_cndmask_b32_e64 v31, 0, v24, s[2:3]
	v_cmp_eq_f32_e64 s[2:3], 0, v8
	v_cndmask_b32_e64 v30, v30, v31, s[2:3]
	v_cmp_class_f32_e64 s[2:3], v7, s42
	v_cndmask_b32_e32 v31, v25, v26, vcc
	s_and_b64 vcc, s[2:3], s[22:23]
	v_cndmask_b32_e32 v30, v30, v31, vcc
.LBB192_56:                             ;   in Loop: Header=BB192_5 Depth=1
	s_or_b64 exec, exec, s[20:21]
                                        ; implicit-def: $vgpr31
.LBB192_57:                             ;   in Loop: Header=BB192_5 Depth=1
	s_andn2_saveexec_b64 s[18:19], s[18:19]
	s_cbranch_execz .LBB192_63
; %bb.58:                               ;   in Loop: Header=BB192_5 Depth=1
	v_cmp_ngt_f32_e32 vcc, s46, v31
                                        ; implicit-def: $vgpr5
                                        ; implicit-def: $vgpr30
	s_and_saveexec_b64 s[2:3], vcc
	s_xor_b64 s[20:21], exec, s[2:3]
	s_cbranch_execz .LBB192_60
; %bb.59:                               ;   in Loop: Header=BB192_5 Depth=1
	v_mul_f32_e32 v5, v31, v31
	v_add_f32_e32 v32, 1.0, v5
	v_cvt_f64_f32_e32 v[30:31], v32
	v_add_f32_e32 v33, -1.0, v32
	v_sub_f32_e32 v34, v33, v32
	v_sub_f32_e32 v33, v5, v33
	v_frexp_exp_i32_f64_e32 v30, v[30:31]
	v_frexp_mant_f32_e32 v31, v32
	v_cmp_gt_f32_e32 vcc, s38, v31
	v_add_f32_e32 v34, 1.0, v34
	v_add_f32_e32 v33, v33, v34
	v_cmp_gt_i32_e64 s[2:3], 0, v7
	v_cmp_class_f32_e64 s[22:23], v8, s42
	v_subbrev_co_u32_e32 v30, vcc, 0, v30, vcc
	v_sub_u32_e32 v31, 0, v30
	v_ldexp_f32 v32, v32, v31
	v_ldexp_f32 v31, v33, v31
	v_add_f32_e32 v33, -1.0, v32
	v_add_f32_e32 v34, 1.0, v32
	v_add_f32_e32 v35, 1.0, v33
	v_add_f32_e32 v37, -1.0, v34
	v_sub_f32_e32 v35, v32, v35
	v_sub_f32_e32 v32, v32, v37
	v_add_f32_e32 v35, v31, v35
	v_add_f32_e32 v31, v31, v32
	v_add_f32_e32 v32, v34, v31
	v_rcp_f32_e32 v37, v32
	v_add_f32_e32 v36, v33, v35
	v_sub_f32_e32 v34, v34, v32
	v_sub_f32_e32 v33, v33, v36
	v_add_f32_e32 v31, v31, v34
	v_mul_f32_e32 v34, v36, v37
	v_add_f32_e32 v33, v35, v33
	v_mul_f32_e32 v35, v32, v34
	v_fma_f32 v38, v34, v32, -v35
	v_fmac_f32_e32 v38, v34, v31
	v_add_f32_e32 v39, v35, v38
	v_sub_f32_e32 v40, v36, v39
	v_sub_f32_e32 v36, v36, v40
	;; [unrolled: 1-line block ×4, first 2 shown]
	v_add_f32_e32 v33, v33, v36
	v_sub_f32_e32 v35, v35, v38
	v_add_f32_e32 v33, v35, v33
	v_add_f32_e32 v35, v40, v33
	v_mul_f32_e32 v36, v37, v35
	v_mul_f32_e32 v38, v32, v36
	v_fma_f32 v32, v36, v32, -v38
	v_fmac_f32_e32 v32, v36, v31
	v_sub_f32_e32 v31, v40, v35
	v_add_f32_e32 v31, v33, v31
	v_add_f32_e32 v33, v38, v32
	v_sub_f32_e32 v39, v35, v33
	v_sub_f32_e32 v35, v35, v39
	;; [unrolled: 1-line block ×4, first 2 shown]
	v_add_f32_e32 v31, v31, v33
	v_sub_f32_e32 v32, v38, v32
	v_cvt_f32_i32_e32 v30, v30
	v_add_f32_e32 v31, v32, v31
	v_add_f32_e32 v32, v34, v36
	;; [unrolled: 1-line block ×3, first 2 shown]
	v_sub_f32_e32 v33, v32, v34
	v_mul_f32_e32 v31, v37, v31
	v_sub_f32_e32 v33, v36, v33
	v_add_f32_e32 v31, v33, v31
	v_mul_f32_e32 v36, 0x3f317218, v30
	v_add_f32_e32 v33, v32, v31
	v_fma_f32 v37, v30, s39, -v36
	v_mul_f32_e32 v34, v33, v33
	v_mov_b32_e32 v35, 0x3ecc95a3
	v_fmac_f32_e32 v37, 0xb102e308, v30
	v_sub_f32_e32 v30, v33, v32
	v_fmac_f32_e32 v35, 0x3e9b6dac, v34
	v_sub_f32_e32 v30, v31, v30
	v_add_f32_e32 v31, v36, v37
	v_fma_f32 v35, v34, v35, v14
	v_sub_f32_e32 v32, v31, v36
	v_ldexp_f32 v36, v33, 1
	v_mul_f32_e32 v33, v33, v34
	v_mul_f32_e32 v33, v33, v35
	v_add_f32_e32 v34, v36, v33
	v_sub_f32_e32 v35, v34, v36
	v_ldexp_f32 v30, v30, 1
	v_sub_f32_e32 v33, v33, v35
	v_add_f32_e32 v30, v30, v33
	v_add_f32_e32 v33, v34, v30
	v_sub_f32_e32 v34, v33, v34
	v_sub_f32_e32 v30, v30, v34
	v_add_f32_e32 v34, v31, v33
	v_sub_f32_e32 v35, v34, v31
	v_sub_f32_e32 v36, v34, v35
	;; [unrolled: 1-line block ×5, first 2 shown]
	v_add_f32_e32 v31, v33, v31
	v_add_f32_e32 v33, v32, v30
	v_sub_f32_e32 v35, v33, v32
	v_sub_f32_e32 v36, v33, v35
	;; [unrolled: 1-line block ×4, first 2 shown]
	v_add_f32_e32 v31, v33, v31
	v_add_f32_e32 v30, v30, v32
	;; [unrolled: 1-line block ×3, first 2 shown]
	v_sub_f32_e32 v33, v32, v34
	v_sub_f32_e32 v31, v31, v33
	v_add_f32_e32 v30, v30, v31
	v_add_f32_e32 v30, v32, v30
	v_cmp_neq_f32_e32 vcc, s40, v5
	v_cndmask_b32_e32 v30, v21, v30, vcc
	v_cmp_lt_f32_e64 vcc, |v5|, s41
	v_cndmask_b32_e32 v5, v30, v5, vcc
	v_max_f32_e64 v30, |v8|, |v8|
	v_max_f32_e64 v31, |v7|, |v7|
	v_min_f32_e32 v32, v31, v30
	v_max_f32_e32 v30, v31, v30
	v_frexp_mant_f32_e32 v31, v30
	v_rcp_f32_e32 v31, v31
	v_frexp_exp_i32_f32_e32 v30, v30
	v_frexp_exp_i32_f32_e32 v33, v32
	v_frexp_mant_f32_e32 v32, v32
	v_mul_f32_e32 v31, v32, v31
	v_sub_u32_e32 v30, v33, v30
	v_ldexp_f32 v30, v31, v30
	v_mul_f32_e32 v31, v30, v30
	v_mov_b32_e32 v32, 0xbc7a590c
	v_fmac_f32_e32 v32, 0x3b2d2a58, v31
	v_fma_f32 v32, v31, v32, v15
	v_fma_f32 v32, v31, v32, v16
	;; [unrolled: 1-line block ×6, first 2 shown]
	v_mul_f32_e32 v31, v31, v32
	v_fmac_f32_e32 v30, v30, v31
	v_sub_f32_e32 v31, 0x3fc90fdb, v30
	v_cndmask_b32_e64 v30, v30, v31, s[0:1]
	v_sub_f32_e32 v31, 0x40490fdb, v30
	v_cmp_gt_f32_e32 vcc, 0, v7
	v_cndmask_b32_e32 v30, v30, v31, vcc
	v_cndmask_b32_e64 v31, 0, v24, s[2:3]
	v_cmp_eq_f32_e64 s[2:3], 0, v8
	v_cndmask_b32_e64 v30, v30, v31, s[2:3]
	v_cmp_class_f32_e64 s[2:3], v7, s42
	v_cndmask_b32_e32 v31, v25, v26, vcc
	s_and_b64 vcc, s[2:3], s[22:23]
	v_mul_f32_e32 v5, 0.5, v5
	v_cndmask_b32_e32 v30, v30, v31, vcc
                                        ; implicit-def: $vgpr31
.LBB192_60:                             ;   in Loop: Header=BB192_5 Depth=1
	s_andn2_saveexec_b64 s[20:21], s[20:21]
	s_cbranch_execz .LBB192_62
; %bb.61:                               ;   in Loop: Header=BB192_5 Depth=1
	v_mul_f32_e32 v5, 0.5, v31
	v_mul_f32_e32 v5, v31, v5
	v_max_f32_e64 v30, |v8|, |v8|
	v_max_f32_e64 v31, |v7|, |v7|
	v_min_f32_e32 v32, v31, v30
	v_max_f32_e32 v30, v31, v30
	v_frexp_mant_f32_e32 v31, v30
	v_rcp_f32_e32 v31, v31
	v_frexp_exp_i32_f32_e32 v30, v30
	v_frexp_exp_i32_f32_e32 v33, v32
	v_frexp_mant_f32_e32 v32, v32
	v_mul_f32_e32 v31, v32, v31
	v_sub_u32_e32 v30, v33, v30
	v_ldexp_f32 v30, v31, v30
	v_mul_f32_e32 v31, v30, v30
	v_mov_b32_e32 v32, 0xbc7a590c
	v_fmac_f32_e32 v32, 0x3b2d2a58, v31
	v_fma_f32 v32, v31, v32, v15
	v_fma_f32 v32, v31, v32, v16
	;; [unrolled: 1-line block ×6, first 2 shown]
	v_mul_f32_e32 v31, v31, v32
	v_fmac_f32_e32 v30, v30, v31
	v_sub_f32_e32 v31, 0x3fc90fdb, v30
	v_cndmask_b32_e64 v30, v30, v31, s[0:1]
	v_sub_f32_e32 v31, 0x40490fdb, v30
	v_cmp_gt_f32_e32 vcc, 0, v7
	v_cmp_gt_i32_e64 s[2:3], 0, v7
	v_cndmask_b32_e32 v30, v30, v31, vcc
	v_cndmask_b32_e64 v31, 0, v24, s[2:3]
	v_cmp_eq_f32_e64 s[2:3], 0, v8
	v_cndmask_b32_e64 v30, v30, v31, s[2:3]
	v_cmp_class_f32_e64 s[2:3], v7, s42
	v_cmp_class_f32_e64 s[22:23], v8, s42
	v_cndmask_b32_e32 v31, v25, v26, vcc
	s_and_b64 vcc, s[2:3], s[22:23]
	v_cndmask_b32_e32 v30, v30, v31, vcc
.LBB192_62:                             ;   in Loop: Header=BB192_5 Depth=1
	s_or_b64 exec, exec, s[20:21]
.LBB192_63:                             ;   in Loop: Header=BB192_5 Depth=1
	s_or_b64 exec, exec, s[18:19]
.LBB192_64:                             ;   in Loop: Header=BB192_5 Depth=1
	s_andn2_saveexec_b64 s[16:17], s[16:17]
	s_cbranch_execz .LBB192_66
; %bb.65:                               ;   in Loop: Header=BB192_5 Depth=1
	v_div_scale_f32 v5, s[2:3], s47, s47, v7
	v_div_scale_f32 v30, s[2:3], s47, s47, v8
	v_div_scale_f32 v31, vcc, v7, s47, v7
	v_div_scale_f32 v32, s[2:3], v8, s47, v8
	v_rcp_f32_e32 v33, v5
	v_rcp_f32_e32 v34, v30
	v_fma_f32 v35, -v5, v33, 1.0
	v_fmac_f32_e32 v33, v35, v33
	v_fma_f32 v36, -v30, v34, 1.0
	v_fmac_f32_e32 v34, v36, v34
	v_mul_f32_e32 v35, v31, v33
	v_mul_f32_e32 v36, v32, v34
	v_fma_f32 v37, -v5, v35, v31
	v_fma_f32 v38, -v30, v36, v32
	v_fmac_f32_e32 v35, v37, v33
	v_fmac_f32_e32 v36, v38, v34
	v_fma_f32 v5, -v5, v35, v31
	v_fma_f32 v30, -v30, v36, v32
	v_div_fmas_f32 v5, v5, v33, v35
	s_mov_b64 vcc, s[2:3]
	v_div_fmas_f32 v30, v30, v34, v36
	v_max_f32_e64 v31, |v8|, |v8|
	v_max_f32_e64 v32, |v7|, |v7|
	v_min_f32_e32 v34, v32, v31
	v_max_f32_e32 v31, v32, v31
	v_frexp_exp_i32_f32_e32 v32, v31
	v_frexp_exp_i32_f32_e32 v35, v34
	v_sub_u32_e32 v32, v35, v32
	v_frexp_mant_f32_e32 v31, v31
	v_rcp_f32_e32 v36, v31
	v_frexp_mant_f32_e32 v34, v34
	v_mov_b32_e32 v33, 0xbc7a590c
	v_cmp_class_f32_e64 s[2:3], v8, s42
	v_mul_f32_e32 v34, v34, v36
	v_div_fixup_f32 v5, v5, s47, v7
	v_ldexp_f32 v32, v34, v32
	v_div_fixup_f32 v35, v30, s47, v8
	v_max_f32_e64 v37, |v5|, |v35|
	v_cvt_f64_f32_e32 v[30:31], v37
	v_mul_f32_e32 v34, v32, v32
	v_fmac_f32_e32 v33, 0x3b2d2a58, v34
	v_cmp_neq_f32_e32 vcc, s40, v37
	v_frexp_exp_i32_f64_e32 v30, v[30:31]
	v_fma_f32 v31, v34, v33, v15
	v_fma_f32 v31, v34, v31, v16
	;; [unrolled: 1-line block ×6, first 2 shown]
	v_mul_f32_e32 v31, v34, v31
	v_sub_u32_e32 v33, 0, v30
	v_ldexp_f32 v5, |v5|, v33
	v_ldexp_f32 v33, |v35|, v33
	v_mul_f32_e32 v33, v33, v33
	v_fmac_f32_e32 v33, v5, v5
	v_sqrt_f32_e32 v5, v33
	v_fmac_f32_e32 v32, v32, v31
	v_sub_f32_e32 v31, 0x3fc90fdb, v32
	v_ldexp_f32 v5, v5, v30
	v_cndmask_b32_e32 v5, v21, v5, vcc
	v_cmp_gt_f32_e32 vcc, s44, v5
	v_cndmask_b32_e64 v30, 0, 32, vcc
	v_ldexp_f32 v5, v5, v30
	v_log_f32_e32 v5, v5
	v_cndmask_b32_e64 v30, v32, v31, s[0:1]
	v_cndmask_b32_e32 v32, 0, v27, vcc
	v_sub_f32_e32 v31, 0x40490fdb, v30
	v_mul_f32_e32 v33, 0x3f317217, v5
	v_fma_f32 v33, v5, s45, -v33
	v_fmac_f32_e32 v33, 0x3377d1cf, v5
	v_fmac_f32_e32 v33, 0x3f317217, v5
	v_cmp_lt_f32_e64 vcc, |v5|, s40
	v_cndmask_b32_e32 v5, v5, v33, vcc
	v_cmp_gt_f32_e32 vcc, 0, v7
	v_cmp_gt_i32_e64 s[0:1], 0, v7
	v_cndmask_b32_e32 v30, v30, v31, vcc
	v_cndmask_b32_e64 v31, 0, v24, s[0:1]
	v_cmp_eq_f32_e64 s[0:1], 0, v8
	v_cndmask_b32_e64 v30, v30, v31, s[0:1]
	v_cmp_class_f32_e64 s[0:1], v7, s42
	v_sub_f32_e32 v5, v5, v32
	v_cndmask_b32_e32 v31, v25, v26, vcc
	s_and_b64 vcc, s[0:1], s[2:3]
	v_add_f32_e32 v5, 1.0, v5
	v_cndmask_b32_e32 v30, v30, v31, vcc
.LBB192_66:                             ;   in Loop: Header=BB192_5 Depth=1
	s_or_b64 exec, exec, s[16:17]
.LBB192_67:                             ;   in Loop: Header=BB192_5 Depth=1
	s_andn2_saveexec_b64 s[0:1], s[14:15]
	s_cbranch_execz .LBB192_73
; %bb.68:                               ;   in Loop: Header=BB192_5 Depth=1
	v_cmp_nlt_f32_e64 s[2:3], |v7|, s48
	v_cmp_nlt_f32_e64 s[14:15], |v8|, s48
	s_or_b64 s[2:3], s[2:3], s[14:15]
                                        ; implicit-def: $vgpr5
	s_and_saveexec_b64 s[14:15], s[2:3]
	s_xor_b64 s[2:3], exec, s[14:15]
; %bb.69:                               ;   in Loop: Header=BB192_5 Depth=1
	v_mul_f32_e32 v5, v8, v8
	v_fmac_f32_e32 v5, v7, v7
; %bb.70:                               ;   in Loop: Header=BB192_5 Depth=1
	s_andn2_saveexec_b64 s[2:3], s[2:3]
; %bb.71:                               ;   in Loop: Header=BB192_5 Depth=1
	v_mul_f32_e32 v5, 4.0, v7
	v_mul_f32_e32 v7, 4.0, v8
	v_mul_f32_e32 v7, v7, v7
	v_fmac_f32_e32 v7, v5, v5
	v_mul_f32_e32 v5, 0x3d800000, v7
; %bb.72:                               ;   in Loop: Header=BB192_5 Depth=1
	s_or_b64 exec, exec, s[2:3]
	v_cmp_gt_f32_e32 vcc, s44, v5
	v_cndmask_b32_e64 v7, 0, 32, vcc
	v_ldexp_f32 v5, v5, v7
	v_log_f32_e32 v5, v5
	v_cndmask_b32_e32 v7, 0, v27, vcc
	v_mul_f32_e32 v30, 0x3f317217, v5
	v_fma_f32 v30, v5, s45, -v30
	v_fmac_f32_e32 v30, 0x3377d1cf, v5
	v_fmac_f32_e32 v30, 0x3f317217, v5
	v_cmp_lt_f32_e64 vcc, |v5|, s40
	v_cndmask_b32_e32 v5, v5, v30, vcc
	v_sub_f32_e32 v5, v5, v7
	v_mov_b32_e32 v30, 0x7fc00000
.LBB192_73:                             ;   in Loop: Header=BB192_5 Depth=1
	s_or_b64 exec, exec, s[0:1]
	s_waitcnt vmcnt(0)
	v_cmp_o_f32_e32 vcc, v2, v1
                                        ; implicit-def: $vgpr7
                                        ; implicit-def: $vgpr31
	s_and_saveexec_b64 s[0:1], vcc
	s_xor_b64 s[14:15], exec, s[0:1]
	s_cbranch_execz .LBB192_101
; %bb.74:                               ;   in Loop: Header=BB192_5 Depth=1
	v_cmp_lt_f32_e64 s[0:1], |v1|, |v2|
	v_cndmask_b32_e64 v32, |v2|, |v1|, s[0:1]
	v_cmp_nlt_f32_e32 vcc, s30, v32
                                        ; implicit-def: $vgpr7
                                        ; implicit-def: $vgpr31
	s_and_saveexec_b64 s[2:3], vcc
	s_xor_b64 s[16:17], exec, s[2:3]
	s_cbranch_execz .LBB192_98
; %bb.75:                               ;   in Loop: Header=BB192_5 Depth=1
	v_and_b32_e32 v7, 0x7fffffff, v2
	v_cndmask_b32_e64 v33, |v1|, v7, s[0:1]
	v_cmp_neq_f32_e32 vcc, 1.0, v33
                                        ; implicit-def: $vgpr7
                                        ; implicit-def: $vgpr31
	s_and_saveexec_b64 s[2:3], vcc
	s_xor_b64 s[18:19], exec, s[2:3]
	s_cbranch_execz .LBB192_91
; %bb.76:                               ;   in Loop: Header=BB192_5 Depth=1
	v_max_f32_e32 v7, v32, v32
	v_max_f32_e32 v31, v33, v33
	v_min_f32_e32 v34, v31, v7
	v_max_f32_e32 v7, v31, v7
	v_cmp_ngt_f32_e32 vcc, s31, v34
	v_cmp_nlt_f32_e64 s[2:3], s37, v7
	s_and_b64 s[2:3], s[2:3], vcc
                                        ; implicit-def: $vgpr7
                                        ; implicit-def: $vgpr31
	s_and_saveexec_b64 s[20:21], s[2:3]
	s_xor_b64 s[20:21], exec, s[20:21]
	s_cbranch_execz .LBB192_88
; %bb.77:                               ;   in Loop: Header=BB192_5 Depth=1
	v_cmp_le_f32_e32 vcc, 1.0, v33
                                        ; implicit-def: $vgpr7
                                        ; implicit-def: $vgpr31
	s_and_saveexec_b64 s[2:3], vcc
	s_xor_b64 s[22:23], exec, s[2:3]
	s_cbranch_execz .LBB192_79
; %bb.78:                               ;   in Loop: Header=BB192_5 Depth=1
	v_add_f32_e32 v7, -1.0, v33
	v_add_f32_e32 v31, 1.0, v33
	v_mul_f32_e32 v7, v7, v31
	v_fmac_f32_e32 v7, v32, v32
	v_add_f32_e32 v33, 1.0, v7
	v_cvt_f64_f32_e32 v[31:32], v33
	v_add_f32_e32 v34, -1.0, v33
	v_sub_f32_e32 v35, v34, v33
	v_sub_f32_e32 v34, v7, v34
	v_frexp_exp_i32_f64_e32 v31, v[31:32]
	v_frexp_mant_f32_e32 v32, v33
	v_cmp_gt_f32_e32 vcc, s38, v32
	v_add_f32_e32 v35, 1.0, v35
	v_add_f32_e32 v34, v34, v35
	v_cmp_gt_i32_e64 s[2:3], 0, v1
	v_cmp_class_f32_e64 s[24:25], v2, s42
	v_subbrev_co_u32_e32 v31, vcc, 0, v31, vcc
	v_sub_u32_e32 v32, 0, v31
	v_ldexp_f32 v33, v33, v32
	v_ldexp_f32 v32, v34, v32
	v_add_f32_e32 v34, -1.0, v33
	v_add_f32_e32 v37, 1.0, v33
	v_add_f32_e32 v35, 1.0, v34
	v_add_f32_e32 v38, -1.0, v37
	v_sub_f32_e32 v35, v33, v35
	v_sub_f32_e32 v33, v33, v38
	v_add_f32_e32 v35, v32, v35
	v_add_f32_e32 v32, v32, v33
	;; [unrolled: 1-line block ×3, first 2 shown]
	v_rcp_f32_e32 v38, v33
	v_add_f32_e32 v36, v34, v35
	v_sub_f32_e32 v34, v36, v34
	v_sub_f32_e32 v34, v35, v34
	;; [unrolled: 1-line block ×4, first 2 shown]
	v_mul_f32_e32 v35, v36, v38
	v_mul_f32_e32 v37, v33, v35
	v_fma_f32 v39, v35, v33, -v37
	v_fmac_f32_e32 v39, v35, v32
	v_add_f32_e32 v40, v37, v39
	v_sub_f32_e32 v41, v36, v40
	v_sub_f32_e32 v36, v36, v41
	;; [unrolled: 1-line block ×4, first 2 shown]
	v_add_f32_e32 v34, v34, v36
	v_sub_f32_e32 v36, v37, v39
	v_add_f32_e32 v34, v36, v34
	v_add_f32_e32 v36, v41, v34
	v_mul_f32_e32 v37, v38, v36
	v_mul_f32_e32 v39, v33, v37
	v_fma_f32 v33, v37, v33, -v39
	v_fmac_f32_e32 v33, v37, v32
	v_sub_f32_e32 v32, v41, v36
	v_add_f32_e32 v32, v34, v32
	v_add_f32_e32 v34, v39, v33
	v_sub_f32_e32 v40, v36, v34
	v_sub_f32_e32 v36, v36, v40
	;; [unrolled: 1-line block ×4, first 2 shown]
	v_add_f32_e32 v32, v32, v34
	v_sub_f32_e32 v33, v39, v33
	v_cvt_f32_i32_e32 v31, v31
	v_add_f32_e32 v32, v33, v32
	v_add_f32_e32 v33, v35, v37
	;; [unrolled: 1-line block ×3, first 2 shown]
	v_sub_f32_e32 v34, v33, v35
	v_mul_f32_e32 v32, v38, v32
	v_sub_f32_e32 v34, v37, v34
	v_add_f32_e32 v32, v34, v32
	v_mul_f32_e32 v37, 0x3f317218, v31
	v_add_f32_e32 v34, v33, v32
	v_fma_f32 v38, v31, s39, -v37
	v_mul_f32_e32 v35, v34, v34
	v_mov_b32_e32 v36, 0x3ecc95a3
	v_fmac_f32_e32 v38, 0xb102e308, v31
	v_sub_f32_e32 v31, v34, v33
	v_fmac_f32_e32 v36, 0x3e9b6dac, v35
	v_sub_f32_e32 v31, v32, v31
	v_add_f32_e32 v32, v37, v38
	v_fma_f32 v36, v35, v36, v14
	v_sub_f32_e32 v33, v32, v37
	v_ldexp_f32 v37, v34, 1
	v_mul_f32_e32 v34, v34, v35
	v_mul_f32_e32 v34, v34, v36
	v_add_f32_e32 v35, v37, v34
	v_sub_f32_e32 v36, v35, v37
	v_ldexp_f32 v31, v31, 1
	v_sub_f32_e32 v34, v34, v36
	v_add_f32_e32 v31, v31, v34
	v_add_f32_e32 v34, v35, v31
	v_sub_f32_e32 v35, v34, v35
	v_sub_f32_e32 v31, v31, v35
	v_add_f32_e32 v35, v32, v34
	v_sub_f32_e32 v36, v35, v32
	v_sub_f32_e32 v37, v35, v36
	;; [unrolled: 1-line block ×5, first 2 shown]
	v_add_f32_e32 v32, v34, v32
	v_add_f32_e32 v34, v33, v31
	v_sub_f32_e32 v36, v34, v33
	v_sub_f32_e32 v37, v34, v36
	v_sub_f32_e32 v33, v33, v37
	v_sub_f32_e32 v31, v31, v36
	v_add_f32_e32 v32, v34, v32
	v_add_f32_e32 v31, v31, v33
	;; [unrolled: 1-line block ×3, first 2 shown]
	v_sub_f32_e32 v34, v33, v35
	v_sub_f32_e32 v32, v32, v34
	v_add_f32_e32 v31, v31, v32
	v_add_f32_e32 v31, v33, v31
	v_cmp_neq_f32_e32 vcc, s40, v7
	v_cndmask_b32_e32 v31, v21, v31, vcc
	v_cmp_ngt_f32_e32 vcc, -1.0, v7
	v_cndmask_b32_e32 v31, v22, v31, vcc
	v_cmp_neq_f32_e32 vcc, -1.0, v7
	v_cndmask_b32_e32 v31, v23, v31, vcc
	v_cmp_lt_f32_e64 vcc, |v7|, s41
	v_cndmask_b32_e32 v7, v31, v7, vcc
	v_max_f32_e64 v31, |v2|, |v2|
	v_max_f32_e64 v32, |v1|, |v1|
	v_min_f32_e32 v33, v32, v31
	v_max_f32_e32 v31, v32, v31
	v_frexp_mant_f32_e32 v32, v31
	v_rcp_f32_e32 v32, v32
	v_frexp_exp_i32_f32_e32 v31, v31
	v_frexp_exp_i32_f32_e32 v34, v33
	v_frexp_mant_f32_e32 v33, v33
	v_mul_f32_e32 v32, v33, v32
	v_sub_u32_e32 v31, v34, v31
	v_ldexp_f32 v31, v32, v31
	v_mul_f32_e32 v32, v31, v31
	v_mov_b32_e32 v33, 0xbc7a590c
	v_fmac_f32_e32 v33, 0x3b2d2a58, v32
	v_fma_f32 v33, v32, v33, v15
	v_fma_f32 v33, v32, v33, v16
	;; [unrolled: 1-line block ×6, first 2 shown]
	v_mul_f32_e32 v32, v32, v33
	v_fmac_f32_e32 v31, v31, v32
	v_sub_f32_e32 v32, 0x3fc90fdb, v31
	v_cndmask_b32_e64 v31, v31, v32, s[0:1]
	v_sub_f32_e32 v32, 0x40490fdb, v31
	v_cmp_gt_f32_e32 vcc, 0, v1
	v_cndmask_b32_e32 v31, v31, v32, vcc
	v_cndmask_b32_e64 v32, 0, v24, s[2:3]
	v_cmp_eq_f32_e64 s[2:3], 0, v2
	v_cndmask_b32_e64 v31, v31, v32, s[2:3]
	v_cmp_class_f32_e64 s[2:3], v1, s42
	v_cndmask_b32_e32 v32, v25, v26, vcc
	s_and_b64 vcc, s[2:3], s[24:25]
	v_mul_f32_e32 v7, 0.5, v7
	v_cndmask_b32_e32 v31, v31, v32, vcc
                                        ; implicit-def: $vgpr32
                                        ; implicit-def: $vgpr33
.LBB192_79:                             ;   in Loop: Header=BB192_5 Depth=1
	s_andn2_saveexec_b64 s[22:23], s[22:23]
	s_cbranch_execz .LBB192_87
; %bb.80:                               ;   in Loop: Header=BB192_5 Depth=1
	v_mul_f32_e32 v34, v32, v32
	v_fmac_f32_e32 v34, v33, v33
	v_cmp_ge_f32_e32 vcc, s43, v34
                                        ; implicit-def: $vgpr7
                                        ; implicit-def: $vgpr31
	s_and_saveexec_b64 s[2:3], vcc
	s_xor_b64 s[24:25], exec, s[2:3]
	s_cbranch_execz .LBB192_82
; %bb.81:                               ;   in Loop: Header=BB192_5 Depth=1
	v_cmp_gt_f32_e32 vcc, s44, v34
	v_cndmask_b32_e64 v7, 0, 32, vcc
	v_ldexp_f32 v7, v34, v7
	v_log_f32_e32 v7, v7
	v_cndmask_b32_e32 v31, 0, v27, vcc
	v_cmp_gt_i32_e64 s[2:3], 0, v1
	v_cmp_class_f32_e64 s[26:27], v2, s42
	v_mul_f32_e32 v32, 0x3f317217, v7
	v_fma_f32 v32, v7, s45, -v32
	v_fmac_f32_e32 v32, 0x3377d1cf, v7
	v_fmac_f32_e32 v32, 0x3f317217, v7
	v_cmp_lt_f32_e64 vcc, |v7|, s40
	v_cndmask_b32_e32 v7, v7, v32, vcc
	v_sub_f32_e32 v7, v7, v31
	v_max_f32_e64 v31, |v2|, |v2|
	v_max_f32_e64 v32, |v1|, |v1|
	v_min_f32_e32 v33, v32, v31
	v_max_f32_e32 v31, v32, v31
	v_frexp_mant_f32_e32 v32, v31
	v_rcp_f32_e32 v32, v32
	v_frexp_exp_i32_f32_e32 v31, v31
	v_frexp_exp_i32_f32_e32 v34, v33
	v_frexp_mant_f32_e32 v33, v33
	v_mul_f32_e32 v32, v33, v32
	v_sub_u32_e32 v31, v34, v31
	v_ldexp_f32 v31, v32, v31
	v_mul_f32_e32 v32, v31, v31
	v_mov_b32_e32 v33, 0xbc7a590c
	v_fmac_f32_e32 v33, 0x3b2d2a58, v32
	v_fma_f32 v33, v32, v33, v15
	v_fma_f32 v33, v32, v33, v16
	;; [unrolled: 1-line block ×6, first 2 shown]
	v_mul_f32_e32 v32, v32, v33
	v_fmac_f32_e32 v31, v31, v32
	v_sub_f32_e32 v32, 0x3fc90fdb, v31
	v_cndmask_b32_e64 v31, v31, v32, s[0:1]
	v_sub_f32_e32 v32, 0x40490fdb, v31
	v_cmp_gt_f32_e32 vcc, 0, v1
	v_cndmask_b32_e32 v31, v31, v32, vcc
	v_cndmask_b32_e64 v32, 0, v24, s[2:3]
	v_cmp_eq_f32_e64 s[2:3], 0, v2
	v_cndmask_b32_e64 v31, v31, v32, s[2:3]
	v_cmp_class_f32_e64 s[2:3], v1, s42
	v_cndmask_b32_e32 v32, v25, v26, vcc
	s_and_b64 vcc, s[2:3], s[26:27]
	v_mul_f32_e32 v7, 0.5, v7
	v_cndmask_b32_e32 v31, v31, v32, vcc
                                        ; implicit-def: $vgpr33
                                        ; implicit-def: $vgpr32
.LBB192_82:                             ;   in Loop: Header=BB192_5 Depth=1
	s_andn2_saveexec_b64 s[24:25], s[24:25]
	s_cbranch_execz .LBB192_86
; %bb.83:                               ;   in Loop: Header=BB192_5 Depth=1
	v_and_b32_e32 v34, 0x7fff0000, v33
	v_sub_f32_e32 v7, v33, v34
	v_and_b32_e32 v38, 0xffff0000, v7
	v_and_b32_e32 v33, 0x7fff0000, v32
	v_sub_f32_e32 v40, v7, v38
	v_sub_f32_e32 v7, v32, v33
	v_and_b32_e32 v39, 0xffff0000, v7
	v_add_f32_e32 v35, v34, v34
	v_add_f32_e32 v42, v33, v33
	v_sub_f32_e32 v41, v7, v39
	v_mul_f32_e32 v7, v34, v34
	v_mul_f32_e32 v31, v33, v33
	;; [unrolled: 1-line block ×6, first 2 shown]
	v_add_f32_e32 v38, v38, v38
	v_add_f32_e32 v39, v39, v39
	v_mul_f32_e32 v36, v35, v40
	v_mul_f32_e32 v35, v42, v41
	;; [unrolled: 1-line block ×6, first 2 shown]
	s_mov_b64 s[26:27], 0
.LBB192_84:                             ;   Parent Loop BB192_5 Depth=1
                                        ; =>  This Inner Loop Header: Depth=2
	v_cmp_nlt_f32_e32 vcc, v7, v31
	v_mov_b32_e32 v42, v41
	v_cndmask_b32_e32 v41, v7, v31, vcc
	v_cmp_nlt_f32_e64 s[2:3], v41, v34
	v_cndmask_b32_e64 v43, v41, v34, s[2:3]
	v_cndmask_b32_e32 v7, v31, v7, vcc
	s_and_b64 s[50:51], vcc, s[2:3]
	v_cmp_nlt_f32_e32 vcc, v43, v33
	v_cndmask_b32_e64 v31, v34, v41, s[2:3]
	v_cndmask_b32_e32 v41, v43, v33, vcc
	v_cmp_nlt_f32_e64 s[2:3], v41, v37
	v_cndmask_b32_e32 v34, v33, v43, vcc
	v_cndmask_b32_e64 v43, v41, v37, s[2:3]
	s_and_b64 s[52:53], vcc, s[2:3]
	v_cmp_nlt_f32_e32 vcc, v43, v32
	v_cndmask_b32_e64 v33, v37, v41, s[2:3]
	v_cndmask_b32_e32 v41, v43, v32, vcc
	v_cmp_nlt_f32_e64 s[2:3], v41, v36
	v_cndmask_b32_e32 v37, v32, v43, vcc
	v_cndmask_b32_e64 v43, v41, v36, s[2:3]
	v_cndmask_b32_e64 v32, v36, v41, s[2:3]
	s_and_b64 s[2:3], vcc, s[2:3]
	v_cmp_nlt_f32_e32 vcc, v43, v35
	v_cndmask_b32_e32 v41, v43, v35, vcc
	v_cndmask_b32_e32 v36, v35, v43, vcc
	s_and_b64 s[2:3], s[2:3], vcc
	v_cmp_nlt_f32_e32 vcc, v41, v38
	v_cndmask_b32_e32 v43, v41, v38, vcc
	v_cndmask_b32_e32 v35, v38, v41, vcc
	s_and_b64 s[2:3], s[2:3], vcc
	;; [unrolled: 4-line block ×4, first 2 shown]
	v_cmp_nlt_f32_e32 vcc, v43, v42
	s_and_b64 s[2:3], s[2:3], vcc
	s_and_b64 s[2:3], s[2:3], s[52:53]
	s_and_b64 s[2:3], s[2:3], s[50:51]
	s_and_b64 s[2:3], exec, s[2:3]
	v_cndmask_b32_e32 v41, v43, v42, vcc
	s_or_b64 s[26:27], s[2:3], s[26:27]
	v_cndmask_b32_e32 v40, v42, v43, vcc
	s_andn2_b64 exec, exec, s[26:27]
	s_cbranch_execnz .LBB192_84
; %bb.85:                               ;   in Loop: Header=BB192_5 Depth=1
	s_or_b64 exec, exec, s[26:27]
	v_add_f32_e32 v7, -1.0, v7
	v_add_f32_e32 v7, v7, v31
	v_add_f32_e32 v7, v7, v34
	;; [unrolled: 1-line block ×11, first 2 shown]
	v_add_f32_e32 v33, 1.0, v7
	v_cvt_f64_f32_e32 v[31:32], v33
	v_add_f32_e32 v34, -1.0, v33
	v_sub_f32_e32 v35, v34, v33
	v_sub_f32_e32 v34, v7, v34
	v_frexp_exp_i32_f64_e32 v31, v[31:32]
	v_frexp_mant_f32_e32 v32, v33
	v_cmp_gt_f32_e32 vcc, s38, v32
	v_add_f32_e32 v35, 1.0, v35
	v_add_f32_e32 v34, v34, v35
	v_cmp_gt_i32_e64 s[2:3], 0, v1
	v_cmp_class_f32_e64 s[26:27], v2, s42
	v_subbrev_co_u32_e32 v31, vcc, 0, v31, vcc
	v_sub_u32_e32 v32, 0, v31
	v_ldexp_f32 v33, v33, v32
	v_ldexp_f32 v32, v34, v32
	v_add_f32_e32 v34, -1.0, v33
	v_add_f32_e32 v35, 1.0, v33
	v_add_f32_e32 v36, 1.0, v34
	v_add_f32_e32 v38, -1.0, v35
	v_sub_f32_e32 v36, v33, v36
	v_sub_f32_e32 v33, v33, v38
	v_add_f32_e32 v36, v32, v36
	v_add_f32_e32 v32, v32, v33
	;; [unrolled: 1-line block ×3, first 2 shown]
	v_rcp_f32_e32 v38, v33
	v_add_f32_e32 v37, v34, v36
	v_sub_f32_e32 v35, v33, v35
	v_sub_f32_e32 v34, v37, v34
	;; [unrolled: 1-line block ×3, first 2 shown]
	v_mul_f32_e32 v35, v37, v38
	v_sub_f32_e32 v34, v36, v34
	v_mul_f32_e32 v36, v33, v35
	v_fma_f32 v39, v35, v33, -v36
	v_fmac_f32_e32 v39, v35, v32
	v_add_f32_e32 v40, v36, v39
	v_sub_f32_e32 v41, v37, v40
	v_sub_f32_e32 v37, v37, v41
	v_sub_f32_e32 v36, v40, v36
	v_sub_f32_e32 v37, v37, v40
	v_add_f32_e32 v34, v34, v37
	v_sub_f32_e32 v36, v36, v39
	v_add_f32_e32 v34, v36, v34
	v_add_f32_e32 v36, v41, v34
	v_mul_f32_e32 v37, v38, v36
	v_mul_f32_e32 v39, v33, v37
	v_fma_f32 v33, v37, v33, -v39
	v_fmac_f32_e32 v33, v37, v32
	v_sub_f32_e32 v32, v41, v36
	v_add_f32_e32 v32, v34, v32
	v_add_f32_e32 v34, v39, v33
	v_sub_f32_e32 v40, v36, v34
	v_sub_f32_e32 v36, v36, v40
	;; [unrolled: 1-line block ×4, first 2 shown]
	v_add_f32_e32 v32, v32, v34
	v_sub_f32_e32 v33, v39, v33
	v_cvt_f32_i32_e32 v31, v31
	v_add_f32_e32 v32, v33, v32
	v_add_f32_e32 v33, v35, v37
	;; [unrolled: 1-line block ×3, first 2 shown]
	v_sub_f32_e32 v34, v33, v35
	v_mul_f32_e32 v32, v38, v32
	v_sub_f32_e32 v34, v37, v34
	v_add_f32_e32 v32, v34, v32
	v_mul_f32_e32 v37, 0x3f317218, v31
	v_add_f32_e32 v34, v33, v32
	v_fma_f32 v38, v31, s39, -v37
	v_mul_f32_e32 v35, v34, v34
	v_mov_b32_e32 v36, 0x3ecc95a3
	v_fmac_f32_e32 v38, 0xb102e308, v31
	v_sub_f32_e32 v31, v34, v33
	v_fmac_f32_e32 v36, 0x3e9b6dac, v35
	v_sub_f32_e32 v31, v32, v31
	v_add_f32_e32 v32, v37, v38
	v_fma_f32 v36, v35, v36, v14
	v_sub_f32_e32 v33, v32, v37
	v_ldexp_f32 v37, v34, 1
	v_mul_f32_e32 v34, v34, v35
	v_mul_f32_e32 v34, v34, v36
	v_add_f32_e32 v35, v37, v34
	v_sub_f32_e32 v36, v35, v37
	v_ldexp_f32 v31, v31, 1
	v_sub_f32_e32 v34, v34, v36
	v_add_f32_e32 v31, v31, v34
	v_add_f32_e32 v34, v35, v31
	v_sub_f32_e32 v35, v34, v35
	v_sub_f32_e32 v31, v31, v35
	v_add_f32_e32 v35, v32, v34
	v_sub_f32_e32 v36, v35, v32
	v_sub_f32_e32 v37, v35, v36
	;; [unrolled: 1-line block ×5, first 2 shown]
	v_add_f32_e32 v32, v34, v32
	v_add_f32_e32 v34, v33, v31
	v_sub_f32_e32 v36, v34, v33
	v_sub_f32_e32 v37, v34, v36
	;; [unrolled: 1-line block ×4, first 2 shown]
	v_add_f32_e32 v32, v34, v32
	v_add_f32_e32 v31, v31, v33
	;; [unrolled: 1-line block ×3, first 2 shown]
	v_sub_f32_e32 v34, v33, v35
	v_sub_f32_e32 v32, v32, v34
	v_add_f32_e32 v31, v31, v32
	v_add_f32_e32 v31, v33, v31
	v_cmp_neq_f32_e32 vcc, s40, v7
	v_cndmask_b32_e32 v31, v21, v31, vcc
	v_cmp_ngt_f32_e32 vcc, -1.0, v7
	v_cndmask_b32_e32 v31, v22, v31, vcc
	v_cmp_neq_f32_e32 vcc, -1.0, v7
	v_cndmask_b32_e32 v31, v23, v31, vcc
	v_cmp_lt_f32_e64 vcc, |v7|, s41
	v_cndmask_b32_e32 v7, v31, v7, vcc
	v_max_f32_e64 v31, |v2|, |v2|
	v_max_f32_e64 v32, |v1|, |v1|
	v_min_f32_e32 v33, v32, v31
	v_max_f32_e32 v31, v32, v31
	v_frexp_mant_f32_e32 v32, v31
	v_rcp_f32_e32 v32, v32
	v_frexp_exp_i32_f32_e32 v31, v31
	v_frexp_exp_i32_f32_e32 v34, v33
	v_frexp_mant_f32_e32 v33, v33
	v_mul_f32_e32 v32, v33, v32
	v_sub_u32_e32 v31, v34, v31
	v_ldexp_f32 v31, v32, v31
	v_mul_f32_e32 v32, v31, v31
	v_mov_b32_e32 v33, 0xbc7a590c
	v_fmac_f32_e32 v33, 0x3b2d2a58, v32
	v_fma_f32 v33, v32, v33, v15
	v_fma_f32 v33, v32, v33, v16
	;; [unrolled: 1-line block ×6, first 2 shown]
	v_mul_f32_e32 v32, v32, v33
	v_fmac_f32_e32 v31, v31, v32
	v_sub_f32_e32 v32, 0x3fc90fdb, v31
	v_cndmask_b32_e64 v31, v31, v32, s[0:1]
	v_sub_f32_e32 v32, 0x40490fdb, v31
	v_cmp_gt_f32_e32 vcc, 0, v1
	v_cndmask_b32_e32 v31, v31, v32, vcc
	v_cndmask_b32_e64 v32, 0, v24, s[2:3]
	v_cmp_eq_f32_e64 s[2:3], 0, v2
	v_cndmask_b32_e64 v31, v31, v32, s[2:3]
	v_cmp_class_f32_e64 s[2:3], v1, s42
	v_cndmask_b32_e32 v32, v25, v26, vcc
	s_and_b64 vcc, s[2:3], s[26:27]
	v_mul_f32_e32 v7, 0.5, v7
	v_cndmask_b32_e32 v31, v31, v32, vcc
.LBB192_86:                             ;   in Loop: Header=BB192_5 Depth=1
	s_or_b64 exec, exec, s[24:25]
.LBB192_87:                             ;   in Loop: Header=BB192_5 Depth=1
	s_or_b64 exec, exec, s[22:23]
.LBB192_88:                             ;   in Loop: Header=BB192_5 Depth=1
	s_andn2_saveexec_b64 s[20:21], s[20:21]
	s_cbranch_execz .LBB192_90
; %bb.89:                               ;   in Loop: Header=BB192_5 Depth=1
	v_max_f32_e64 v7, |v2|, |v2|
	v_max_f32_e64 v33, |v1|, |v1|
	v_max_f32_e32 v34, v33, v7
	v_cvt_f64_f32_e32 v[31:32], v34
	v_min_f32_e32 v7, v33, v7
	v_frexp_mant_f32_e32 v33, v34
	v_rcp_f32_e32 v33, v33
	v_frexp_exp_i32_f64_e32 v31, v[31:32]
	v_cmp_neq_f32_e32 vcc, s40, v34
	v_frexp_exp_i32_f32_e32 v35, v7
	v_frexp_mant_f32_e32 v7, v7
	v_mul_f32_e32 v7, v7, v33
	v_frexp_exp_i32_f32_e32 v32, v34
	v_sub_u32_e32 v32, v35, v32
	v_ldexp_f32 v32, v7, v32
	v_sub_u32_e32 v36, 0, v31
	v_ldexp_f32 v37, |v1|, v36
	v_ldexp_f32 v36, |v2|, v36
	v_mul_f32_e32 v36, v36, v36
	v_fmac_f32_e32 v36, v37, v37
	v_sqrt_f32_e32 v36, v36
	v_cmp_gt_i32_e64 s[2:3], 0, v1
	v_cmp_class_f32_e64 s[22:23], v2, s42
	v_ldexp_f32 v31, v36, v31
	v_cndmask_b32_e32 v31, v21, v31, vcc
	v_cmp_gt_f32_e32 vcc, s44, v31
	v_cndmask_b32_e64 v33, 0, 32, vcc
	v_ldexp_f32 v31, v31, v33
	v_log_f32_e32 v31, v31
	v_cndmask_b32_e32 v7, 0, v27, vcc
	v_mul_f32_e32 v33, v32, v32
	v_mul_f32_e32 v34, 0x3f317217, v31
	v_fma_f32 v34, v31, s45, -v34
	v_fmac_f32_e32 v34, 0x3377d1cf, v31
	v_fmac_f32_e32 v34, 0x3f317217, v31
	v_cmp_lt_f32_e64 vcc, |v31|, s40
	v_cndmask_b32_e32 v31, v31, v34, vcc
	v_sub_f32_e32 v7, v31, v7
	v_mov_b32_e32 v31, 0xbc7a590c
	v_fmac_f32_e32 v31, 0x3b2d2a58, v33
	v_fma_f32 v31, v33, v31, v15
	v_fma_f32 v31, v33, v31, v16
	;; [unrolled: 1-line block ×6, first 2 shown]
	v_mul_f32_e32 v31, v33, v31
	v_fmac_f32_e32 v32, v32, v31
	v_sub_f32_e32 v31, 0x3fc90fdb, v32
	v_cndmask_b32_e64 v31, v32, v31, s[0:1]
	v_sub_f32_e32 v32, 0x40490fdb, v31
	v_cmp_gt_f32_e32 vcc, 0, v1
	v_cndmask_b32_e32 v31, v31, v32, vcc
	v_cndmask_b32_e64 v32, 0, v24, s[2:3]
	v_cmp_eq_f32_e64 s[2:3], 0, v2
	v_cndmask_b32_e64 v31, v31, v32, s[2:3]
	v_cmp_class_f32_e64 s[2:3], v1, s42
	v_cndmask_b32_e32 v32, v25, v26, vcc
	s_and_b64 vcc, s[2:3], s[22:23]
	v_cndmask_b32_e32 v31, v31, v32, vcc
.LBB192_90:                             ;   in Loop: Header=BB192_5 Depth=1
	s_or_b64 exec, exec, s[20:21]
                                        ; implicit-def: $vgpr32
.LBB192_91:                             ;   in Loop: Header=BB192_5 Depth=1
	s_andn2_saveexec_b64 s[18:19], s[18:19]
	s_cbranch_execz .LBB192_97
; %bb.92:                               ;   in Loop: Header=BB192_5 Depth=1
	v_cmp_ngt_f32_e32 vcc, s46, v32
                                        ; implicit-def: $vgpr7
                                        ; implicit-def: $vgpr31
	s_and_saveexec_b64 s[2:3], vcc
	s_xor_b64 s[20:21], exec, s[2:3]
	s_cbranch_execz .LBB192_94
; %bb.93:                               ;   in Loop: Header=BB192_5 Depth=1
	v_mul_f32_e32 v7, v32, v32
	v_add_f32_e32 v33, 1.0, v7
	v_cvt_f64_f32_e32 v[31:32], v33
	v_add_f32_e32 v34, -1.0, v33
	v_sub_f32_e32 v35, v34, v33
	v_sub_f32_e32 v34, v7, v34
	v_frexp_exp_i32_f64_e32 v31, v[31:32]
	v_frexp_mant_f32_e32 v32, v33
	v_cmp_gt_f32_e32 vcc, s38, v32
	v_add_f32_e32 v35, 1.0, v35
	v_add_f32_e32 v34, v34, v35
	v_cmp_gt_i32_e64 s[2:3], 0, v1
	v_cmp_class_f32_e64 s[22:23], v2, s42
	v_subbrev_co_u32_e32 v31, vcc, 0, v31, vcc
	v_sub_u32_e32 v32, 0, v31
	v_ldexp_f32 v33, v33, v32
	v_ldexp_f32 v32, v34, v32
	v_add_f32_e32 v34, -1.0, v33
	v_add_f32_e32 v35, 1.0, v33
	v_add_f32_e32 v36, 1.0, v34
	v_add_f32_e32 v38, -1.0, v35
	v_sub_f32_e32 v36, v33, v36
	v_sub_f32_e32 v33, v33, v38
	v_add_f32_e32 v36, v32, v36
	v_add_f32_e32 v32, v32, v33
	;; [unrolled: 1-line block ×3, first 2 shown]
	v_rcp_f32_e32 v38, v33
	v_add_f32_e32 v37, v34, v36
	v_sub_f32_e32 v35, v35, v33
	v_sub_f32_e32 v34, v34, v37
	v_add_f32_e32 v32, v32, v35
	v_mul_f32_e32 v35, v37, v38
	v_add_f32_e32 v34, v36, v34
	v_mul_f32_e32 v36, v33, v35
	v_fma_f32 v39, v35, v33, -v36
	v_fmac_f32_e32 v39, v35, v32
	v_add_f32_e32 v40, v36, v39
	v_sub_f32_e32 v41, v37, v40
	v_sub_f32_e32 v37, v37, v41
	;; [unrolled: 1-line block ×4, first 2 shown]
	v_add_f32_e32 v34, v34, v37
	v_sub_f32_e32 v36, v36, v39
	v_add_f32_e32 v34, v36, v34
	v_add_f32_e32 v36, v41, v34
	v_mul_f32_e32 v37, v38, v36
	v_mul_f32_e32 v39, v33, v37
	v_fma_f32 v33, v37, v33, -v39
	v_fmac_f32_e32 v33, v37, v32
	v_sub_f32_e32 v32, v41, v36
	v_add_f32_e32 v32, v34, v32
	v_add_f32_e32 v34, v39, v33
	v_sub_f32_e32 v40, v36, v34
	v_sub_f32_e32 v36, v36, v40
	;; [unrolled: 1-line block ×4, first 2 shown]
	v_add_f32_e32 v32, v32, v34
	v_sub_f32_e32 v33, v39, v33
	v_cvt_f32_i32_e32 v31, v31
	v_add_f32_e32 v32, v33, v32
	v_add_f32_e32 v33, v35, v37
	v_add_f32_e32 v32, v40, v32
	v_sub_f32_e32 v34, v33, v35
	v_mul_f32_e32 v32, v38, v32
	v_sub_f32_e32 v34, v37, v34
	v_add_f32_e32 v32, v34, v32
	v_mul_f32_e32 v37, 0x3f317218, v31
	v_add_f32_e32 v34, v33, v32
	v_fma_f32 v38, v31, s39, -v37
	v_mul_f32_e32 v35, v34, v34
	v_mov_b32_e32 v36, 0x3ecc95a3
	v_fmac_f32_e32 v38, 0xb102e308, v31
	v_sub_f32_e32 v31, v34, v33
	v_fmac_f32_e32 v36, 0x3e9b6dac, v35
	v_sub_f32_e32 v31, v32, v31
	v_add_f32_e32 v32, v37, v38
	v_fma_f32 v36, v35, v36, v14
	v_sub_f32_e32 v33, v32, v37
	v_ldexp_f32 v37, v34, 1
	v_mul_f32_e32 v34, v34, v35
	v_mul_f32_e32 v34, v34, v36
	v_add_f32_e32 v35, v37, v34
	v_sub_f32_e32 v36, v35, v37
	v_ldexp_f32 v31, v31, 1
	v_sub_f32_e32 v34, v34, v36
	v_add_f32_e32 v31, v31, v34
	v_add_f32_e32 v34, v35, v31
	v_sub_f32_e32 v35, v34, v35
	v_sub_f32_e32 v31, v31, v35
	v_add_f32_e32 v35, v32, v34
	v_sub_f32_e32 v36, v35, v32
	v_sub_f32_e32 v37, v35, v36
	;; [unrolled: 1-line block ×5, first 2 shown]
	v_add_f32_e32 v32, v34, v32
	v_add_f32_e32 v34, v33, v31
	v_sub_f32_e32 v36, v34, v33
	v_sub_f32_e32 v37, v34, v36
	;; [unrolled: 1-line block ×4, first 2 shown]
	v_add_f32_e32 v32, v34, v32
	v_add_f32_e32 v31, v31, v33
	v_add_f32_e32 v33, v35, v32
	v_sub_f32_e32 v34, v33, v35
	v_sub_f32_e32 v32, v32, v34
	v_add_f32_e32 v31, v31, v32
	v_add_f32_e32 v31, v33, v31
	v_cmp_neq_f32_e32 vcc, s40, v7
	v_cndmask_b32_e32 v31, v21, v31, vcc
	v_cmp_lt_f32_e64 vcc, |v7|, s41
	v_cndmask_b32_e32 v7, v31, v7, vcc
	v_max_f32_e64 v31, |v2|, |v2|
	v_max_f32_e64 v32, |v1|, |v1|
	v_min_f32_e32 v33, v32, v31
	v_max_f32_e32 v31, v32, v31
	v_frexp_mant_f32_e32 v32, v31
	v_rcp_f32_e32 v32, v32
	v_frexp_exp_i32_f32_e32 v31, v31
	v_frexp_exp_i32_f32_e32 v34, v33
	v_frexp_mant_f32_e32 v33, v33
	v_mul_f32_e32 v32, v33, v32
	v_sub_u32_e32 v31, v34, v31
	v_ldexp_f32 v31, v32, v31
	v_mul_f32_e32 v32, v31, v31
	v_mov_b32_e32 v33, 0xbc7a590c
	v_fmac_f32_e32 v33, 0x3b2d2a58, v32
	v_fma_f32 v33, v32, v33, v15
	v_fma_f32 v33, v32, v33, v16
	;; [unrolled: 1-line block ×6, first 2 shown]
	v_mul_f32_e32 v32, v32, v33
	v_fmac_f32_e32 v31, v31, v32
	v_sub_f32_e32 v32, 0x3fc90fdb, v31
	v_cndmask_b32_e64 v31, v31, v32, s[0:1]
	v_sub_f32_e32 v32, 0x40490fdb, v31
	v_cmp_gt_f32_e32 vcc, 0, v1
	v_cndmask_b32_e32 v31, v31, v32, vcc
	v_cndmask_b32_e64 v32, 0, v24, s[2:3]
	v_cmp_eq_f32_e64 s[2:3], 0, v2
	v_cndmask_b32_e64 v31, v31, v32, s[2:3]
	v_cmp_class_f32_e64 s[2:3], v1, s42
	v_cndmask_b32_e32 v32, v25, v26, vcc
	s_and_b64 vcc, s[2:3], s[22:23]
	v_mul_f32_e32 v7, 0.5, v7
	v_cndmask_b32_e32 v31, v31, v32, vcc
                                        ; implicit-def: $vgpr32
.LBB192_94:                             ;   in Loop: Header=BB192_5 Depth=1
	s_andn2_saveexec_b64 s[20:21], s[20:21]
	s_cbranch_execz .LBB192_96
; %bb.95:                               ;   in Loop: Header=BB192_5 Depth=1
	v_mul_f32_e32 v7, 0.5, v32
	v_mul_f32_e32 v7, v32, v7
	v_max_f32_e64 v31, |v2|, |v2|
	v_max_f32_e64 v32, |v1|, |v1|
	v_min_f32_e32 v33, v32, v31
	v_max_f32_e32 v31, v32, v31
	v_frexp_mant_f32_e32 v32, v31
	v_rcp_f32_e32 v32, v32
	v_frexp_exp_i32_f32_e32 v31, v31
	v_frexp_exp_i32_f32_e32 v34, v33
	v_frexp_mant_f32_e32 v33, v33
	v_mul_f32_e32 v32, v33, v32
	v_sub_u32_e32 v31, v34, v31
	v_ldexp_f32 v31, v32, v31
	v_mul_f32_e32 v32, v31, v31
	v_mov_b32_e32 v33, 0xbc7a590c
	v_fmac_f32_e32 v33, 0x3b2d2a58, v32
	v_fma_f32 v33, v32, v33, v15
	v_fma_f32 v33, v32, v33, v16
	;; [unrolled: 1-line block ×6, first 2 shown]
	v_mul_f32_e32 v32, v32, v33
	v_fmac_f32_e32 v31, v31, v32
	v_sub_f32_e32 v32, 0x3fc90fdb, v31
	v_cndmask_b32_e64 v31, v31, v32, s[0:1]
	v_sub_f32_e32 v32, 0x40490fdb, v31
	v_cmp_gt_f32_e32 vcc, 0, v1
	v_cmp_gt_i32_e64 s[2:3], 0, v1
	v_cndmask_b32_e32 v31, v31, v32, vcc
	v_cndmask_b32_e64 v32, 0, v24, s[2:3]
	v_cmp_eq_f32_e64 s[2:3], 0, v2
	v_cndmask_b32_e64 v31, v31, v32, s[2:3]
	v_cmp_class_f32_e64 s[2:3], v1, s42
	v_cmp_class_f32_e64 s[22:23], v2, s42
	v_cndmask_b32_e32 v32, v25, v26, vcc
	s_and_b64 vcc, s[2:3], s[22:23]
	v_cndmask_b32_e32 v31, v31, v32, vcc
.LBB192_96:                             ;   in Loop: Header=BB192_5 Depth=1
	s_or_b64 exec, exec, s[20:21]
.LBB192_97:                             ;   in Loop: Header=BB192_5 Depth=1
	s_or_b64 exec, exec, s[18:19]
.LBB192_98:                             ;   in Loop: Header=BB192_5 Depth=1
	s_andn2_saveexec_b64 s[16:17], s[16:17]
	s_cbranch_execz .LBB192_100
; %bb.99:                               ;   in Loop: Header=BB192_5 Depth=1
	v_div_scale_f32 v7, s[2:3], s47, s47, v1
	v_div_scale_f32 v31, s[2:3], s47, s47, v2
	v_div_scale_f32 v32, vcc, v1, s47, v1
	v_div_scale_f32 v33, s[2:3], v2, s47, v2
	v_rcp_f32_e32 v34, v7
	v_rcp_f32_e32 v35, v31
	v_fma_f32 v36, -v7, v34, 1.0
	v_fmac_f32_e32 v34, v36, v34
	v_fma_f32 v37, -v31, v35, 1.0
	v_fmac_f32_e32 v35, v37, v35
	v_mul_f32_e32 v36, v32, v34
	v_mul_f32_e32 v37, v33, v35
	v_fma_f32 v38, -v7, v36, v32
	v_fma_f32 v39, -v31, v37, v33
	v_fmac_f32_e32 v36, v38, v34
	v_fmac_f32_e32 v37, v39, v35
	v_fma_f32 v7, -v7, v36, v32
	v_fma_f32 v31, -v31, v37, v33
	v_div_fmas_f32 v7, v7, v34, v36
	s_mov_b64 vcc, s[2:3]
	v_div_fmas_f32 v31, v31, v35, v37
	v_max_f32_e64 v32, |v2|, |v2|
	v_max_f32_e64 v33, |v1|, |v1|
	v_min_f32_e32 v35, v33, v32
	v_max_f32_e32 v32, v33, v32
	v_frexp_exp_i32_f32_e32 v33, v32
	v_frexp_exp_i32_f32_e32 v36, v35
	v_sub_u32_e32 v33, v36, v33
	v_frexp_mant_f32_e32 v32, v32
	v_rcp_f32_e32 v37, v32
	v_frexp_mant_f32_e32 v35, v35
	v_mov_b32_e32 v34, 0xbc7a590c
	v_cmp_class_f32_e64 s[2:3], v2, s42
	v_mul_f32_e32 v35, v35, v37
	v_div_fixup_f32 v7, v7, s47, v1
	v_ldexp_f32 v33, v35, v33
	v_div_fixup_f32 v36, v31, s47, v2
	v_max_f32_e64 v38, |v7|, |v36|
	v_cvt_f64_f32_e32 v[31:32], v38
	v_mul_f32_e32 v35, v33, v33
	v_fmac_f32_e32 v34, 0x3b2d2a58, v35
	v_cmp_neq_f32_e32 vcc, s40, v38
	v_frexp_exp_i32_f64_e32 v31, v[31:32]
	v_fma_f32 v32, v35, v34, v15
	v_fma_f32 v32, v35, v32, v16
	v_fma_f32 v32, v35, v32, v17
	v_fma_f32 v32, v35, v32, v18
	v_fma_f32 v32, v35, v32, v19
	v_fma_f32 v32, v35, v32, v20
	v_mul_f32_e32 v32, v35, v32
	v_sub_u32_e32 v34, 0, v31
	v_ldexp_f32 v7, |v7|, v34
	v_ldexp_f32 v34, |v36|, v34
	v_mul_f32_e32 v34, v34, v34
	v_fmac_f32_e32 v34, v7, v7
	v_sqrt_f32_e32 v7, v34
	v_fmac_f32_e32 v33, v33, v32
	v_sub_f32_e32 v32, 0x3fc90fdb, v33
	v_ldexp_f32 v7, v7, v31
	v_cndmask_b32_e32 v7, v21, v7, vcc
	v_cmp_gt_f32_e32 vcc, s44, v7
	v_cndmask_b32_e64 v31, 0, 32, vcc
	v_ldexp_f32 v7, v7, v31
	v_log_f32_e32 v7, v7
	v_cndmask_b32_e64 v31, v33, v32, s[0:1]
	v_cndmask_b32_e32 v33, 0, v27, vcc
	v_sub_f32_e32 v32, 0x40490fdb, v31
	v_mul_f32_e32 v34, 0x3f317217, v7
	v_fma_f32 v34, v7, s45, -v34
	v_fmac_f32_e32 v34, 0x3377d1cf, v7
	v_fmac_f32_e32 v34, 0x3f317217, v7
	v_cmp_lt_f32_e64 vcc, |v7|, s40
	v_cndmask_b32_e32 v7, v7, v34, vcc
	v_cmp_gt_f32_e32 vcc, 0, v1
	v_cmp_gt_i32_e64 s[0:1], 0, v1
	v_cndmask_b32_e32 v31, v31, v32, vcc
	v_cndmask_b32_e64 v32, 0, v24, s[0:1]
	v_cmp_eq_f32_e64 s[0:1], 0, v2
	v_cndmask_b32_e64 v31, v31, v32, s[0:1]
	v_cmp_class_f32_e64 s[0:1], v1, s42
	v_sub_f32_e32 v7, v7, v33
	v_cndmask_b32_e32 v32, v25, v26, vcc
	s_and_b64 vcc, s[0:1], s[2:3]
	v_add_f32_e32 v7, 1.0, v7
	v_cndmask_b32_e32 v31, v31, v32, vcc
.LBB192_100:                            ;   in Loop: Header=BB192_5 Depth=1
	s_or_b64 exec, exec, s[16:17]
.LBB192_101:                            ;   in Loop: Header=BB192_5 Depth=1
	s_andn2_saveexec_b64 s[0:1], s[14:15]
	s_cbranch_execz .LBB192_107
; %bb.102:                              ;   in Loop: Header=BB192_5 Depth=1
	v_cmp_nlt_f32_e64 s[2:3], |v1|, s48
	v_cmp_nlt_f32_e64 s[14:15], |v2|, s48
	s_or_b64 s[2:3], s[2:3], s[14:15]
                                        ; implicit-def: $vgpr7
	s_and_saveexec_b64 s[14:15], s[2:3]
	s_xor_b64 s[2:3], exec, s[14:15]
; %bb.103:                              ;   in Loop: Header=BB192_5 Depth=1
	v_mul_f32_e32 v7, v2, v2
	v_fmac_f32_e32 v7, v1, v1
; %bb.104:                              ;   in Loop: Header=BB192_5 Depth=1
	s_andn2_saveexec_b64 s[2:3], s[2:3]
; %bb.105:                              ;   in Loop: Header=BB192_5 Depth=1
	v_mul_f32_e32 v7, 4.0, v2
	v_mul_f32_e32 v1, 4.0, v1
	v_mul_f32_e32 v7, v7, v7
	v_fmac_f32_e32 v7, v1, v1
	v_mul_f32_e32 v7, 0x3d800000, v7
; %bb.106:                              ;   in Loop: Header=BB192_5 Depth=1
	s_or_b64 exec, exec, s[2:3]
	v_cmp_gt_f32_e32 vcc, s44, v7
	v_cndmask_b32_e64 v1, 0, 32, vcc
	v_ldexp_f32 v1, v7, v1
	v_log_f32_e32 v1, v1
	v_cndmask_b32_e32 v7, 0, v27, vcc
	v_mul_f32_e32 v31, 0x3f317217, v1
	v_fma_f32 v31, v1, s45, -v31
	v_fmac_f32_e32 v31, 0x3377d1cf, v1
	v_fmac_f32_e32 v31, 0x3f317217, v1
	v_cmp_lt_f32_e64 vcc, |v1|, s40
	v_cndmask_b32_e32 v1, v1, v31, vcc
	v_sub_f32_e32 v7, v1, v7
	v_mov_b32_e32 v31, 0x7fc00000
.LBB192_107:                            ;   in Loop: Header=BB192_5 Depth=1
	s_or_b64 exec, exec, s[0:1]
	v_cmp_o_f32_e32 vcc, v4, v3
                                        ; implicit-def: $vgpr1
                                        ; implicit-def: $vgpr32
	s_and_saveexec_b64 s[0:1], vcc
	s_xor_b64 s[14:15], exec, s[0:1]
	s_cbranch_execz .LBB192_135
; %bb.108:                              ;   in Loop: Header=BB192_5 Depth=1
	v_cmp_lt_f32_e64 s[0:1], |v3|, |v4|
	v_cndmask_b32_e64 v33, |v4|, |v3|, s[0:1]
	v_cmp_nlt_f32_e32 vcc, s30, v33
                                        ; implicit-def: $vgpr1
                                        ; implicit-def: $vgpr32
	s_and_saveexec_b64 s[2:3], vcc
	s_xor_b64 s[16:17], exec, s[2:3]
	s_cbranch_execz .LBB192_132
; %bb.109:                              ;   in Loop: Header=BB192_5 Depth=1
	v_and_b32_e32 v1, 0x7fffffff, v4
	v_cndmask_b32_e64 v34, |v3|, v1, s[0:1]
	v_cmp_neq_f32_e32 vcc, 1.0, v34
                                        ; implicit-def: $vgpr1
                                        ; implicit-def: $vgpr32
	s_and_saveexec_b64 s[2:3], vcc
	s_xor_b64 s[18:19], exec, s[2:3]
	s_cbranch_execz .LBB192_125
; %bb.110:                              ;   in Loop: Header=BB192_5 Depth=1
	v_max_f32_e32 v1, v33, v33
	v_max_f32_e32 v32, v34, v34
	v_min_f32_e32 v35, v32, v1
	v_max_f32_e32 v1, v32, v1
	v_cmp_ngt_f32_e32 vcc, s31, v35
	v_cmp_nlt_f32_e64 s[2:3], s37, v1
	s_and_b64 s[2:3], s[2:3], vcc
                                        ; implicit-def: $vgpr1
                                        ; implicit-def: $vgpr32
	s_and_saveexec_b64 s[20:21], s[2:3]
	s_xor_b64 s[20:21], exec, s[20:21]
	s_cbranch_execz .LBB192_122
; %bb.111:                              ;   in Loop: Header=BB192_5 Depth=1
	v_cmp_le_f32_e32 vcc, 1.0, v34
                                        ; implicit-def: $vgpr1
                                        ; implicit-def: $vgpr32
	s_and_saveexec_b64 s[2:3], vcc
	s_xor_b64 s[22:23], exec, s[2:3]
	s_cbranch_execz .LBB192_113
; %bb.112:                              ;   in Loop: Header=BB192_5 Depth=1
	v_add_f32_e32 v1, -1.0, v34
	v_add_f32_e32 v32, 1.0, v34
	v_mul_f32_e32 v1, v1, v32
	v_fmac_f32_e32 v1, v33, v33
	v_add_f32_e32 v34, 1.0, v1
	v_cvt_f64_f32_e32 v[32:33], v34
	v_add_f32_e32 v35, -1.0, v34
	v_sub_f32_e32 v36, v35, v34
	v_sub_f32_e32 v35, v1, v35
	v_frexp_exp_i32_f64_e32 v32, v[32:33]
	v_frexp_mant_f32_e32 v33, v34
	v_cmp_gt_f32_e32 vcc, s38, v33
	v_add_f32_e32 v36, 1.0, v36
	v_add_f32_e32 v35, v35, v36
	v_cmp_gt_i32_e64 s[2:3], 0, v3
	v_cmp_class_f32_e64 s[24:25], v4, s42
	v_subbrev_co_u32_e32 v32, vcc, 0, v32, vcc
	v_sub_u32_e32 v33, 0, v32
	v_ldexp_f32 v34, v34, v33
	v_ldexp_f32 v33, v35, v33
	v_add_f32_e32 v35, -1.0, v34
	v_add_f32_e32 v38, 1.0, v34
	v_add_f32_e32 v36, 1.0, v35
	v_add_f32_e32 v39, -1.0, v38
	v_sub_f32_e32 v36, v34, v36
	v_sub_f32_e32 v34, v34, v39
	v_add_f32_e32 v36, v33, v36
	v_add_f32_e32 v33, v33, v34
	;; [unrolled: 1-line block ×3, first 2 shown]
	v_rcp_f32_e32 v39, v34
	v_add_f32_e32 v37, v35, v36
	v_sub_f32_e32 v35, v37, v35
	v_sub_f32_e32 v35, v36, v35
	;; [unrolled: 1-line block ×4, first 2 shown]
	v_mul_f32_e32 v36, v37, v39
	v_mul_f32_e32 v38, v34, v36
	v_fma_f32 v40, v36, v34, -v38
	v_fmac_f32_e32 v40, v36, v33
	v_add_f32_e32 v41, v38, v40
	v_sub_f32_e32 v42, v37, v41
	v_sub_f32_e32 v37, v37, v42
	;; [unrolled: 1-line block ×4, first 2 shown]
	v_add_f32_e32 v35, v35, v37
	v_sub_f32_e32 v37, v38, v40
	v_add_f32_e32 v35, v37, v35
	v_add_f32_e32 v37, v42, v35
	v_mul_f32_e32 v38, v39, v37
	v_mul_f32_e32 v40, v34, v38
	v_fma_f32 v34, v38, v34, -v40
	v_fmac_f32_e32 v34, v38, v33
	v_sub_f32_e32 v33, v42, v37
	v_add_f32_e32 v33, v35, v33
	v_add_f32_e32 v35, v40, v34
	v_sub_f32_e32 v41, v37, v35
	v_sub_f32_e32 v37, v37, v41
	v_sub_f32_e32 v40, v35, v40
	v_sub_f32_e32 v35, v37, v35
	v_add_f32_e32 v33, v33, v35
	v_sub_f32_e32 v34, v40, v34
	v_cvt_f32_i32_e32 v32, v32
	v_add_f32_e32 v33, v34, v33
	v_add_f32_e32 v34, v36, v38
	;; [unrolled: 1-line block ×3, first 2 shown]
	v_sub_f32_e32 v35, v34, v36
	v_mul_f32_e32 v33, v39, v33
	v_sub_f32_e32 v35, v38, v35
	v_add_f32_e32 v33, v35, v33
	v_mul_f32_e32 v38, 0x3f317218, v32
	v_add_f32_e32 v35, v34, v33
	v_fma_f32 v39, v32, s39, -v38
	v_mul_f32_e32 v36, v35, v35
	v_mov_b32_e32 v37, 0x3ecc95a3
	v_fmac_f32_e32 v39, 0xb102e308, v32
	v_sub_f32_e32 v32, v35, v34
	v_fmac_f32_e32 v37, 0x3e9b6dac, v36
	v_sub_f32_e32 v32, v33, v32
	v_add_f32_e32 v33, v38, v39
	v_fma_f32 v37, v36, v37, v14
	v_sub_f32_e32 v34, v33, v38
	v_ldexp_f32 v38, v35, 1
	v_mul_f32_e32 v35, v35, v36
	v_mul_f32_e32 v35, v35, v37
	v_add_f32_e32 v36, v38, v35
	v_sub_f32_e32 v37, v36, v38
	v_ldexp_f32 v32, v32, 1
	v_sub_f32_e32 v35, v35, v37
	v_add_f32_e32 v32, v32, v35
	v_add_f32_e32 v35, v36, v32
	v_sub_f32_e32 v36, v35, v36
	v_sub_f32_e32 v32, v32, v36
	v_add_f32_e32 v36, v33, v35
	v_sub_f32_e32 v37, v36, v33
	v_sub_f32_e32 v38, v36, v37
	;; [unrolled: 1-line block ×5, first 2 shown]
	v_add_f32_e32 v33, v35, v33
	v_add_f32_e32 v35, v34, v32
	v_sub_f32_e32 v37, v35, v34
	v_sub_f32_e32 v38, v35, v37
	;; [unrolled: 1-line block ×4, first 2 shown]
	v_add_f32_e32 v33, v35, v33
	v_add_f32_e32 v32, v32, v34
	v_add_f32_e32 v34, v36, v33
	v_sub_f32_e32 v35, v34, v36
	v_sub_f32_e32 v33, v33, v35
	v_add_f32_e32 v32, v32, v33
	v_add_f32_e32 v32, v34, v32
	v_cmp_neq_f32_e32 vcc, s40, v1
	v_cndmask_b32_e32 v32, v21, v32, vcc
	v_cmp_ngt_f32_e32 vcc, -1.0, v1
	v_cndmask_b32_e32 v32, v22, v32, vcc
	v_cmp_neq_f32_e32 vcc, -1.0, v1
	v_cndmask_b32_e32 v32, v23, v32, vcc
	v_cmp_lt_f32_e64 vcc, |v1|, s41
	v_cndmask_b32_e32 v1, v32, v1, vcc
	v_max_f32_e64 v32, |v4|, |v4|
	v_max_f32_e64 v33, |v3|, |v3|
	v_min_f32_e32 v34, v33, v32
	v_max_f32_e32 v32, v33, v32
	v_frexp_mant_f32_e32 v33, v32
	v_rcp_f32_e32 v33, v33
	v_frexp_exp_i32_f32_e32 v32, v32
	v_frexp_exp_i32_f32_e32 v35, v34
	v_frexp_mant_f32_e32 v34, v34
	v_mul_f32_e32 v33, v34, v33
	v_sub_u32_e32 v32, v35, v32
	v_ldexp_f32 v32, v33, v32
	v_mul_f32_e32 v33, v32, v32
	v_mov_b32_e32 v34, 0xbc7a590c
	v_fmac_f32_e32 v34, 0x3b2d2a58, v33
	v_fma_f32 v34, v33, v34, v15
	v_fma_f32 v34, v33, v34, v16
	v_fma_f32 v34, v33, v34, v17
	v_fma_f32 v34, v33, v34, v18
	v_fma_f32 v34, v33, v34, v19
	v_fma_f32 v34, v33, v34, v20
	v_mul_f32_e32 v33, v33, v34
	v_fmac_f32_e32 v32, v32, v33
	v_sub_f32_e32 v33, 0x3fc90fdb, v32
	v_cndmask_b32_e64 v32, v32, v33, s[0:1]
	v_sub_f32_e32 v33, 0x40490fdb, v32
	v_cmp_gt_f32_e32 vcc, 0, v3
	v_cndmask_b32_e32 v32, v32, v33, vcc
	v_cndmask_b32_e64 v33, 0, v24, s[2:3]
	v_cmp_eq_f32_e64 s[2:3], 0, v4
	v_cndmask_b32_e64 v32, v32, v33, s[2:3]
	v_cmp_class_f32_e64 s[2:3], v3, s42
	v_cndmask_b32_e32 v33, v25, v26, vcc
	s_and_b64 vcc, s[2:3], s[24:25]
	v_mul_f32_e32 v1, 0.5, v1
	v_cndmask_b32_e32 v32, v32, v33, vcc
                                        ; implicit-def: $vgpr33
                                        ; implicit-def: $vgpr34
.LBB192_113:                            ;   in Loop: Header=BB192_5 Depth=1
	s_andn2_saveexec_b64 s[22:23], s[22:23]
	s_cbranch_execz .LBB192_121
; %bb.114:                              ;   in Loop: Header=BB192_5 Depth=1
	v_mul_f32_e32 v35, v33, v33
	v_fmac_f32_e32 v35, v34, v34
	v_cmp_ge_f32_e32 vcc, s43, v35
                                        ; implicit-def: $vgpr1
                                        ; implicit-def: $vgpr32
	s_and_saveexec_b64 s[2:3], vcc
	s_xor_b64 s[24:25], exec, s[2:3]
	s_cbranch_execz .LBB192_116
; %bb.115:                              ;   in Loop: Header=BB192_5 Depth=1
	v_cmp_gt_f32_e32 vcc, s44, v35
	v_cndmask_b32_e64 v1, 0, 32, vcc
	v_ldexp_f32 v1, v35, v1
	v_log_f32_e32 v1, v1
	v_cndmask_b32_e32 v32, 0, v27, vcc
	v_cmp_gt_i32_e64 s[2:3], 0, v3
	v_cmp_class_f32_e64 s[26:27], v4, s42
	v_mul_f32_e32 v33, 0x3f317217, v1
	v_fma_f32 v33, v1, s45, -v33
	v_fmac_f32_e32 v33, 0x3377d1cf, v1
	v_fmac_f32_e32 v33, 0x3f317217, v1
	v_cmp_lt_f32_e64 vcc, |v1|, s40
	v_cndmask_b32_e32 v1, v1, v33, vcc
	v_sub_f32_e32 v1, v1, v32
	v_max_f32_e64 v32, |v4|, |v4|
	v_max_f32_e64 v33, |v3|, |v3|
	v_min_f32_e32 v34, v33, v32
	v_max_f32_e32 v32, v33, v32
	v_frexp_mant_f32_e32 v33, v32
	v_rcp_f32_e32 v33, v33
	v_frexp_exp_i32_f32_e32 v32, v32
	v_frexp_exp_i32_f32_e32 v35, v34
	v_frexp_mant_f32_e32 v34, v34
	v_mul_f32_e32 v33, v34, v33
	v_sub_u32_e32 v32, v35, v32
	v_ldexp_f32 v32, v33, v32
	v_mul_f32_e32 v33, v32, v32
	v_mov_b32_e32 v34, 0xbc7a590c
	v_fmac_f32_e32 v34, 0x3b2d2a58, v33
	v_fma_f32 v34, v33, v34, v15
	v_fma_f32 v34, v33, v34, v16
	;; [unrolled: 1-line block ×6, first 2 shown]
	v_mul_f32_e32 v33, v33, v34
	v_fmac_f32_e32 v32, v32, v33
	v_sub_f32_e32 v33, 0x3fc90fdb, v32
	v_cndmask_b32_e64 v32, v32, v33, s[0:1]
	v_sub_f32_e32 v33, 0x40490fdb, v32
	v_cmp_gt_f32_e32 vcc, 0, v3
	v_cndmask_b32_e32 v32, v32, v33, vcc
	v_cndmask_b32_e64 v33, 0, v24, s[2:3]
	v_cmp_eq_f32_e64 s[2:3], 0, v4
	v_cndmask_b32_e64 v32, v32, v33, s[2:3]
	v_cmp_class_f32_e64 s[2:3], v3, s42
	v_cndmask_b32_e32 v33, v25, v26, vcc
	s_and_b64 vcc, s[2:3], s[26:27]
	v_mul_f32_e32 v1, 0.5, v1
	v_cndmask_b32_e32 v32, v32, v33, vcc
                                        ; implicit-def: $vgpr34
                                        ; implicit-def: $vgpr33
.LBB192_116:                            ;   in Loop: Header=BB192_5 Depth=1
	s_andn2_saveexec_b64 s[24:25], s[24:25]
	s_cbranch_execz .LBB192_120
; %bb.117:                              ;   in Loop: Header=BB192_5 Depth=1
	v_and_b32_e32 v35, 0x7fff0000, v34
	v_sub_f32_e32 v1, v34, v35
	v_and_b32_e32 v39, 0xffff0000, v1
	v_and_b32_e32 v34, 0x7fff0000, v33
	v_sub_f32_e32 v41, v1, v39
	v_sub_f32_e32 v1, v33, v34
	v_and_b32_e32 v40, 0xffff0000, v1
	v_add_f32_e32 v36, v35, v35
	v_add_f32_e32 v43, v34, v34
	v_sub_f32_e32 v42, v1, v40
	v_mul_f32_e32 v1, v35, v35
	v_mul_f32_e32 v32, v34, v34
	;; [unrolled: 1-line block ×6, first 2 shown]
	v_add_f32_e32 v39, v39, v39
	v_add_f32_e32 v40, v40, v40
	v_mul_f32_e32 v37, v36, v41
	v_mul_f32_e32 v36, v43, v42
	;; [unrolled: 1-line block ×6, first 2 shown]
	s_mov_b64 s[26:27], 0
.LBB192_118:                            ;   Parent Loop BB192_5 Depth=1
                                        ; =>  This Inner Loop Header: Depth=2
	v_cmp_nlt_f32_e32 vcc, v1, v32
	v_mov_b32_e32 v43, v42
	v_cndmask_b32_e32 v42, v1, v32, vcc
	v_cmp_nlt_f32_e64 s[2:3], v42, v35
	v_cndmask_b32_e64 v44, v42, v35, s[2:3]
	v_cndmask_b32_e32 v1, v32, v1, vcc
	s_and_b64 s[50:51], vcc, s[2:3]
	v_cmp_nlt_f32_e32 vcc, v44, v34
	v_cndmask_b32_e64 v32, v35, v42, s[2:3]
	v_cndmask_b32_e32 v42, v44, v34, vcc
	v_cmp_nlt_f32_e64 s[2:3], v42, v38
	v_cndmask_b32_e32 v35, v34, v44, vcc
	v_cndmask_b32_e64 v44, v42, v38, s[2:3]
	s_and_b64 s[52:53], vcc, s[2:3]
	v_cmp_nlt_f32_e32 vcc, v44, v33
	v_cndmask_b32_e64 v34, v38, v42, s[2:3]
	v_cndmask_b32_e32 v42, v44, v33, vcc
	v_cmp_nlt_f32_e64 s[2:3], v42, v37
	v_cndmask_b32_e32 v38, v33, v44, vcc
	v_cndmask_b32_e64 v44, v42, v37, s[2:3]
	v_cndmask_b32_e64 v33, v37, v42, s[2:3]
	s_and_b64 s[2:3], vcc, s[2:3]
	v_cmp_nlt_f32_e32 vcc, v44, v36
	v_cndmask_b32_e32 v42, v44, v36, vcc
	v_cndmask_b32_e32 v37, v36, v44, vcc
	s_and_b64 s[2:3], s[2:3], vcc
	v_cmp_nlt_f32_e32 vcc, v42, v39
	v_cndmask_b32_e32 v44, v42, v39, vcc
	v_cndmask_b32_e32 v36, v39, v42, vcc
	s_and_b64 s[2:3], s[2:3], vcc
	;; [unrolled: 4-line block ×4, first 2 shown]
	v_cmp_nlt_f32_e32 vcc, v44, v43
	s_and_b64 s[2:3], s[2:3], vcc
	s_and_b64 s[2:3], s[2:3], s[52:53]
	s_and_b64 s[2:3], s[2:3], s[50:51]
	s_and_b64 s[2:3], exec, s[2:3]
	v_cndmask_b32_e32 v42, v44, v43, vcc
	s_or_b64 s[26:27], s[2:3], s[26:27]
	v_cndmask_b32_e32 v41, v43, v44, vcc
	s_andn2_b64 exec, exec, s[26:27]
	s_cbranch_execnz .LBB192_118
; %bb.119:                              ;   in Loop: Header=BB192_5 Depth=1
	s_or_b64 exec, exec, s[26:27]
	v_add_f32_e32 v1, -1.0, v1
	v_add_f32_e32 v1, v1, v32
	v_add_f32_e32 v1, v1, v35
	;; [unrolled: 1-line block ×11, first 2 shown]
	v_add_f32_e32 v34, 1.0, v1
	v_cvt_f64_f32_e32 v[32:33], v34
	v_add_f32_e32 v35, -1.0, v34
	v_sub_f32_e32 v36, v35, v34
	v_sub_f32_e32 v35, v1, v35
	v_frexp_exp_i32_f64_e32 v32, v[32:33]
	v_frexp_mant_f32_e32 v33, v34
	v_cmp_gt_f32_e32 vcc, s38, v33
	v_add_f32_e32 v36, 1.0, v36
	v_add_f32_e32 v35, v35, v36
	v_cmp_gt_i32_e64 s[2:3], 0, v3
	v_cmp_class_f32_e64 s[26:27], v4, s42
	v_subbrev_co_u32_e32 v32, vcc, 0, v32, vcc
	v_sub_u32_e32 v33, 0, v32
	v_ldexp_f32 v34, v34, v33
	v_ldexp_f32 v33, v35, v33
	v_add_f32_e32 v35, -1.0, v34
	v_add_f32_e32 v36, 1.0, v34
	v_add_f32_e32 v37, 1.0, v35
	v_add_f32_e32 v39, -1.0, v36
	v_sub_f32_e32 v37, v34, v37
	v_sub_f32_e32 v34, v34, v39
	v_add_f32_e32 v37, v33, v37
	v_add_f32_e32 v33, v33, v34
	v_add_f32_e32 v34, v36, v33
	v_rcp_f32_e32 v39, v34
	v_add_f32_e32 v38, v35, v37
	v_sub_f32_e32 v36, v34, v36
	v_sub_f32_e32 v35, v38, v35
	;; [unrolled: 1-line block ×3, first 2 shown]
	v_mul_f32_e32 v36, v38, v39
	v_sub_f32_e32 v35, v37, v35
	v_mul_f32_e32 v37, v34, v36
	v_fma_f32 v40, v36, v34, -v37
	v_fmac_f32_e32 v40, v36, v33
	v_add_f32_e32 v41, v37, v40
	v_sub_f32_e32 v42, v38, v41
	v_sub_f32_e32 v38, v38, v42
	;; [unrolled: 1-line block ×4, first 2 shown]
	v_add_f32_e32 v35, v35, v38
	v_sub_f32_e32 v37, v37, v40
	v_add_f32_e32 v35, v37, v35
	v_add_f32_e32 v37, v42, v35
	v_mul_f32_e32 v38, v39, v37
	v_mul_f32_e32 v40, v34, v38
	v_fma_f32 v34, v38, v34, -v40
	v_fmac_f32_e32 v34, v38, v33
	v_sub_f32_e32 v33, v42, v37
	v_add_f32_e32 v33, v35, v33
	v_add_f32_e32 v35, v40, v34
	v_sub_f32_e32 v41, v37, v35
	v_sub_f32_e32 v37, v37, v41
	;; [unrolled: 1-line block ×4, first 2 shown]
	v_add_f32_e32 v33, v33, v35
	v_sub_f32_e32 v34, v40, v34
	v_cvt_f32_i32_e32 v32, v32
	v_add_f32_e32 v33, v34, v33
	v_add_f32_e32 v34, v36, v38
	;; [unrolled: 1-line block ×3, first 2 shown]
	v_sub_f32_e32 v35, v34, v36
	v_mul_f32_e32 v33, v39, v33
	v_sub_f32_e32 v35, v38, v35
	v_add_f32_e32 v33, v35, v33
	v_mul_f32_e32 v38, 0x3f317218, v32
	v_add_f32_e32 v35, v34, v33
	v_fma_f32 v39, v32, s39, -v38
	v_mul_f32_e32 v36, v35, v35
	v_mov_b32_e32 v37, 0x3ecc95a3
	v_fmac_f32_e32 v39, 0xb102e308, v32
	v_sub_f32_e32 v32, v35, v34
	v_fmac_f32_e32 v37, 0x3e9b6dac, v36
	v_sub_f32_e32 v32, v33, v32
	v_add_f32_e32 v33, v38, v39
	v_fma_f32 v37, v36, v37, v14
	v_sub_f32_e32 v34, v33, v38
	v_ldexp_f32 v38, v35, 1
	v_mul_f32_e32 v35, v35, v36
	v_mul_f32_e32 v35, v35, v37
	v_add_f32_e32 v36, v38, v35
	v_sub_f32_e32 v37, v36, v38
	v_ldexp_f32 v32, v32, 1
	v_sub_f32_e32 v35, v35, v37
	v_add_f32_e32 v32, v32, v35
	v_add_f32_e32 v35, v36, v32
	v_sub_f32_e32 v36, v35, v36
	v_sub_f32_e32 v32, v32, v36
	v_add_f32_e32 v36, v33, v35
	v_sub_f32_e32 v37, v36, v33
	v_sub_f32_e32 v38, v36, v37
	;; [unrolled: 1-line block ×5, first 2 shown]
	v_add_f32_e32 v33, v35, v33
	v_add_f32_e32 v35, v34, v32
	v_sub_f32_e32 v37, v35, v34
	v_sub_f32_e32 v38, v35, v37
	;; [unrolled: 1-line block ×4, first 2 shown]
	v_add_f32_e32 v33, v35, v33
	v_add_f32_e32 v32, v32, v34
	;; [unrolled: 1-line block ×3, first 2 shown]
	v_sub_f32_e32 v35, v34, v36
	v_sub_f32_e32 v33, v33, v35
	v_add_f32_e32 v32, v32, v33
	v_add_f32_e32 v32, v34, v32
	v_cmp_neq_f32_e32 vcc, s40, v1
	v_cndmask_b32_e32 v32, v21, v32, vcc
	v_cmp_ngt_f32_e32 vcc, -1.0, v1
	v_cndmask_b32_e32 v32, v22, v32, vcc
	v_cmp_neq_f32_e32 vcc, -1.0, v1
	v_cndmask_b32_e32 v32, v23, v32, vcc
	v_cmp_lt_f32_e64 vcc, |v1|, s41
	v_cndmask_b32_e32 v1, v32, v1, vcc
	v_max_f32_e64 v32, |v4|, |v4|
	v_max_f32_e64 v33, |v3|, |v3|
	v_min_f32_e32 v34, v33, v32
	v_max_f32_e32 v32, v33, v32
	v_frexp_mant_f32_e32 v33, v32
	v_rcp_f32_e32 v33, v33
	v_frexp_exp_i32_f32_e32 v32, v32
	v_frexp_exp_i32_f32_e32 v35, v34
	v_frexp_mant_f32_e32 v34, v34
	v_mul_f32_e32 v33, v34, v33
	v_sub_u32_e32 v32, v35, v32
	v_ldexp_f32 v32, v33, v32
	v_mul_f32_e32 v33, v32, v32
	v_mov_b32_e32 v34, 0xbc7a590c
	v_fmac_f32_e32 v34, 0x3b2d2a58, v33
	v_fma_f32 v34, v33, v34, v15
	v_fma_f32 v34, v33, v34, v16
	;; [unrolled: 1-line block ×6, first 2 shown]
	v_mul_f32_e32 v33, v33, v34
	v_fmac_f32_e32 v32, v32, v33
	v_sub_f32_e32 v33, 0x3fc90fdb, v32
	v_cndmask_b32_e64 v32, v32, v33, s[0:1]
	v_sub_f32_e32 v33, 0x40490fdb, v32
	v_cmp_gt_f32_e32 vcc, 0, v3
	v_cndmask_b32_e32 v32, v32, v33, vcc
	v_cndmask_b32_e64 v33, 0, v24, s[2:3]
	v_cmp_eq_f32_e64 s[2:3], 0, v4
	v_cndmask_b32_e64 v32, v32, v33, s[2:3]
	v_cmp_class_f32_e64 s[2:3], v3, s42
	v_cndmask_b32_e32 v33, v25, v26, vcc
	s_and_b64 vcc, s[2:3], s[26:27]
	v_mul_f32_e32 v1, 0.5, v1
	v_cndmask_b32_e32 v32, v32, v33, vcc
.LBB192_120:                            ;   in Loop: Header=BB192_5 Depth=1
	s_or_b64 exec, exec, s[24:25]
.LBB192_121:                            ;   in Loop: Header=BB192_5 Depth=1
	s_or_b64 exec, exec, s[22:23]
.LBB192_122:                            ;   in Loop: Header=BB192_5 Depth=1
	s_andn2_saveexec_b64 s[20:21], s[20:21]
	s_cbranch_execz .LBB192_124
; %bb.123:                              ;   in Loop: Header=BB192_5 Depth=1
	v_max_f32_e64 v1, |v4|, |v4|
	v_max_f32_e64 v34, |v3|, |v3|
	v_max_f32_e32 v35, v34, v1
	v_cvt_f64_f32_e32 v[32:33], v35
	v_min_f32_e32 v1, v34, v1
	v_frexp_mant_f32_e32 v34, v35
	v_rcp_f32_e32 v34, v34
	v_frexp_exp_i32_f64_e32 v32, v[32:33]
	v_cmp_neq_f32_e32 vcc, s40, v35
	v_frexp_exp_i32_f32_e32 v36, v1
	v_frexp_mant_f32_e32 v1, v1
	v_mul_f32_e32 v1, v1, v34
	v_frexp_exp_i32_f32_e32 v33, v35
	v_sub_u32_e32 v33, v36, v33
	v_ldexp_f32 v33, v1, v33
	v_sub_u32_e32 v37, 0, v32
	v_ldexp_f32 v38, |v3|, v37
	v_ldexp_f32 v37, |v4|, v37
	v_mul_f32_e32 v37, v37, v37
	v_fmac_f32_e32 v37, v38, v38
	v_sqrt_f32_e32 v37, v37
	v_cmp_gt_i32_e64 s[2:3], 0, v3
	v_cmp_class_f32_e64 s[22:23], v4, s42
	v_ldexp_f32 v32, v37, v32
	v_cndmask_b32_e32 v32, v21, v32, vcc
	v_cmp_gt_f32_e32 vcc, s44, v32
	v_cndmask_b32_e64 v34, 0, 32, vcc
	v_ldexp_f32 v32, v32, v34
	v_log_f32_e32 v32, v32
	v_cndmask_b32_e32 v1, 0, v27, vcc
	v_mul_f32_e32 v34, v33, v33
	v_mul_f32_e32 v35, 0x3f317217, v32
	v_fma_f32 v35, v32, s45, -v35
	v_fmac_f32_e32 v35, 0x3377d1cf, v32
	v_fmac_f32_e32 v35, 0x3f317217, v32
	v_cmp_lt_f32_e64 vcc, |v32|, s40
	v_cndmask_b32_e32 v32, v32, v35, vcc
	v_sub_f32_e32 v1, v32, v1
	v_mov_b32_e32 v32, 0xbc7a590c
	v_fmac_f32_e32 v32, 0x3b2d2a58, v34
	v_fma_f32 v32, v34, v32, v15
	v_fma_f32 v32, v34, v32, v16
	;; [unrolled: 1-line block ×6, first 2 shown]
	v_mul_f32_e32 v32, v34, v32
	v_fmac_f32_e32 v33, v33, v32
	v_sub_f32_e32 v32, 0x3fc90fdb, v33
	v_cndmask_b32_e64 v32, v33, v32, s[0:1]
	v_sub_f32_e32 v33, 0x40490fdb, v32
	v_cmp_gt_f32_e32 vcc, 0, v3
	v_cndmask_b32_e32 v32, v32, v33, vcc
	v_cndmask_b32_e64 v33, 0, v24, s[2:3]
	v_cmp_eq_f32_e64 s[2:3], 0, v4
	v_cndmask_b32_e64 v32, v32, v33, s[2:3]
	v_cmp_class_f32_e64 s[2:3], v3, s42
	v_cndmask_b32_e32 v33, v25, v26, vcc
	s_and_b64 vcc, s[2:3], s[22:23]
	v_cndmask_b32_e32 v32, v32, v33, vcc
.LBB192_124:                            ;   in Loop: Header=BB192_5 Depth=1
	s_or_b64 exec, exec, s[20:21]
                                        ; implicit-def: $vgpr33
.LBB192_125:                            ;   in Loop: Header=BB192_5 Depth=1
	s_andn2_saveexec_b64 s[18:19], s[18:19]
	s_cbranch_execz .LBB192_131
; %bb.126:                              ;   in Loop: Header=BB192_5 Depth=1
	v_cmp_ngt_f32_e32 vcc, s46, v33
                                        ; implicit-def: $vgpr1
                                        ; implicit-def: $vgpr32
	s_and_saveexec_b64 s[2:3], vcc
	s_xor_b64 s[20:21], exec, s[2:3]
	s_cbranch_execz .LBB192_128
; %bb.127:                              ;   in Loop: Header=BB192_5 Depth=1
	v_mul_f32_e32 v1, v33, v33
	v_add_f32_e32 v34, 1.0, v1
	v_cvt_f64_f32_e32 v[32:33], v34
	v_add_f32_e32 v35, -1.0, v34
	v_sub_f32_e32 v36, v35, v34
	v_sub_f32_e32 v35, v1, v35
	v_frexp_exp_i32_f64_e32 v32, v[32:33]
	v_frexp_mant_f32_e32 v33, v34
	v_cmp_gt_f32_e32 vcc, s38, v33
	v_add_f32_e32 v36, 1.0, v36
	v_add_f32_e32 v35, v35, v36
	v_cmp_gt_i32_e64 s[2:3], 0, v3
	v_cmp_class_f32_e64 s[22:23], v4, s42
	v_subbrev_co_u32_e32 v32, vcc, 0, v32, vcc
	v_sub_u32_e32 v33, 0, v32
	v_ldexp_f32 v34, v34, v33
	v_ldexp_f32 v33, v35, v33
	v_add_f32_e32 v35, -1.0, v34
	v_add_f32_e32 v36, 1.0, v34
	v_add_f32_e32 v37, 1.0, v35
	v_add_f32_e32 v39, -1.0, v36
	v_sub_f32_e32 v37, v34, v37
	v_sub_f32_e32 v34, v34, v39
	v_add_f32_e32 v37, v33, v37
	v_add_f32_e32 v33, v33, v34
	;; [unrolled: 1-line block ×3, first 2 shown]
	v_rcp_f32_e32 v39, v34
	v_add_f32_e32 v38, v35, v37
	v_sub_f32_e32 v36, v36, v34
	v_sub_f32_e32 v35, v35, v38
	v_add_f32_e32 v33, v33, v36
	v_mul_f32_e32 v36, v38, v39
	v_add_f32_e32 v35, v37, v35
	v_mul_f32_e32 v37, v34, v36
	v_fma_f32 v40, v36, v34, -v37
	v_fmac_f32_e32 v40, v36, v33
	v_add_f32_e32 v41, v37, v40
	v_sub_f32_e32 v42, v38, v41
	v_sub_f32_e32 v38, v38, v42
	;; [unrolled: 1-line block ×4, first 2 shown]
	v_add_f32_e32 v35, v35, v38
	v_sub_f32_e32 v37, v37, v40
	v_add_f32_e32 v35, v37, v35
	v_add_f32_e32 v37, v42, v35
	v_mul_f32_e32 v38, v39, v37
	v_mul_f32_e32 v40, v34, v38
	v_fma_f32 v34, v38, v34, -v40
	v_fmac_f32_e32 v34, v38, v33
	v_sub_f32_e32 v33, v42, v37
	v_add_f32_e32 v33, v35, v33
	v_add_f32_e32 v35, v40, v34
	v_sub_f32_e32 v41, v37, v35
	v_sub_f32_e32 v37, v37, v41
	;; [unrolled: 1-line block ×4, first 2 shown]
	v_add_f32_e32 v33, v33, v35
	v_sub_f32_e32 v34, v40, v34
	v_cvt_f32_i32_e32 v32, v32
	v_add_f32_e32 v33, v34, v33
	v_add_f32_e32 v34, v36, v38
	v_add_f32_e32 v33, v41, v33
	v_sub_f32_e32 v35, v34, v36
	v_mul_f32_e32 v33, v39, v33
	v_sub_f32_e32 v35, v38, v35
	v_add_f32_e32 v33, v35, v33
	v_mul_f32_e32 v38, 0x3f317218, v32
	v_add_f32_e32 v35, v34, v33
	v_fma_f32 v39, v32, s39, -v38
	v_mul_f32_e32 v36, v35, v35
	v_mov_b32_e32 v37, 0x3ecc95a3
	v_fmac_f32_e32 v39, 0xb102e308, v32
	v_sub_f32_e32 v32, v35, v34
	v_fmac_f32_e32 v37, 0x3e9b6dac, v36
	v_sub_f32_e32 v32, v33, v32
	v_add_f32_e32 v33, v38, v39
	v_fma_f32 v37, v36, v37, v14
	v_sub_f32_e32 v34, v33, v38
	v_ldexp_f32 v38, v35, 1
	v_mul_f32_e32 v35, v35, v36
	v_mul_f32_e32 v35, v35, v37
	v_add_f32_e32 v36, v38, v35
	v_sub_f32_e32 v37, v36, v38
	v_ldexp_f32 v32, v32, 1
	v_sub_f32_e32 v35, v35, v37
	v_add_f32_e32 v32, v32, v35
	v_add_f32_e32 v35, v36, v32
	v_sub_f32_e32 v36, v35, v36
	v_sub_f32_e32 v32, v32, v36
	v_add_f32_e32 v36, v33, v35
	v_sub_f32_e32 v37, v36, v33
	v_sub_f32_e32 v38, v36, v37
	;; [unrolled: 1-line block ×5, first 2 shown]
	v_add_f32_e32 v33, v35, v33
	v_add_f32_e32 v35, v34, v32
	v_sub_f32_e32 v37, v35, v34
	v_sub_f32_e32 v38, v35, v37
	;; [unrolled: 1-line block ×4, first 2 shown]
	v_add_f32_e32 v33, v35, v33
	v_add_f32_e32 v32, v32, v34
	v_add_f32_e32 v34, v36, v33
	v_sub_f32_e32 v35, v34, v36
	v_sub_f32_e32 v33, v33, v35
	v_add_f32_e32 v32, v32, v33
	v_add_f32_e32 v32, v34, v32
	v_cmp_neq_f32_e32 vcc, s40, v1
	v_cndmask_b32_e32 v32, v21, v32, vcc
	v_cmp_lt_f32_e64 vcc, |v1|, s41
	v_cndmask_b32_e32 v1, v32, v1, vcc
	v_max_f32_e64 v32, |v4|, |v4|
	v_max_f32_e64 v33, |v3|, |v3|
	v_min_f32_e32 v34, v33, v32
	v_max_f32_e32 v32, v33, v32
	v_frexp_mant_f32_e32 v33, v32
	v_rcp_f32_e32 v33, v33
	v_frexp_exp_i32_f32_e32 v32, v32
	v_frexp_exp_i32_f32_e32 v35, v34
	v_frexp_mant_f32_e32 v34, v34
	v_mul_f32_e32 v33, v34, v33
	v_sub_u32_e32 v32, v35, v32
	v_ldexp_f32 v32, v33, v32
	v_mul_f32_e32 v33, v32, v32
	v_mov_b32_e32 v34, 0xbc7a590c
	v_fmac_f32_e32 v34, 0x3b2d2a58, v33
	v_fma_f32 v34, v33, v34, v15
	v_fma_f32 v34, v33, v34, v16
	;; [unrolled: 1-line block ×6, first 2 shown]
	v_mul_f32_e32 v33, v33, v34
	v_fmac_f32_e32 v32, v32, v33
	v_sub_f32_e32 v33, 0x3fc90fdb, v32
	v_cndmask_b32_e64 v32, v32, v33, s[0:1]
	v_sub_f32_e32 v33, 0x40490fdb, v32
	v_cmp_gt_f32_e32 vcc, 0, v3
	v_cndmask_b32_e32 v32, v32, v33, vcc
	v_cndmask_b32_e64 v33, 0, v24, s[2:3]
	v_cmp_eq_f32_e64 s[2:3], 0, v4
	v_cndmask_b32_e64 v32, v32, v33, s[2:3]
	v_cmp_class_f32_e64 s[2:3], v3, s42
	v_cndmask_b32_e32 v33, v25, v26, vcc
	s_and_b64 vcc, s[2:3], s[22:23]
	v_mul_f32_e32 v1, 0.5, v1
	v_cndmask_b32_e32 v32, v32, v33, vcc
                                        ; implicit-def: $vgpr33
.LBB192_128:                            ;   in Loop: Header=BB192_5 Depth=1
	s_andn2_saveexec_b64 s[20:21], s[20:21]
	s_cbranch_execz .LBB192_130
; %bb.129:                              ;   in Loop: Header=BB192_5 Depth=1
	v_mul_f32_e32 v1, 0.5, v33
	v_mul_f32_e32 v1, v33, v1
	v_max_f32_e64 v32, |v4|, |v4|
	v_max_f32_e64 v33, |v3|, |v3|
	v_min_f32_e32 v34, v33, v32
	v_max_f32_e32 v32, v33, v32
	v_frexp_mant_f32_e32 v33, v32
	v_rcp_f32_e32 v33, v33
	v_frexp_exp_i32_f32_e32 v32, v32
	v_frexp_exp_i32_f32_e32 v35, v34
	v_frexp_mant_f32_e32 v34, v34
	v_mul_f32_e32 v33, v34, v33
	v_sub_u32_e32 v32, v35, v32
	v_ldexp_f32 v32, v33, v32
	v_mul_f32_e32 v33, v32, v32
	v_mov_b32_e32 v34, 0xbc7a590c
	v_fmac_f32_e32 v34, 0x3b2d2a58, v33
	v_fma_f32 v34, v33, v34, v15
	v_fma_f32 v34, v33, v34, v16
	;; [unrolled: 1-line block ×6, first 2 shown]
	v_mul_f32_e32 v33, v33, v34
	v_fmac_f32_e32 v32, v32, v33
	v_sub_f32_e32 v33, 0x3fc90fdb, v32
	v_cndmask_b32_e64 v32, v32, v33, s[0:1]
	v_sub_f32_e32 v33, 0x40490fdb, v32
	v_cmp_gt_f32_e32 vcc, 0, v3
	v_cmp_gt_i32_e64 s[2:3], 0, v3
	v_cndmask_b32_e32 v32, v32, v33, vcc
	v_cndmask_b32_e64 v33, 0, v24, s[2:3]
	v_cmp_eq_f32_e64 s[2:3], 0, v4
	v_cndmask_b32_e64 v32, v32, v33, s[2:3]
	v_cmp_class_f32_e64 s[2:3], v3, s42
	v_cmp_class_f32_e64 s[22:23], v4, s42
	v_cndmask_b32_e32 v33, v25, v26, vcc
	s_and_b64 vcc, s[2:3], s[22:23]
	v_cndmask_b32_e32 v32, v32, v33, vcc
.LBB192_130:                            ;   in Loop: Header=BB192_5 Depth=1
	s_or_b64 exec, exec, s[20:21]
.LBB192_131:                            ;   in Loop: Header=BB192_5 Depth=1
	s_or_b64 exec, exec, s[18:19]
.LBB192_132:                            ;   in Loop: Header=BB192_5 Depth=1
	s_andn2_saveexec_b64 s[16:17], s[16:17]
	s_cbranch_execz .LBB192_134
; %bb.133:                              ;   in Loop: Header=BB192_5 Depth=1
	v_div_scale_f32 v1, s[2:3], s47, s47, v3
	v_div_scale_f32 v32, s[2:3], s47, s47, v4
	v_div_scale_f32 v33, vcc, v3, s47, v3
	v_div_scale_f32 v34, s[2:3], v4, s47, v4
	v_rcp_f32_e32 v35, v1
	v_rcp_f32_e32 v36, v32
	v_fma_f32 v37, -v1, v35, 1.0
	v_fmac_f32_e32 v35, v37, v35
	v_fma_f32 v38, -v32, v36, 1.0
	v_fmac_f32_e32 v36, v38, v36
	v_mul_f32_e32 v37, v33, v35
	v_mul_f32_e32 v38, v34, v36
	v_fma_f32 v39, -v1, v37, v33
	v_fma_f32 v40, -v32, v38, v34
	v_fmac_f32_e32 v37, v39, v35
	v_fmac_f32_e32 v38, v40, v36
	v_fma_f32 v1, -v1, v37, v33
	v_fma_f32 v32, -v32, v38, v34
	v_div_fmas_f32 v1, v1, v35, v37
	s_mov_b64 vcc, s[2:3]
	v_div_fmas_f32 v32, v32, v36, v38
	v_max_f32_e64 v33, |v4|, |v4|
	v_max_f32_e64 v34, |v3|, |v3|
	v_min_f32_e32 v36, v34, v33
	v_max_f32_e32 v33, v34, v33
	v_frexp_exp_i32_f32_e32 v34, v33
	v_frexp_exp_i32_f32_e32 v37, v36
	v_sub_u32_e32 v34, v37, v34
	v_frexp_mant_f32_e32 v33, v33
	v_rcp_f32_e32 v38, v33
	v_frexp_mant_f32_e32 v36, v36
	v_mov_b32_e32 v35, 0xbc7a590c
	v_cmp_class_f32_e64 s[2:3], v4, s42
	v_mul_f32_e32 v36, v36, v38
	v_div_fixup_f32 v1, v1, s47, v3
	v_ldexp_f32 v34, v36, v34
	v_div_fixup_f32 v37, v32, s47, v4
	v_max_f32_e64 v39, |v1|, |v37|
	v_cvt_f64_f32_e32 v[32:33], v39
	v_mul_f32_e32 v36, v34, v34
	v_fmac_f32_e32 v35, 0x3b2d2a58, v36
	v_cmp_neq_f32_e32 vcc, s40, v39
	v_frexp_exp_i32_f64_e32 v32, v[32:33]
	v_fma_f32 v33, v36, v35, v15
	v_fma_f32 v33, v36, v33, v16
	;; [unrolled: 1-line block ×6, first 2 shown]
	v_mul_f32_e32 v33, v36, v33
	v_sub_u32_e32 v35, 0, v32
	v_ldexp_f32 v1, |v1|, v35
	v_ldexp_f32 v35, |v37|, v35
	v_mul_f32_e32 v35, v35, v35
	v_fmac_f32_e32 v35, v1, v1
	v_sqrt_f32_e32 v1, v35
	v_fmac_f32_e32 v34, v34, v33
	v_sub_f32_e32 v33, 0x3fc90fdb, v34
	v_ldexp_f32 v1, v1, v32
	v_cndmask_b32_e32 v1, v21, v1, vcc
	v_cmp_gt_f32_e32 vcc, s44, v1
	v_cndmask_b32_e64 v32, 0, 32, vcc
	v_ldexp_f32 v1, v1, v32
	v_log_f32_e32 v1, v1
	v_cndmask_b32_e64 v32, v34, v33, s[0:1]
	v_cndmask_b32_e32 v34, 0, v27, vcc
	v_sub_f32_e32 v33, 0x40490fdb, v32
	v_mul_f32_e32 v35, 0x3f317217, v1
	v_fma_f32 v35, v1, s45, -v35
	v_fmac_f32_e32 v35, 0x3377d1cf, v1
	v_fmac_f32_e32 v35, 0x3f317217, v1
	v_cmp_lt_f32_e64 vcc, |v1|, s40
	v_cndmask_b32_e32 v1, v1, v35, vcc
	v_cmp_gt_f32_e32 vcc, 0, v3
	v_cmp_gt_i32_e64 s[0:1], 0, v3
	v_cndmask_b32_e32 v32, v32, v33, vcc
	v_cndmask_b32_e64 v33, 0, v24, s[0:1]
	v_cmp_eq_f32_e64 s[0:1], 0, v4
	v_cndmask_b32_e64 v32, v32, v33, s[0:1]
	v_cmp_class_f32_e64 s[0:1], v3, s42
	v_sub_f32_e32 v1, v1, v34
	v_cndmask_b32_e32 v33, v25, v26, vcc
	s_and_b64 vcc, s[0:1], s[2:3]
	v_add_f32_e32 v1, 1.0, v1
	v_cndmask_b32_e32 v32, v32, v33, vcc
.LBB192_134:                            ;   in Loop: Header=BB192_5 Depth=1
	s_or_b64 exec, exec, s[16:17]
.LBB192_135:                            ;   in Loop: Header=BB192_5 Depth=1
	s_andn2_saveexec_b64 s[0:1], s[14:15]
	s_cbranch_execz .LBB192_4
; %bb.136:                              ;   in Loop: Header=BB192_5 Depth=1
	v_cmp_nlt_f32_e64 s[2:3], |v3|, s48
	v_cmp_nlt_f32_e64 s[14:15], |v4|, s48
	s_or_b64 s[2:3], s[2:3], s[14:15]
                                        ; implicit-def: $vgpr1
	s_and_saveexec_b64 s[14:15], s[2:3]
	s_xor_b64 s[2:3], exec, s[14:15]
; %bb.137:                              ;   in Loop: Header=BB192_5 Depth=1
	v_mul_f32_e32 v1, v4, v4
	v_fmac_f32_e32 v1, v3, v3
; %bb.138:                              ;   in Loop: Header=BB192_5 Depth=1
	s_andn2_saveexec_b64 s[2:3], s[2:3]
	s_cbranch_execz .LBB192_3
; %bb.139:                              ;   in Loop: Header=BB192_5 Depth=1
	v_mul_f32_e32 v1, 4.0, v3
	v_mul_f32_e32 v3, 4.0, v4
	v_mul_f32_e32 v3, v3, v3
	v_fmac_f32_e32 v3, v1, v1
	v_mul_f32_e32 v1, 0x3d800000, v3
	s_branch .LBB192_3
.LBB192_140:
	s_or_b64 exec, exec, s[10:11]
	s_mov_b64 s[0:1], 0
.LBB192_141:
	s_andn2_b64 vcc, exec, s[0:1]
	s_cbranch_vccnz .LBB192_297
; %bb.142:
	v_cmp_lt_i64_e64 s[0:1], s[6:7], 1
	s_and_b64 vcc, exec, s[0:1]
	s_cbranch_vccnz .LBB192_297
; %bb.143:
	v_mov_b32_e32 v1, 0x10000
	s_load_dword s2, s[4:5], 0xc5c
	v_mov_b32_e32 v2, 0
	v_cmp_lt_i64_e32 vcc, s[6:7], v[1:2]
	s_mov_b64 s[16:17], 0
	s_and_b64 s[0:1], vcc, exec
	v_cmp_lt_u64_e32 vcc, s[6:7], v[1:2]
	s_cselect_b32 s13, s7, 0
	s_cselect_b32 s12, s6, 0x10000
	s_waitcnt lgkmcnt(0)
	s_and_b32 s37, s2, 0xffff
	s_and_b64 s[0:1], vcc, exec
	s_cselect_b32 s15, s7, 0
	s_cselect_b32 s14, s6, 0x10000
	s_lshl_b32 s38, s37, 1
	s_mul_i32 s39, s37, 3
	s_lshl_b32 s40, s37, 2
	s_brev_b32 s41, -2
	s_mov_b32 s42, 0x77f684df
	s_mov_b32 s43, 0x358637bd
	;; [unrolled: 1-line block ×4, first 2 shown]
	v_mov_b32_e32 v17, 0x3f2aaada
	s_mov_b32 s46, 0x3f317218
	s_mov_b32 s47, 0x7f800000
	;; [unrolled: 1-line block ×3, first 2 shown]
	v_mov_b32_e32 v18, 0x3d29fb3f
	v_mov_b32_e32 v19, 0xbd97d4d7
	;; [unrolled: 1-line block ×6, first 2 shown]
	s_movk_i32 s49, 0x204
	s_mov_b32 s50, 0x3f333333
	s_mov_b32 s51, 0x800000
	;; [unrolled: 1-line block ×5, first 2 shown]
	s_brev_b32 s55, 4
	v_mov_b32_e32 v24, 0x7f800000
	v_mov_b32_e32 v25, 0x7fc00000
	;; [unrolled: 1-line block ×7, first 2 shown]
	s_branch .LBB192_145
.LBB192_144:                            ;   in Loop: Header=BB192_145 Depth=1
	s_or_b64 exec, exec, s[0:1]
	s_add_u32 s16, s16, s40
	v_mov_b32_e32 v1, s12
	s_addc_u32 s17, s17, 0
	v_mov_b32_e32 v2, s13
	v_cmp_ge_i64_e32 vcc, s[16:17], v[1:2]
	s_cbranch_vccnz .LBB192_297
.LBB192_145:                            ; =>This Loop Header: Depth=1
                                        ;     Child Loop BB192_164 Depth 2
                                        ;     Child Loop BB192_198 Depth 2
	;; [unrolled: 1-line block ×4, first 2 shown]
	v_mov_b32_e32 v2, s17
	v_add_co_u32_e32 v1, vcc, s16, v0
	v_addc_co_u32_e32 v2, vcc, 0, v2, vcc
	v_cmp_gt_u64_e64 s[0:1], s[14:15], v[1:2]
	v_mov_b32_e32 v12, 0
	v_mov_b32_e32 v11, 0
	s_and_saveexec_b64 s[2:3], s[0:1]
	s_cbranch_execz .LBB192_147
; %bb.146:                              ;   in Loop: Header=BB192_145 Depth=1
	v_lshlrev_b64 v[3:4], 3, v[1:2]
	v_mov_b32_e32 v5, s34
	v_add_co_u32_e32 v3, vcc, s33, v3
	v_addc_co_u32_e32 v4, vcc, v5, v4, vcc
	global_load_dwordx2 v[11:12], v[3:4], off
.LBB192_147:                            ;   in Loop: Header=BB192_145 Depth=1
	s_or_b64 exec, exec, s[2:3]
	v_add_co_u32_e32 v5, vcc, s37, v1
	v_addc_co_u32_e32 v6, vcc, 0, v2, vcc
	v_cmp_gt_u64_e64 s[2:3], s[14:15], v[5:6]
	v_mov_b32_e32 v4, 0
	v_mov_b32_e32 v14, 0
	;; [unrolled: 1-line block ×3, first 2 shown]
	s_and_saveexec_b64 s[4:5], s[2:3]
	s_cbranch_execz .LBB192_149
; %bb.148:                              ;   in Loop: Header=BB192_145 Depth=1
	v_lshlrev_b64 v[7:8], 3, v[5:6]
	v_mov_b32_e32 v3, s34
	v_add_co_u32_e32 v7, vcc, s33, v7
	v_addc_co_u32_e32 v8, vcc, v3, v8, vcc
	global_load_dwordx2 v[13:14], v[7:8], off
.LBB192_149:                            ;   in Loop: Header=BB192_145 Depth=1
	s_or_b64 exec, exec, s[4:5]
	v_add_co_u32_e32 v7, vcc, s38, v1
	v_addc_co_u32_e32 v8, vcc, 0, v2, vcc
	v_cmp_gt_u64_e64 s[4:5], s[14:15], v[7:8]
	v_mov_b32_e32 v3, 0
	s_and_saveexec_b64 s[6:7], s[4:5]
	s_cbranch_execz .LBB192_151
; %bb.150:                              ;   in Loop: Header=BB192_145 Depth=1
	v_lshlrev_b64 v[3:4], 3, v[7:8]
	v_mov_b32_e32 v9, s34
	v_add_co_u32_e32 v3, vcc, s33, v3
	v_addc_co_u32_e32 v4, vcc, v9, v4, vcc
	global_load_dwordx2 v[3:4], v[3:4], off
.LBB192_151:                            ;   in Loop: Header=BB192_145 Depth=1
	s_or_b64 exec, exec, s[6:7]
	v_add_co_u32_e32 v9, vcc, s39, v1
	v_addc_co_u32_e32 v10, vcc, 0, v2, vcc
	v_cmp_gt_u64_e64 s[6:7], s[14:15], v[9:10]
	v_mov_b32_e32 v16, 0
	v_mov_b32_e32 v15, 0
	s_and_saveexec_b64 s[8:9], s[6:7]
	s_cbranch_execz .LBB192_153
; %bb.152:                              ;   in Loop: Header=BB192_145 Depth=1
	v_lshlrev_b64 v[15:16], 3, v[9:10]
	v_mov_b32_e32 v31, s34
	v_add_co_u32_e32 v15, vcc, s33, v15
	v_addc_co_u32_e32 v16, vcc, v31, v16, vcc
	global_load_dwordx2 v[15:16], v[15:16], off
.LBB192_153:                            ;   in Loop: Header=BB192_145 Depth=1
	s_or_b64 exec, exec, s[8:9]
	s_waitcnt vmcnt(0)
	v_cmp_o_f32_e32 vcc, v12, v11
                                        ; implicit-def: $vgpr31
                                        ; implicit-def: $vgpr32
	s_and_saveexec_b64 s[8:9], vcc
	s_xor_b64 s[18:19], exec, s[8:9]
	s_cbranch_execz .LBB192_181
; %bb.154:                              ;   in Loop: Header=BB192_145 Depth=1
	v_cmp_lt_f32_e64 s[8:9], |v11|, |v12|
	v_cndmask_b32_e64 v33, |v12|, |v11|, s[8:9]
	v_cmp_nlt_f32_e32 vcc, s42, v33
                                        ; implicit-def: $vgpr31
                                        ; implicit-def: $vgpr32
	s_and_saveexec_b64 s[10:11], vcc
	s_xor_b64 s[20:21], exec, s[10:11]
	s_cbranch_execz .LBB192_178
; %bb.155:                              ;   in Loop: Header=BB192_145 Depth=1
	v_and_b32_e32 v31, 0x7fffffff, v12
	v_cndmask_b32_e64 v34, |v11|, v31, s[8:9]
	v_cmp_neq_f32_e32 vcc, 1.0, v34
                                        ; implicit-def: $vgpr31
                                        ; implicit-def: $vgpr32
	s_and_saveexec_b64 s[10:11], vcc
	s_xor_b64 s[22:23], exec, s[10:11]
	s_cbranch_execz .LBB192_171
; %bb.156:                              ;   in Loop: Header=BB192_145 Depth=1
	v_max_f32_e32 v31, v33, v33
	v_max_f32_e32 v32, v34, v34
	v_min_f32_e32 v35, v32, v31
	v_max_f32_e32 v31, v32, v31
	v_cmp_ngt_f32_e32 vcc, s43, v35
	v_cmp_nlt_f32_e64 s[10:11], s44, v31
	s_and_b64 s[10:11], s[10:11], vcc
                                        ; implicit-def: $vgpr31
                                        ; implicit-def: $vgpr32
	s_and_saveexec_b64 s[24:25], s[10:11]
	s_xor_b64 s[24:25], exec, s[24:25]
	s_cbranch_execz .LBB192_168
; %bb.157:                              ;   in Loop: Header=BB192_145 Depth=1
	v_cmp_le_f32_e32 vcc, 1.0, v34
                                        ; implicit-def: $vgpr31
                                        ; implicit-def: $vgpr32
	s_and_saveexec_b64 s[10:11], vcc
	s_xor_b64 s[26:27], exec, s[10:11]
	s_cbranch_execz .LBB192_159
; %bb.158:                              ;   in Loop: Header=BB192_145 Depth=1
	v_add_f32_e32 v31, -1.0, v34
	v_add_f32_e32 v32, 1.0, v34
	v_mul_f32_e32 v34, v31, v32
	v_fmac_f32_e32 v34, v33, v33
	v_add_f32_e32 v33, 1.0, v34
	v_cvt_f64_f32_e32 v[31:32], v33
	v_add_f32_e32 v35, -1.0, v33
	v_sub_f32_e32 v36, v35, v33
	v_sub_f32_e32 v35, v34, v35
	v_frexp_exp_i32_f64_e32 v31, v[31:32]
	v_frexp_mant_f32_e32 v32, v33
	v_cmp_gt_f32_e32 vcc, s45, v32
	v_add_f32_e32 v36, 1.0, v36
	v_add_f32_e32 v35, v35, v36
	v_cmp_gt_i32_e64 s[10:11], 0, v11
	v_cmp_class_f32_e64 s[28:29], v12, s49
	v_subbrev_co_u32_e32 v31, vcc, 0, v31, vcc
	v_sub_u32_e32 v32, 0, v31
	v_ldexp_f32 v33, v33, v32
	v_ldexp_f32 v32, v35, v32
	v_add_f32_e32 v35, -1.0, v33
	v_add_f32_e32 v38, 1.0, v33
	v_add_f32_e32 v36, 1.0, v35
	v_add_f32_e32 v39, -1.0, v38
	v_sub_f32_e32 v36, v33, v36
	v_sub_f32_e32 v33, v33, v39
	v_add_f32_e32 v36, v32, v36
	v_add_f32_e32 v32, v32, v33
	;; [unrolled: 1-line block ×3, first 2 shown]
	v_rcp_f32_e32 v39, v33
	v_add_f32_e32 v37, v35, v36
	v_sub_f32_e32 v35, v37, v35
	v_sub_f32_e32 v35, v36, v35
	;; [unrolled: 1-line block ×4, first 2 shown]
	v_mul_f32_e32 v36, v37, v39
	v_mul_f32_e32 v38, v33, v36
	v_fma_f32 v40, v36, v33, -v38
	v_fmac_f32_e32 v40, v36, v32
	v_add_f32_e32 v41, v38, v40
	v_sub_f32_e32 v42, v37, v41
	v_sub_f32_e32 v37, v37, v42
	;; [unrolled: 1-line block ×4, first 2 shown]
	v_add_f32_e32 v35, v35, v37
	v_sub_f32_e32 v37, v38, v40
	v_add_f32_e32 v35, v37, v35
	v_add_f32_e32 v37, v42, v35
	v_mul_f32_e32 v38, v39, v37
	v_mul_f32_e32 v40, v33, v38
	v_fma_f32 v33, v38, v33, -v40
	v_fmac_f32_e32 v33, v38, v32
	v_sub_f32_e32 v32, v42, v37
	v_add_f32_e32 v32, v35, v32
	v_add_f32_e32 v35, v40, v33
	v_sub_f32_e32 v41, v37, v35
	v_sub_f32_e32 v37, v37, v41
	;; [unrolled: 1-line block ×4, first 2 shown]
	v_add_f32_e32 v32, v32, v35
	v_sub_f32_e32 v33, v40, v33
	v_cvt_f32_i32_e32 v31, v31
	v_add_f32_e32 v32, v33, v32
	v_add_f32_e32 v33, v36, v38
	;; [unrolled: 1-line block ×3, first 2 shown]
	v_sub_f32_e32 v35, v33, v36
	v_mul_f32_e32 v32, v39, v32
	v_sub_f32_e32 v35, v38, v35
	v_add_f32_e32 v32, v35, v32
	v_mul_f32_e32 v38, 0x3f317218, v31
	v_add_f32_e32 v35, v33, v32
	v_fma_f32 v39, v31, s46, -v38
	v_mul_f32_e32 v36, v35, v35
	v_mov_b32_e32 v37, 0x3ecc95a3
	v_fmac_f32_e32 v39, 0xb102e308, v31
	v_sub_f32_e32 v31, v35, v33
	v_fmac_f32_e32 v37, 0x3e9b6dac, v36
	v_sub_f32_e32 v31, v32, v31
	v_add_f32_e32 v32, v38, v39
	v_fma_f32 v37, v36, v37, v17
	v_sub_f32_e32 v33, v32, v38
	v_ldexp_f32 v38, v35, 1
	v_mul_f32_e32 v35, v35, v36
	v_mul_f32_e32 v35, v35, v37
	v_add_f32_e32 v36, v38, v35
	v_sub_f32_e32 v37, v36, v38
	v_ldexp_f32 v31, v31, 1
	v_sub_f32_e32 v35, v35, v37
	v_add_f32_e32 v31, v31, v35
	v_add_f32_e32 v35, v36, v31
	v_sub_f32_e32 v36, v35, v36
	v_sub_f32_e32 v31, v31, v36
	v_add_f32_e32 v36, v32, v35
	v_sub_f32_e32 v37, v36, v32
	v_sub_f32_e32 v38, v36, v37
	;; [unrolled: 1-line block ×5, first 2 shown]
	v_add_f32_e32 v32, v35, v32
	v_add_f32_e32 v35, v33, v31
	v_sub_f32_e32 v37, v35, v33
	v_sub_f32_e32 v38, v35, v37
	;; [unrolled: 1-line block ×4, first 2 shown]
	v_add_f32_e32 v32, v35, v32
	v_add_f32_e32 v31, v31, v33
	;; [unrolled: 1-line block ×3, first 2 shown]
	v_sub_f32_e32 v35, v33, v36
	v_sub_f32_e32 v32, v32, v35
	v_add_f32_e32 v31, v31, v32
	v_add_f32_e32 v31, v33, v31
	v_cmp_neq_f32_e32 vcc, s47, v34
	v_cndmask_b32_e32 v31, v24, v31, vcc
	v_cmp_ngt_f32_e32 vcc, -1.0, v34
	v_cndmask_b32_e32 v31, v25, v31, vcc
	v_cmp_neq_f32_e32 vcc, -1.0, v34
	v_cndmask_b32_e32 v31, v26, v31, vcc
	v_cmp_lt_f32_e64 vcc, |v34|, s48
	v_max_f32_e64 v32, |v12|, |v12|
	v_max_f32_e64 v33, |v11|, |v11|
	v_cndmask_b32_e32 v31, v31, v34, vcc
	v_min_f32_e32 v34, v33, v32
	v_max_f32_e32 v32, v33, v32
	v_frexp_mant_f32_e32 v33, v32
	v_rcp_f32_e32 v33, v33
	v_frexp_exp_i32_f32_e32 v32, v32
	v_frexp_exp_i32_f32_e32 v35, v34
	v_frexp_mant_f32_e32 v34, v34
	v_mul_f32_e32 v33, v34, v33
	v_sub_u32_e32 v32, v35, v32
	v_ldexp_f32 v32, v33, v32
	v_mul_f32_e32 v33, v32, v32
	v_mov_b32_e32 v34, 0xbc7a590c
	v_fmac_f32_e32 v34, 0x3b2d2a58, v33
	v_fma_f32 v34, v33, v34, v18
	v_fma_f32 v34, v33, v34, v19
	;; [unrolled: 1-line block ×6, first 2 shown]
	v_mul_f32_e32 v33, v33, v34
	v_fmac_f32_e32 v32, v32, v33
	v_sub_f32_e32 v33, 0x3fc90fdb, v32
	v_cndmask_b32_e64 v32, v32, v33, s[8:9]
	v_sub_f32_e32 v33, 0x40490fdb, v32
	v_cmp_gt_f32_e32 vcc, 0, v11
	v_cndmask_b32_e32 v32, v32, v33, vcc
	v_cndmask_b32_e64 v33, 0, v27, s[10:11]
	v_cmp_eq_f32_e64 s[10:11], 0, v12
	v_cndmask_b32_e64 v32, v32, v33, s[10:11]
	v_cmp_class_f32_e64 s[10:11], v11, s49
	v_cndmask_b32_e32 v33, v28, v29, vcc
	s_and_b64 vcc, s[28:29], s[10:11]
	v_mul_f32_e32 v31, 0.5, v31
	v_cndmask_b32_e32 v32, v32, v33, vcc
                                        ; implicit-def: $vgpr33
                                        ; implicit-def: $vgpr34
.LBB192_159:                            ;   in Loop: Header=BB192_145 Depth=1
	s_andn2_saveexec_b64 s[26:27], s[26:27]
	s_cbranch_execz .LBB192_167
; %bb.160:                              ;   in Loop: Header=BB192_145 Depth=1
	v_mul_f32_e32 v35, v33, v33
	v_fmac_f32_e32 v35, v34, v34
	v_cmp_ge_f32_e32 vcc, s50, v35
                                        ; implicit-def: $vgpr31
                                        ; implicit-def: $vgpr32
	s_and_saveexec_b64 s[10:11], vcc
	s_xor_b64 s[28:29], exec, s[10:11]
	s_cbranch_execz .LBB192_162
; %bb.161:                              ;   in Loop: Header=BB192_145 Depth=1
	v_cmp_gt_f32_e32 vcc, s51, v35
	v_cndmask_b32_e64 v31, 0, 32, vcc
	v_ldexp_f32 v31, v35, v31
	v_log_f32_e32 v31, v31
	v_cndmask_b32_e32 v32, 0, v30, vcc
	v_cmp_gt_i32_e64 s[10:11], 0, v11
	v_cmp_class_f32_e64 s[30:31], v12, s49
	v_mul_f32_e32 v33, 0x3f317217, v31
	v_fma_f32 v33, v31, s52, -v33
	v_fmac_f32_e32 v33, 0x3377d1cf, v31
	v_fmac_f32_e32 v33, 0x3f317217, v31
	v_cmp_lt_f32_e64 vcc, |v31|, s47
	v_cndmask_b32_e32 v31, v31, v33, vcc
	v_sub_f32_e32 v31, v31, v32
	v_max_f32_e64 v32, |v12|, |v12|
	v_max_f32_e64 v33, |v11|, |v11|
	v_min_f32_e32 v34, v33, v32
	v_max_f32_e32 v32, v33, v32
	v_frexp_mant_f32_e32 v33, v32
	v_rcp_f32_e32 v33, v33
	v_frexp_exp_i32_f32_e32 v32, v32
	v_frexp_exp_i32_f32_e32 v35, v34
	v_frexp_mant_f32_e32 v34, v34
	v_mul_f32_e32 v33, v34, v33
	v_sub_u32_e32 v32, v35, v32
	v_ldexp_f32 v32, v33, v32
	v_mul_f32_e32 v33, v32, v32
	v_mov_b32_e32 v34, 0xbc7a590c
	v_fmac_f32_e32 v34, 0x3b2d2a58, v33
	v_fma_f32 v34, v33, v34, v18
	v_fma_f32 v34, v33, v34, v19
	;; [unrolled: 1-line block ×6, first 2 shown]
	v_mul_f32_e32 v33, v33, v34
	v_fmac_f32_e32 v32, v32, v33
	v_sub_f32_e32 v33, 0x3fc90fdb, v32
	v_cndmask_b32_e64 v32, v32, v33, s[8:9]
	v_sub_f32_e32 v33, 0x40490fdb, v32
	v_cmp_gt_f32_e32 vcc, 0, v11
	v_cndmask_b32_e32 v32, v32, v33, vcc
	v_cndmask_b32_e64 v33, 0, v27, s[10:11]
	v_cmp_eq_f32_e64 s[10:11], 0, v12
	v_cndmask_b32_e64 v32, v32, v33, s[10:11]
	v_cmp_class_f32_e64 s[10:11], v11, s49
	v_cndmask_b32_e32 v33, v28, v29, vcc
	s_and_b64 vcc, s[30:31], s[10:11]
	v_mul_f32_e32 v31, 0.5, v31
	v_cndmask_b32_e32 v32, v32, v33, vcc
                                        ; implicit-def: $vgpr34
                                        ; implicit-def: $vgpr33
.LBB192_162:                            ;   in Loop: Header=BB192_145 Depth=1
	s_andn2_saveexec_b64 s[28:29], s[28:29]
	s_cbranch_execz .LBB192_166
; %bb.163:                              ;   in Loop: Header=BB192_145 Depth=1
	v_and_b32_e32 v35, 0x7fff0000, v34
	v_sub_f32_e32 v31, v34, v35
	v_and_b32_e32 v39, 0xffff0000, v31
	v_and_b32_e32 v34, 0x7fff0000, v33
	v_sub_f32_e32 v41, v31, v39
	v_sub_f32_e32 v31, v33, v34
	v_and_b32_e32 v40, 0xffff0000, v31
	v_add_f32_e32 v36, v35, v35
	v_add_f32_e32 v43, v34, v34
	v_sub_f32_e32 v42, v31, v40
	v_mul_f32_e32 v31, v35, v35
	v_mul_f32_e32 v32, v34, v34
	;; [unrolled: 1-line block ×6, first 2 shown]
	v_add_f32_e32 v39, v39, v39
	v_add_f32_e32 v40, v40, v40
	v_mul_f32_e32 v37, v36, v41
	v_mul_f32_e32 v36, v43, v42
	;; [unrolled: 1-line block ×6, first 2 shown]
	s_mov_b64 s[30:31], 0
.LBB192_164:                            ;   Parent Loop BB192_145 Depth=1
                                        ; =>  This Inner Loop Header: Depth=2
	v_cmp_nlt_f32_e32 vcc, v31, v32
	v_mov_b32_e32 v43, v42
	v_cndmask_b32_e32 v42, v31, v32, vcc
	v_cmp_nlt_f32_e64 s[10:11], v42, v35
	v_cndmask_b32_e64 v44, v42, v35, s[10:11]
	v_cndmask_b32_e32 v31, v32, v31, vcc
	s_and_b64 s[56:57], vcc, s[10:11]
	v_cmp_nlt_f32_e32 vcc, v44, v34
	v_cndmask_b32_e64 v32, v35, v42, s[10:11]
	v_cndmask_b32_e32 v42, v44, v34, vcc
	v_cmp_nlt_f32_e64 s[10:11], v42, v38
	v_cndmask_b32_e32 v35, v34, v44, vcc
	v_cndmask_b32_e64 v44, v42, v38, s[10:11]
	s_and_b64 s[58:59], vcc, s[10:11]
	v_cmp_nlt_f32_e32 vcc, v44, v33
	v_cndmask_b32_e64 v34, v38, v42, s[10:11]
	v_cndmask_b32_e32 v42, v44, v33, vcc
	v_cmp_nlt_f32_e64 s[10:11], v42, v37
	v_cndmask_b32_e32 v38, v33, v44, vcc
	v_cndmask_b32_e64 v44, v42, v37, s[10:11]
	v_cndmask_b32_e64 v33, v37, v42, s[10:11]
	s_and_b64 s[10:11], vcc, s[10:11]
	v_cmp_nlt_f32_e32 vcc, v44, v36
	v_cndmask_b32_e32 v42, v44, v36, vcc
	v_cndmask_b32_e32 v37, v36, v44, vcc
	s_and_b64 s[10:11], s[10:11], vcc
	v_cmp_nlt_f32_e32 vcc, v42, v39
	v_cndmask_b32_e32 v44, v42, v39, vcc
	v_cndmask_b32_e32 v36, v39, v42, vcc
	s_and_b64 s[10:11], s[10:11], vcc
	;; [unrolled: 4-line block ×4, first 2 shown]
	v_cmp_nlt_f32_e32 vcc, v44, v43
	s_and_b64 s[10:11], s[10:11], vcc
	s_and_b64 s[10:11], s[10:11], s[58:59]
	s_and_b64 s[10:11], s[10:11], s[56:57]
	s_and_b64 s[10:11], exec, s[10:11]
	v_cndmask_b32_e32 v42, v44, v43, vcc
	s_or_b64 s[30:31], s[10:11], s[30:31]
	v_cndmask_b32_e32 v41, v43, v44, vcc
	s_andn2_b64 exec, exec, s[30:31]
	s_cbranch_execnz .LBB192_164
; %bb.165:                              ;   in Loop: Header=BB192_145 Depth=1
	s_or_b64 exec, exec, s[30:31]
	v_add_f32_e32 v31, -1.0, v31
	v_add_f32_e32 v31, v31, v32
	v_add_f32_e32 v31, v31, v35
	;; [unrolled: 1-line block ×11, first 2 shown]
	v_add_f32_e32 v34, 1.0, v33
	v_cvt_f64_f32_e32 v[31:32], v34
	v_add_f32_e32 v35, -1.0, v34
	v_sub_f32_e32 v36, v35, v34
	v_sub_f32_e32 v35, v33, v35
	v_frexp_exp_i32_f64_e32 v31, v[31:32]
	v_frexp_mant_f32_e32 v32, v34
	v_cmp_gt_f32_e32 vcc, s45, v32
	v_add_f32_e32 v36, 1.0, v36
	v_add_f32_e32 v35, v35, v36
	v_cmp_gt_i32_e64 s[10:11], 0, v11
	v_cmp_class_f32_e64 s[30:31], v12, s49
	v_subbrev_co_u32_e32 v31, vcc, 0, v31, vcc
	v_sub_u32_e32 v32, 0, v31
	v_ldexp_f32 v34, v34, v32
	v_ldexp_f32 v32, v35, v32
	v_add_f32_e32 v35, -1.0, v34
	v_add_f32_e32 v36, 1.0, v34
	v_add_f32_e32 v37, 1.0, v35
	v_add_f32_e32 v39, -1.0, v36
	v_sub_f32_e32 v37, v34, v37
	v_sub_f32_e32 v34, v34, v39
	v_add_f32_e32 v37, v32, v37
	v_add_f32_e32 v32, v32, v34
	;; [unrolled: 1-line block ×3, first 2 shown]
	v_rcp_f32_e32 v39, v34
	v_add_f32_e32 v38, v35, v37
	v_sub_f32_e32 v36, v34, v36
	v_sub_f32_e32 v35, v38, v35
	;; [unrolled: 1-line block ×3, first 2 shown]
	v_mul_f32_e32 v36, v38, v39
	v_sub_f32_e32 v35, v37, v35
	v_mul_f32_e32 v37, v34, v36
	v_fma_f32 v40, v36, v34, -v37
	v_fmac_f32_e32 v40, v36, v32
	v_add_f32_e32 v41, v37, v40
	v_sub_f32_e32 v42, v38, v41
	v_sub_f32_e32 v38, v38, v42
	;; [unrolled: 1-line block ×4, first 2 shown]
	v_add_f32_e32 v35, v35, v38
	v_sub_f32_e32 v37, v37, v40
	v_add_f32_e32 v35, v37, v35
	v_add_f32_e32 v37, v42, v35
	v_mul_f32_e32 v38, v39, v37
	v_mul_f32_e32 v40, v34, v38
	v_fma_f32 v34, v38, v34, -v40
	v_fmac_f32_e32 v34, v38, v32
	v_sub_f32_e32 v32, v42, v37
	v_add_f32_e32 v32, v35, v32
	v_add_f32_e32 v35, v40, v34
	v_sub_f32_e32 v41, v37, v35
	v_sub_f32_e32 v37, v37, v41
	v_sub_f32_e32 v40, v35, v40
	v_sub_f32_e32 v35, v37, v35
	v_add_f32_e32 v32, v32, v35
	v_sub_f32_e32 v34, v40, v34
	v_cvt_f32_i32_e32 v31, v31
	v_add_f32_e32 v32, v34, v32
	v_add_f32_e32 v34, v36, v38
	;; [unrolled: 1-line block ×3, first 2 shown]
	v_sub_f32_e32 v35, v34, v36
	v_mul_f32_e32 v32, v39, v32
	v_sub_f32_e32 v35, v38, v35
	v_add_f32_e32 v32, v35, v32
	v_mul_f32_e32 v38, 0x3f317218, v31
	v_add_f32_e32 v35, v34, v32
	v_fma_f32 v39, v31, s46, -v38
	v_mul_f32_e32 v36, v35, v35
	v_mov_b32_e32 v37, 0x3ecc95a3
	v_fmac_f32_e32 v39, 0xb102e308, v31
	v_sub_f32_e32 v31, v35, v34
	v_fmac_f32_e32 v37, 0x3e9b6dac, v36
	v_sub_f32_e32 v31, v32, v31
	v_add_f32_e32 v32, v38, v39
	v_fma_f32 v37, v36, v37, v17
	v_sub_f32_e32 v34, v32, v38
	v_ldexp_f32 v38, v35, 1
	v_mul_f32_e32 v35, v35, v36
	v_mul_f32_e32 v35, v35, v37
	v_add_f32_e32 v36, v38, v35
	v_sub_f32_e32 v37, v36, v38
	v_ldexp_f32 v31, v31, 1
	v_sub_f32_e32 v35, v35, v37
	v_add_f32_e32 v31, v31, v35
	v_add_f32_e32 v35, v36, v31
	v_sub_f32_e32 v36, v35, v36
	v_sub_f32_e32 v31, v31, v36
	v_add_f32_e32 v36, v32, v35
	v_sub_f32_e32 v37, v36, v32
	v_sub_f32_e32 v38, v36, v37
	;; [unrolled: 1-line block ×5, first 2 shown]
	v_add_f32_e32 v32, v35, v32
	v_add_f32_e32 v35, v34, v31
	v_sub_f32_e32 v37, v35, v34
	v_sub_f32_e32 v38, v35, v37
	;; [unrolled: 1-line block ×4, first 2 shown]
	v_add_f32_e32 v32, v35, v32
	v_add_f32_e32 v31, v31, v34
	v_add_f32_e32 v34, v36, v32
	v_sub_f32_e32 v35, v34, v36
	v_sub_f32_e32 v32, v32, v35
	v_add_f32_e32 v31, v31, v32
	v_add_f32_e32 v31, v34, v31
	v_cmp_neq_f32_e32 vcc, s47, v33
	v_cndmask_b32_e32 v31, v24, v31, vcc
	v_cmp_ngt_f32_e32 vcc, -1.0, v33
	v_cndmask_b32_e32 v31, v25, v31, vcc
	v_cmp_neq_f32_e32 vcc, -1.0, v33
	v_cndmask_b32_e32 v31, v26, v31, vcc
	v_cmp_lt_f32_e64 vcc, |v33|, s48
	v_cndmask_b32_e32 v31, v31, v33, vcc
	v_max_f32_e64 v32, |v12|, |v12|
	v_max_f32_e64 v33, |v11|, |v11|
	v_min_f32_e32 v34, v33, v32
	v_max_f32_e32 v32, v33, v32
	v_frexp_mant_f32_e32 v33, v32
	v_rcp_f32_e32 v33, v33
	v_frexp_exp_i32_f32_e32 v32, v32
	v_frexp_exp_i32_f32_e32 v35, v34
	v_frexp_mant_f32_e32 v34, v34
	v_mul_f32_e32 v33, v34, v33
	v_sub_u32_e32 v32, v35, v32
	v_ldexp_f32 v32, v33, v32
	v_mul_f32_e32 v33, v32, v32
	v_mov_b32_e32 v34, 0xbc7a590c
	v_fmac_f32_e32 v34, 0x3b2d2a58, v33
	v_fma_f32 v34, v33, v34, v18
	v_fma_f32 v34, v33, v34, v19
	;; [unrolled: 1-line block ×6, first 2 shown]
	v_mul_f32_e32 v33, v33, v34
	v_fmac_f32_e32 v32, v32, v33
	v_sub_f32_e32 v33, 0x3fc90fdb, v32
	v_cndmask_b32_e64 v32, v32, v33, s[8:9]
	v_sub_f32_e32 v33, 0x40490fdb, v32
	v_cmp_gt_f32_e32 vcc, 0, v11
	v_cndmask_b32_e32 v32, v32, v33, vcc
	v_cndmask_b32_e64 v33, 0, v27, s[10:11]
	v_cmp_eq_f32_e64 s[10:11], 0, v12
	v_cndmask_b32_e64 v32, v32, v33, s[10:11]
	v_cmp_class_f32_e64 s[10:11], v11, s49
	v_cndmask_b32_e32 v33, v28, v29, vcc
	s_and_b64 vcc, s[30:31], s[10:11]
	v_mul_f32_e32 v31, 0.5, v31
	v_cndmask_b32_e32 v32, v32, v33, vcc
.LBB192_166:                            ;   in Loop: Header=BB192_145 Depth=1
	s_or_b64 exec, exec, s[28:29]
.LBB192_167:                            ;   in Loop: Header=BB192_145 Depth=1
	s_or_b64 exec, exec, s[26:27]
.LBB192_168:                            ;   in Loop: Header=BB192_145 Depth=1
	s_andn2_saveexec_b64 s[24:25], s[24:25]
	s_cbranch_execz .LBB192_170
; %bb.169:                              ;   in Loop: Header=BB192_145 Depth=1
	v_max_f32_e64 v33, |v12|, |v12|
	v_max_f32_e64 v34, |v11|, |v11|
	v_max_f32_e32 v35, v34, v33
	v_cvt_f64_f32_e32 v[31:32], v35
	v_cmp_neq_f32_e32 vcc, s47, v35
	v_cmp_gt_i32_e64 s[10:11], 0, v11
	v_cmp_class_f32_e64 s[26:27], v12, s49
	v_frexp_exp_i32_f64_e32 v31, v[31:32]
	v_min_f32_e32 v32, v34, v33
	v_frexp_mant_f32_e32 v34, v35
	v_rcp_f32_e32 v34, v34
	v_frexp_exp_i32_f32_e32 v36, v32
	v_frexp_mant_f32_e32 v32, v32
	v_frexp_exp_i32_f32_e32 v33, v35
	v_mul_f32_e32 v32, v32, v34
	v_sub_u32_e32 v37, 0, v31
	v_ldexp_f32 v38, |v11|, v37
	v_ldexp_f32 v37, |v12|, v37
	v_mul_f32_e32 v37, v37, v37
	v_fmac_f32_e32 v37, v38, v38
	v_sqrt_f32_e32 v37, v37
	v_sub_u32_e32 v33, v36, v33
	v_ldexp_f32 v32, v32, v33
	v_mul_f32_e32 v33, v32, v32
	v_ldexp_f32 v31, v37, v31
	v_cndmask_b32_e32 v31, v24, v31, vcc
	v_cmp_gt_f32_e32 vcc, s51, v31
	v_cndmask_b32_e64 v34, 0, 32, vcc
	v_ldexp_f32 v31, v31, v34
	v_log_f32_e32 v31, v31
	v_cndmask_b32_e32 v34, 0, v30, vcc
	v_mul_f32_e32 v35, 0x3f317217, v31
	v_fma_f32 v35, v31, s52, -v35
	v_fmac_f32_e32 v35, 0x3377d1cf, v31
	v_fmac_f32_e32 v35, 0x3f317217, v31
	v_cmp_lt_f32_e64 vcc, |v31|, s47
	v_cndmask_b32_e32 v31, v31, v35, vcc
	v_sub_f32_e32 v31, v31, v34
	v_mov_b32_e32 v34, 0xbc7a590c
	v_fmac_f32_e32 v34, 0x3b2d2a58, v33
	v_fma_f32 v34, v33, v34, v18
	v_fma_f32 v34, v33, v34, v19
	v_fma_f32 v34, v33, v34, v20
	v_fma_f32 v34, v33, v34, v21
	v_fma_f32 v34, v33, v34, v22
	v_fma_f32 v34, v33, v34, v23
	v_mul_f32_e32 v33, v33, v34
	v_fmac_f32_e32 v32, v32, v33
	v_sub_f32_e32 v33, 0x3fc90fdb, v32
	v_cndmask_b32_e64 v32, v32, v33, s[8:9]
	v_sub_f32_e32 v33, 0x40490fdb, v32
	v_cmp_gt_f32_e32 vcc, 0, v11
	v_cndmask_b32_e32 v32, v32, v33, vcc
	v_cndmask_b32_e64 v33, 0, v27, s[10:11]
	v_cmp_eq_f32_e64 s[10:11], 0, v12
	v_cndmask_b32_e64 v32, v32, v33, s[10:11]
	v_cmp_class_f32_e64 s[10:11], v11, s49
	v_cndmask_b32_e32 v33, v28, v29, vcc
	s_and_b64 vcc, s[26:27], s[10:11]
	v_cndmask_b32_e32 v32, v32, v33, vcc
.LBB192_170:                            ;   in Loop: Header=BB192_145 Depth=1
	s_or_b64 exec, exec, s[24:25]
                                        ; implicit-def: $vgpr33
.LBB192_171:                            ;   in Loop: Header=BB192_145 Depth=1
	s_andn2_saveexec_b64 s[22:23], s[22:23]
	s_cbranch_execz .LBB192_177
; %bb.172:                              ;   in Loop: Header=BB192_145 Depth=1
	v_cmp_ngt_f32_e32 vcc, s53, v33
                                        ; implicit-def: $vgpr31
                                        ; implicit-def: $vgpr32
	s_and_saveexec_b64 s[10:11], vcc
	s_xor_b64 s[24:25], exec, s[10:11]
	s_cbranch_execz .LBB192_174
; %bb.173:                              ;   in Loop: Header=BB192_145 Depth=1
	v_mul_f32_e32 v33, v33, v33
	v_add_f32_e32 v34, 1.0, v33
	v_cvt_f64_f32_e32 v[31:32], v34
	v_add_f32_e32 v35, -1.0, v34
	v_sub_f32_e32 v36, v35, v34
	v_sub_f32_e32 v35, v33, v35
	v_frexp_exp_i32_f64_e32 v31, v[31:32]
	v_frexp_mant_f32_e32 v32, v34
	v_cmp_gt_f32_e32 vcc, s45, v32
	v_add_f32_e32 v36, 1.0, v36
	v_add_f32_e32 v35, v35, v36
	v_cmp_gt_i32_e64 s[10:11], 0, v11
	v_cmp_class_f32_e64 s[26:27], v12, s49
	v_subbrev_co_u32_e32 v31, vcc, 0, v31, vcc
	v_sub_u32_e32 v32, 0, v31
	v_ldexp_f32 v34, v34, v32
	v_ldexp_f32 v32, v35, v32
	v_add_f32_e32 v35, -1.0, v34
	v_add_f32_e32 v36, 1.0, v34
	v_add_f32_e32 v37, 1.0, v35
	v_add_f32_e32 v39, -1.0, v36
	v_sub_f32_e32 v37, v34, v37
	v_sub_f32_e32 v34, v34, v39
	v_add_f32_e32 v37, v32, v37
	v_add_f32_e32 v32, v32, v34
	;; [unrolled: 1-line block ×3, first 2 shown]
	v_rcp_f32_e32 v39, v34
	v_add_f32_e32 v38, v35, v37
	v_sub_f32_e32 v36, v36, v34
	v_sub_f32_e32 v35, v35, v38
	v_add_f32_e32 v32, v32, v36
	v_mul_f32_e32 v36, v38, v39
	v_add_f32_e32 v35, v37, v35
	v_mul_f32_e32 v37, v34, v36
	v_fma_f32 v40, v36, v34, -v37
	v_fmac_f32_e32 v40, v36, v32
	v_add_f32_e32 v41, v37, v40
	v_sub_f32_e32 v42, v38, v41
	v_sub_f32_e32 v38, v38, v42
	;; [unrolled: 1-line block ×4, first 2 shown]
	v_add_f32_e32 v35, v35, v38
	v_sub_f32_e32 v37, v37, v40
	v_add_f32_e32 v35, v37, v35
	v_add_f32_e32 v37, v42, v35
	v_mul_f32_e32 v38, v39, v37
	v_mul_f32_e32 v40, v34, v38
	v_fma_f32 v34, v38, v34, -v40
	v_fmac_f32_e32 v34, v38, v32
	v_sub_f32_e32 v32, v42, v37
	v_add_f32_e32 v32, v35, v32
	v_add_f32_e32 v35, v40, v34
	v_sub_f32_e32 v41, v37, v35
	v_sub_f32_e32 v37, v37, v41
	;; [unrolled: 1-line block ×4, first 2 shown]
	v_add_f32_e32 v32, v32, v35
	v_sub_f32_e32 v34, v40, v34
	v_cvt_f32_i32_e32 v31, v31
	v_add_f32_e32 v32, v34, v32
	v_add_f32_e32 v34, v36, v38
	;; [unrolled: 1-line block ×3, first 2 shown]
	v_sub_f32_e32 v35, v34, v36
	v_mul_f32_e32 v32, v39, v32
	v_sub_f32_e32 v35, v38, v35
	v_add_f32_e32 v32, v35, v32
	v_mul_f32_e32 v38, 0x3f317218, v31
	v_add_f32_e32 v35, v34, v32
	v_fma_f32 v39, v31, s46, -v38
	v_mul_f32_e32 v36, v35, v35
	v_mov_b32_e32 v37, 0x3ecc95a3
	v_fmac_f32_e32 v39, 0xb102e308, v31
	v_sub_f32_e32 v31, v35, v34
	v_fmac_f32_e32 v37, 0x3e9b6dac, v36
	v_sub_f32_e32 v31, v32, v31
	v_add_f32_e32 v32, v38, v39
	v_fma_f32 v37, v36, v37, v17
	v_sub_f32_e32 v34, v32, v38
	v_ldexp_f32 v38, v35, 1
	v_mul_f32_e32 v35, v35, v36
	v_mul_f32_e32 v35, v35, v37
	v_add_f32_e32 v36, v38, v35
	v_sub_f32_e32 v37, v36, v38
	v_ldexp_f32 v31, v31, 1
	v_sub_f32_e32 v35, v35, v37
	v_add_f32_e32 v31, v31, v35
	v_add_f32_e32 v35, v36, v31
	v_sub_f32_e32 v36, v35, v36
	v_sub_f32_e32 v31, v31, v36
	v_add_f32_e32 v36, v32, v35
	v_sub_f32_e32 v37, v36, v32
	v_sub_f32_e32 v38, v36, v37
	;; [unrolled: 1-line block ×5, first 2 shown]
	v_add_f32_e32 v32, v35, v32
	v_add_f32_e32 v35, v34, v31
	v_sub_f32_e32 v37, v35, v34
	v_sub_f32_e32 v38, v35, v37
	v_sub_f32_e32 v34, v34, v38
	v_sub_f32_e32 v31, v31, v37
	v_add_f32_e32 v32, v35, v32
	v_add_f32_e32 v31, v31, v34
	;; [unrolled: 1-line block ×3, first 2 shown]
	v_sub_f32_e32 v35, v34, v36
	v_sub_f32_e32 v32, v32, v35
	v_add_f32_e32 v31, v31, v32
	v_add_f32_e32 v31, v34, v31
	v_cmp_neq_f32_e32 vcc, s47, v33
	v_cndmask_b32_e32 v31, v24, v31, vcc
	v_cmp_lt_f32_e64 vcc, |v33|, s48
	v_cndmask_b32_e32 v31, v31, v33, vcc
	v_max_f32_e64 v32, |v12|, |v12|
	v_max_f32_e64 v33, |v11|, |v11|
	v_min_f32_e32 v34, v33, v32
	v_max_f32_e32 v32, v33, v32
	v_frexp_mant_f32_e32 v33, v32
	v_rcp_f32_e32 v33, v33
	v_frexp_exp_i32_f32_e32 v32, v32
	v_frexp_exp_i32_f32_e32 v35, v34
	v_frexp_mant_f32_e32 v34, v34
	v_mul_f32_e32 v33, v34, v33
	v_sub_u32_e32 v32, v35, v32
	v_ldexp_f32 v32, v33, v32
	v_mul_f32_e32 v33, v32, v32
	v_mov_b32_e32 v34, 0xbc7a590c
	v_fmac_f32_e32 v34, 0x3b2d2a58, v33
	v_fma_f32 v34, v33, v34, v18
	v_fma_f32 v34, v33, v34, v19
	;; [unrolled: 1-line block ×6, first 2 shown]
	v_mul_f32_e32 v33, v33, v34
	v_fmac_f32_e32 v32, v32, v33
	v_sub_f32_e32 v33, 0x3fc90fdb, v32
	v_cndmask_b32_e64 v32, v32, v33, s[8:9]
	v_sub_f32_e32 v33, 0x40490fdb, v32
	v_cmp_gt_f32_e32 vcc, 0, v11
	v_cndmask_b32_e32 v32, v32, v33, vcc
	v_cndmask_b32_e64 v33, 0, v27, s[10:11]
	v_cmp_eq_f32_e64 s[10:11], 0, v12
	v_cndmask_b32_e64 v32, v32, v33, s[10:11]
	v_cmp_class_f32_e64 s[10:11], v11, s49
	v_cndmask_b32_e32 v33, v28, v29, vcc
	s_and_b64 vcc, s[26:27], s[10:11]
	v_mul_f32_e32 v31, 0.5, v31
	v_cndmask_b32_e32 v32, v32, v33, vcc
                                        ; implicit-def: $vgpr33
.LBB192_174:                            ;   in Loop: Header=BB192_145 Depth=1
	s_andn2_saveexec_b64 s[24:25], s[24:25]
	s_cbranch_execz .LBB192_176
; %bb.175:                              ;   in Loop: Header=BB192_145 Depth=1
	v_mul_f32_e32 v31, 0.5, v33
	v_mul_f32_e32 v31, v33, v31
	v_max_f32_e64 v32, |v12|, |v12|
	v_max_f32_e64 v33, |v11|, |v11|
	v_min_f32_e32 v34, v33, v32
	v_max_f32_e32 v32, v33, v32
	v_frexp_mant_f32_e32 v33, v32
	v_rcp_f32_e32 v33, v33
	v_frexp_exp_i32_f32_e32 v32, v32
	v_frexp_exp_i32_f32_e32 v35, v34
	v_frexp_mant_f32_e32 v34, v34
	v_mul_f32_e32 v33, v34, v33
	v_sub_u32_e32 v32, v35, v32
	v_ldexp_f32 v32, v33, v32
	v_mul_f32_e32 v33, v32, v32
	v_mov_b32_e32 v34, 0xbc7a590c
	v_fmac_f32_e32 v34, 0x3b2d2a58, v33
	v_fma_f32 v34, v33, v34, v18
	v_fma_f32 v34, v33, v34, v19
	;; [unrolled: 1-line block ×6, first 2 shown]
	v_mul_f32_e32 v33, v33, v34
	v_fmac_f32_e32 v32, v32, v33
	v_sub_f32_e32 v33, 0x3fc90fdb, v32
	v_cndmask_b32_e64 v32, v32, v33, s[8:9]
	v_sub_f32_e32 v33, 0x40490fdb, v32
	v_cmp_gt_f32_e32 vcc, 0, v11
	v_cmp_gt_i32_e64 s[10:11], 0, v11
	v_cndmask_b32_e32 v32, v32, v33, vcc
	v_cndmask_b32_e64 v33, 0, v27, s[10:11]
	v_cmp_eq_f32_e64 s[10:11], 0, v12
	v_cndmask_b32_e64 v32, v32, v33, s[10:11]
	v_cmp_class_f32_e64 s[10:11], v11, s49
	v_cmp_class_f32_e64 s[26:27], v12, s49
	v_cndmask_b32_e32 v33, v28, v29, vcc
	s_and_b64 vcc, s[26:27], s[10:11]
	v_cndmask_b32_e32 v32, v32, v33, vcc
.LBB192_176:                            ;   in Loop: Header=BB192_145 Depth=1
	s_or_b64 exec, exec, s[24:25]
.LBB192_177:                            ;   in Loop: Header=BB192_145 Depth=1
	s_or_b64 exec, exec, s[22:23]
.LBB192_178:                            ;   in Loop: Header=BB192_145 Depth=1
	s_andn2_saveexec_b64 s[20:21], s[20:21]
	s_cbranch_execz .LBB192_180
; %bb.179:                              ;   in Loop: Header=BB192_145 Depth=1
	v_div_scale_f32 v31, s[10:11], s54, s54, v11
	v_div_scale_f32 v32, s[10:11], s54, s54, v12
	v_div_scale_f32 v33, vcc, v11, s54, v11
	v_div_scale_f32 v34, s[10:11], v12, s54, v12
	v_rcp_f32_e32 v35, v31
	v_rcp_f32_e32 v36, v32
	v_fma_f32 v37, -v31, v35, 1.0
	v_fmac_f32_e32 v35, v37, v35
	v_fma_f32 v38, -v32, v36, 1.0
	v_fmac_f32_e32 v36, v38, v36
	v_mul_f32_e32 v37, v33, v35
	v_mul_f32_e32 v38, v34, v36
	v_fma_f32 v39, -v31, v37, v33
	v_fma_f32 v40, -v32, v38, v34
	v_fmac_f32_e32 v37, v39, v35
	v_fmac_f32_e32 v38, v40, v36
	v_fma_f32 v31, -v31, v37, v33
	v_fma_f32 v32, -v32, v38, v34
	v_div_fmas_f32 v31, v31, v35, v37
	s_mov_b64 vcc, s[10:11]
	v_div_fmas_f32 v32, v32, v36, v38
	v_max_f32_e64 v33, |v12|, |v12|
	v_max_f32_e64 v34, |v11|, |v11|
	v_min_f32_e32 v36, v34, v33
	v_max_f32_e32 v33, v34, v33
	v_frexp_exp_i32_f32_e32 v34, v33
	v_frexp_exp_i32_f32_e32 v37, v36
	v_sub_u32_e32 v34, v37, v34
	v_frexp_mant_f32_e32 v33, v33
	v_rcp_f32_e32 v33, v33
	v_frexp_mant_f32_e32 v36, v36
	v_mov_b32_e32 v35, 0xbc7a590c
	v_cmp_class_f32_e64 s[10:11], v12, s49
	v_mul_f32_e32 v33, v36, v33
	v_div_fixup_f32 v37, v31, s54, v11
	v_ldexp_f32 v33, v33, v34
	v_div_fixup_f32 v38, v32, s54, v12
	v_max_f32_e64 v39, |v37|, |v38|
	v_cvt_f64_f32_e32 v[31:32], v39
	v_mul_f32_e32 v34, v33, v33
	v_fmac_f32_e32 v35, 0x3b2d2a58, v34
	v_cmp_neq_f32_e32 vcc, s47, v39
	v_frexp_exp_i32_f64_e32 v31, v[31:32]
	v_fma_f32 v32, v34, v35, v18
	v_fma_f32 v32, v34, v32, v19
	;; [unrolled: 1-line block ×6, first 2 shown]
	v_mul_f32_e32 v32, v34, v32
	v_sub_u32_e32 v35, 0, v31
	v_ldexp_f32 v36, |v37|, v35
	v_ldexp_f32 v35, |v38|, v35
	v_mul_f32_e32 v35, v35, v35
	v_fmac_f32_e32 v35, v36, v36
	v_sqrt_f32_e32 v35, v35
	v_fmac_f32_e32 v33, v33, v32
	v_sub_f32_e32 v32, 0x3fc90fdb, v33
	v_cndmask_b32_e64 v32, v33, v32, s[8:9]
	v_ldexp_f32 v31, v35, v31
	v_cndmask_b32_e32 v31, v24, v31, vcc
	v_cmp_gt_f32_e32 vcc, s51, v31
	v_cndmask_b32_e64 v34, 0, 32, vcc
	v_ldexp_f32 v31, v31, v34
	v_log_f32_e32 v31, v31
	v_cndmask_b32_e32 v34, 0, v30, vcc
	v_sub_f32_e32 v33, 0x40490fdb, v32
	v_cmp_gt_i32_e64 s[8:9], 0, v11
	v_mul_f32_e32 v35, 0x3f317217, v31
	v_fma_f32 v35, v31, s52, -v35
	v_fmac_f32_e32 v35, 0x3377d1cf, v31
	v_fmac_f32_e32 v35, 0x3f317217, v31
	v_cmp_lt_f32_e64 vcc, |v31|, s47
	v_cndmask_b32_e32 v31, v31, v35, vcc
	v_cmp_gt_f32_e32 vcc, 0, v11
	v_cndmask_b32_e32 v32, v32, v33, vcc
	v_cndmask_b32_e64 v33, 0, v27, s[8:9]
	v_cmp_eq_f32_e64 s[8:9], 0, v12
	v_cndmask_b32_e64 v32, v32, v33, s[8:9]
	v_cmp_class_f32_e64 s[8:9], v11, s49
	v_sub_f32_e32 v31, v31, v34
	v_cndmask_b32_e32 v33, v28, v29, vcc
	s_and_b64 vcc, s[10:11], s[8:9]
	v_add_f32_e32 v31, 1.0, v31
	v_cndmask_b32_e32 v32, v32, v33, vcc
.LBB192_180:                            ;   in Loop: Header=BB192_145 Depth=1
	s_or_b64 exec, exec, s[20:21]
.LBB192_181:                            ;   in Loop: Header=BB192_145 Depth=1
	s_andn2_saveexec_b64 s[8:9], s[18:19]
	s_cbranch_execz .LBB192_187
; %bb.182:                              ;   in Loop: Header=BB192_145 Depth=1
	v_cmp_nlt_f32_e64 s[10:11], |v11|, s55
	v_cmp_nlt_f32_e64 s[18:19], |v12|, s55
	s_or_b64 s[10:11], s[18:19], s[10:11]
                                        ; implicit-def: $vgpr31
	s_and_saveexec_b64 s[18:19], s[10:11]
	s_xor_b64 s[10:11], exec, s[18:19]
; %bb.183:                              ;   in Loop: Header=BB192_145 Depth=1
	v_mul_f32_e32 v31, v11, v11
	v_fmac_f32_e32 v31, v12, v12
; %bb.184:                              ;   in Loop: Header=BB192_145 Depth=1
	s_andn2_saveexec_b64 s[10:11], s[10:11]
; %bb.185:                              ;   in Loop: Header=BB192_145 Depth=1
	v_mul_f32_e32 v11, 4.0, v11
	v_mul_f32_e32 v31, 4.0, v12
	v_mul_f32_e32 v11, v11, v11
	v_fmac_f32_e32 v11, v31, v31
	v_mul_f32_e32 v31, 0x3d800000, v11
; %bb.186:                              ;   in Loop: Header=BB192_145 Depth=1
	s_or_b64 exec, exec, s[10:11]
	v_cmp_gt_f32_e32 vcc, s51, v31
	v_cndmask_b32_e64 v11, 0, 32, vcc
	v_ldexp_f32 v11, v31, v11
	v_log_f32_e32 v11, v11
	v_cndmask_b32_e32 v31, 0, v30, vcc
	v_mul_f32_e32 v32, 0x3f317217, v11
	v_fma_f32 v32, v11, s52, -v32
	v_fmac_f32_e32 v32, 0x3377d1cf, v11
	v_fmac_f32_e32 v32, 0x3f317217, v11
	v_cmp_lt_f32_e64 vcc, |v11|, s47
	v_cndmask_b32_e32 v11, v11, v32, vcc
	v_sub_f32_e32 v31, v11, v31
	v_mov_b32_e32 v32, 0x7fc00000
.LBB192_187:                            ;   in Loop: Header=BB192_145 Depth=1
	s_or_b64 exec, exec, s[8:9]
	v_cmp_o_f32_e32 vcc, v14, v13
                                        ; implicit-def: $vgpr11
                                        ; implicit-def: $vgpr33
	s_and_saveexec_b64 s[8:9], vcc
	s_xor_b64 s[18:19], exec, s[8:9]
	s_cbranch_execz .LBB192_215
; %bb.188:                              ;   in Loop: Header=BB192_145 Depth=1
	v_cmp_lt_f32_e64 s[8:9], |v13|, |v14|
	v_cndmask_b32_e64 v34, |v14|, |v13|, s[8:9]
	v_cmp_nlt_f32_e32 vcc, s42, v34
                                        ; implicit-def: $vgpr11
                                        ; implicit-def: $vgpr33
	s_and_saveexec_b64 s[10:11], vcc
	s_xor_b64 s[20:21], exec, s[10:11]
	s_cbranch_execz .LBB192_212
; %bb.189:                              ;   in Loop: Header=BB192_145 Depth=1
	v_and_b32_e32 v11, 0x7fffffff, v14
	v_cndmask_b32_e64 v35, |v13|, v11, s[8:9]
	v_cmp_neq_f32_e32 vcc, 1.0, v35
                                        ; implicit-def: $vgpr11
                                        ; implicit-def: $vgpr33
	s_and_saveexec_b64 s[10:11], vcc
	s_xor_b64 s[22:23], exec, s[10:11]
	s_cbranch_execz .LBB192_205
; %bb.190:                              ;   in Loop: Header=BB192_145 Depth=1
	v_max_f32_e32 v11, v34, v34
	v_max_f32_e32 v33, v35, v35
	v_min_f32_e32 v36, v33, v11
	v_max_f32_e32 v11, v33, v11
	v_cmp_ngt_f32_e32 vcc, s43, v36
	v_cmp_nlt_f32_e64 s[10:11], s44, v11
	s_and_b64 s[10:11], s[10:11], vcc
                                        ; implicit-def: $vgpr11
                                        ; implicit-def: $vgpr33
	s_and_saveexec_b64 s[24:25], s[10:11]
	s_xor_b64 s[24:25], exec, s[24:25]
	s_cbranch_execz .LBB192_202
; %bb.191:                              ;   in Loop: Header=BB192_145 Depth=1
	v_cmp_le_f32_e32 vcc, 1.0, v35
                                        ; implicit-def: $vgpr11
                                        ; implicit-def: $vgpr33
	s_and_saveexec_b64 s[10:11], vcc
	s_xor_b64 s[26:27], exec, s[10:11]
	s_cbranch_execz .LBB192_193
; %bb.192:                              ;   in Loop: Header=BB192_145 Depth=1
	v_add_f32_e32 v11, -1.0, v35
	v_add_f32_e32 v33, 1.0, v35
	v_mul_f32_e32 v11, v11, v33
	v_fmac_f32_e32 v11, v34, v34
	v_add_f32_e32 v35, 1.0, v11
	v_cvt_f64_f32_e32 v[33:34], v35
	v_add_f32_e32 v36, -1.0, v35
	v_sub_f32_e32 v37, v36, v35
	v_sub_f32_e32 v36, v11, v36
	v_frexp_exp_i32_f64_e32 v33, v[33:34]
	v_frexp_mant_f32_e32 v34, v35
	v_cmp_gt_f32_e32 vcc, s45, v34
	v_add_f32_e32 v37, 1.0, v37
	v_add_f32_e32 v36, v36, v37
	v_cmp_gt_i32_e64 s[10:11], 0, v13
	v_cmp_class_f32_e64 s[28:29], v14, s49
	v_subbrev_co_u32_e32 v33, vcc, 0, v33, vcc
	v_sub_u32_e32 v34, 0, v33
	v_ldexp_f32 v35, v35, v34
	v_ldexp_f32 v34, v36, v34
	v_add_f32_e32 v36, -1.0, v35
	v_add_f32_e32 v39, 1.0, v35
	v_add_f32_e32 v37, 1.0, v36
	v_add_f32_e32 v40, -1.0, v39
	v_sub_f32_e32 v37, v35, v37
	v_sub_f32_e32 v35, v35, v40
	v_add_f32_e32 v37, v34, v37
	v_add_f32_e32 v34, v34, v35
	;; [unrolled: 1-line block ×3, first 2 shown]
	v_rcp_f32_e32 v40, v35
	v_add_f32_e32 v38, v36, v37
	v_sub_f32_e32 v36, v38, v36
	v_sub_f32_e32 v36, v37, v36
	;; [unrolled: 1-line block ×4, first 2 shown]
	v_mul_f32_e32 v37, v38, v40
	v_mul_f32_e32 v39, v35, v37
	v_fma_f32 v41, v37, v35, -v39
	v_fmac_f32_e32 v41, v37, v34
	v_add_f32_e32 v42, v39, v41
	v_sub_f32_e32 v43, v38, v42
	v_sub_f32_e32 v38, v38, v43
	;; [unrolled: 1-line block ×4, first 2 shown]
	v_add_f32_e32 v36, v36, v38
	v_sub_f32_e32 v38, v39, v41
	v_add_f32_e32 v36, v38, v36
	v_add_f32_e32 v38, v43, v36
	v_mul_f32_e32 v39, v40, v38
	v_mul_f32_e32 v41, v35, v39
	v_fma_f32 v35, v39, v35, -v41
	v_fmac_f32_e32 v35, v39, v34
	v_sub_f32_e32 v34, v43, v38
	v_add_f32_e32 v34, v36, v34
	v_add_f32_e32 v36, v41, v35
	v_sub_f32_e32 v42, v38, v36
	v_sub_f32_e32 v38, v38, v42
	;; [unrolled: 1-line block ×4, first 2 shown]
	v_add_f32_e32 v34, v34, v36
	v_sub_f32_e32 v35, v41, v35
	v_cvt_f32_i32_e32 v33, v33
	v_add_f32_e32 v34, v35, v34
	v_add_f32_e32 v35, v37, v39
	;; [unrolled: 1-line block ×3, first 2 shown]
	v_sub_f32_e32 v36, v35, v37
	v_mul_f32_e32 v34, v40, v34
	v_sub_f32_e32 v36, v39, v36
	v_add_f32_e32 v34, v36, v34
	v_mul_f32_e32 v39, 0x3f317218, v33
	v_add_f32_e32 v36, v35, v34
	v_fma_f32 v40, v33, s46, -v39
	v_mul_f32_e32 v37, v36, v36
	v_mov_b32_e32 v38, 0x3ecc95a3
	v_fmac_f32_e32 v40, 0xb102e308, v33
	v_sub_f32_e32 v33, v36, v35
	v_fmac_f32_e32 v38, 0x3e9b6dac, v37
	v_sub_f32_e32 v33, v34, v33
	v_add_f32_e32 v34, v39, v40
	v_fma_f32 v38, v37, v38, v17
	v_sub_f32_e32 v35, v34, v39
	v_ldexp_f32 v39, v36, 1
	v_mul_f32_e32 v36, v36, v37
	v_mul_f32_e32 v36, v36, v38
	v_add_f32_e32 v37, v39, v36
	v_sub_f32_e32 v38, v37, v39
	v_ldexp_f32 v33, v33, 1
	v_sub_f32_e32 v36, v36, v38
	v_add_f32_e32 v33, v33, v36
	v_add_f32_e32 v36, v37, v33
	v_sub_f32_e32 v37, v36, v37
	v_sub_f32_e32 v33, v33, v37
	v_add_f32_e32 v37, v34, v36
	v_sub_f32_e32 v38, v37, v34
	v_sub_f32_e32 v39, v37, v38
	;; [unrolled: 1-line block ×5, first 2 shown]
	v_add_f32_e32 v34, v36, v34
	v_add_f32_e32 v36, v35, v33
	v_sub_f32_e32 v38, v36, v35
	v_sub_f32_e32 v39, v36, v38
	;; [unrolled: 1-line block ×4, first 2 shown]
	v_add_f32_e32 v34, v36, v34
	v_add_f32_e32 v33, v33, v35
	;; [unrolled: 1-line block ×3, first 2 shown]
	v_sub_f32_e32 v36, v35, v37
	v_sub_f32_e32 v34, v34, v36
	v_add_f32_e32 v33, v33, v34
	v_add_f32_e32 v33, v35, v33
	v_cmp_neq_f32_e32 vcc, s47, v11
	v_cndmask_b32_e32 v33, v24, v33, vcc
	v_cmp_ngt_f32_e32 vcc, -1.0, v11
	v_cndmask_b32_e32 v33, v25, v33, vcc
	v_cmp_neq_f32_e32 vcc, -1.0, v11
	v_cndmask_b32_e32 v33, v26, v33, vcc
	v_cmp_lt_f32_e64 vcc, |v11|, s48
	v_cndmask_b32_e32 v11, v33, v11, vcc
	v_max_f32_e64 v33, |v14|, |v14|
	v_max_f32_e64 v34, |v13|, |v13|
	v_min_f32_e32 v35, v34, v33
	v_max_f32_e32 v33, v34, v33
	v_frexp_mant_f32_e32 v34, v33
	v_rcp_f32_e32 v34, v34
	v_frexp_exp_i32_f32_e32 v33, v33
	v_frexp_exp_i32_f32_e32 v36, v35
	v_frexp_mant_f32_e32 v35, v35
	v_mul_f32_e32 v34, v35, v34
	v_sub_u32_e32 v33, v36, v33
	v_ldexp_f32 v33, v34, v33
	v_mul_f32_e32 v34, v33, v33
	v_mov_b32_e32 v35, 0xbc7a590c
	v_fmac_f32_e32 v35, 0x3b2d2a58, v34
	v_fma_f32 v35, v34, v35, v18
	v_fma_f32 v35, v34, v35, v19
	;; [unrolled: 1-line block ×6, first 2 shown]
	v_mul_f32_e32 v34, v34, v35
	v_fmac_f32_e32 v33, v33, v34
	v_sub_f32_e32 v34, 0x3fc90fdb, v33
	v_cndmask_b32_e64 v33, v33, v34, s[8:9]
	v_sub_f32_e32 v34, 0x40490fdb, v33
	v_cmp_gt_f32_e32 vcc, 0, v13
	v_cndmask_b32_e32 v33, v33, v34, vcc
	v_cndmask_b32_e64 v34, 0, v27, s[10:11]
	v_cmp_eq_f32_e64 s[10:11], 0, v14
	v_cndmask_b32_e64 v33, v33, v34, s[10:11]
	v_cmp_class_f32_e64 s[10:11], v13, s49
	v_cndmask_b32_e32 v34, v28, v29, vcc
	s_and_b64 vcc, s[28:29], s[10:11]
	v_mul_f32_e32 v11, 0.5, v11
	v_cndmask_b32_e32 v33, v33, v34, vcc
                                        ; implicit-def: $vgpr34
                                        ; implicit-def: $vgpr35
.LBB192_193:                            ;   in Loop: Header=BB192_145 Depth=1
	s_andn2_saveexec_b64 s[26:27], s[26:27]
	s_cbranch_execz .LBB192_201
; %bb.194:                              ;   in Loop: Header=BB192_145 Depth=1
	v_mul_f32_e32 v36, v34, v34
	v_fmac_f32_e32 v36, v35, v35
	v_cmp_ge_f32_e32 vcc, s50, v36
                                        ; implicit-def: $vgpr11
                                        ; implicit-def: $vgpr33
	s_and_saveexec_b64 s[10:11], vcc
	s_xor_b64 s[28:29], exec, s[10:11]
	s_cbranch_execz .LBB192_196
; %bb.195:                              ;   in Loop: Header=BB192_145 Depth=1
	v_cmp_gt_f32_e32 vcc, s51, v36
	v_cndmask_b32_e64 v11, 0, 32, vcc
	v_ldexp_f32 v11, v36, v11
	v_log_f32_e32 v11, v11
	v_cndmask_b32_e32 v33, 0, v30, vcc
	v_cmp_gt_i32_e64 s[10:11], 0, v13
	v_cmp_class_f32_e64 s[30:31], v14, s49
	v_mul_f32_e32 v34, 0x3f317217, v11
	v_fma_f32 v34, v11, s52, -v34
	v_fmac_f32_e32 v34, 0x3377d1cf, v11
	v_fmac_f32_e32 v34, 0x3f317217, v11
	v_cmp_lt_f32_e64 vcc, |v11|, s47
	v_cndmask_b32_e32 v11, v11, v34, vcc
	v_sub_f32_e32 v11, v11, v33
	v_max_f32_e64 v33, |v14|, |v14|
	v_max_f32_e64 v34, |v13|, |v13|
	v_min_f32_e32 v35, v34, v33
	v_max_f32_e32 v33, v34, v33
	v_frexp_mant_f32_e32 v34, v33
	v_rcp_f32_e32 v34, v34
	v_frexp_exp_i32_f32_e32 v33, v33
	v_frexp_exp_i32_f32_e32 v36, v35
	v_frexp_mant_f32_e32 v35, v35
	v_mul_f32_e32 v34, v35, v34
	v_sub_u32_e32 v33, v36, v33
	v_ldexp_f32 v33, v34, v33
	v_mul_f32_e32 v34, v33, v33
	v_mov_b32_e32 v35, 0xbc7a590c
	v_fmac_f32_e32 v35, 0x3b2d2a58, v34
	v_fma_f32 v35, v34, v35, v18
	v_fma_f32 v35, v34, v35, v19
	;; [unrolled: 1-line block ×6, first 2 shown]
	v_mul_f32_e32 v34, v34, v35
	v_fmac_f32_e32 v33, v33, v34
	v_sub_f32_e32 v34, 0x3fc90fdb, v33
	v_cndmask_b32_e64 v33, v33, v34, s[8:9]
	v_sub_f32_e32 v34, 0x40490fdb, v33
	v_cmp_gt_f32_e32 vcc, 0, v13
	v_cndmask_b32_e32 v33, v33, v34, vcc
	v_cndmask_b32_e64 v34, 0, v27, s[10:11]
	v_cmp_eq_f32_e64 s[10:11], 0, v14
	v_cndmask_b32_e64 v33, v33, v34, s[10:11]
	v_cmp_class_f32_e64 s[10:11], v13, s49
	v_cndmask_b32_e32 v34, v28, v29, vcc
	s_and_b64 vcc, s[30:31], s[10:11]
	v_mul_f32_e32 v11, 0.5, v11
	v_cndmask_b32_e32 v33, v33, v34, vcc
                                        ; implicit-def: $vgpr35
                                        ; implicit-def: $vgpr34
.LBB192_196:                            ;   in Loop: Header=BB192_145 Depth=1
	s_andn2_saveexec_b64 s[28:29], s[28:29]
	s_cbranch_execz .LBB192_200
; %bb.197:                              ;   in Loop: Header=BB192_145 Depth=1
	v_and_b32_e32 v36, 0x7fff0000, v35
	v_sub_f32_e32 v11, v35, v36
	v_and_b32_e32 v40, 0xffff0000, v11
	v_and_b32_e32 v35, 0x7fff0000, v34
	v_sub_f32_e32 v42, v11, v40
	v_sub_f32_e32 v11, v34, v35
	v_and_b32_e32 v41, 0xffff0000, v11
	v_add_f32_e32 v37, v36, v36
	v_add_f32_e32 v44, v35, v35
	v_sub_f32_e32 v43, v11, v41
	v_mul_f32_e32 v11, v36, v36
	v_mul_f32_e32 v33, v35, v35
	;; [unrolled: 1-line block ×6, first 2 shown]
	v_add_f32_e32 v40, v40, v40
	v_add_f32_e32 v41, v41, v41
	v_mul_f32_e32 v38, v37, v42
	v_mul_f32_e32 v37, v44, v43
	;; [unrolled: 1-line block ×6, first 2 shown]
	s_mov_b64 s[30:31], 0
.LBB192_198:                            ;   Parent Loop BB192_145 Depth=1
                                        ; =>  This Inner Loop Header: Depth=2
	v_cmp_nlt_f32_e32 vcc, v11, v33
	v_mov_b32_e32 v44, v43
	v_cndmask_b32_e32 v43, v11, v33, vcc
	v_cmp_nlt_f32_e64 s[10:11], v43, v36
	v_cndmask_b32_e64 v45, v43, v36, s[10:11]
	v_cndmask_b32_e32 v11, v33, v11, vcc
	s_and_b64 s[56:57], vcc, s[10:11]
	v_cmp_nlt_f32_e32 vcc, v45, v35
	v_cndmask_b32_e64 v33, v36, v43, s[10:11]
	v_cndmask_b32_e32 v43, v45, v35, vcc
	v_cmp_nlt_f32_e64 s[10:11], v43, v39
	v_cndmask_b32_e32 v36, v35, v45, vcc
	v_cndmask_b32_e64 v45, v43, v39, s[10:11]
	s_and_b64 s[58:59], vcc, s[10:11]
	v_cmp_nlt_f32_e32 vcc, v45, v34
	v_cndmask_b32_e64 v35, v39, v43, s[10:11]
	v_cndmask_b32_e32 v43, v45, v34, vcc
	v_cmp_nlt_f32_e64 s[10:11], v43, v38
	v_cndmask_b32_e32 v39, v34, v45, vcc
	v_cndmask_b32_e64 v45, v43, v38, s[10:11]
	v_cndmask_b32_e64 v34, v38, v43, s[10:11]
	s_and_b64 s[10:11], vcc, s[10:11]
	v_cmp_nlt_f32_e32 vcc, v45, v37
	v_cndmask_b32_e32 v43, v45, v37, vcc
	v_cndmask_b32_e32 v38, v37, v45, vcc
	s_and_b64 s[10:11], s[10:11], vcc
	v_cmp_nlt_f32_e32 vcc, v43, v40
	v_cndmask_b32_e32 v45, v43, v40, vcc
	v_cndmask_b32_e32 v37, v40, v43, vcc
	s_and_b64 s[10:11], s[10:11], vcc
	;; [unrolled: 4-line block ×4, first 2 shown]
	v_cmp_nlt_f32_e32 vcc, v45, v44
	s_and_b64 s[10:11], s[10:11], vcc
	s_and_b64 s[10:11], s[10:11], s[58:59]
	s_and_b64 s[10:11], s[10:11], s[56:57]
	s_and_b64 s[10:11], exec, s[10:11]
	v_cndmask_b32_e32 v43, v45, v44, vcc
	s_or_b64 s[30:31], s[10:11], s[30:31]
	v_cndmask_b32_e32 v42, v44, v45, vcc
	s_andn2_b64 exec, exec, s[30:31]
	s_cbranch_execnz .LBB192_198
; %bb.199:                              ;   in Loop: Header=BB192_145 Depth=1
	s_or_b64 exec, exec, s[30:31]
	v_add_f32_e32 v11, -1.0, v11
	v_add_f32_e32 v11, v11, v33
	v_add_f32_e32 v11, v11, v36
	;; [unrolled: 1-line block ×11, first 2 shown]
	v_add_f32_e32 v35, 1.0, v11
	v_cvt_f64_f32_e32 v[33:34], v35
	v_add_f32_e32 v36, -1.0, v35
	v_sub_f32_e32 v37, v36, v35
	v_sub_f32_e32 v36, v11, v36
	v_frexp_exp_i32_f64_e32 v33, v[33:34]
	v_frexp_mant_f32_e32 v34, v35
	v_cmp_gt_f32_e32 vcc, s45, v34
	v_add_f32_e32 v37, 1.0, v37
	v_add_f32_e32 v36, v36, v37
	v_cmp_gt_i32_e64 s[10:11], 0, v13
	v_cmp_class_f32_e64 s[30:31], v14, s49
	v_subbrev_co_u32_e32 v33, vcc, 0, v33, vcc
	v_sub_u32_e32 v34, 0, v33
	v_ldexp_f32 v35, v35, v34
	v_ldexp_f32 v34, v36, v34
	v_add_f32_e32 v36, -1.0, v35
	v_add_f32_e32 v37, 1.0, v35
	v_add_f32_e32 v38, 1.0, v36
	v_add_f32_e32 v40, -1.0, v37
	v_sub_f32_e32 v38, v35, v38
	v_sub_f32_e32 v35, v35, v40
	v_add_f32_e32 v38, v34, v38
	v_add_f32_e32 v34, v34, v35
	;; [unrolled: 1-line block ×3, first 2 shown]
	v_rcp_f32_e32 v40, v35
	v_add_f32_e32 v39, v36, v38
	v_sub_f32_e32 v37, v35, v37
	v_sub_f32_e32 v36, v39, v36
	;; [unrolled: 1-line block ×3, first 2 shown]
	v_mul_f32_e32 v37, v39, v40
	v_sub_f32_e32 v36, v38, v36
	v_mul_f32_e32 v38, v35, v37
	v_fma_f32 v41, v37, v35, -v38
	v_fmac_f32_e32 v41, v37, v34
	v_add_f32_e32 v42, v38, v41
	v_sub_f32_e32 v43, v39, v42
	v_sub_f32_e32 v39, v39, v43
	;; [unrolled: 1-line block ×4, first 2 shown]
	v_add_f32_e32 v36, v36, v39
	v_sub_f32_e32 v38, v38, v41
	v_add_f32_e32 v36, v38, v36
	v_add_f32_e32 v38, v43, v36
	v_mul_f32_e32 v39, v40, v38
	v_mul_f32_e32 v41, v35, v39
	v_fma_f32 v35, v39, v35, -v41
	v_fmac_f32_e32 v35, v39, v34
	v_sub_f32_e32 v34, v43, v38
	v_add_f32_e32 v34, v36, v34
	v_add_f32_e32 v36, v41, v35
	v_sub_f32_e32 v42, v38, v36
	v_sub_f32_e32 v38, v38, v42
	;; [unrolled: 1-line block ×4, first 2 shown]
	v_add_f32_e32 v34, v34, v36
	v_sub_f32_e32 v35, v41, v35
	v_cvt_f32_i32_e32 v33, v33
	v_add_f32_e32 v34, v35, v34
	v_add_f32_e32 v35, v37, v39
	;; [unrolled: 1-line block ×3, first 2 shown]
	v_sub_f32_e32 v36, v35, v37
	v_mul_f32_e32 v34, v40, v34
	v_sub_f32_e32 v36, v39, v36
	v_add_f32_e32 v34, v36, v34
	v_mul_f32_e32 v39, 0x3f317218, v33
	v_add_f32_e32 v36, v35, v34
	v_fma_f32 v40, v33, s46, -v39
	v_mul_f32_e32 v37, v36, v36
	v_mov_b32_e32 v38, 0x3ecc95a3
	v_fmac_f32_e32 v40, 0xb102e308, v33
	v_sub_f32_e32 v33, v36, v35
	v_fmac_f32_e32 v38, 0x3e9b6dac, v37
	v_sub_f32_e32 v33, v34, v33
	v_add_f32_e32 v34, v39, v40
	v_fma_f32 v38, v37, v38, v17
	v_sub_f32_e32 v35, v34, v39
	v_ldexp_f32 v39, v36, 1
	v_mul_f32_e32 v36, v36, v37
	v_mul_f32_e32 v36, v36, v38
	v_add_f32_e32 v37, v39, v36
	v_sub_f32_e32 v38, v37, v39
	v_ldexp_f32 v33, v33, 1
	v_sub_f32_e32 v36, v36, v38
	v_add_f32_e32 v33, v33, v36
	v_add_f32_e32 v36, v37, v33
	v_sub_f32_e32 v37, v36, v37
	v_sub_f32_e32 v33, v33, v37
	v_add_f32_e32 v37, v34, v36
	v_sub_f32_e32 v38, v37, v34
	v_sub_f32_e32 v39, v37, v38
	;; [unrolled: 1-line block ×5, first 2 shown]
	v_add_f32_e32 v34, v36, v34
	v_add_f32_e32 v36, v35, v33
	v_sub_f32_e32 v38, v36, v35
	v_sub_f32_e32 v39, v36, v38
	;; [unrolled: 1-line block ×4, first 2 shown]
	v_add_f32_e32 v34, v36, v34
	v_add_f32_e32 v33, v33, v35
	;; [unrolled: 1-line block ×3, first 2 shown]
	v_sub_f32_e32 v36, v35, v37
	v_sub_f32_e32 v34, v34, v36
	v_add_f32_e32 v33, v33, v34
	v_add_f32_e32 v33, v35, v33
	v_cmp_neq_f32_e32 vcc, s47, v11
	v_cndmask_b32_e32 v33, v24, v33, vcc
	v_cmp_ngt_f32_e32 vcc, -1.0, v11
	v_cndmask_b32_e32 v33, v25, v33, vcc
	v_cmp_neq_f32_e32 vcc, -1.0, v11
	v_cndmask_b32_e32 v33, v26, v33, vcc
	v_cmp_lt_f32_e64 vcc, |v11|, s48
	v_cndmask_b32_e32 v11, v33, v11, vcc
	v_max_f32_e64 v33, |v14|, |v14|
	v_max_f32_e64 v34, |v13|, |v13|
	v_min_f32_e32 v35, v34, v33
	v_max_f32_e32 v33, v34, v33
	v_frexp_mant_f32_e32 v34, v33
	v_rcp_f32_e32 v34, v34
	v_frexp_exp_i32_f32_e32 v33, v33
	v_frexp_exp_i32_f32_e32 v36, v35
	v_frexp_mant_f32_e32 v35, v35
	v_mul_f32_e32 v34, v35, v34
	v_sub_u32_e32 v33, v36, v33
	v_ldexp_f32 v33, v34, v33
	v_mul_f32_e32 v34, v33, v33
	v_mov_b32_e32 v35, 0xbc7a590c
	v_fmac_f32_e32 v35, 0x3b2d2a58, v34
	v_fma_f32 v35, v34, v35, v18
	v_fma_f32 v35, v34, v35, v19
	v_fma_f32 v35, v34, v35, v20
	v_fma_f32 v35, v34, v35, v21
	v_fma_f32 v35, v34, v35, v22
	v_fma_f32 v35, v34, v35, v23
	v_mul_f32_e32 v34, v34, v35
	v_fmac_f32_e32 v33, v33, v34
	v_sub_f32_e32 v34, 0x3fc90fdb, v33
	v_cndmask_b32_e64 v33, v33, v34, s[8:9]
	v_sub_f32_e32 v34, 0x40490fdb, v33
	v_cmp_gt_f32_e32 vcc, 0, v13
	v_cndmask_b32_e32 v33, v33, v34, vcc
	v_cndmask_b32_e64 v34, 0, v27, s[10:11]
	v_cmp_eq_f32_e64 s[10:11], 0, v14
	v_cndmask_b32_e64 v33, v33, v34, s[10:11]
	v_cmp_class_f32_e64 s[10:11], v13, s49
	v_cndmask_b32_e32 v34, v28, v29, vcc
	s_and_b64 vcc, s[30:31], s[10:11]
	v_mul_f32_e32 v11, 0.5, v11
	v_cndmask_b32_e32 v33, v33, v34, vcc
.LBB192_200:                            ;   in Loop: Header=BB192_145 Depth=1
	s_or_b64 exec, exec, s[28:29]
.LBB192_201:                            ;   in Loop: Header=BB192_145 Depth=1
	s_or_b64 exec, exec, s[26:27]
.LBB192_202:                            ;   in Loop: Header=BB192_145 Depth=1
	s_andn2_saveexec_b64 s[24:25], s[24:25]
	s_cbranch_execz .LBB192_204
; %bb.203:                              ;   in Loop: Header=BB192_145 Depth=1
	v_max_f32_e64 v11, |v14|, |v14|
	v_max_f32_e64 v35, |v13|, |v13|
	v_max_f32_e32 v36, v35, v11
	v_cvt_f64_f32_e32 v[33:34], v36
	v_min_f32_e32 v11, v35, v11
	v_frexp_mant_f32_e32 v35, v36
	v_rcp_f32_e32 v35, v35
	v_frexp_exp_i32_f64_e32 v33, v[33:34]
	v_cmp_neq_f32_e32 vcc, s47, v36
	v_frexp_exp_i32_f32_e32 v37, v11
	v_frexp_mant_f32_e32 v11, v11
	v_mul_f32_e32 v11, v11, v35
	v_frexp_exp_i32_f32_e32 v34, v36
	v_sub_u32_e32 v34, v37, v34
	v_ldexp_f32 v34, v11, v34
	v_sub_u32_e32 v38, 0, v33
	v_ldexp_f32 v39, |v13|, v38
	v_ldexp_f32 v38, |v14|, v38
	v_mul_f32_e32 v38, v38, v38
	v_fmac_f32_e32 v38, v39, v39
	v_sqrt_f32_e32 v38, v38
	v_cmp_gt_i32_e64 s[10:11], 0, v13
	v_cmp_class_f32_e64 s[26:27], v14, s49
	v_ldexp_f32 v33, v38, v33
	v_cndmask_b32_e32 v33, v24, v33, vcc
	v_cmp_gt_f32_e32 vcc, s51, v33
	v_cndmask_b32_e64 v35, 0, 32, vcc
	v_ldexp_f32 v33, v33, v35
	v_log_f32_e32 v33, v33
	v_cndmask_b32_e32 v11, 0, v30, vcc
	v_mul_f32_e32 v35, v34, v34
	v_mul_f32_e32 v36, 0x3f317217, v33
	v_fma_f32 v36, v33, s52, -v36
	v_fmac_f32_e32 v36, 0x3377d1cf, v33
	v_fmac_f32_e32 v36, 0x3f317217, v33
	v_cmp_lt_f32_e64 vcc, |v33|, s47
	v_cndmask_b32_e32 v33, v33, v36, vcc
	v_sub_f32_e32 v11, v33, v11
	v_mov_b32_e32 v33, 0xbc7a590c
	v_fmac_f32_e32 v33, 0x3b2d2a58, v35
	v_fma_f32 v33, v35, v33, v18
	v_fma_f32 v33, v35, v33, v19
	;; [unrolled: 1-line block ×6, first 2 shown]
	v_mul_f32_e32 v33, v35, v33
	v_fmac_f32_e32 v34, v34, v33
	v_sub_f32_e32 v33, 0x3fc90fdb, v34
	v_cndmask_b32_e64 v33, v34, v33, s[8:9]
	v_sub_f32_e32 v34, 0x40490fdb, v33
	v_cmp_gt_f32_e32 vcc, 0, v13
	v_cndmask_b32_e32 v33, v33, v34, vcc
	v_cndmask_b32_e64 v34, 0, v27, s[10:11]
	v_cmp_eq_f32_e64 s[10:11], 0, v14
	v_cndmask_b32_e64 v33, v33, v34, s[10:11]
	v_cmp_class_f32_e64 s[10:11], v13, s49
	v_cndmask_b32_e32 v34, v28, v29, vcc
	s_and_b64 vcc, s[26:27], s[10:11]
	v_cndmask_b32_e32 v33, v33, v34, vcc
.LBB192_204:                            ;   in Loop: Header=BB192_145 Depth=1
	s_or_b64 exec, exec, s[24:25]
                                        ; implicit-def: $vgpr34
.LBB192_205:                            ;   in Loop: Header=BB192_145 Depth=1
	s_andn2_saveexec_b64 s[22:23], s[22:23]
	s_cbranch_execz .LBB192_211
; %bb.206:                              ;   in Loop: Header=BB192_145 Depth=1
	v_cmp_ngt_f32_e32 vcc, s53, v34
                                        ; implicit-def: $vgpr11
                                        ; implicit-def: $vgpr33
	s_and_saveexec_b64 s[10:11], vcc
	s_xor_b64 s[24:25], exec, s[10:11]
	s_cbranch_execz .LBB192_208
; %bb.207:                              ;   in Loop: Header=BB192_145 Depth=1
	v_mul_f32_e32 v11, v34, v34
	v_add_f32_e32 v35, 1.0, v11
	v_cvt_f64_f32_e32 v[33:34], v35
	v_add_f32_e32 v36, -1.0, v35
	v_sub_f32_e32 v37, v36, v35
	v_sub_f32_e32 v36, v11, v36
	v_frexp_exp_i32_f64_e32 v33, v[33:34]
	v_frexp_mant_f32_e32 v34, v35
	v_cmp_gt_f32_e32 vcc, s45, v34
	v_add_f32_e32 v37, 1.0, v37
	v_add_f32_e32 v36, v36, v37
	v_cmp_gt_i32_e64 s[10:11], 0, v13
	v_cmp_class_f32_e64 s[26:27], v14, s49
	v_subbrev_co_u32_e32 v33, vcc, 0, v33, vcc
	v_sub_u32_e32 v34, 0, v33
	v_ldexp_f32 v35, v35, v34
	v_ldexp_f32 v34, v36, v34
	v_add_f32_e32 v36, -1.0, v35
	v_add_f32_e32 v37, 1.0, v35
	v_add_f32_e32 v38, 1.0, v36
	v_add_f32_e32 v40, -1.0, v37
	v_sub_f32_e32 v38, v35, v38
	v_sub_f32_e32 v35, v35, v40
	v_add_f32_e32 v38, v34, v38
	v_add_f32_e32 v34, v34, v35
	;; [unrolled: 1-line block ×3, first 2 shown]
	v_rcp_f32_e32 v40, v35
	v_add_f32_e32 v39, v36, v38
	v_sub_f32_e32 v37, v37, v35
	v_sub_f32_e32 v36, v36, v39
	v_add_f32_e32 v34, v34, v37
	v_mul_f32_e32 v37, v39, v40
	v_add_f32_e32 v36, v38, v36
	v_mul_f32_e32 v38, v35, v37
	v_fma_f32 v41, v37, v35, -v38
	v_fmac_f32_e32 v41, v37, v34
	v_add_f32_e32 v42, v38, v41
	v_sub_f32_e32 v43, v39, v42
	v_sub_f32_e32 v39, v39, v43
	;; [unrolled: 1-line block ×4, first 2 shown]
	v_add_f32_e32 v36, v36, v39
	v_sub_f32_e32 v38, v38, v41
	v_add_f32_e32 v36, v38, v36
	v_add_f32_e32 v38, v43, v36
	v_mul_f32_e32 v39, v40, v38
	v_mul_f32_e32 v41, v35, v39
	v_fma_f32 v35, v39, v35, -v41
	v_fmac_f32_e32 v35, v39, v34
	v_sub_f32_e32 v34, v43, v38
	v_add_f32_e32 v34, v36, v34
	v_add_f32_e32 v36, v41, v35
	v_sub_f32_e32 v42, v38, v36
	v_sub_f32_e32 v38, v38, v42
	;; [unrolled: 1-line block ×4, first 2 shown]
	v_add_f32_e32 v34, v34, v36
	v_sub_f32_e32 v35, v41, v35
	v_cvt_f32_i32_e32 v33, v33
	v_add_f32_e32 v34, v35, v34
	v_add_f32_e32 v35, v37, v39
	;; [unrolled: 1-line block ×3, first 2 shown]
	v_sub_f32_e32 v36, v35, v37
	v_mul_f32_e32 v34, v40, v34
	v_sub_f32_e32 v36, v39, v36
	v_add_f32_e32 v34, v36, v34
	v_mul_f32_e32 v39, 0x3f317218, v33
	v_add_f32_e32 v36, v35, v34
	v_fma_f32 v40, v33, s46, -v39
	v_mul_f32_e32 v37, v36, v36
	v_mov_b32_e32 v38, 0x3ecc95a3
	v_fmac_f32_e32 v40, 0xb102e308, v33
	v_sub_f32_e32 v33, v36, v35
	v_fmac_f32_e32 v38, 0x3e9b6dac, v37
	v_sub_f32_e32 v33, v34, v33
	v_add_f32_e32 v34, v39, v40
	v_fma_f32 v38, v37, v38, v17
	v_sub_f32_e32 v35, v34, v39
	v_ldexp_f32 v39, v36, 1
	v_mul_f32_e32 v36, v36, v37
	v_mul_f32_e32 v36, v36, v38
	v_add_f32_e32 v37, v39, v36
	v_sub_f32_e32 v38, v37, v39
	v_ldexp_f32 v33, v33, 1
	v_sub_f32_e32 v36, v36, v38
	v_add_f32_e32 v33, v33, v36
	v_add_f32_e32 v36, v37, v33
	v_sub_f32_e32 v37, v36, v37
	v_sub_f32_e32 v33, v33, v37
	v_add_f32_e32 v37, v34, v36
	v_sub_f32_e32 v38, v37, v34
	v_sub_f32_e32 v39, v37, v38
	;; [unrolled: 1-line block ×5, first 2 shown]
	v_add_f32_e32 v34, v36, v34
	v_add_f32_e32 v36, v35, v33
	v_sub_f32_e32 v38, v36, v35
	v_sub_f32_e32 v39, v36, v38
	;; [unrolled: 1-line block ×4, first 2 shown]
	v_add_f32_e32 v34, v36, v34
	v_add_f32_e32 v33, v33, v35
	;; [unrolled: 1-line block ×3, first 2 shown]
	v_sub_f32_e32 v36, v35, v37
	v_sub_f32_e32 v34, v34, v36
	v_add_f32_e32 v33, v33, v34
	v_add_f32_e32 v33, v35, v33
	v_cmp_neq_f32_e32 vcc, s47, v11
	v_cndmask_b32_e32 v33, v24, v33, vcc
	v_cmp_lt_f32_e64 vcc, |v11|, s48
	v_cndmask_b32_e32 v11, v33, v11, vcc
	v_max_f32_e64 v33, |v14|, |v14|
	v_max_f32_e64 v34, |v13|, |v13|
	v_min_f32_e32 v35, v34, v33
	v_max_f32_e32 v33, v34, v33
	v_frexp_mant_f32_e32 v34, v33
	v_rcp_f32_e32 v34, v34
	v_frexp_exp_i32_f32_e32 v33, v33
	v_frexp_exp_i32_f32_e32 v36, v35
	v_frexp_mant_f32_e32 v35, v35
	v_mul_f32_e32 v34, v35, v34
	v_sub_u32_e32 v33, v36, v33
	v_ldexp_f32 v33, v34, v33
	v_mul_f32_e32 v34, v33, v33
	v_mov_b32_e32 v35, 0xbc7a590c
	v_fmac_f32_e32 v35, 0x3b2d2a58, v34
	v_fma_f32 v35, v34, v35, v18
	v_fma_f32 v35, v34, v35, v19
	;; [unrolled: 1-line block ×6, first 2 shown]
	v_mul_f32_e32 v34, v34, v35
	v_fmac_f32_e32 v33, v33, v34
	v_sub_f32_e32 v34, 0x3fc90fdb, v33
	v_cndmask_b32_e64 v33, v33, v34, s[8:9]
	v_sub_f32_e32 v34, 0x40490fdb, v33
	v_cmp_gt_f32_e32 vcc, 0, v13
	v_cndmask_b32_e32 v33, v33, v34, vcc
	v_cndmask_b32_e64 v34, 0, v27, s[10:11]
	v_cmp_eq_f32_e64 s[10:11], 0, v14
	v_cndmask_b32_e64 v33, v33, v34, s[10:11]
	v_cmp_class_f32_e64 s[10:11], v13, s49
	v_cndmask_b32_e32 v34, v28, v29, vcc
	s_and_b64 vcc, s[26:27], s[10:11]
	v_mul_f32_e32 v11, 0.5, v11
	v_cndmask_b32_e32 v33, v33, v34, vcc
                                        ; implicit-def: $vgpr34
.LBB192_208:                            ;   in Loop: Header=BB192_145 Depth=1
	s_andn2_saveexec_b64 s[24:25], s[24:25]
	s_cbranch_execz .LBB192_210
; %bb.209:                              ;   in Loop: Header=BB192_145 Depth=1
	v_mul_f32_e32 v11, 0.5, v34
	v_mul_f32_e32 v11, v34, v11
	v_max_f32_e64 v33, |v14|, |v14|
	v_max_f32_e64 v34, |v13|, |v13|
	v_min_f32_e32 v35, v34, v33
	v_max_f32_e32 v33, v34, v33
	v_frexp_mant_f32_e32 v34, v33
	v_rcp_f32_e32 v34, v34
	v_frexp_exp_i32_f32_e32 v33, v33
	v_frexp_exp_i32_f32_e32 v36, v35
	v_frexp_mant_f32_e32 v35, v35
	v_mul_f32_e32 v34, v35, v34
	v_sub_u32_e32 v33, v36, v33
	v_ldexp_f32 v33, v34, v33
	v_mul_f32_e32 v34, v33, v33
	v_mov_b32_e32 v35, 0xbc7a590c
	v_fmac_f32_e32 v35, 0x3b2d2a58, v34
	v_fma_f32 v35, v34, v35, v18
	v_fma_f32 v35, v34, v35, v19
	;; [unrolled: 1-line block ×6, first 2 shown]
	v_mul_f32_e32 v34, v34, v35
	v_fmac_f32_e32 v33, v33, v34
	v_sub_f32_e32 v34, 0x3fc90fdb, v33
	v_cndmask_b32_e64 v33, v33, v34, s[8:9]
	v_sub_f32_e32 v34, 0x40490fdb, v33
	v_cmp_gt_f32_e32 vcc, 0, v13
	v_cmp_gt_i32_e64 s[10:11], 0, v13
	v_cndmask_b32_e32 v33, v33, v34, vcc
	v_cndmask_b32_e64 v34, 0, v27, s[10:11]
	v_cmp_eq_f32_e64 s[10:11], 0, v14
	v_cndmask_b32_e64 v33, v33, v34, s[10:11]
	v_cmp_class_f32_e64 s[10:11], v13, s49
	v_cmp_class_f32_e64 s[26:27], v14, s49
	v_cndmask_b32_e32 v34, v28, v29, vcc
	s_and_b64 vcc, s[26:27], s[10:11]
	v_cndmask_b32_e32 v33, v33, v34, vcc
.LBB192_210:                            ;   in Loop: Header=BB192_145 Depth=1
	s_or_b64 exec, exec, s[24:25]
.LBB192_211:                            ;   in Loop: Header=BB192_145 Depth=1
	s_or_b64 exec, exec, s[22:23]
.LBB192_212:                            ;   in Loop: Header=BB192_145 Depth=1
	s_andn2_saveexec_b64 s[20:21], s[20:21]
	s_cbranch_execz .LBB192_214
; %bb.213:                              ;   in Loop: Header=BB192_145 Depth=1
	v_div_scale_f32 v11, s[10:11], s54, s54, v13
	v_div_scale_f32 v33, s[10:11], s54, s54, v14
	v_div_scale_f32 v34, vcc, v13, s54, v13
	v_div_scale_f32 v35, s[10:11], v14, s54, v14
	v_rcp_f32_e32 v36, v11
	v_rcp_f32_e32 v37, v33
	v_fma_f32 v38, -v11, v36, 1.0
	v_fmac_f32_e32 v36, v38, v36
	v_fma_f32 v39, -v33, v37, 1.0
	v_fmac_f32_e32 v37, v39, v37
	v_mul_f32_e32 v38, v34, v36
	v_mul_f32_e32 v39, v35, v37
	v_fma_f32 v40, -v11, v38, v34
	v_fma_f32 v41, -v33, v39, v35
	v_fmac_f32_e32 v38, v40, v36
	v_fmac_f32_e32 v39, v41, v37
	v_fma_f32 v11, -v11, v38, v34
	v_fma_f32 v33, -v33, v39, v35
	v_div_fmas_f32 v11, v11, v36, v38
	s_mov_b64 vcc, s[10:11]
	v_div_fmas_f32 v33, v33, v37, v39
	v_max_f32_e64 v34, |v14|, |v14|
	v_max_f32_e64 v35, |v13|, |v13|
	v_min_f32_e32 v37, v35, v34
	v_max_f32_e32 v34, v35, v34
	v_frexp_exp_i32_f32_e32 v35, v34
	v_frexp_exp_i32_f32_e32 v38, v37
	v_sub_u32_e32 v35, v38, v35
	v_frexp_mant_f32_e32 v34, v34
	v_rcp_f32_e32 v39, v34
	v_frexp_mant_f32_e32 v37, v37
	v_mov_b32_e32 v36, 0xbc7a590c
	v_cmp_class_f32_e64 s[10:11], v14, s49
	v_mul_f32_e32 v37, v37, v39
	v_div_fixup_f32 v11, v11, s54, v13
	v_ldexp_f32 v35, v37, v35
	v_div_fixup_f32 v38, v33, s54, v14
	v_max_f32_e64 v40, |v11|, |v38|
	v_cvt_f64_f32_e32 v[33:34], v40
	v_mul_f32_e32 v37, v35, v35
	v_fmac_f32_e32 v36, 0x3b2d2a58, v37
	v_cmp_neq_f32_e32 vcc, s47, v40
	v_frexp_exp_i32_f64_e32 v33, v[33:34]
	v_fma_f32 v34, v37, v36, v18
	v_fma_f32 v34, v37, v34, v19
	;; [unrolled: 1-line block ×6, first 2 shown]
	v_mul_f32_e32 v34, v37, v34
	v_sub_u32_e32 v36, 0, v33
	v_ldexp_f32 v11, |v11|, v36
	v_ldexp_f32 v36, |v38|, v36
	v_mul_f32_e32 v36, v36, v36
	v_fmac_f32_e32 v36, v11, v11
	v_sqrt_f32_e32 v11, v36
	v_fmac_f32_e32 v35, v35, v34
	v_sub_f32_e32 v34, 0x3fc90fdb, v35
	v_ldexp_f32 v11, v11, v33
	v_cndmask_b32_e32 v11, v24, v11, vcc
	v_cmp_gt_f32_e32 vcc, s51, v11
	v_cndmask_b32_e64 v33, 0, 32, vcc
	v_ldexp_f32 v11, v11, v33
	v_log_f32_e32 v11, v11
	v_cndmask_b32_e64 v33, v35, v34, s[8:9]
	v_cndmask_b32_e32 v35, 0, v30, vcc
	v_sub_f32_e32 v34, 0x40490fdb, v33
	v_mul_f32_e32 v36, 0x3f317217, v11
	v_fma_f32 v36, v11, s52, -v36
	v_fmac_f32_e32 v36, 0x3377d1cf, v11
	v_fmac_f32_e32 v36, 0x3f317217, v11
	v_cmp_lt_f32_e64 vcc, |v11|, s47
	v_cndmask_b32_e32 v11, v11, v36, vcc
	v_cmp_gt_f32_e32 vcc, 0, v13
	v_cmp_gt_i32_e64 s[8:9], 0, v13
	v_cndmask_b32_e32 v33, v33, v34, vcc
	v_cndmask_b32_e64 v34, 0, v27, s[8:9]
	v_cmp_eq_f32_e64 s[8:9], 0, v14
	v_cndmask_b32_e64 v33, v33, v34, s[8:9]
	v_cmp_class_f32_e64 s[8:9], v13, s49
	v_sub_f32_e32 v11, v11, v35
	v_cndmask_b32_e32 v34, v28, v29, vcc
	s_and_b64 vcc, s[10:11], s[8:9]
	v_add_f32_e32 v11, 1.0, v11
	v_cndmask_b32_e32 v33, v33, v34, vcc
.LBB192_214:                            ;   in Loop: Header=BB192_145 Depth=1
	s_or_b64 exec, exec, s[20:21]
.LBB192_215:                            ;   in Loop: Header=BB192_145 Depth=1
	s_andn2_saveexec_b64 s[8:9], s[18:19]
	s_cbranch_execz .LBB192_221
; %bb.216:                              ;   in Loop: Header=BB192_145 Depth=1
	v_cmp_nlt_f32_e64 s[10:11], |v13|, s55
	v_cmp_nlt_f32_e64 s[18:19], |v14|, s55
	s_or_b64 s[10:11], s[18:19], s[10:11]
                                        ; implicit-def: $vgpr11
	s_and_saveexec_b64 s[18:19], s[10:11]
	s_xor_b64 s[10:11], exec, s[18:19]
; %bb.217:                              ;   in Loop: Header=BB192_145 Depth=1
	v_mul_f32_e32 v11, v13, v13
	v_fmac_f32_e32 v11, v14, v14
; %bb.218:                              ;   in Loop: Header=BB192_145 Depth=1
	s_andn2_saveexec_b64 s[10:11], s[10:11]
; %bb.219:                              ;   in Loop: Header=BB192_145 Depth=1
	v_mul_f32_e32 v11, 4.0, v13
	v_mul_f32_e32 v13, 4.0, v14
	v_mul_f32_e32 v11, v11, v11
	v_fmac_f32_e32 v11, v13, v13
	v_mul_f32_e32 v11, 0x3d800000, v11
; %bb.220:                              ;   in Loop: Header=BB192_145 Depth=1
	s_or_b64 exec, exec, s[10:11]
	v_cmp_gt_f32_e32 vcc, s51, v11
	v_cndmask_b32_e64 v13, 0, 32, vcc
	v_ldexp_f32 v11, v11, v13
	v_log_f32_e32 v11, v11
	v_cndmask_b32_e32 v13, 0, v30, vcc
	v_mul_f32_e32 v33, 0x3f317217, v11
	v_fma_f32 v33, v11, s52, -v33
	v_fmac_f32_e32 v33, 0x3377d1cf, v11
	v_fmac_f32_e32 v33, 0x3f317217, v11
	v_cmp_lt_f32_e64 vcc, |v11|, s47
	v_cndmask_b32_e32 v11, v11, v33, vcc
	v_sub_f32_e32 v11, v11, v13
	v_mov_b32_e32 v33, 0x7fc00000
.LBB192_221:                            ;   in Loop: Header=BB192_145 Depth=1
	s_or_b64 exec, exec, s[8:9]
	v_cmp_o_f32_e32 vcc, v4, v3
                                        ; implicit-def: $vgpr13
                                        ; implicit-def: $vgpr34
	s_and_saveexec_b64 s[8:9], vcc
	s_xor_b64 s[18:19], exec, s[8:9]
	s_cbranch_execz .LBB192_249
; %bb.222:                              ;   in Loop: Header=BB192_145 Depth=1
	v_cmp_lt_f32_e64 s[8:9], |v3|, |v4|
	v_cndmask_b32_e64 v35, |v4|, |v3|, s[8:9]
	v_cmp_nlt_f32_e32 vcc, s42, v35
                                        ; implicit-def: $vgpr13
                                        ; implicit-def: $vgpr34
	s_and_saveexec_b64 s[10:11], vcc
	s_xor_b64 s[20:21], exec, s[10:11]
	s_cbranch_execz .LBB192_246
; %bb.223:                              ;   in Loop: Header=BB192_145 Depth=1
	v_and_b32_e32 v13, 0x7fffffff, v4
	v_cndmask_b32_e64 v36, |v3|, v13, s[8:9]
	v_cmp_neq_f32_e32 vcc, 1.0, v36
                                        ; implicit-def: $vgpr13
                                        ; implicit-def: $vgpr34
	s_and_saveexec_b64 s[10:11], vcc
	s_xor_b64 s[22:23], exec, s[10:11]
	s_cbranch_execz .LBB192_239
; %bb.224:                              ;   in Loop: Header=BB192_145 Depth=1
	v_max_f32_e32 v13, v35, v35
	v_max_f32_e32 v34, v36, v36
	v_min_f32_e32 v37, v34, v13
	v_max_f32_e32 v13, v34, v13
	v_cmp_ngt_f32_e32 vcc, s43, v37
	v_cmp_nlt_f32_e64 s[10:11], s44, v13
	s_and_b64 s[10:11], s[10:11], vcc
                                        ; implicit-def: $vgpr13
                                        ; implicit-def: $vgpr34
	s_and_saveexec_b64 s[24:25], s[10:11]
	s_xor_b64 s[24:25], exec, s[24:25]
	s_cbranch_execz .LBB192_236
; %bb.225:                              ;   in Loop: Header=BB192_145 Depth=1
	v_cmp_le_f32_e32 vcc, 1.0, v36
                                        ; implicit-def: $vgpr13
                                        ; implicit-def: $vgpr34
	s_and_saveexec_b64 s[10:11], vcc
	s_xor_b64 s[26:27], exec, s[10:11]
	s_cbranch_execz .LBB192_227
; %bb.226:                              ;   in Loop: Header=BB192_145 Depth=1
	v_add_f32_e32 v13, -1.0, v36
	v_add_f32_e32 v34, 1.0, v36
	v_mul_f32_e32 v13, v13, v34
	v_fmac_f32_e32 v13, v35, v35
	v_add_f32_e32 v36, 1.0, v13
	v_cvt_f64_f32_e32 v[34:35], v36
	v_add_f32_e32 v37, -1.0, v36
	v_sub_f32_e32 v38, v37, v36
	v_sub_f32_e32 v37, v13, v37
	v_frexp_exp_i32_f64_e32 v34, v[34:35]
	v_frexp_mant_f32_e32 v35, v36
	v_cmp_gt_f32_e32 vcc, s45, v35
	v_add_f32_e32 v38, 1.0, v38
	v_add_f32_e32 v37, v37, v38
	v_cmp_gt_i32_e64 s[10:11], 0, v3
	v_cmp_class_f32_e64 s[28:29], v4, s49
	v_subbrev_co_u32_e32 v34, vcc, 0, v34, vcc
	v_sub_u32_e32 v35, 0, v34
	v_ldexp_f32 v36, v36, v35
	v_ldexp_f32 v35, v37, v35
	v_add_f32_e32 v37, -1.0, v36
	v_add_f32_e32 v40, 1.0, v36
	v_add_f32_e32 v38, 1.0, v37
	v_add_f32_e32 v41, -1.0, v40
	v_sub_f32_e32 v38, v36, v38
	v_sub_f32_e32 v36, v36, v41
	v_add_f32_e32 v38, v35, v38
	v_add_f32_e32 v35, v35, v36
	;; [unrolled: 1-line block ×3, first 2 shown]
	v_rcp_f32_e32 v41, v36
	v_add_f32_e32 v39, v37, v38
	v_sub_f32_e32 v37, v39, v37
	v_sub_f32_e32 v37, v38, v37
	;; [unrolled: 1-line block ×4, first 2 shown]
	v_mul_f32_e32 v38, v39, v41
	v_mul_f32_e32 v40, v36, v38
	v_fma_f32 v42, v38, v36, -v40
	v_fmac_f32_e32 v42, v38, v35
	v_add_f32_e32 v43, v40, v42
	v_sub_f32_e32 v44, v39, v43
	v_sub_f32_e32 v39, v39, v44
	;; [unrolled: 1-line block ×4, first 2 shown]
	v_add_f32_e32 v37, v37, v39
	v_sub_f32_e32 v39, v40, v42
	v_add_f32_e32 v37, v39, v37
	v_add_f32_e32 v39, v44, v37
	v_mul_f32_e32 v40, v41, v39
	v_mul_f32_e32 v42, v36, v40
	v_fma_f32 v36, v40, v36, -v42
	v_fmac_f32_e32 v36, v40, v35
	v_sub_f32_e32 v35, v44, v39
	v_add_f32_e32 v35, v37, v35
	v_add_f32_e32 v37, v42, v36
	v_sub_f32_e32 v43, v39, v37
	v_sub_f32_e32 v39, v39, v43
	;; [unrolled: 1-line block ×4, first 2 shown]
	v_add_f32_e32 v35, v35, v37
	v_sub_f32_e32 v36, v42, v36
	v_cvt_f32_i32_e32 v34, v34
	v_add_f32_e32 v35, v36, v35
	v_add_f32_e32 v36, v38, v40
	;; [unrolled: 1-line block ×3, first 2 shown]
	v_sub_f32_e32 v37, v36, v38
	v_mul_f32_e32 v35, v41, v35
	v_sub_f32_e32 v37, v40, v37
	v_add_f32_e32 v35, v37, v35
	v_mul_f32_e32 v40, 0x3f317218, v34
	v_add_f32_e32 v37, v36, v35
	v_fma_f32 v41, v34, s46, -v40
	v_mul_f32_e32 v38, v37, v37
	v_mov_b32_e32 v39, 0x3ecc95a3
	v_fmac_f32_e32 v41, 0xb102e308, v34
	v_sub_f32_e32 v34, v37, v36
	v_fmac_f32_e32 v39, 0x3e9b6dac, v38
	v_sub_f32_e32 v34, v35, v34
	v_add_f32_e32 v35, v40, v41
	v_fma_f32 v39, v38, v39, v17
	v_sub_f32_e32 v36, v35, v40
	v_ldexp_f32 v40, v37, 1
	v_mul_f32_e32 v37, v37, v38
	v_mul_f32_e32 v37, v37, v39
	v_add_f32_e32 v38, v40, v37
	v_sub_f32_e32 v39, v38, v40
	v_ldexp_f32 v34, v34, 1
	v_sub_f32_e32 v37, v37, v39
	v_add_f32_e32 v34, v34, v37
	v_add_f32_e32 v37, v38, v34
	v_sub_f32_e32 v38, v37, v38
	v_sub_f32_e32 v34, v34, v38
	v_add_f32_e32 v38, v35, v37
	v_sub_f32_e32 v39, v38, v35
	v_sub_f32_e32 v40, v38, v39
	;; [unrolled: 1-line block ×5, first 2 shown]
	v_add_f32_e32 v35, v37, v35
	v_add_f32_e32 v37, v36, v34
	v_sub_f32_e32 v39, v37, v36
	v_sub_f32_e32 v40, v37, v39
	;; [unrolled: 1-line block ×4, first 2 shown]
	v_add_f32_e32 v35, v37, v35
	v_add_f32_e32 v34, v34, v36
	;; [unrolled: 1-line block ×3, first 2 shown]
	v_sub_f32_e32 v37, v36, v38
	v_sub_f32_e32 v35, v35, v37
	v_add_f32_e32 v34, v34, v35
	v_add_f32_e32 v34, v36, v34
	v_cmp_neq_f32_e32 vcc, s47, v13
	v_cndmask_b32_e32 v34, v24, v34, vcc
	v_cmp_ngt_f32_e32 vcc, -1.0, v13
	v_cndmask_b32_e32 v34, v25, v34, vcc
	v_cmp_neq_f32_e32 vcc, -1.0, v13
	v_cndmask_b32_e32 v34, v26, v34, vcc
	v_cmp_lt_f32_e64 vcc, |v13|, s48
	v_cndmask_b32_e32 v13, v34, v13, vcc
	v_max_f32_e64 v34, |v4|, |v4|
	v_max_f32_e64 v35, |v3|, |v3|
	v_min_f32_e32 v36, v35, v34
	v_max_f32_e32 v34, v35, v34
	v_frexp_mant_f32_e32 v35, v34
	v_rcp_f32_e32 v35, v35
	v_frexp_exp_i32_f32_e32 v34, v34
	v_frexp_exp_i32_f32_e32 v37, v36
	v_frexp_mant_f32_e32 v36, v36
	v_mul_f32_e32 v35, v36, v35
	v_sub_u32_e32 v34, v37, v34
	v_ldexp_f32 v34, v35, v34
	v_mul_f32_e32 v35, v34, v34
	v_mov_b32_e32 v36, 0xbc7a590c
	v_fmac_f32_e32 v36, 0x3b2d2a58, v35
	v_fma_f32 v36, v35, v36, v18
	v_fma_f32 v36, v35, v36, v19
	;; [unrolled: 1-line block ×6, first 2 shown]
	v_mul_f32_e32 v35, v35, v36
	v_fmac_f32_e32 v34, v34, v35
	v_sub_f32_e32 v35, 0x3fc90fdb, v34
	v_cndmask_b32_e64 v34, v34, v35, s[8:9]
	v_sub_f32_e32 v35, 0x40490fdb, v34
	v_cmp_gt_f32_e32 vcc, 0, v3
	v_cndmask_b32_e32 v34, v34, v35, vcc
	v_cndmask_b32_e64 v35, 0, v27, s[10:11]
	v_cmp_eq_f32_e64 s[10:11], 0, v4
	v_cndmask_b32_e64 v34, v34, v35, s[10:11]
	v_cmp_class_f32_e64 s[10:11], v3, s49
	v_cndmask_b32_e32 v35, v28, v29, vcc
	s_and_b64 vcc, s[28:29], s[10:11]
	v_mul_f32_e32 v13, 0.5, v13
	v_cndmask_b32_e32 v34, v34, v35, vcc
                                        ; implicit-def: $vgpr35
                                        ; implicit-def: $vgpr36
.LBB192_227:                            ;   in Loop: Header=BB192_145 Depth=1
	s_andn2_saveexec_b64 s[26:27], s[26:27]
	s_cbranch_execz .LBB192_235
; %bb.228:                              ;   in Loop: Header=BB192_145 Depth=1
	v_mul_f32_e32 v37, v35, v35
	v_fmac_f32_e32 v37, v36, v36
	v_cmp_ge_f32_e32 vcc, s50, v37
                                        ; implicit-def: $vgpr13
                                        ; implicit-def: $vgpr34
	s_and_saveexec_b64 s[10:11], vcc
	s_xor_b64 s[28:29], exec, s[10:11]
	s_cbranch_execz .LBB192_230
; %bb.229:                              ;   in Loop: Header=BB192_145 Depth=1
	v_cmp_gt_f32_e32 vcc, s51, v37
	v_cndmask_b32_e64 v13, 0, 32, vcc
	v_ldexp_f32 v13, v37, v13
	v_log_f32_e32 v13, v13
	v_cndmask_b32_e32 v34, 0, v30, vcc
	v_cmp_gt_i32_e64 s[10:11], 0, v3
	v_cmp_class_f32_e64 s[30:31], v4, s49
	v_mul_f32_e32 v35, 0x3f317217, v13
	v_fma_f32 v35, v13, s52, -v35
	v_fmac_f32_e32 v35, 0x3377d1cf, v13
	v_fmac_f32_e32 v35, 0x3f317217, v13
	v_cmp_lt_f32_e64 vcc, |v13|, s47
	v_cndmask_b32_e32 v13, v13, v35, vcc
	v_sub_f32_e32 v13, v13, v34
	v_max_f32_e64 v34, |v4|, |v4|
	v_max_f32_e64 v35, |v3|, |v3|
	v_min_f32_e32 v36, v35, v34
	v_max_f32_e32 v34, v35, v34
	v_frexp_mant_f32_e32 v35, v34
	v_rcp_f32_e32 v35, v35
	v_frexp_exp_i32_f32_e32 v34, v34
	v_frexp_exp_i32_f32_e32 v37, v36
	v_frexp_mant_f32_e32 v36, v36
	v_mul_f32_e32 v35, v36, v35
	v_sub_u32_e32 v34, v37, v34
	v_ldexp_f32 v34, v35, v34
	v_mul_f32_e32 v35, v34, v34
	v_mov_b32_e32 v36, 0xbc7a590c
	v_fmac_f32_e32 v36, 0x3b2d2a58, v35
	v_fma_f32 v36, v35, v36, v18
	v_fma_f32 v36, v35, v36, v19
	;; [unrolled: 1-line block ×6, first 2 shown]
	v_mul_f32_e32 v35, v35, v36
	v_fmac_f32_e32 v34, v34, v35
	v_sub_f32_e32 v35, 0x3fc90fdb, v34
	v_cndmask_b32_e64 v34, v34, v35, s[8:9]
	v_sub_f32_e32 v35, 0x40490fdb, v34
	v_cmp_gt_f32_e32 vcc, 0, v3
	v_cndmask_b32_e32 v34, v34, v35, vcc
	v_cndmask_b32_e64 v35, 0, v27, s[10:11]
	v_cmp_eq_f32_e64 s[10:11], 0, v4
	v_cndmask_b32_e64 v34, v34, v35, s[10:11]
	v_cmp_class_f32_e64 s[10:11], v3, s49
	v_cndmask_b32_e32 v35, v28, v29, vcc
	s_and_b64 vcc, s[30:31], s[10:11]
	v_mul_f32_e32 v13, 0.5, v13
	v_cndmask_b32_e32 v34, v34, v35, vcc
                                        ; implicit-def: $vgpr36
                                        ; implicit-def: $vgpr35
.LBB192_230:                            ;   in Loop: Header=BB192_145 Depth=1
	s_andn2_saveexec_b64 s[28:29], s[28:29]
	s_cbranch_execz .LBB192_234
; %bb.231:                              ;   in Loop: Header=BB192_145 Depth=1
	v_and_b32_e32 v37, 0x7fff0000, v36
	v_sub_f32_e32 v13, v36, v37
	v_and_b32_e32 v41, 0xffff0000, v13
	v_and_b32_e32 v36, 0x7fff0000, v35
	v_sub_f32_e32 v43, v13, v41
	v_sub_f32_e32 v13, v35, v36
	v_and_b32_e32 v42, 0xffff0000, v13
	v_add_f32_e32 v38, v37, v37
	v_add_f32_e32 v45, v36, v36
	v_sub_f32_e32 v44, v13, v42
	v_mul_f32_e32 v13, v37, v37
	v_mul_f32_e32 v34, v36, v36
	;; [unrolled: 1-line block ×6, first 2 shown]
	v_add_f32_e32 v41, v41, v41
	v_add_f32_e32 v42, v42, v42
	v_mul_f32_e32 v39, v38, v43
	v_mul_f32_e32 v38, v45, v44
	;; [unrolled: 1-line block ×6, first 2 shown]
	s_mov_b64 s[30:31], 0
.LBB192_232:                            ;   Parent Loop BB192_145 Depth=1
                                        ; =>  This Inner Loop Header: Depth=2
	v_cmp_nlt_f32_e32 vcc, v13, v34
	v_mov_b32_e32 v45, v44
	v_cndmask_b32_e32 v44, v13, v34, vcc
	v_cmp_nlt_f32_e64 s[10:11], v44, v37
	v_cndmask_b32_e64 v46, v44, v37, s[10:11]
	v_cndmask_b32_e32 v13, v34, v13, vcc
	s_and_b64 s[56:57], vcc, s[10:11]
	v_cmp_nlt_f32_e32 vcc, v46, v36
	v_cndmask_b32_e64 v34, v37, v44, s[10:11]
	v_cndmask_b32_e32 v44, v46, v36, vcc
	v_cmp_nlt_f32_e64 s[10:11], v44, v40
	v_cndmask_b32_e32 v37, v36, v46, vcc
	v_cndmask_b32_e64 v46, v44, v40, s[10:11]
	s_and_b64 s[58:59], vcc, s[10:11]
	v_cmp_nlt_f32_e32 vcc, v46, v35
	v_cndmask_b32_e64 v36, v40, v44, s[10:11]
	v_cndmask_b32_e32 v44, v46, v35, vcc
	v_cmp_nlt_f32_e64 s[10:11], v44, v39
	v_cndmask_b32_e32 v40, v35, v46, vcc
	v_cndmask_b32_e64 v46, v44, v39, s[10:11]
	v_cndmask_b32_e64 v35, v39, v44, s[10:11]
	s_and_b64 s[10:11], vcc, s[10:11]
	v_cmp_nlt_f32_e32 vcc, v46, v38
	v_cndmask_b32_e32 v44, v46, v38, vcc
	v_cndmask_b32_e32 v39, v38, v46, vcc
	s_and_b64 s[10:11], s[10:11], vcc
	v_cmp_nlt_f32_e32 vcc, v44, v41
	v_cndmask_b32_e32 v46, v44, v41, vcc
	v_cndmask_b32_e32 v38, v41, v44, vcc
	s_and_b64 s[10:11], s[10:11], vcc
	;; [unrolled: 4-line block ×4, first 2 shown]
	v_cmp_nlt_f32_e32 vcc, v46, v45
	s_and_b64 s[10:11], s[10:11], vcc
	s_and_b64 s[10:11], s[10:11], s[58:59]
	s_and_b64 s[10:11], s[10:11], s[56:57]
	s_and_b64 s[10:11], exec, s[10:11]
	v_cndmask_b32_e32 v44, v46, v45, vcc
	s_or_b64 s[30:31], s[10:11], s[30:31]
	v_cndmask_b32_e32 v43, v45, v46, vcc
	s_andn2_b64 exec, exec, s[30:31]
	s_cbranch_execnz .LBB192_232
; %bb.233:                              ;   in Loop: Header=BB192_145 Depth=1
	s_or_b64 exec, exec, s[30:31]
	v_add_f32_e32 v13, -1.0, v13
	v_add_f32_e32 v13, v13, v34
	v_add_f32_e32 v13, v13, v37
	;; [unrolled: 1-line block ×11, first 2 shown]
	v_add_f32_e32 v36, 1.0, v13
	v_cvt_f64_f32_e32 v[34:35], v36
	v_add_f32_e32 v37, -1.0, v36
	v_sub_f32_e32 v38, v37, v36
	v_sub_f32_e32 v37, v13, v37
	v_frexp_exp_i32_f64_e32 v34, v[34:35]
	v_frexp_mant_f32_e32 v35, v36
	v_cmp_gt_f32_e32 vcc, s45, v35
	v_add_f32_e32 v38, 1.0, v38
	v_add_f32_e32 v37, v37, v38
	v_cmp_gt_i32_e64 s[10:11], 0, v3
	v_cmp_class_f32_e64 s[30:31], v4, s49
	v_subbrev_co_u32_e32 v34, vcc, 0, v34, vcc
	v_sub_u32_e32 v35, 0, v34
	v_ldexp_f32 v36, v36, v35
	v_ldexp_f32 v35, v37, v35
	v_add_f32_e32 v37, -1.0, v36
	v_add_f32_e32 v38, 1.0, v36
	v_add_f32_e32 v39, 1.0, v37
	v_add_f32_e32 v41, -1.0, v38
	v_sub_f32_e32 v39, v36, v39
	v_sub_f32_e32 v36, v36, v41
	v_add_f32_e32 v39, v35, v39
	v_add_f32_e32 v35, v35, v36
	;; [unrolled: 1-line block ×3, first 2 shown]
	v_rcp_f32_e32 v41, v36
	v_add_f32_e32 v40, v37, v39
	v_sub_f32_e32 v38, v36, v38
	v_sub_f32_e32 v37, v40, v37
	;; [unrolled: 1-line block ×3, first 2 shown]
	v_mul_f32_e32 v38, v40, v41
	v_sub_f32_e32 v37, v39, v37
	v_mul_f32_e32 v39, v36, v38
	v_fma_f32 v42, v38, v36, -v39
	v_fmac_f32_e32 v42, v38, v35
	v_add_f32_e32 v43, v39, v42
	v_sub_f32_e32 v44, v40, v43
	v_sub_f32_e32 v40, v40, v44
	;; [unrolled: 1-line block ×4, first 2 shown]
	v_add_f32_e32 v37, v37, v40
	v_sub_f32_e32 v39, v39, v42
	v_add_f32_e32 v37, v39, v37
	v_add_f32_e32 v39, v44, v37
	v_mul_f32_e32 v40, v41, v39
	v_mul_f32_e32 v42, v36, v40
	v_fma_f32 v36, v40, v36, -v42
	v_fmac_f32_e32 v36, v40, v35
	v_sub_f32_e32 v35, v44, v39
	v_add_f32_e32 v35, v37, v35
	v_add_f32_e32 v37, v42, v36
	v_sub_f32_e32 v43, v39, v37
	v_sub_f32_e32 v39, v39, v43
	;; [unrolled: 1-line block ×4, first 2 shown]
	v_add_f32_e32 v35, v35, v37
	v_sub_f32_e32 v36, v42, v36
	v_cvt_f32_i32_e32 v34, v34
	v_add_f32_e32 v35, v36, v35
	v_add_f32_e32 v36, v38, v40
	;; [unrolled: 1-line block ×3, first 2 shown]
	v_sub_f32_e32 v37, v36, v38
	v_mul_f32_e32 v35, v41, v35
	v_sub_f32_e32 v37, v40, v37
	v_add_f32_e32 v35, v37, v35
	v_mul_f32_e32 v40, 0x3f317218, v34
	v_add_f32_e32 v37, v36, v35
	v_fma_f32 v41, v34, s46, -v40
	v_mul_f32_e32 v38, v37, v37
	v_mov_b32_e32 v39, 0x3ecc95a3
	v_fmac_f32_e32 v41, 0xb102e308, v34
	v_sub_f32_e32 v34, v37, v36
	v_fmac_f32_e32 v39, 0x3e9b6dac, v38
	v_sub_f32_e32 v34, v35, v34
	v_add_f32_e32 v35, v40, v41
	v_fma_f32 v39, v38, v39, v17
	v_sub_f32_e32 v36, v35, v40
	v_ldexp_f32 v40, v37, 1
	v_mul_f32_e32 v37, v37, v38
	v_mul_f32_e32 v37, v37, v39
	v_add_f32_e32 v38, v40, v37
	v_sub_f32_e32 v39, v38, v40
	v_ldexp_f32 v34, v34, 1
	v_sub_f32_e32 v37, v37, v39
	v_add_f32_e32 v34, v34, v37
	v_add_f32_e32 v37, v38, v34
	v_sub_f32_e32 v38, v37, v38
	v_sub_f32_e32 v34, v34, v38
	v_add_f32_e32 v38, v35, v37
	v_sub_f32_e32 v39, v38, v35
	v_sub_f32_e32 v40, v38, v39
	;; [unrolled: 1-line block ×5, first 2 shown]
	v_add_f32_e32 v35, v37, v35
	v_add_f32_e32 v37, v36, v34
	v_sub_f32_e32 v39, v37, v36
	v_sub_f32_e32 v40, v37, v39
	;; [unrolled: 1-line block ×4, first 2 shown]
	v_add_f32_e32 v35, v37, v35
	v_add_f32_e32 v34, v34, v36
	;; [unrolled: 1-line block ×3, first 2 shown]
	v_sub_f32_e32 v37, v36, v38
	v_sub_f32_e32 v35, v35, v37
	v_add_f32_e32 v34, v34, v35
	v_add_f32_e32 v34, v36, v34
	v_cmp_neq_f32_e32 vcc, s47, v13
	v_cndmask_b32_e32 v34, v24, v34, vcc
	v_cmp_ngt_f32_e32 vcc, -1.0, v13
	v_cndmask_b32_e32 v34, v25, v34, vcc
	v_cmp_neq_f32_e32 vcc, -1.0, v13
	v_cndmask_b32_e32 v34, v26, v34, vcc
	v_cmp_lt_f32_e64 vcc, |v13|, s48
	v_cndmask_b32_e32 v13, v34, v13, vcc
	v_max_f32_e64 v34, |v4|, |v4|
	v_max_f32_e64 v35, |v3|, |v3|
	v_min_f32_e32 v36, v35, v34
	v_max_f32_e32 v34, v35, v34
	v_frexp_mant_f32_e32 v35, v34
	v_rcp_f32_e32 v35, v35
	v_frexp_exp_i32_f32_e32 v34, v34
	v_frexp_exp_i32_f32_e32 v37, v36
	v_frexp_mant_f32_e32 v36, v36
	v_mul_f32_e32 v35, v36, v35
	v_sub_u32_e32 v34, v37, v34
	v_ldexp_f32 v34, v35, v34
	v_mul_f32_e32 v35, v34, v34
	v_mov_b32_e32 v36, 0xbc7a590c
	v_fmac_f32_e32 v36, 0x3b2d2a58, v35
	v_fma_f32 v36, v35, v36, v18
	v_fma_f32 v36, v35, v36, v19
	;; [unrolled: 1-line block ×6, first 2 shown]
	v_mul_f32_e32 v35, v35, v36
	v_fmac_f32_e32 v34, v34, v35
	v_sub_f32_e32 v35, 0x3fc90fdb, v34
	v_cndmask_b32_e64 v34, v34, v35, s[8:9]
	v_sub_f32_e32 v35, 0x40490fdb, v34
	v_cmp_gt_f32_e32 vcc, 0, v3
	v_cndmask_b32_e32 v34, v34, v35, vcc
	v_cndmask_b32_e64 v35, 0, v27, s[10:11]
	v_cmp_eq_f32_e64 s[10:11], 0, v4
	v_cndmask_b32_e64 v34, v34, v35, s[10:11]
	v_cmp_class_f32_e64 s[10:11], v3, s49
	v_cndmask_b32_e32 v35, v28, v29, vcc
	s_and_b64 vcc, s[30:31], s[10:11]
	v_mul_f32_e32 v13, 0.5, v13
	v_cndmask_b32_e32 v34, v34, v35, vcc
.LBB192_234:                            ;   in Loop: Header=BB192_145 Depth=1
	s_or_b64 exec, exec, s[28:29]
.LBB192_235:                            ;   in Loop: Header=BB192_145 Depth=1
	s_or_b64 exec, exec, s[26:27]
.LBB192_236:                            ;   in Loop: Header=BB192_145 Depth=1
	s_andn2_saveexec_b64 s[24:25], s[24:25]
	s_cbranch_execz .LBB192_238
; %bb.237:                              ;   in Loop: Header=BB192_145 Depth=1
	v_max_f32_e64 v13, |v4|, |v4|
	v_max_f32_e64 v36, |v3|, |v3|
	v_max_f32_e32 v37, v36, v13
	v_cvt_f64_f32_e32 v[34:35], v37
	v_min_f32_e32 v13, v36, v13
	v_frexp_mant_f32_e32 v36, v37
	v_rcp_f32_e32 v36, v36
	v_frexp_exp_i32_f64_e32 v34, v[34:35]
	v_cmp_neq_f32_e32 vcc, s47, v37
	v_frexp_exp_i32_f32_e32 v38, v13
	v_frexp_mant_f32_e32 v13, v13
	v_mul_f32_e32 v13, v13, v36
	v_frexp_exp_i32_f32_e32 v35, v37
	v_sub_u32_e32 v35, v38, v35
	v_ldexp_f32 v35, v13, v35
	v_sub_u32_e32 v39, 0, v34
	v_ldexp_f32 v40, |v3|, v39
	v_ldexp_f32 v39, |v4|, v39
	v_mul_f32_e32 v39, v39, v39
	v_fmac_f32_e32 v39, v40, v40
	v_sqrt_f32_e32 v39, v39
	v_cmp_gt_i32_e64 s[10:11], 0, v3
	v_cmp_class_f32_e64 s[26:27], v4, s49
	v_ldexp_f32 v34, v39, v34
	v_cndmask_b32_e32 v34, v24, v34, vcc
	v_cmp_gt_f32_e32 vcc, s51, v34
	v_cndmask_b32_e64 v36, 0, 32, vcc
	v_ldexp_f32 v34, v34, v36
	v_log_f32_e32 v34, v34
	v_cndmask_b32_e32 v13, 0, v30, vcc
	v_mul_f32_e32 v36, v35, v35
	v_mul_f32_e32 v37, 0x3f317217, v34
	v_fma_f32 v37, v34, s52, -v37
	v_fmac_f32_e32 v37, 0x3377d1cf, v34
	v_fmac_f32_e32 v37, 0x3f317217, v34
	v_cmp_lt_f32_e64 vcc, |v34|, s47
	v_cndmask_b32_e32 v34, v34, v37, vcc
	v_sub_f32_e32 v13, v34, v13
	v_mov_b32_e32 v34, 0xbc7a590c
	v_fmac_f32_e32 v34, 0x3b2d2a58, v36
	v_fma_f32 v34, v36, v34, v18
	v_fma_f32 v34, v36, v34, v19
	;; [unrolled: 1-line block ×6, first 2 shown]
	v_mul_f32_e32 v34, v36, v34
	v_fmac_f32_e32 v35, v35, v34
	v_sub_f32_e32 v34, 0x3fc90fdb, v35
	v_cndmask_b32_e64 v34, v35, v34, s[8:9]
	v_sub_f32_e32 v35, 0x40490fdb, v34
	v_cmp_gt_f32_e32 vcc, 0, v3
	v_cndmask_b32_e32 v34, v34, v35, vcc
	v_cndmask_b32_e64 v35, 0, v27, s[10:11]
	v_cmp_eq_f32_e64 s[10:11], 0, v4
	v_cndmask_b32_e64 v34, v34, v35, s[10:11]
	v_cmp_class_f32_e64 s[10:11], v3, s49
	v_cndmask_b32_e32 v35, v28, v29, vcc
	s_and_b64 vcc, s[26:27], s[10:11]
	v_cndmask_b32_e32 v34, v34, v35, vcc
.LBB192_238:                            ;   in Loop: Header=BB192_145 Depth=1
	s_or_b64 exec, exec, s[24:25]
                                        ; implicit-def: $vgpr35
.LBB192_239:                            ;   in Loop: Header=BB192_145 Depth=1
	s_andn2_saveexec_b64 s[22:23], s[22:23]
	s_cbranch_execz .LBB192_245
; %bb.240:                              ;   in Loop: Header=BB192_145 Depth=1
	v_cmp_ngt_f32_e32 vcc, s53, v35
                                        ; implicit-def: $vgpr13
                                        ; implicit-def: $vgpr34
	s_and_saveexec_b64 s[10:11], vcc
	s_xor_b64 s[24:25], exec, s[10:11]
	s_cbranch_execz .LBB192_242
; %bb.241:                              ;   in Loop: Header=BB192_145 Depth=1
	v_mul_f32_e32 v13, v35, v35
	v_add_f32_e32 v36, 1.0, v13
	v_cvt_f64_f32_e32 v[34:35], v36
	v_add_f32_e32 v37, -1.0, v36
	v_sub_f32_e32 v38, v37, v36
	v_sub_f32_e32 v37, v13, v37
	v_frexp_exp_i32_f64_e32 v34, v[34:35]
	v_frexp_mant_f32_e32 v35, v36
	v_cmp_gt_f32_e32 vcc, s45, v35
	v_add_f32_e32 v38, 1.0, v38
	v_add_f32_e32 v37, v37, v38
	v_cmp_gt_i32_e64 s[10:11], 0, v3
	v_cmp_class_f32_e64 s[26:27], v4, s49
	v_subbrev_co_u32_e32 v34, vcc, 0, v34, vcc
	v_sub_u32_e32 v35, 0, v34
	v_ldexp_f32 v36, v36, v35
	v_ldexp_f32 v35, v37, v35
	v_add_f32_e32 v37, -1.0, v36
	v_add_f32_e32 v38, 1.0, v36
	v_add_f32_e32 v39, 1.0, v37
	v_add_f32_e32 v41, -1.0, v38
	v_sub_f32_e32 v39, v36, v39
	v_sub_f32_e32 v36, v36, v41
	v_add_f32_e32 v39, v35, v39
	v_add_f32_e32 v35, v35, v36
	;; [unrolled: 1-line block ×3, first 2 shown]
	v_rcp_f32_e32 v41, v36
	v_add_f32_e32 v40, v37, v39
	v_sub_f32_e32 v38, v38, v36
	v_sub_f32_e32 v37, v37, v40
	v_add_f32_e32 v35, v35, v38
	v_mul_f32_e32 v38, v40, v41
	v_add_f32_e32 v37, v39, v37
	v_mul_f32_e32 v39, v36, v38
	v_fma_f32 v42, v38, v36, -v39
	v_fmac_f32_e32 v42, v38, v35
	v_add_f32_e32 v43, v39, v42
	v_sub_f32_e32 v44, v40, v43
	v_sub_f32_e32 v40, v40, v44
	;; [unrolled: 1-line block ×4, first 2 shown]
	v_add_f32_e32 v37, v37, v40
	v_sub_f32_e32 v39, v39, v42
	v_add_f32_e32 v37, v39, v37
	v_add_f32_e32 v39, v44, v37
	v_mul_f32_e32 v40, v41, v39
	v_mul_f32_e32 v42, v36, v40
	v_fma_f32 v36, v40, v36, -v42
	v_fmac_f32_e32 v36, v40, v35
	v_sub_f32_e32 v35, v44, v39
	v_add_f32_e32 v35, v37, v35
	v_add_f32_e32 v37, v42, v36
	v_sub_f32_e32 v43, v39, v37
	v_sub_f32_e32 v39, v39, v43
	;; [unrolled: 1-line block ×4, first 2 shown]
	v_add_f32_e32 v35, v35, v37
	v_sub_f32_e32 v36, v42, v36
	v_cvt_f32_i32_e32 v34, v34
	v_add_f32_e32 v35, v36, v35
	v_add_f32_e32 v36, v38, v40
	;; [unrolled: 1-line block ×3, first 2 shown]
	v_sub_f32_e32 v37, v36, v38
	v_mul_f32_e32 v35, v41, v35
	v_sub_f32_e32 v37, v40, v37
	v_add_f32_e32 v35, v37, v35
	v_mul_f32_e32 v40, 0x3f317218, v34
	v_add_f32_e32 v37, v36, v35
	v_fma_f32 v41, v34, s46, -v40
	v_mul_f32_e32 v38, v37, v37
	v_mov_b32_e32 v39, 0x3ecc95a3
	v_fmac_f32_e32 v41, 0xb102e308, v34
	v_sub_f32_e32 v34, v37, v36
	v_fmac_f32_e32 v39, 0x3e9b6dac, v38
	v_sub_f32_e32 v34, v35, v34
	v_add_f32_e32 v35, v40, v41
	v_fma_f32 v39, v38, v39, v17
	v_sub_f32_e32 v36, v35, v40
	v_ldexp_f32 v40, v37, 1
	v_mul_f32_e32 v37, v37, v38
	v_mul_f32_e32 v37, v37, v39
	v_add_f32_e32 v38, v40, v37
	v_sub_f32_e32 v39, v38, v40
	v_ldexp_f32 v34, v34, 1
	v_sub_f32_e32 v37, v37, v39
	v_add_f32_e32 v34, v34, v37
	v_add_f32_e32 v37, v38, v34
	v_sub_f32_e32 v38, v37, v38
	v_sub_f32_e32 v34, v34, v38
	v_add_f32_e32 v38, v35, v37
	v_sub_f32_e32 v39, v38, v35
	v_sub_f32_e32 v40, v38, v39
	;; [unrolled: 1-line block ×5, first 2 shown]
	v_add_f32_e32 v35, v37, v35
	v_add_f32_e32 v37, v36, v34
	v_sub_f32_e32 v39, v37, v36
	v_sub_f32_e32 v40, v37, v39
	;; [unrolled: 1-line block ×4, first 2 shown]
	v_add_f32_e32 v35, v37, v35
	v_add_f32_e32 v34, v34, v36
	;; [unrolled: 1-line block ×3, first 2 shown]
	v_sub_f32_e32 v37, v36, v38
	v_sub_f32_e32 v35, v35, v37
	v_add_f32_e32 v34, v34, v35
	v_add_f32_e32 v34, v36, v34
	v_cmp_neq_f32_e32 vcc, s47, v13
	v_cndmask_b32_e32 v34, v24, v34, vcc
	v_cmp_lt_f32_e64 vcc, |v13|, s48
	v_cndmask_b32_e32 v13, v34, v13, vcc
	v_max_f32_e64 v34, |v4|, |v4|
	v_max_f32_e64 v35, |v3|, |v3|
	v_min_f32_e32 v36, v35, v34
	v_max_f32_e32 v34, v35, v34
	v_frexp_mant_f32_e32 v35, v34
	v_rcp_f32_e32 v35, v35
	v_frexp_exp_i32_f32_e32 v34, v34
	v_frexp_exp_i32_f32_e32 v37, v36
	v_frexp_mant_f32_e32 v36, v36
	v_mul_f32_e32 v35, v36, v35
	v_sub_u32_e32 v34, v37, v34
	v_ldexp_f32 v34, v35, v34
	v_mul_f32_e32 v35, v34, v34
	v_mov_b32_e32 v36, 0xbc7a590c
	v_fmac_f32_e32 v36, 0x3b2d2a58, v35
	v_fma_f32 v36, v35, v36, v18
	v_fma_f32 v36, v35, v36, v19
	;; [unrolled: 1-line block ×6, first 2 shown]
	v_mul_f32_e32 v35, v35, v36
	v_fmac_f32_e32 v34, v34, v35
	v_sub_f32_e32 v35, 0x3fc90fdb, v34
	v_cndmask_b32_e64 v34, v34, v35, s[8:9]
	v_sub_f32_e32 v35, 0x40490fdb, v34
	v_cmp_gt_f32_e32 vcc, 0, v3
	v_cndmask_b32_e32 v34, v34, v35, vcc
	v_cndmask_b32_e64 v35, 0, v27, s[10:11]
	v_cmp_eq_f32_e64 s[10:11], 0, v4
	v_cndmask_b32_e64 v34, v34, v35, s[10:11]
	v_cmp_class_f32_e64 s[10:11], v3, s49
	v_cndmask_b32_e32 v35, v28, v29, vcc
	s_and_b64 vcc, s[26:27], s[10:11]
	v_mul_f32_e32 v13, 0.5, v13
	v_cndmask_b32_e32 v34, v34, v35, vcc
                                        ; implicit-def: $vgpr35
.LBB192_242:                            ;   in Loop: Header=BB192_145 Depth=1
	s_andn2_saveexec_b64 s[24:25], s[24:25]
	s_cbranch_execz .LBB192_244
; %bb.243:                              ;   in Loop: Header=BB192_145 Depth=1
	v_mul_f32_e32 v13, 0.5, v35
	v_mul_f32_e32 v13, v35, v13
	v_max_f32_e64 v34, |v4|, |v4|
	v_max_f32_e64 v35, |v3|, |v3|
	v_min_f32_e32 v36, v35, v34
	v_max_f32_e32 v34, v35, v34
	v_frexp_mant_f32_e32 v35, v34
	v_rcp_f32_e32 v35, v35
	v_frexp_exp_i32_f32_e32 v34, v34
	v_frexp_exp_i32_f32_e32 v37, v36
	v_frexp_mant_f32_e32 v36, v36
	v_mul_f32_e32 v35, v36, v35
	v_sub_u32_e32 v34, v37, v34
	v_ldexp_f32 v34, v35, v34
	v_mul_f32_e32 v35, v34, v34
	v_mov_b32_e32 v36, 0xbc7a590c
	v_fmac_f32_e32 v36, 0x3b2d2a58, v35
	v_fma_f32 v36, v35, v36, v18
	v_fma_f32 v36, v35, v36, v19
	;; [unrolled: 1-line block ×6, first 2 shown]
	v_mul_f32_e32 v35, v35, v36
	v_fmac_f32_e32 v34, v34, v35
	v_sub_f32_e32 v35, 0x3fc90fdb, v34
	v_cndmask_b32_e64 v34, v34, v35, s[8:9]
	v_sub_f32_e32 v35, 0x40490fdb, v34
	v_cmp_gt_f32_e32 vcc, 0, v3
	v_cmp_gt_i32_e64 s[10:11], 0, v3
	v_cndmask_b32_e32 v34, v34, v35, vcc
	v_cndmask_b32_e64 v35, 0, v27, s[10:11]
	v_cmp_eq_f32_e64 s[10:11], 0, v4
	v_cndmask_b32_e64 v34, v34, v35, s[10:11]
	v_cmp_class_f32_e64 s[10:11], v3, s49
	v_cmp_class_f32_e64 s[26:27], v4, s49
	v_cndmask_b32_e32 v35, v28, v29, vcc
	s_and_b64 vcc, s[26:27], s[10:11]
	v_cndmask_b32_e32 v34, v34, v35, vcc
.LBB192_244:                            ;   in Loop: Header=BB192_145 Depth=1
	s_or_b64 exec, exec, s[24:25]
.LBB192_245:                            ;   in Loop: Header=BB192_145 Depth=1
	s_or_b64 exec, exec, s[22:23]
.LBB192_246:                            ;   in Loop: Header=BB192_145 Depth=1
	s_andn2_saveexec_b64 s[20:21], s[20:21]
	s_cbranch_execz .LBB192_248
; %bb.247:                              ;   in Loop: Header=BB192_145 Depth=1
	v_div_scale_f32 v13, s[10:11], s54, s54, v3
	v_div_scale_f32 v34, s[10:11], s54, s54, v4
	v_div_scale_f32 v35, vcc, v3, s54, v3
	v_div_scale_f32 v36, s[10:11], v4, s54, v4
	v_rcp_f32_e32 v37, v13
	v_rcp_f32_e32 v38, v34
	v_fma_f32 v39, -v13, v37, 1.0
	v_fmac_f32_e32 v37, v39, v37
	v_fma_f32 v40, -v34, v38, 1.0
	v_fmac_f32_e32 v38, v40, v38
	v_mul_f32_e32 v39, v35, v37
	v_mul_f32_e32 v40, v36, v38
	v_fma_f32 v41, -v13, v39, v35
	v_fma_f32 v42, -v34, v40, v36
	v_fmac_f32_e32 v39, v41, v37
	v_fmac_f32_e32 v40, v42, v38
	v_fma_f32 v13, -v13, v39, v35
	v_fma_f32 v34, -v34, v40, v36
	v_div_fmas_f32 v13, v13, v37, v39
	s_mov_b64 vcc, s[10:11]
	v_div_fmas_f32 v34, v34, v38, v40
	v_max_f32_e64 v35, |v4|, |v4|
	v_max_f32_e64 v36, |v3|, |v3|
	v_min_f32_e32 v38, v36, v35
	v_max_f32_e32 v35, v36, v35
	v_frexp_exp_i32_f32_e32 v36, v35
	v_frexp_exp_i32_f32_e32 v39, v38
	v_sub_u32_e32 v36, v39, v36
	v_frexp_mant_f32_e32 v35, v35
	v_rcp_f32_e32 v40, v35
	v_frexp_mant_f32_e32 v38, v38
	v_mov_b32_e32 v37, 0xbc7a590c
	v_cmp_class_f32_e64 s[10:11], v4, s49
	v_mul_f32_e32 v38, v38, v40
	v_div_fixup_f32 v13, v13, s54, v3
	v_ldexp_f32 v36, v38, v36
	v_div_fixup_f32 v39, v34, s54, v4
	v_max_f32_e64 v41, |v13|, |v39|
	v_cvt_f64_f32_e32 v[34:35], v41
	v_mul_f32_e32 v38, v36, v36
	v_fmac_f32_e32 v37, 0x3b2d2a58, v38
	v_cmp_neq_f32_e32 vcc, s47, v41
	v_frexp_exp_i32_f64_e32 v34, v[34:35]
	v_fma_f32 v35, v38, v37, v18
	v_fma_f32 v35, v38, v35, v19
	;; [unrolled: 1-line block ×6, first 2 shown]
	v_mul_f32_e32 v35, v38, v35
	v_sub_u32_e32 v37, 0, v34
	v_ldexp_f32 v13, |v13|, v37
	v_ldexp_f32 v37, |v39|, v37
	v_mul_f32_e32 v37, v37, v37
	v_fmac_f32_e32 v37, v13, v13
	v_sqrt_f32_e32 v13, v37
	v_fmac_f32_e32 v36, v36, v35
	v_sub_f32_e32 v35, 0x3fc90fdb, v36
	v_ldexp_f32 v13, v13, v34
	v_cndmask_b32_e32 v13, v24, v13, vcc
	v_cmp_gt_f32_e32 vcc, s51, v13
	v_cndmask_b32_e64 v34, 0, 32, vcc
	v_ldexp_f32 v13, v13, v34
	v_log_f32_e32 v13, v13
	v_cndmask_b32_e64 v34, v36, v35, s[8:9]
	v_cndmask_b32_e32 v36, 0, v30, vcc
	v_sub_f32_e32 v35, 0x40490fdb, v34
	v_mul_f32_e32 v37, 0x3f317217, v13
	v_fma_f32 v37, v13, s52, -v37
	v_fmac_f32_e32 v37, 0x3377d1cf, v13
	v_fmac_f32_e32 v37, 0x3f317217, v13
	v_cmp_lt_f32_e64 vcc, |v13|, s47
	v_cndmask_b32_e32 v13, v13, v37, vcc
	v_cmp_gt_f32_e32 vcc, 0, v3
	v_cmp_gt_i32_e64 s[8:9], 0, v3
	v_cndmask_b32_e32 v34, v34, v35, vcc
	v_cndmask_b32_e64 v35, 0, v27, s[8:9]
	v_cmp_eq_f32_e64 s[8:9], 0, v4
	v_cndmask_b32_e64 v34, v34, v35, s[8:9]
	v_cmp_class_f32_e64 s[8:9], v3, s49
	v_sub_f32_e32 v13, v13, v36
	v_cndmask_b32_e32 v35, v28, v29, vcc
	s_and_b64 vcc, s[10:11], s[8:9]
	v_add_f32_e32 v13, 1.0, v13
	v_cndmask_b32_e32 v34, v34, v35, vcc
.LBB192_248:                            ;   in Loop: Header=BB192_145 Depth=1
	s_or_b64 exec, exec, s[20:21]
.LBB192_249:                            ;   in Loop: Header=BB192_145 Depth=1
	s_andn2_saveexec_b64 s[8:9], s[18:19]
	s_cbranch_execz .LBB192_255
; %bb.250:                              ;   in Loop: Header=BB192_145 Depth=1
	v_cmp_nlt_f32_e64 s[10:11], |v3|, s55
	v_cmp_nlt_f32_e64 s[18:19], |v4|, s55
	s_or_b64 s[10:11], s[18:19], s[10:11]
                                        ; implicit-def: $vgpr13
	s_and_saveexec_b64 s[18:19], s[10:11]
	s_xor_b64 s[10:11], exec, s[18:19]
; %bb.251:                              ;   in Loop: Header=BB192_145 Depth=1
	v_mul_f32_e32 v13, v3, v3
	v_fmac_f32_e32 v13, v4, v4
; %bb.252:                              ;   in Loop: Header=BB192_145 Depth=1
	s_andn2_saveexec_b64 s[10:11], s[10:11]
; %bb.253:                              ;   in Loop: Header=BB192_145 Depth=1
	v_mul_f32_e32 v3, 4.0, v3
	v_mul_f32_e32 v13, 4.0, v4
	v_mul_f32_e32 v3, v3, v3
	v_fmac_f32_e32 v3, v13, v13
	v_mul_f32_e32 v13, 0x3d800000, v3
; %bb.254:                              ;   in Loop: Header=BB192_145 Depth=1
	s_or_b64 exec, exec, s[10:11]
	v_cmp_gt_f32_e32 vcc, s51, v13
	v_cndmask_b32_e64 v3, 0, 32, vcc
	v_ldexp_f32 v3, v13, v3
	v_log_f32_e32 v3, v3
	v_cndmask_b32_e32 v13, 0, v30, vcc
	v_mul_f32_e32 v34, 0x3f317217, v3
	v_fma_f32 v34, v3, s52, -v34
	v_fmac_f32_e32 v34, 0x3377d1cf, v3
	v_fmac_f32_e32 v34, 0x3f317217, v3
	v_cmp_lt_f32_e64 vcc, |v3|, s47
	v_cndmask_b32_e32 v3, v3, v34, vcc
	v_sub_f32_e32 v13, v3, v13
	v_mov_b32_e32 v34, 0x7fc00000
.LBB192_255:                            ;   in Loop: Header=BB192_145 Depth=1
	s_or_b64 exec, exec, s[8:9]
	v_cmp_o_f32_e32 vcc, v16, v15
                                        ; implicit-def: $vgpr3
                                        ; implicit-def: $vgpr35
	s_and_saveexec_b64 s[8:9], vcc
	s_xor_b64 s[18:19], exec, s[8:9]
	s_cbranch_execnz .LBB192_261
; %bb.256:                              ;   in Loop: Header=BB192_145 Depth=1
	s_andn2_saveexec_b64 s[8:9], s[18:19]
	s_cbranch_execnz .LBB192_288
.LBB192_257:                            ;   in Loop: Header=BB192_145 Depth=1
	s_or_b64 exec, exec, s[8:9]
	s_and_saveexec_b64 s[8:9], s[0:1]
	s_xor_b64 s[0:1], exec, s[8:9]
	s_cbranch_execnz .LBB192_293
.LBB192_258:                            ;   in Loop: Header=BB192_145 Depth=1
	s_or_b64 exec, exec, s[0:1]
	s_and_saveexec_b64 s[0:1], s[2:3]
	s_cbranch_execnz .LBB192_294
.LBB192_259:                            ;   in Loop: Header=BB192_145 Depth=1
	s_or_b64 exec, exec, s[0:1]
	s_and_saveexec_b64 s[0:1], s[4:5]
	s_cbranch_execnz .LBB192_295
.LBB192_260:                            ;   in Loop: Header=BB192_145 Depth=1
	s_or_b64 exec, exec, s[0:1]
	s_and_saveexec_b64 s[0:1], s[6:7]
	s_cbranch_execz .LBB192_144
	s_branch .LBB192_296
.LBB192_261:                            ;   in Loop: Header=BB192_145 Depth=1
	v_cmp_lt_f32_e64 s[8:9], |v15|, |v16|
	v_cndmask_b32_e64 v36, |v16|, |v15|, s[8:9]
	v_cmp_nlt_f32_e32 vcc, s42, v36
                                        ; implicit-def: $vgpr3
                                        ; implicit-def: $vgpr35
	s_and_saveexec_b64 s[10:11], vcc
	s_xor_b64 s[20:21], exec, s[10:11]
	s_cbranch_execz .LBB192_285
; %bb.262:                              ;   in Loop: Header=BB192_145 Depth=1
	v_and_b32_e32 v3, 0x7fffffff, v16
	v_cndmask_b32_e64 v37, |v15|, v3, s[8:9]
	v_cmp_neq_f32_e32 vcc, 1.0, v37
                                        ; implicit-def: $vgpr3
                                        ; implicit-def: $vgpr35
	s_and_saveexec_b64 s[10:11], vcc
	s_xor_b64 s[22:23], exec, s[10:11]
	s_cbranch_execz .LBB192_278
; %bb.263:                              ;   in Loop: Header=BB192_145 Depth=1
	v_max_f32_e32 v3, v36, v36
	v_max_f32_e32 v35, v37, v37
	v_min_f32_e32 v38, v35, v3
	v_max_f32_e32 v3, v35, v3
	v_cmp_ngt_f32_e32 vcc, s43, v38
	v_cmp_nlt_f32_e64 s[10:11], s44, v3
	s_and_b64 s[10:11], s[10:11], vcc
                                        ; implicit-def: $vgpr3
                                        ; implicit-def: $vgpr35
	s_and_saveexec_b64 s[24:25], s[10:11]
	s_xor_b64 s[24:25], exec, s[24:25]
	s_cbranch_execz .LBB192_275
; %bb.264:                              ;   in Loop: Header=BB192_145 Depth=1
	v_cmp_le_f32_e32 vcc, 1.0, v37
                                        ; implicit-def: $vgpr3
                                        ; implicit-def: $vgpr35
	s_and_saveexec_b64 s[10:11], vcc
	s_xor_b64 s[26:27], exec, s[10:11]
	s_cbranch_execz .LBB192_266
; %bb.265:                              ;   in Loop: Header=BB192_145 Depth=1
	v_add_f32_e32 v3, -1.0, v37
	v_add_f32_e32 v35, 1.0, v37
	v_mul_f32_e32 v3, v3, v35
	v_fmac_f32_e32 v3, v36, v36
	v_add_f32_e32 v37, 1.0, v3
	v_cvt_f64_f32_e32 v[35:36], v37
	v_add_f32_e32 v38, -1.0, v37
	v_sub_f32_e32 v39, v38, v37
	v_sub_f32_e32 v38, v3, v38
	v_frexp_exp_i32_f64_e32 v35, v[35:36]
	v_frexp_mant_f32_e32 v36, v37
	v_cmp_gt_f32_e32 vcc, s45, v36
	v_add_f32_e32 v39, 1.0, v39
	v_add_f32_e32 v38, v38, v39
	v_cmp_gt_i32_e64 s[10:11], 0, v15
	v_cmp_class_f32_e64 s[28:29], v16, s49
	v_subbrev_co_u32_e32 v35, vcc, 0, v35, vcc
	v_sub_u32_e32 v36, 0, v35
	v_ldexp_f32 v37, v37, v36
	v_ldexp_f32 v36, v38, v36
	v_add_f32_e32 v38, -1.0, v37
	v_add_f32_e32 v41, 1.0, v37
	v_add_f32_e32 v39, 1.0, v38
	v_add_f32_e32 v42, -1.0, v41
	v_sub_f32_e32 v39, v37, v39
	v_sub_f32_e32 v37, v37, v42
	v_add_f32_e32 v39, v36, v39
	v_add_f32_e32 v36, v36, v37
	;; [unrolled: 1-line block ×3, first 2 shown]
	v_rcp_f32_e32 v42, v37
	v_add_f32_e32 v40, v38, v39
	v_sub_f32_e32 v38, v40, v38
	v_sub_f32_e32 v38, v39, v38
	;; [unrolled: 1-line block ×4, first 2 shown]
	v_mul_f32_e32 v39, v40, v42
	v_mul_f32_e32 v41, v37, v39
	v_fma_f32 v43, v39, v37, -v41
	v_fmac_f32_e32 v43, v39, v36
	v_add_f32_e32 v44, v41, v43
	v_sub_f32_e32 v45, v40, v44
	v_sub_f32_e32 v40, v40, v45
	;; [unrolled: 1-line block ×4, first 2 shown]
	v_add_f32_e32 v38, v38, v40
	v_sub_f32_e32 v40, v41, v43
	v_add_f32_e32 v38, v40, v38
	v_add_f32_e32 v40, v45, v38
	v_mul_f32_e32 v41, v42, v40
	v_mul_f32_e32 v43, v37, v41
	v_fma_f32 v37, v41, v37, -v43
	v_fmac_f32_e32 v37, v41, v36
	v_sub_f32_e32 v36, v45, v40
	v_add_f32_e32 v36, v38, v36
	v_add_f32_e32 v38, v43, v37
	v_sub_f32_e32 v44, v40, v38
	v_sub_f32_e32 v40, v40, v44
	;; [unrolled: 1-line block ×4, first 2 shown]
	v_add_f32_e32 v36, v36, v38
	v_sub_f32_e32 v37, v43, v37
	v_cvt_f32_i32_e32 v35, v35
	v_add_f32_e32 v36, v37, v36
	v_add_f32_e32 v37, v39, v41
	;; [unrolled: 1-line block ×3, first 2 shown]
	v_sub_f32_e32 v38, v37, v39
	v_mul_f32_e32 v36, v42, v36
	v_sub_f32_e32 v38, v41, v38
	v_add_f32_e32 v36, v38, v36
	v_mul_f32_e32 v41, 0x3f317218, v35
	v_add_f32_e32 v38, v37, v36
	v_fma_f32 v42, v35, s46, -v41
	v_mul_f32_e32 v39, v38, v38
	v_mov_b32_e32 v40, 0x3ecc95a3
	v_fmac_f32_e32 v42, 0xb102e308, v35
	v_sub_f32_e32 v35, v38, v37
	v_fmac_f32_e32 v40, 0x3e9b6dac, v39
	v_sub_f32_e32 v35, v36, v35
	v_add_f32_e32 v36, v41, v42
	v_fma_f32 v40, v39, v40, v17
	v_sub_f32_e32 v37, v36, v41
	v_ldexp_f32 v41, v38, 1
	v_mul_f32_e32 v38, v38, v39
	v_mul_f32_e32 v38, v38, v40
	v_add_f32_e32 v39, v41, v38
	v_sub_f32_e32 v40, v39, v41
	v_ldexp_f32 v35, v35, 1
	v_sub_f32_e32 v38, v38, v40
	v_add_f32_e32 v35, v35, v38
	v_add_f32_e32 v38, v39, v35
	v_sub_f32_e32 v39, v38, v39
	v_sub_f32_e32 v35, v35, v39
	v_add_f32_e32 v39, v36, v38
	v_sub_f32_e32 v40, v39, v36
	v_sub_f32_e32 v41, v39, v40
	v_sub_f32_e32 v37, v42, v37
	v_sub_f32_e32 v36, v36, v41
	v_sub_f32_e32 v38, v38, v40
	v_add_f32_e32 v36, v38, v36
	v_add_f32_e32 v38, v37, v35
	v_sub_f32_e32 v40, v38, v37
	v_sub_f32_e32 v41, v38, v40
	;; [unrolled: 1-line block ×4, first 2 shown]
	v_add_f32_e32 v36, v38, v36
	v_add_f32_e32 v35, v35, v37
	v_add_f32_e32 v37, v39, v36
	v_sub_f32_e32 v38, v37, v39
	v_sub_f32_e32 v36, v36, v38
	v_add_f32_e32 v35, v35, v36
	v_add_f32_e32 v35, v37, v35
	v_cmp_neq_f32_e32 vcc, s47, v3
	v_cndmask_b32_e32 v35, v24, v35, vcc
	v_cmp_ngt_f32_e32 vcc, -1.0, v3
	v_cndmask_b32_e32 v35, v25, v35, vcc
	v_cmp_neq_f32_e32 vcc, -1.0, v3
	v_cndmask_b32_e32 v35, v26, v35, vcc
	v_cmp_lt_f32_e64 vcc, |v3|, s48
	v_cndmask_b32_e32 v3, v35, v3, vcc
	v_max_f32_e64 v35, |v16|, |v16|
	v_max_f32_e64 v36, |v15|, |v15|
	v_min_f32_e32 v37, v36, v35
	v_max_f32_e32 v35, v36, v35
	v_frexp_mant_f32_e32 v36, v35
	v_rcp_f32_e32 v36, v36
	v_frexp_exp_i32_f32_e32 v35, v35
	v_frexp_exp_i32_f32_e32 v38, v37
	v_frexp_mant_f32_e32 v37, v37
	v_mul_f32_e32 v36, v37, v36
	v_sub_u32_e32 v35, v38, v35
	v_ldexp_f32 v35, v36, v35
	v_mul_f32_e32 v36, v35, v35
	v_mov_b32_e32 v37, 0xbc7a590c
	v_fmac_f32_e32 v37, 0x3b2d2a58, v36
	v_fma_f32 v37, v36, v37, v18
	v_fma_f32 v37, v36, v37, v19
	;; [unrolled: 1-line block ×6, first 2 shown]
	v_mul_f32_e32 v36, v36, v37
	v_fmac_f32_e32 v35, v35, v36
	v_sub_f32_e32 v36, 0x3fc90fdb, v35
	v_cndmask_b32_e64 v35, v35, v36, s[8:9]
	v_sub_f32_e32 v36, 0x40490fdb, v35
	v_cmp_gt_f32_e32 vcc, 0, v15
	v_cndmask_b32_e32 v35, v35, v36, vcc
	v_cndmask_b32_e64 v36, 0, v27, s[10:11]
	v_cmp_eq_f32_e64 s[10:11], 0, v16
	v_cndmask_b32_e64 v35, v35, v36, s[10:11]
	v_cmp_class_f32_e64 s[10:11], v15, s49
	v_cndmask_b32_e32 v36, v28, v29, vcc
	s_and_b64 vcc, s[28:29], s[10:11]
	v_mul_f32_e32 v3, 0.5, v3
	v_cndmask_b32_e32 v35, v35, v36, vcc
                                        ; implicit-def: $vgpr36
                                        ; implicit-def: $vgpr37
.LBB192_266:                            ;   in Loop: Header=BB192_145 Depth=1
	s_andn2_saveexec_b64 s[26:27], s[26:27]
	s_cbranch_execz .LBB192_274
; %bb.267:                              ;   in Loop: Header=BB192_145 Depth=1
	v_mul_f32_e32 v38, v36, v36
	v_fmac_f32_e32 v38, v37, v37
	v_cmp_ge_f32_e32 vcc, s50, v38
                                        ; implicit-def: $vgpr3
                                        ; implicit-def: $vgpr35
	s_and_saveexec_b64 s[10:11], vcc
	s_xor_b64 s[28:29], exec, s[10:11]
	s_cbranch_execz .LBB192_269
; %bb.268:                              ;   in Loop: Header=BB192_145 Depth=1
	v_cmp_gt_f32_e32 vcc, s51, v38
	v_cndmask_b32_e64 v3, 0, 32, vcc
	v_ldexp_f32 v3, v38, v3
	v_log_f32_e32 v3, v3
	v_cndmask_b32_e32 v35, 0, v30, vcc
	v_cmp_gt_i32_e64 s[10:11], 0, v15
	v_cmp_class_f32_e64 s[30:31], v16, s49
	v_mul_f32_e32 v36, 0x3f317217, v3
	v_fma_f32 v36, v3, s52, -v36
	v_fmac_f32_e32 v36, 0x3377d1cf, v3
	v_fmac_f32_e32 v36, 0x3f317217, v3
	v_cmp_lt_f32_e64 vcc, |v3|, s47
	v_cndmask_b32_e32 v3, v3, v36, vcc
	v_sub_f32_e32 v3, v3, v35
	v_max_f32_e64 v35, |v16|, |v16|
	v_max_f32_e64 v36, |v15|, |v15|
	v_min_f32_e32 v37, v36, v35
	v_max_f32_e32 v35, v36, v35
	v_frexp_mant_f32_e32 v36, v35
	v_rcp_f32_e32 v36, v36
	v_frexp_exp_i32_f32_e32 v35, v35
	v_frexp_exp_i32_f32_e32 v38, v37
	v_frexp_mant_f32_e32 v37, v37
	v_mul_f32_e32 v36, v37, v36
	v_sub_u32_e32 v35, v38, v35
	v_ldexp_f32 v35, v36, v35
	v_mul_f32_e32 v36, v35, v35
	v_mov_b32_e32 v37, 0xbc7a590c
	v_fmac_f32_e32 v37, 0x3b2d2a58, v36
	v_fma_f32 v37, v36, v37, v18
	v_fma_f32 v37, v36, v37, v19
	;; [unrolled: 1-line block ×6, first 2 shown]
	v_mul_f32_e32 v36, v36, v37
	v_fmac_f32_e32 v35, v35, v36
	v_sub_f32_e32 v36, 0x3fc90fdb, v35
	v_cndmask_b32_e64 v35, v35, v36, s[8:9]
	v_sub_f32_e32 v36, 0x40490fdb, v35
	v_cmp_gt_f32_e32 vcc, 0, v15
	v_cndmask_b32_e32 v35, v35, v36, vcc
	v_cndmask_b32_e64 v36, 0, v27, s[10:11]
	v_cmp_eq_f32_e64 s[10:11], 0, v16
	v_cndmask_b32_e64 v35, v35, v36, s[10:11]
	v_cmp_class_f32_e64 s[10:11], v15, s49
	v_cndmask_b32_e32 v36, v28, v29, vcc
	s_and_b64 vcc, s[30:31], s[10:11]
	v_mul_f32_e32 v3, 0.5, v3
	v_cndmask_b32_e32 v35, v35, v36, vcc
                                        ; implicit-def: $vgpr37
                                        ; implicit-def: $vgpr36
.LBB192_269:                            ;   in Loop: Header=BB192_145 Depth=1
	s_andn2_saveexec_b64 s[28:29], s[28:29]
	s_cbranch_execz .LBB192_273
; %bb.270:                              ;   in Loop: Header=BB192_145 Depth=1
	v_and_b32_e32 v38, 0x7fff0000, v37
	v_sub_f32_e32 v3, v37, v38
	v_and_b32_e32 v42, 0xffff0000, v3
	v_and_b32_e32 v37, 0x7fff0000, v36
	v_sub_f32_e32 v44, v3, v42
	v_sub_f32_e32 v3, v36, v37
	v_and_b32_e32 v43, 0xffff0000, v3
	v_add_f32_e32 v39, v38, v38
	v_add_f32_e32 v46, v37, v37
	v_sub_f32_e32 v45, v3, v43
	v_mul_f32_e32 v3, v38, v38
	v_mul_f32_e32 v35, v37, v37
	;; [unrolled: 1-line block ×6, first 2 shown]
	v_add_f32_e32 v42, v42, v42
	v_add_f32_e32 v43, v43, v43
	v_mul_f32_e32 v40, v39, v44
	v_mul_f32_e32 v39, v46, v45
	;; [unrolled: 1-line block ×6, first 2 shown]
	s_mov_b64 s[30:31], 0
.LBB192_271:                            ;   Parent Loop BB192_145 Depth=1
                                        ; =>  This Inner Loop Header: Depth=2
	v_cmp_nlt_f32_e32 vcc, v3, v35
	v_mov_b32_e32 v46, v45
	v_cndmask_b32_e32 v45, v3, v35, vcc
	v_cmp_nlt_f32_e64 s[10:11], v45, v38
	v_cndmask_b32_e64 v47, v45, v38, s[10:11]
	v_cndmask_b32_e32 v3, v35, v3, vcc
	s_and_b64 s[56:57], vcc, s[10:11]
	v_cmp_nlt_f32_e32 vcc, v47, v37
	v_cndmask_b32_e64 v35, v38, v45, s[10:11]
	v_cndmask_b32_e32 v45, v47, v37, vcc
	v_cmp_nlt_f32_e64 s[10:11], v45, v41
	v_cndmask_b32_e32 v38, v37, v47, vcc
	v_cndmask_b32_e64 v47, v45, v41, s[10:11]
	s_and_b64 s[58:59], vcc, s[10:11]
	v_cmp_nlt_f32_e32 vcc, v47, v36
	v_cndmask_b32_e64 v37, v41, v45, s[10:11]
	v_cndmask_b32_e32 v45, v47, v36, vcc
	v_cmp_nlt_f32_e64 s[10:11], v45, v40
	v_cndmask_b32_e32 v41, v36, v47, vcc
	v_cndmask_b32_e64 v47, v45, v40, s[10:11]
	v_cndmask_b32_e64 v36, v40, v45, s[10:11]
	s_and_b64 s[10:11], vcc, s[10:11]
	v_cmp_nlt_f32_e32 vcc, v47, v39
	v_cndmask_b32_e32 v45, v47, v39, vcc
	v_cndmask_b32_e32 v40, v39, v47, vcc
	s_and_b64 s[10:11], s[10:11], vcc
	v_cmp_nlt_f32_e32 vcc, v45, v42
	v_cndmask_b32_e32 v47, v45, v42, vcc
	v_cndmask_b32_e32 v39, v42, v45, vcc
	s_and_b64 s[10:11], s[10:11], vcc
	;; [unrolled: 4-line block ×4, first 2 shown]
	v_cmp_nlt_f32_e32 vcc, v47, v46
	s_and_b64 s[10:11], s[10:11], vcc
	s_and_b64 s[10:11], s[10:11], s[58:59]
	s_and_b64 s[10:11], s[10:11], s[56:57]
	s_and_b64 s[10:11], exec, s[10:11]
	v_cndmask_b32_e32 v45, v47, v46, vcc
	s_or_b64 s[30:31], s[10:11], s[30:31]
	v_cndmask_b32_e32 v44, v46, v47, vcc
	s_andn2_b64 exec, exec, s[30:31]
	s_cbranch_execnz .LBB192_271
; %bb.272:                              ;   in Loop: Header=BB192_145 Depth=1
	s_or_b64 exec, exec, s[30:31]
	v_add_f32_e32 v3, -1.0, v3
	v_add_f32_e32 v3, v3, v35
	v_add_f32_e32 v3, v3, v38
	;; [unrolled: 1-line block ×11, first 2 shown]
	v_add_f32_e32 v37, 1.0, v3
	v_cvt_f64_f32_e32 v[35:36], v37
	v_add_f32_e32 v38, -1.0, v37
	v_sub_f32_e32 v39, v38, v37
	v_sub_f32_e32 v38, v3, v38
	v_frexp_exp_i32_f64_e32 v35, v[35:36]
	v_frexp_mant_f32_e32 v36, v37
	v_cmp_gt_f32_e32 vcc, s45, v36
	v_add_f32_e32 v39, 1.0, v39
	v_add_f32_e32 v38, v38, v39
	v_cmp_gt_i32_e64 s[10:11], 0, v15
	v_cmp_class_f32_e64 s[30:31], v16, s49
	v_subbrev_co_u32_e32 v35, vcc, 0, v35, vcc
	v_sub_u32_e32 v36, 0, v35
	v_ldexp_f32 v37, v37, v36
	v_ldexp_f32 v36, v38, v36
	v_add_f32_e32 v38, -1.0, v37
	v_add_f32_e32 v39, 1.0, v37
	v_add_f32_e32 v40, 1.0, v38
	v_add_f32_e32 v42, -1.0, v39
	v_sub_f32_e32 v40, v37, v40
	v_sub_f32_e32 v37, v37, v42
	v_add_f32_e32 v40, v36, v40
	v_add_f32_e32 v36, v36, v37
	;; [unrolled: 1-line block ×3, first 2 shown]
	v_rcp_f32_e32 v42, v37
	v_add_f32_e32 v41, v38, v40
	v_sub_f32_e32 v39, v37, v39
	v_sub_f32_e32 v38, v41, v38
	;; [unrolled: 1-line block ×3, first 2 shown]
	v_mul_f32_e32 v39, v41, v42
	v_sub_f32_e32 v38, v40, v38
	v_mul_f32_e32 v40, v37, v39
	v_fma_f32 v43, v39, v37, -v40
	v_fmac_f32_e32 v43, v39, v36
	v_add_f32_e32 v44, v40, v43
	v_sub_f32_e32 v45, v41, v44
	v_sub_f32_e32 v41, v41, v45
	;; [unrolled: 1-line block ×4, first 2 shown]
	v_add_f32_e32 v38, v38, v41
	v_sub_f32_e32 v40, v40, v43
	v_add_f32_e32 v38, v40, v38
	v_add_f32_e32 v40, v45, v38
	v_mul_f32_e32 v41, v42, v40
	v_mul_f32_e32 v43, v37, v41
	v_fma_f32 v37, v41, v37, -v43
	v_fmac_f32_e32 v37, v41, v36
	v_sub_f32_e32 v36, v45, v40
	v_add_f32_e32 v36, v38, v36
	v_add_f32_e32 v38, v43, v37
	v_sub_f32_e32 v44, v40, v38
	v_sub_f32_e32 v40, v40, v44
	;; [unrolled: 1-line block ×4, first 2 shown]
	v_add_f32_e32 v36, v36, v38
	v_sub_f32_e32 v37, v43, v37
	v_cvt_f32_i32_e32 v35, v35
	v_add_f32_e32 v36, v37, v36
	v_add_f32_e32 v37, v39, v41
	;; [unrolled: 1-line block ×3, first 2 shown]
	v_sub_f32_e32 v38, v37, v39
	v_mul_f32_e32 v36, v42, v36
	v_sub_f32_e32 v38, v41, v38
	v_add_f32_e32 v36, v38, v36
	v_mul_f32_e32 v41, 0x3f317218, v35
	v_add_f32_e32 v38, v37, v36
	v_fma_f32 v42, v35, s46, -v41
	v_mul_f32_e32 v39, v38, v38
	v_mov_b32_e32 v40, 0x3ecc95a3
	v_fmac_f32_e32 v42, 0xb102e308, v35
	v_sub_f32_e32 v35, v38, v37
	v_fmac_f32_e32 v40, 0x3e9b6dac, v39
	v_sub_f32_e32 v35, v36, v35
	v_add_f32_e32 v36, v41, v42
	v_fma_f32 v40, v39, v40, v17
	v_sub_f32_e32 v37, v36, v41
	v_ldexp_f32 v41, v38, 1
	v_mul_f32_e32 v38, v38, v39
	v_mul_f32_e32 v38, v38, v40
	v_add_f32_e32 v39, v41, v38
	v_sub_f32_e32 v40, v39, v41
	v_ldexp_f32 v35, v35, 1
	v_sub_f32_e32 v38, v38, v40
	v_add_f32_e32 v35, v35, v38
	v_add_f32_e32 v38, v39, v35
	v_sub_f32_e32 v39, v38, v39
	v_sub_f32_e32 v35, v35, v39
	v_add_f32_e32 v39, v36, v38
	v_sub_f32_e32 v40, v39, v36
	v_sub_f32_e32 v41, v39, v40
	v_sub_f32_e32 v37, v42, v37
	v_sub_f32_e32 v36, v36, v41
	v_sub_f32_e32 v38, v38, v40
	v_add_f32_e32 v36, v38, v36
	v_add_f32_e32 v38, v37, v35
	v_sub_f32_e32 v40, v38, v37
	v_sub_f32_e32 v41, v38, v40
	;; [unrolled: 1-line block ×4, first 2 shown]
	v_add_f32_e32 v36, v38, v36
	v_add_f32_e32 v35, v35, v37
	;; [unrolled: 1-line block ×3, first 2 shown]
	v_sub_f32_e32 v38, v37, v39
	v_sub_f32_e32 v36, v36, v38
	v_add_f32_e32 v35, v35, v36
	v_add_f32_e32 v35, v37, v35
	v_cmp_neq_f32_e32 vcc, s47, v3
	v_cndmask_b32_e32 v35, v24, v35, vcc
	v_cmp_ngt_f32_e32 vcc, -1.0, v3
	v_cndmask_b32_e32 v35, v25, v35, vcc
	v_cmp_neq_f32_e32 vcc, -1.0, v3
	v_cndmask_b32_e32 v35, v26, v35, vcc
	v_cmp_lt_f32_e64 vcc, |v3|, s48
	v_cndmask_b32_e32 v3, v35, v3, vcc
	v_max_f32_e64 v35, |v16|, |v16|
	v_max_f32_e64 v36, |v15|, |v15|
	v_min_f32_e32 v37, v36, v35
	v_max_f32_e32 v35, v36, v35
	v_frexp_mant_f32_e32 v36, v35
	v_rcp_f32_e32 v36, v36
	v_frexp_exp_i32_f32_e32 v35, v35
	v_frexp_exp_i32_f32_e32 v38, v37
	v_frexp_mant_f32_e32 v37, v37
	v_mul_f32_e32 v36, v37, v36
	v_sub_u32_e32 v35, v38, v35
	v_ldexp_f32 v35, v36, v35
	v_mul_f32_e32 v36, v35, v35
	v_mov_b32_e32 v37, 0xbc7a590c
	v_fmac_f32_e32 v37, 0x3b2d2a58, v36
	v_fma_f32 v37, v36, v37, v18
	v_fma_f32 v37, v36, v37, v19
	;; [unrolled: 1-line block ×6, first 2 shown]
	v_mul_f32_e32 v36, v36, v37
	v_fmac_f32_e32 v35, v35, v36
	v_sub_f32_e32 v36, 0x3fc90fdb, v35
	v_cndmask_b32_e64 v35, v35, v36, s[8:9]
	v_sub_f32_e32 v36, 0x40490fdb, v35
	v_cmp_gt_f32_e32 vcc, 0, v15
	v_cndmask_b32_e32 v35, v35, v36, vcc
	v_cndmask_b32_e64 v36, 0, v27, s[10:11]
	v_cmp_eq_f32_e64 s[10:11], 0, v16
	v_cndmask_b32_e64 v35, v35, v36, s[10:11]
	v_cmp_class_f32_e64 s[10:11], v15, s49
	v_cndmask_b32_e32 v36, v28, v29, vcc
	s_and_b64 vcc, s[30:31], s[10:11]
	v_mul_f32_e32 v3, 0.5, v3
	v_cndmask_b32_e32 v35, v35, v36, vcc
.LBB192_273:                            ;   in Loop: Header=BB192_145 Depth=1
	s_or_b64 exec, exec, s[28:29]
.LBB192_274:                            ;   in Loop: Header=BB192_145 Depth=1
	s_or_b64 exec, exec, s[26:27]
.LBB192_275:                            ;   in Loop: Header=BB192_145 Depth=1
	s_andn2_saveexec_b64 s[24:25], s[24:25]
	s_cbranch_execz .LBB192_277
; %bb.276:                              ;   in Loop: Header=BB192_145 Depth=1
	v_max_f32_e64 v3, |v16|, |v16|
	v_max_f32_e64 v37, |v15|, |v15|
	v_max_f32_e32 v38, v37, v3
	v_cvt_f64_f32_e32 v[35:36], v38
	v_min_f32_e32 v3, v37, v3
	v_frexp_mant_f32_e32 v37, v38
	v_rcp_f32_e32 v37, v37
	v_frexp_exp_i32_f64_e32 v35, v[35:36]
	v_cmp_neq_f32_e32 vcc, s47, v38
	v_frexp_exp_i32_f32_e32 v39, v3
	v_frexp_mant_f32_e32 v3, v3
	v_mul_f32_e32 v3, v3, v37
	v_frexp_exp_i32_f32_e32 v36, v38
	v_sub_u32_e32 v36, v39, v36
	v_ldexp_f32 v36, v3, v36
	v_sub_u32_e32 v40, 0, v35
	v_ldexp_f32 v41, |v15|, v40
	v_ldexp_f32 v40, |v16|, v40
	v_mul_f32_e32 v40, v40, v40
	v_fmac_f32_e32 v40, v41, v41
	v_sqrt_f32_e32 v40, v40
	v_cmp_gt_i32_e64 s[10:11], 0, v15
	v_cmp_class_f32_e64 s[26:27], v16, s49
	v_ldexp_f32 v35, v40, v35
	v_cndmask_b32_e32 v35, v24, v35, vcc
	v_cmp_gt_f32_e32 vcc, s51, v35
	v_cndmask_b32_e64 v37, 0, 32, vcc
	v_ldexp_f32 v35, v35, v37
	v_log_f32_e32 v35, v35
	v_cndmask_b32_e32 v3, 0, v30, vcc
	v_mul_f32_e32 v37, v36, v36
	v_mul_f32_e32 v38, 0x3f317217, v35
	v_fma_f32 v38, v35, s52, -v38
	v_fmac_f32_e32 v38, 0x3377d1cf, v35
	v_fmac_f32_e32 v38, 0x3f317217, v35
	v_cmp_lt_f32_e64 vcc, |v35|, s47
	v_cndmask_b32_e32 v35, v35, v38, vcc
	v_sub_f32_e32 v3, v35, v3
	v_mov_b32_e32 v35, 0xbc7a590c
	v_fmac_f32_e32 v35, 0x3b2d2a58, v37
	v_fma_f32 v35, v37, v35, v18
	v_fma_f32 v35, v37, v35, v19
	;; [unrolled: 1-line block ×6, first 2 shown]
	v_mul_f32_e32 v35, v37, v35
	v_fmac_f32_e32 v36, v36, v35
	v_sub_f32_e32 v35, 0x3fc90fdb, v36
	v_cndmask_b32_e64 v35, v36, v35, s[8:9]
	v_sub_f32_e32 v36, 0x40490fdb, v35
	v_cmp_gt_f32_e32 vcc, 0, v15
	v_cndmask_b32_e32 v35, v35, v36, vcc
	v_cndmask_b32_e64 v36, 0, v27, s[10:11]
	v_cmp_eq_f32_e64 s[10:11], 0, v16
	v_cndmask_b32_e64 v35, v35, v36, s[10:11]
	v_cmp_class_f32_e64 s[10:11], v15, s49
	v_cndmask_b32_e32 v36, v28, v29, vcc
	s_and_b64 vcc, s[26:27], s[10:11]
	v_cndmask_b32_e32 v35, v35, v36, vcc
.LBB192_277:                            ;   in Loop: Header=BB192_145 Depth=1
	s_or_b64 exec, exec, s[24:25]
                                        ; implicit-def: $vgpr36
.LBB192_278:                            ;   in Loop: Header=BB192_145 Depth=1
	s_andn2_saveexec_b64 s[22:23], s[22:23]
	s_cbranch_execz .LBB192_284
; %bb.279:                              ;   in Loop: Header=BB192_145 Depth=1
	v_cmp_ngt_f32_e32 vcc, s53, v36
                                        ; implicit-def: $vgpr3
                                        ; implicit-def: $vgpr35
	s_and_saveexec_b64 s[10:11], vcc
	s_xor_b64 s[24:25], exec, s[10:11]
	s_cbranch_execz .LBB192_281
; %bb.280:                              ;   in Loop: Header=BB192_145 Depth=1
	v_mul_f32_e32 v3, v36, v36
	v_add_f32_e32 v37, 1.0, v3
	v_cvt_f64_f32_e32 v[35:36], v37
	v_add_f32_e32 v38, -1.0, v37
	v_sub_f32_e32 v39, v38, v37
	v_sub_f32_e32 v38, v3, v38
	v_frexp_exp_i32_f64_e32 v35, v[35:36]
	v_frexp_mant_f32_e32 v36, v37
	v_cmp_gt_f32_e32 vcc, s45, v36
	v_add_f32_e32 v39, 1.0, v39
	v_add_f32_e32 v38, v38, v39
	v_cmp_gt_i32_e64 s[10:11], 0, v15
	v_cmp_class_f32_e64 s[26:27], v16, s49
	v_subbrev_co_u32_e32 v35, vcc, 0, v35, vcc
	v_sub_u32_e32 v36, 0, v35
	v_ldexp_f32 v37, v37, v36
	v_ldexp_f32 v36, v38, v36
	v_add_f32_e32 v38, -1.0, v37
	v_add_f32_e32 v39, 1.0, v37
	v_add_f32_e32 v40, 1.0, v38
	v_add_f32_e32 v42, -1.0, v39
	v_sub_f32_e32 v40, v37, v40
	v_sub_f32_e32 v37, v37, v42
	v_add_f32_e32 v40, v36, v40
	v_add_f32_e32 v36, v36, v37
	v_add_f32_e32 v37, v39, v36
	v_rcp_f32_e32 v42, v37
	v_add_f32_e32 v41, v38, v40
	v_sub_f32_e32 v39, v39, v37
	v_sub_f32_e32 v38, v38, v41
	v_add_f32_e32 v36, v36, v39
	v_mul_f32_e32 v39, v41, v42
	v_add_f32_e32 v38, v40, v38
	v_mul_f32_e32 v40, v37, v39
	v_fma_f32 v43, v39, v37, -v40
	v_fmac_f32_e32 v43, v39, v36
	v_add_f32_e32 v44, v40, v43
	v_sub_f32_e32 v45, v41, v44
	v_sub_f32_e32 v41, v41, v45
	;; [unrolled: 1-line block ×4, first 2 shown]
	v_add_f32_e32 v38, v38, v41
	v_sub_f32_e32 v40, v40, v43
	v_add_f32_e32 v38, v40, v38
	v_add_f32_e32 v40, v45, v38
	v_mul_f32_e32 v41, v42, v40
	v_mul_f32_e32 v43, v37, v41
	v_fma_f32 v37, v41, v37, -v43
	v_fmac_f32_e32 v37, v41, v36
	v_sub_f32_e32 v36, v45, v40
	v_add_f32_e32 v36, v38, v36
	v_add_f32_e32 v38, v43, v37
	v_sub_f32_e32 v44, v40, v38
	v_sub_f32_e32 v40, v40, v44
	;; [unrolled: 1-line block ×4, first 2 shown]
	v_add_f32_e32 v36, v36, v38
	v_sub_f32_e32 v37, v43, v37
	v_cvt_f32_i32_e32 v35, v35
	v_add_f32_e32 v36, v37, v36
	v_add_f32_e32 v37, v39, v41
	;; [unrolled: 1-line block ×3, first 2 shown]
	v_sub_f32_e32 v38, v37, v39
	v_mul_f32_e32 v36, v42, v36
	v_sub_f32_e32 v38, v41, v38
	v_add_f32_e32 v36, v38, v36
	v_mul_f32_e32 v41, 0x3f317218, v35
	v_add_f32_e32 v38, v37, v36
	v_fma_f32 v42, v35, s46, -v41
	v_mul_f32_e32 v39, v38, v38
	v_mov_b32_e32 v40, 0x3ecc95a3
	v_fmac_f32_e32 v42, 0xb102e308, v35
	v_sub_f32_e32 v35, v38, v37
	v_fmac_f32_e32 v40, 0x3e9b6dac, v39
	v_sub_f32_e32 v35, v36, v35
	v_add_f32_e32 v36, v41, v42
	v_fma_f32 v40, v39, v40, v17
	v_sub_f32_e32 v37, v36, v41
	v_ldexp_f32 v41, v38, 1
	v_mul_f32_e32 v38, v38, v39
	v_mul_f32_e32 v38, v38, v40
	v_add_f32_e32 v39, v41, v38
	v_sub_f32_e32 v40, v39, v41
	v_ldexp_f32 v35, v35, 1
	v_sub_f32_e32 v38, v38, v40
	v_add_f32_e32 v35, v35, v38
	v_add_f32_e32 v38, v39, v35
	v_sub_f32_e32 v39, v38, v39
	v_sub_f32_e32 v35, v35, v39
	v_add_f32_e32 v39, v36, v38
	v_sub_f32_e32 v40, v39, v36
	v_sub_f32_e32 v41, v39, v40
	;; [unrolled: 1-line block ×5, first 2 shown]
	v_add_f32_e32 v36, v38, v36
	v_add_f32_e32 v38, v37, v35
	v_sub_f32_e32 v40, v38, v37
	v_sub_f32_e32 v41, v38, v40
	;; [unrolled: 1-line block ×4, first 2 shown]
	v_add_f32_e32 v36, v38, v36
	v_add_f32_e32 v35, v35, v37
	;; [unrolled: 1-line block ×3, first 2 shown]
	v_sub_f32_e32 v38, v37, v39
	v_sub_f32_e32 v36, v36, v38
	v_add_f32_e32 v35, v35, v36
	v_add_f32_e32 v35, v37, v35
	v_cmp_neq_f32_e32 vcc, s47, v3
	v_cndmask_b32_e32 v35, v24, v35, vcc
	v_cmp_lt_f32_e64 vcc, |v3|, s48
	v_cndmask_b32_e32 v3, v35, v3, vcc
	v_max_f32_e64 v35, |v16|, |v16|
	v_max_f32_e64 v36, |v15|, |v15|
	v_min_f32_e32 v37, v36, v35
	v_max_f32_e32 v35, v36, v35
	v_frexp_mant_f32_e32 v36, v35
	v_rcp_f32_e32 v36, v36
	v_frexp_exp_i32_f32_e32 v35, v35
	v_frexp_exp_i32_f32_e32 v38, v37
	v_frexp_mant_f32_e32 v37, v37
	v_mul_f32_e32 v36, v37, v36
	v_sub_u32_e32 v35, v38, v35
	v_ldexp_f32 v35, v36, v35
	v_mul_f32_e32 v36, v35, v35
	v_mov_b32_e32 v37, 0xbc7a590c
	v_fmac_f32_e32 v37, 0x3b2d2a58, v36
	v_fma_f32 v37, v36, v37, v18
	v_fma_f32 v37, v36, v37, v19
	v_fma_f32 v37, v36, v37, v20
	v_fma_f32 v37, v36, v37, v21
	v_fma_f32 v37, v36, v37, v22
	v_fma_f32 v37, v36, v37, v23
	v_mul_f32_e32 v36, v36, v37
	v_fmac_f32_e32 v35, v35, v36
	v_sub_f32_e32 v36, 0x3fc90fdb, v35
	v_cndmask_b32_e64 v35, v35, v36, s[8:9]
	v_sub_f32_e32 v36, 0x40490fdb, v35
	v_cmp_gt_f32_e32 vcc, 0, v15
	v_cndmask_b32_e32 v35, v35, v36, vcc
	v_cndmask_b32_e64 v36, 0, v27, s[10:11]
	v_cmp_eq_f32_e64 s[10:11], 0, v16
	v_cndmask_b32_e64 v35, v35, v36, s[10:11]
	v_cmp_class_f32_e64 s[10:11], v15, s49
	v_cndmask_b32_e32 v36, v28, v29, vcc
	s_and_b64 vcc, s[26:27], s[10:11]
	v_mul_f32_e32 v3, 0.5, v3
	v_cndmask_b32_e32 v35, v35, v36, vcc
                                        ; implicit-def: $vgpr36
.LBB192_281:                            ;   in Loop: Header=BB192_145 Depth=1
	s_andn2_saveexec_b64 s[24:25], s[24:25]
	s_cbranch_execz .LBB192_283
; %bb.282:                              ;   in Loop: Header=BB192_145 Depth=1
	v_mul_f32_e32 v3, 0.5, v36
	v_mul_f32_e32 v3, v36, v3
	v_max_f32_e64 v35, |v16|, |v16|
	v_max_f32_e64 v36, |v15|, |v15|
	v_min_f32_e32 v37, v36, v35
	v_max_f32_e32 v35, v36, v35
	v_frexp_mant_f32_e32 v36, v35
	v_rcp_f32_e32 v36, v36
	v_frexp_exp_i32_f32_e32 v35, v35
	v_frexp_exp_i32_f32_e32 v38, v37
	v_frexp_mant_f32_e32 v37, v37
	v_mul_f32_e32 v36, v37, v36
	v_sub_u32_e32 v35, v38, v35
	v_ldexp_f32 v35, v36, v35
	v_mul_f32_e32 v36, v35, v35
	v_mov_b32_e32 v37, 0xbc7a590c
	v_fmac_f32_e32 v37, 0x3b2d2a58, v36
	v_fma_f32 v37, v36, v37, v18
	v_fma_f32 v37, v36, v37, v19
	;; [unrolled: 1-line block ×6, first 2 shown]
	v_mul_f32_e32 v36, v36, v37
	v_fmac_f32_e32 v35, v35, v36
	v_sub_f32_e32 v36, 0x3fc90fdb, v35
	v_cndmask_b32_e64 v35, v35, v36, s[8:9]
	v_sub_f32_e32 v36, 0x40490fdb, v35
	v_cmp_gt_f32_e32 vcc, 0, v15
	v_cmp_gt_i32_e64 s[10:11], 0, v15
	v_cndmask_b32_e32 v35, v35, v36, vcc
	v_cndmask_b32_e64 v36, 0, v27, s[10:11]
	v_cmp_eq_f32_e64 s[10:11], 0, v16
	v_cndmask_b32_e64 v35, v35, v36, s[10:11]
	v_cmp_class_f32_e64 s[10:11], v15, s49
	v_cmp_class_f32_e64 s[26:27], v16, s49
	v_cndmask_b32_e32 v36, v28, v29, vcc
	s_and_b64 vcc, s[26:27], s[10:11]
	v_cndmask_b32_e32 v35, v35, v36, vcc
.LBB192_283:                            ;   in Loop: Header=BB192_145 Depth=1
	s_or_b64 exec, exec, s[24:25]
.LBB192_284:                            ;   in Loop: Header=BB192_145 Depth=1
	s_or_b64 exec, exec, s[22:23]
.LBB192_285:                            ;   in Loop: Header=BB192_145 Depth=1
	s_andn2_saveexec_b64 s[20:21], s[20:21]
	s_cbranch_execz .LBB192_287
; %bb.286:                              ;   in Loop: Header=BB192_145 Depth=1
	v_div_scale_f32 v3, s[10:11], s54, s54, v15
	v_div_scale_f32 v35, s[10:11], s54, s54, v16
	v_div_scale_f32 v36, vcc, v15, s54, v15
	v_div_scale_f32 v37, s[10:11], v16, s54, v16
	v_rcp_f32_e32 v38, v3
	v_rcp_f32_e32 v39, v35
	v_fma_f32 v40, -v3, v38, 1.0
	v_fmac_f32_e32 v38, v40, v38
	v_fma_f32 v41, -v35, v39, 1.0
	v_fmac_f32_e32 v39, v41, v39
	v_mul_f32_e32 v40, v36, v38
	v_mul_f32_e32 v41, v37, v39
	v_fma_f32 v42, -v3, v40, v36
	v_fma_f32 v43, -v35, v41, v37
	v_fmac_f32_e32 v40, v42, v38
	v_fmac_f32_e32 v41, v43, v39
	v_fma_f32 v3, -v3, v40, v36
	v_fma_f32 v35, -v35, v41, v37
	v_div_fmas_f32 v3, v3, v38, v40
	s_mov_b64 vcc, s[10:11]
	v_div_fmas_f32 v35, v35, v39, v41
	v_max_f32_e64 v36, |v16|, |v16|
	v_max_f32_e64 v37, |v15|, |v15|
	v_min_f32_e32 v39, v37, v36
	v_max_f32_e32 v36, v37, v36
	v_frexp_exp_i32_f32_e32 v37, v36
	v_frexp_exp_i32_f32_e32 v40, v39
	v_sub_u32_e32 v37, v40, v37
	v_frexp_mant_f32_e32 v36, v36
	v_rcp_f32_e32 v41, v36
	v_frexp_mant_f32_e32 v39, v39
	v_mov_b32_e32 v38, 0xbc7a590c
	v_cmp_class_f32_e64 s[10:11], v16, s49
	v_mul_f32_e32 v39, v39, v41
	v_div_fixup_f32 v3, v3, s54, v15
	v_ldexp_f32 v37, v39, v37
	v_div_fixup_f32 v40, v35, s54, v16
	v_max_f32_e64 v42, |v3|, |v40|
	v_cvt_f64_f32_e32 v[35:36], v42
	v_mul_f32_e32 v39, v37, v37
	v_fmac_f32_e32 v38, 0x3b2d2a58, v39
	v_cmp_neq_f32_e32 vcc, s47, v42
	v_frexp_exp_i32_f64_e32 v35, v[35:36]
	v_fma_f32 v36, v39, v38, v18
	v_fma_f32 v36, v39, v36, v19
	v_fma_f32 v36, v39, v36, v20
	v_fma_f32 v36, v39, v36, v21
	v_fma_f32 v36, v39, v36, v22
	v_fma_f32 v36, v39, v36, v23
	v_mul_f32_e32 v36, v39, v36
	v_sub_u32_e32 v38, 0, v35
	v_ldexp_f32 v3, |v3|, v38
	v_ldexp_f32 v38, |v40|, v38
	v_mul_f32_e32 v38, v38, v38
	v_fmac_f32_e32 v38, v3, v3
	v_sqrt_f32_e32 v3, v38
	v_fmac_f32_e32 v37, v37, v36
	v_sub_f32_e32 v36, 0x3fc90fdb, v37
	v_ldexp_f32 v3, v3, v35
	v_cndmask_b32_e32 v3, v24, v3, vcc
	v_cmp_gt_f32_e32 vcc, s51, v3
	v_cndmask_b32_e64 v35, 0, 32, vcc
	v_ldexp_f32 v3, v3, v35
	v_log_f32_e32 v3, v3
	v_cndmask_b32_e64 v35, v37, v36, s[8:9]
	v_cndmask_b32_e32 v37, 0, v30, vcc
	v_sub_f32_e32 v36, 0x40490fdb, v35
	v_mul_f32_e32 v38, 0x3f317217, v3
	v_fma_f32 v38, v3, s52, -v38
	v_fmac_f32_e32 v38, 0x3377d1cf, v3
	v_fmac_f32_e32 v38, 0x3f317217, v3
	v_cmp_lt_f32_e64 vcc, |v3|, s47
	v_cndmask_b32_e32 v3, v3, v38, vcc
	v_cmp_gt_f32_e32 vcc, 0, v15
	v_cmp_gt_i32_e64 s[8:9], 0, v15
	v_cndmask_b32_e32 v35, v35, v36, vcc
	v_cndmask_b32_e64 v36, 0, v27, s[8:9]
	v_cmp_eq_f32_e64 s[8:9], 0, v16
	v_cndmask_b32_e64 v35, v35, v36, s[8:9]
	v_cmp_class_f32_e64 s[8:9], v15, s49
	v_sub_f32_e32 v3, v3, v37
	v_cndmask_b32_e32 v36, v28, v29, vcc
	s_and_b64 vcc, s[10:11], s[8:9]
	v_add_f32_e32 v3, 1.0, v3
	v_cndmask_b32_e32 v35, v35, v36, vcc
.LBB192_287:                            ;   in Loop: Header=BB192_145 Depth=1
	s_or_b64 exec, exec, s[20:21]
	s_andn2_saveexec_b64 s[8:9], s[18:19]
	s_cbranch_execz .LBB192_257
.LBB192_288:                            ;   in Loop: Header=BB192_145 Depth=1
	v_cmp_nlt_f32_e64 s[10:11], |v15|, s55
	v_cmp_nlt_f32_e64 s[18:19], |v16|, s55
	s_or_b64 s[10:11], s[18:19], s[10:11]
                                        ; implicit-def: $vgpr3
	s_and_saveexec_b64 s[18:19], s[10:11]
	s_xor_b64 s[10:11], exec, s[18:19]
; %bb.289:                              ;   in Loop: Header=BB192_145 Depth=1
	v_mul_f32_e32 v3, v15, v15
	v_fmac_f32_e32 v3, v16, v16
; %bb.290:                              ;   in Loop: Header=BB192_145 Depth=1
	s_andn2_saveexec_b64 s[10:11], s[10:11]
; %bb.291:                              ;   in Loop: Header=BB192_145 Depth=1
	v_mul_f32_e32 v3, 4.0, v15
	v_mul_f32_e32 v15, 4.0, v16
	v_mul_f32_e32 v3, v3, v3
	v_fmac_f32_e32 v3, v15, v15
	v_mul_f32_e32 v3, 0x3d800000, v3
; %bb.292:                              ;   in Loop: Header=BB192_145 Depth=1
	s_or_b64 exec, exec, s[10:11]
	v_cmp_gt_f32_e32 vcc, s51, v3
	v_cndmask_b32_e64 v15, 0, 32, vcc
	v_ldexp_f32 v3, v3, v15
	v_log_f32_e32 v3, v3
	v_cndmask_b32_e32 v15, 0, v30, vcc
	v_mul_f32_e32 v35, 0x3f317217, v3
	v_fma_f32 v35, v3, s52, -v35
	v_fmac_f32_e32 v35, 0x3377d1cf, v3
	v_fmac_f32_e32 v35, 0x3f317217, v3
	v_cmp_lt_f32_e64 vcc, |v3|, s47
	v_cndmask_b32_e32 v3, v3, v35, vcc
	v_sub_f32_e32 v3, v3, v15
	v_mov_b32_e32 v35, 0x7fc00000
	s_or_b64 exec, exec, s[8:9]
	s_and_saveexec_b64 s[8:9], s[0:1]
	s_xor_b64 s[0:1], exec, s[8:9]
	s_cbranch_execz .LBB192_258
.LBB192_293:                            ;   in Loop: Header=BB192_145 Depth=1
	v_bfi_b32 v12, s41, v32, v12
	v_lshlrev_b64 v[1:2], 3, v[1:2]
	v_fma_f32 v15, 0, v12, v31
	v_fmac_f32_e32 v12, 0x80000000, v31
	v_mul_f32_e32 v37, 0x3fb8aa3b, v12
	v_mov_b32_e32 v12, s36
	v_add_co_u32_e32 v1, vcc, s35, v1
	v_mul_f32_e32 v36, 0x3fb8aa3b, v15
	v_addc_co_u32_e32 v2, vcc, v12, v2, vcc
	global_store_dwordx2 v[1:2], v[36:37], off
	s_or_b64 exec, exec, s[0:1]
	s_and_saveexec_b64 s[0:1], s[2:3]
	s_cbranch_execz .LBB192_259
.LBB192_294:                            ;   in Loop: Header=BB192_145 Depth=1
	v_lshlrev_b64 v[5:6], 3, v[5:6]
	v_bfi_b32 v2, s41, v33, v14
	v_fma_f32 v1, 0, v2, v11
	v_fmac_f32_e32 v2, 0x80000000, v11
	v_mov_b32_e32 v11, s36
	v_add_co_u32_e32 v5, vcc, s35, v5
	v_mul_f32_e32 v1, 0x3fb8aa3b, v1
	v_mul_f32_e32 v2, 0x3fb8aa3b, v2
	v_addc_co_u32_e32 v6, vcc, v11, v6, vcc
	global_store_dwordx2 v[5:6], v[1:2], off
	s_or_b64 exec, exec, s[0:1]
	s_and_saveexec_b64 s[0:1], s[4:5]
	s_cbranch_execz .LBB192_260
.LBB192_295:                            ;   in Loop: Header=BB192_145 Depth=1
	v_bfi_b32 v2, s41, v34, v4
	v_lshlrev_b64 v[4:5], 3, v[7:8]
	v_fma_f32 v1, 0, v2, v13
	v_fmac_f32_e32 v2, 0x80000000, v13
	v_mov_b32_e32 v6, s36
	v_add_co_u32_e32 v4, vcc, s35, v4
	v_mul_f32_e32 v1, 0x3fb8aa3b, v1
	v_mul_f32_e32 v2, 0x3fb8aa3b, v2
	v_addc_co_u32_e32 v5, vcc, v6, v5, vcc
	global_store_dwordx2 v[4:5], v[1:2], off
	s_or_b64 exec, exec, s[0:1]
	s_and_saveexec_b64 s[0:1], s[6:7]
	s_cbranch_execz .LBB192_144
.LBB192_296:                            ;   in Loop: Header=BB192_145 Depth=1
	v_bfi_b32 v2, s41, v35, v16
	v_fma_f32 v1, 0, v2, v3
	v_fmac_f32_e32 v2, 0x80000000, v3
	v_lshlrev_b64 v[3:4], 3, v[9:10]
	v_mov_b32_e32 v5, s36
	v_add_co_u32_e32 v3, vcc, s35, v3
	v_mul_f32_e32 v1, 0x3fb8aa3b, v1
	v_mul_f32_e32 v2, 0x3fb8aa3b, v2
	v_addc_co_u32_e32 v4, vcc, v5, v4, vcc
	global_store_dwordx2 v[3:4], v[1:2], off
	s_branch .LBB192_144
.LBB192_297:
	s_endpgm
	.section	.rodata,"a",@progbits
	.p2align	6, 0x0
	.amdhsa_kernel _ZN2at6native12_GLOBAL__N_125multi_tensor_apply_kernelINS1_18TensorListMetadataILi2EEENS1_14UnaryOpFunctorIN3c107complexIfEELi2ELi1ELi1EEEJNS0_4Log2IS8_EEEEEvT_T0_DpT1_
		.amdhsa_group_segment_fixed_size 0
		.amdhsa_private_segment_fixed_size 0
		.amdhsa_kernarg_size 3408
		.amdhsa_user_sgpr_count 6
		.amdhsa_user_sgpr_private_segment_buffer 1
		.amdhsa_user_sgpr_dispatch_ptr 0
		.amdhsa_user_sgpr_queue_ptr 0
		.amdhsa_user_sgpr_kernarg_segment_ptr 1
		.amdhsa_user_sgpr_dispatch_id 0
		.amdhsa_user_sgpr_flat_scratch_init 0
		.amdhsa_user_sgpr_private_segment_size 0
		.amdhsa_uses_dynamic_stack 0
		.amdhsa_system_sgpr_private_segment_wavefront_offset 0
		.amdhsa_system_sgpr_workgroup_id_x 1
		.amdhsa_system_sgpr_workgroup_id_y 0
		.amdhsa_system_sgpr_workgroup_id_z 0
		.amdhsa_system_sgpr_workgroup_info 0
		.amdhsa_system_vgpr_workitem_id 0
		.amdhsa_next_free_vgpr 48
		.amdhsa_next_free_sgpr 60
		.amdhsa_reserve_vcc 1
		.amdhsa_reserve_flat_scratch 0
		.amdhsa_float_round_mode_32 0
		.amdhsa_float_round_mode_16_64 0
		.amdhsa_float_denorm_mode_32 3
		.amdhsa_float_denorm_mode_16_64 3
		.amdhsa_dx10_clamp 1
		.amdhsa_ieee_mode 1
		.amdhsa_fp16_overflow 0
		.amdhsa_exception_fp_ieee_invalid_op 0
		.amdhsa_exception_fp_denorm_src 0
		.amdhsa_exception_fp_ieee_div_zero 0
		.amdhsa_exception_fp_ieee_overflow 0
		.amdhsa_exception_fp_ieee_underflow 0
		.amdhsa_exception_fp_ieee_inexact 0
		.amdhsa_exception_int_div_zero 0
	.end_amdhsa_kernel
	.section	.text._ZN2at6native12_GLOBAL__N_125multi_tensor_apply_kernelINS1_18TensorListMetadataILi2EEENS1_14UnaryOpFunctorIN3c107complexIfEELi2ELi1ELi1EEEJNS0_4Log2IS8_EEEEEvT_T0_DpT1_,"axG",@progbits,_ZN2at6native12_GLOBAL__N_125multi_tensor_apply_kernelINS1_18TensorListMetadataILi2EEENS1_14UnaryOpFunctorIN3c107complexIfEELi2ELi1ELi1EEEJNS0_4Log2IS8_EEEEEvT_T0_DpT1_,comdat
.Lfunc_end192:
	.size	_ZN2at6native12_GLOBAL__N_125multi_tensor_apply_kernelINS1_18TensorListMetadataILi2EEENS1_14UnaryOpFunctorIN3c107complexIfEELi2ELi1ELi1EEEJNS0_4Log2IS8_EEEEEvT_T0_DpT1_, .Lfunc_end192-_ZN2at6native12_GLOBAL__N_125multi_tensor_apply_kernelINS1_18TensorListMetadataILi2EEENS1_14UnaryOpFunctorIN3c107complexIfEELi2ELi1ELi1EEEJNS0_4Log2IS8_EEEEEvT_T0_DpT1_
                                        ; -- End function
	.set _ZN2at6native12_GLOBAL__N_125multi_tensor_apply_kernelINS1_18TensorListMetadataILi2EEENS1_14UnaryOpFunctorIN3c107complexIfEELi2ELi1ELi1EEEJNS0_4Log2IS8_EEEEEvT_T0_DpT1_.num_vgpr, 48
	.set _ZN2at6native12_GLOBAL__N_125multi_tensor_apply_kernelINS1_18TensorListMetadataILi2EEENS1_14UnaryOpFunctorIN3c107complexIfEELi2ELi1ELi1EEEJNS0_4Log2IS8_EEEEEvT_T0_DpT1_.num_agpr, 0
	.set _ZN2at6native12_GLOBAL__N_125multi_tensor_apply_kernelINS1_18TensorListMetadataILi2EEENS1_14UnaryOpFunctorIN3c107complexIfEELi2ELi1ELi1EEEJNS0_4Log2IS8_EEEEEvT_T0_DpT1_.numbered_sgpr, 60
	.set _ZN2at6native12_GLOBAL__N_125multi_tensor_apply_kernelINS1_18TensorListMetadataILi2EEENS1_14UnaryOpFunctorIN3c107complexIfEELi2ELi1ELi1EEEJNS0_4Log2IS8_EEEEEvT_T0_DpT1_.num_named_barrier, 0
	.set _ZN2at6native12_GLOBAL__N_125multi_tensor_apply_kernelINS1_18TensorListMetadataILi2EEENS1_14UnaryOpFunctorIN3c107complexIfEELi2ELi1ELi1EEEJNS0_4Log2IS8_EEEEEvT_T0_DpT1_.private_seg_size, 0
	.set _ZN2at6native12_GLOBAL__N_125multi_tensor_apply_kernelINS1_18TensorListMetadataILi2EEENS1_14UnaryOpFunctorIN3c107complexIfEELi2ELi1ELi1EEEJNS0_4Log2IS8_EEEEEvT_T0_DpT1_.uses_vcc, 1
	.set _ZN2at6native12_GLOBAL__N_125multi_tensor_apply_kernelINS1_18TensorListMetadataILi2EEENS1_14UnaryOpFunctorIN3c107complexIfEELi2ELi1ELi1EEEJNS0_4Log2IS8_EEEEEvT_T0_DpT1_.uses_flat_scratch, 0
	.set _ZN2at6native12_GLOBAL__N_125multi_tensor_apply_kernelINS1_18TensorListMetadataILi2EEENS1_14UnaryOpFunctorIN3c107complexIfEELi2ELi1ELi1EEEJNS0_4Log2IS8_EEEEEvT_T0_DpT1_.has_dyn_sized_stack, 0
	.set _ZN2at6native12_GLOBAL__N_125multi_tensor_apply_kernelINS1_18TensorListMetadataILi2EEENS1_14UnaryOpFunctorIN3c107complexIfEELi2ELi1ELi1EEEJNS0_4Log2IS8_EEEEEvT_T0_DpT1_.has_recursion, 0
	.set _ZN2at6native12_GLOBAL__N_125multi_tensor_apply_kernelINS1_18TensorListMetadataILi2EEENS1_14UnaryOpFunctorIN3c107complexIfEELi2ELi1ELi1EEEJNS0_4Log2IS8_EEEEEvT_T0_DpT1_.has_indirect_call, 0
	.section	.AMDGPU.csdata,"",@progbits
; Kernel info:
; codeLenInByte = 37364
; TotalNumSgprs: 64
; NumVgprs: 48
; ScratchSize: 0
; MemoryBound: 1
; FloatMode: 240
; IeeeMode: 1
; LDSByteSize: 0 bytes/workgroup (compile time only)
; SGPRBlocks: 7
; VGPRBlocks: 11
; NumSGPRsForWavesPerEU: 64
; NumVGPRsForWavesPerEU: 48
; Occupancy: 5
; WaveLimiterHint : 0
; COMPUTE_PGM_RSRC2:SCRATCH_EN: 0
; COMPUTE_PGM_RSRC2:USER_SGPR: 6
; COMPUTE_PGM_RSRC2:TRAP_HANDLER: 0
; COMPUTE_PGM_RSRC2:TGID_X_EN: 1
; COMPUTE_PGM_RSRC2:TGID_Y_EN: 0
; COMPUTE_PGM_RSRC2:TGID_Z_EN: 0
; COMPUTE_PGM_RSRC2:TIDIG_COMP_CNT: 0
	.section	.text._ZN2at6native12_GLOBAL__N_125multi_tensor_apply_kernelINS1_18TensorListMetadataILi2EEENS1_14UnaryOpFunctorIN3c104HalfELi2ELi1ELi1EEEJNS0_4Log2IfEEEEEvT_T0_DpT1_,"axG",@progbits,_ZN2at6native12_GLOBAL__N_125multi_tensor_apply_kernelINS1_18TensorListMetadataILi2EEENS1_14UnaryOpFunctorIN3c104HalfELi2ELi1ELi1EEEJNS0_4Log2IfEEEEEvT_T0_DpT1_,comdat
	.globl	_ZN2at6native12_GLOBAL__N_125multi_tensor_apply_kernelINS1_18TensorListMetadataILi2EEENS1_14UnaryOpFunctorIN3c104HalfELi2ELi1ELi1EEEJNS0_4Log2IfEEEEEvT_T0_DpT1_ ; -- Begin function _ZN2at6native12_GLOBAL__N_125multi_tensor_apply_kernelINS1_18TensorListMetadataILi2EEENS1_14UnaryOpFunctorIN3c104HalfELi2ELi1ELi1EEEJNS0_4Log2IfEEEEEvT_T0_DpT1_
	.p2align	8
	.type	_ZN2at6native12_GLOBAL__N_125multi_tensor_apply_kernelINS1_18TensorListMetadataILi2EEENS1_14UnaryOpFunctorIN3c104HalfELi2ELi1ELi1EEEJNS0_4Log2IfEEEEEvT_T0_DpT1_,@function
_ZN2at6native12_GLOBAL__N_125multi_tensor_apply_kernelINS1_18TensorListMetadataILi2EEENS1_14UnaryOpFunctorIN3c104HalfELi2ELi1ELi1EEEJNS0_4Log2IfEEEEEvT_T0_DpT1_: ; @_ZN2at6native12_GLOBAL__N_125multi_tensor_apply_kernelINS1_18TensorListMetadataILi2EEENS1_14UnaryOpFunctorIN3c104HalfELi2ELi1ELi1EEEJNS0_4Log2IfEEEEEvT_T0_DpT1_
; %bb.0:
	v_mov_b32_e32 v1, s6
	global_load_ubyte v1, v1, s[4:5] offset:1536
	s_add_u32 s0, s4, s6
	s_mul_hi_u32 s1, s6, 3
	s_mul_i32 s6, s6, 3
	s_addc_u32 s2, s5, 0
	s_add_u32 s0, s0, s6
	s_addc_u32 s1, s2, s1
	s_load_dword s6, s[0:1], 0x740
	s_mov_b32 s11, 0
	s_mov_b32 s13, s11
	s_waitcnt vmcnt(0)
	v_readfirstlane_b32 s0, v1
	s_lshl_b32 s7, s0, 3
	s_load_dwordx2 s[14:15], s[4:5], s7 offset:0x400
	s_load_dwordx2 s[2:3], s[4:5], s7 offset:0x0
	;; [unrolled: 1-line block ×3, first 2 shown]
	s_waitcnt lgkmcnt(0)
	s_ashr_i32 s7, s6, 31
	s_lshl_b64 s[8:9], s[6:7], 17
	s_lshl_b64 s[6:7], s[6:7], 16
	s_add_u32 s10, s2, s8
	s_and_b32 s12, s0, 7
	s_and_b32 s10, s10, 7
	s_sub_u32 s6, s14, s6
	s_subb_u32 s7, s15, s7
	s_and_b32 s14, s14, 3
	s_mov_b32 s15, s11
	s_or_b64 s[12:13], s[12:13], s[14:15]
	s_or_b64 s[10:11], s[12:13], s[10:11]
	s_cmp_eq_u64 s[10:11], 0
	s_mov_b64 s[10:11], -1
	s_cbranch_scc0 .LBB193_5
; %bb.1:
	v_mov_b32_e32 v1, 0x10000
	v_mov_b32_e32 v2, 0
	v_cmp_lt_i64_e32 vcc, s[6:7], v[1:2]
	v_mov_b32_e32 v2, 0
	s_and_b64 s[10:11], vcc, exec
	s_cselect_b32 s11, s7, 0
	s_cselect_b32 s10, s6, 0x10000
	v_lshlrev_b32_e32 v1, 2, v0
	v_cmp_gt_i64_e32 vcc, s[10:11], v[1:2]
	s_and_saveexec_b64 s[12:13], vcc
	s_cbranch_execz .LBB193_4
; %bb.2:
	s_load_dword s14, s[4:5], 0xc5c
	v_mov_b32_e32 v1, v2
	v_lshlrev_b32_e32 v2, 3, v0
	v_mov_b32_e32 v4, s9
	v_add_co_u32_e32 v3, vcc, s8, v2
	s_waitcnt lgkmcnt(0)
	s_and_b32 s16, s14, 0xffff
	v_mov_b32_e32 v2, v1
	v_addc_co_u32_e32 v4, vcc, 0, v4, vcc
	s_lshl_b32 s17, s16, 3
	s_mov_b64 s[14:15], 0
	v_mov_b32_e32 v5, s3
	v_mov_b32_e32 v6, s1
	;; [unrolled: 1-line block ×3, first 2 shown]
.LBB193_3:                              ; =>This Inner Loop Header: Depth=1
	v_add_co_u32_e32 v7, vcc, s2, v3
	v_addc_co_u32_e32 v8, vcc, v5, v4, vcc
	global_load_dwordx2 v[7:8], v[7:8], off
	v_add_co_u32_e32 v9, vcc, s0, v3
	v_addc_co_u32_e32 v10, vcc, v6, v4, vcc
	v_add_co_u32_e32 v1, vcc, s16, v1
	v_addc_co_u32_e32 v2, vcc, 0, v2, vcc
	v_add_co_u32_e32 v3, vcc, s17, v3
	v_lshlrev_b64 v[11:12], 2, v[1:2]
	v_addc_co_u32_e32 v4, vcc, 0, v4, vcc
	v_cmp_le_i64_e32 vcc, s[10:11], v[11:12]
	s_or_b64 s[14:15], vcc, s[14:15]
	s_waitcnt vmcnt(0)
	v_cvt_f32_f16_e32 v13, v7
	v_cvt_f32_f16_sdwa v7, v7 dst_sel:DWORD dst_unused:UNUSED_PAD src0_sel:WORD_1
	v_cvt_f32_f16_e32 v14, v8
	v_cvt_f32_f16_sdwa v8, v8 dst_sel:DWORD dst_unused:UNUSED_PAD src0_sel:WORD_1
	v_log_f32_e32 v13, v13
	v_log_f32_e32 v7, v7
	;; [unrolled: 1-line block ×4, first 2 shown]
	v_cvt_f16_f32_e32 v13, v13
	v_cvt_f16_f32_e32 v7, v7
	;; [unrolled: 1-line block ×4, first 2 shown]
	v_pack_b32_f16 v7, v13, v7
	v_pack_b32_f16 v8, v14, v8
	global_store_dwordx2 v[9:10], v[7:8], off
	s_andn2_b64 exec, exec, s[14:15]
	s_cbranch_execnz .LBB193_3
.LBB193_4:
	s_or_b64 exec, exec, s[12:13]
	s_mov_b64 s[10:11], 0
.LBB193_5:
	s_andn2_b64 vcc, exec, s[10:11]
	s_cbranch_vccnz .LBB193_25
; %bb.6:
	v_cmp_lt_i64_e64 s[10:11], s[6:7], 1
	s_and_b64 vcc, exec, s[10:11]
	s_cbranch_vccnz .LBB193_25
; %bb.7:
	v_mov_b32_e32 v1, 0x10000
	s_load_dword s12, s[4:5], 0xc5c
	v_mov_b32_e32 v2, 0
	v_cmp_lt_i64_e32 vcc, s[6:7], v[1:2]
	v_mov_b32_e32 v10, 0
	s_and_b64 s[4:5], vcc, exec
	v_cmp_lt_u64_e32 vcc, s[6:7], v[1:2]
	s_cselect_b32 s11, s7, 0
	s_cselect_b32 s10, s6, 0x10000
	s_waitcnt lgkmcnt(0)
	s_and_b32 s14, s12, 0xffff
	v_lshlrev_b32_e32 v9, 1, v0
	s_and_b64 s[4:5], vcc, exec
	v_mov_b32_e32 v2, s3
	v_add_co_u32_e32 v1, vcc, s2, v9
	v_mad_u64_u32 v[7:8], s[4:5], s14, 6, v[9:10]
	v_addc_co_u32_e32 v2, vcc, 0, v2, vcc
	v_mov_b32_e32 v4, s1
	v_add_co_u32_e32 v3, vcc, s0, v9
	v_addc_co_u32_e32 v4, vcc, 0, v4, vcc
	v_mov_b32_e32 v6, s3
	v_add_co_u32_e32 v5, vcc, s2, v7
	;; [unrolled: 3-line block ×3, first 2 shown]
	s_cselect_b32 s13, s7, 0
	s_cselect_b32 s12, s6, 0x10000
	s_lshl_b32 s18, s14, 2
	v_addc_co_u32_e32 v8, vcc, v10, v8, vcc
	v_add_co_u32_e32 v11, vcc, s18, v9
	v_addc_co_u32_e64 v12, s[4:5], 0, 0, vcc
	v_mov_b32_e32 v10, s3
	v_add_co_u32_e32 v9, vcc, s2, v11
	v_addc_co_u32_e32 v10, vcc, v10, v12, vcc
	v_mov_b32_e32 v13, s1
	v_add_co_u32_e32 v11, vcc, s0, v11
	v_addc_co_u32_e32 v12, vcc, v13, v12, vcc
	v_add_co_u32_e32 v13, vcc, s14, v0
	v_lshlrev_b32_e32 v17, 1, v13
	v_addc_co_u32_e64 v14, s[4:5], 0, 0, vcc
	v_mov_b32_e32 v16, s3
	v_add_co_u32_e32 v15, vcc, s2, v17
	v_addc_co_u32_e32 v16, vcc, 0, v16, vcc
	v_mov_b32_e32 v18, s1
	v_add_co_u32_e32 v17, vcc, s0, v17
	s_mul_i32 s7, s14, 3
	v_addc_co_u32_e32 v18, vcc, 0, v18, vcc
	s_lshl_b32 s6, s14, 1
	v_add_co_u32_e32 v19, vcc, s7, v0
	v_addc_co_u32_e64 v20, s[0:1], 0, 0, vcc
	v_add_co_u32_e32 v21, vcc, s6, v0
	s_lshl_b32 s19, s14, 3
	s_mov_b64 s[14:15], 0
	s_mov_b32 s20, 0x800000
	v_addc_co_u32_e64 v22, s[0:1], 0, 0, vcc
	v_mov_b32_e32 v23, 0x42000000
	s_branch .LBB193_9
.LBB193_8:                              ;   in Loop: Header=BB193_9 Depth=1
	s_or_b64 exec, exec, s[0:1]
	v_add_co_u32_e32 v1, vcc, s19, v1
	v_addc_co_u32_e32 v2, vcc, 0, v2, vcc
	v_add_co_u32_e32 v3, vcc, s19, v3
	v_addc_co_u32_e32 v4, vcc, 0, v4, vcc
	v_add_co_u32_e32 v5, vcc, s19, v5
	v_addc_co_u32_e32 v6, vcc, 0, v6, vcc
	v_add_co_u32_e32 v7, vcc, s19, v7
	v_addc_co_u32_e32 v8, vcc, 0, v8, vcc
	v_add_co_u32_e32 v9, vcc, s19, v9
	v_addc_co_u32_e32 v10, vcc, 0, v10, vcc
	v_add_co_u32_e32 v11, vcc, s19, v11
	v_addc_co_u32_e32 v12, vcc, 0, v12, vcc
	s_add_u32 s14, s14, s18
	v_add_co_u32_e32 v15, vcc, s19, v15
	v_mov_b32_e32 v25, s11
	s_addc_u32 s15, s15, 0
	v_addc_co_u32_e32 v16, vcc, 0, v16, vcc
	v_mov_b32_e32 v24, s10
	v_cmp_ge_i64_e32 vcc, s[14:15], v[24:25]
	v_add_co_u32_e64 v17, s[0:1], s19, v17
	v_addc_co_u32_e64 v18, s[0:1], 0, v18, s[0:1]
	s_cbranch_vccnz .LBB193_25
.LBB193_9:                              ; =>This Inner Loop Header: Depth=1
	v_mov_b32_e32 v25, s15
	v_add_co_u32_e32 v24, vcc, s14, v0
	v_addc_co_u32_e32 v25, vcc, 0, v25, vcc
	v_cmp_gt_u64_e32 vcc, s[12:13], v[24:25]
	v_mov_b32_e32 v25, 0
	s_and_saveexec_b64 s[2:3], vcc
	s_cbranch_execz .LBB193_11
; %bb.10:                               ;   in Loop: Header=BB193_9 Depth=1
	v_mov_b32_e32 v25, s9
	v_add_co_u32_e64 v24, s[0:1], s8, v1
	v_addc_co_u32_e64 v25, s[0:1], v2, v25, s[0:1]
	global_load_ushort v24, v[24:25], off
	s_waitcnt vmcnt(0)
	v_cvt_f32_f16_e32 v25, v24
.LBB193_11:                             ;   in Loop: Header=BB193_9 Depth=1
	s_or_b64 exec, exec, s[2:3]
	v_mov_b32_e32 v24, s15
	v_add_co_u32_e64 v26, s[0:1], s14, v13
	v_addc_co_u32_e64 v27, s[0:1], v14, v24, s[0:1]
	v_cmp_gt_u64_e64 s[0:1], s[12:13], v[26:27]
	v_mov_b32_e32 v24, 0
	v_mov_b32_e32 v26, 0
	s_and_saveexec_b64 s[4:5], s[0:1]
	s_cbranch_execz .LBB193_13
; %bb.12:                               ;   in Loop: Header=BB193_9 Depth=1
	v_mov_b32_e32 v27, s9
	v_add_co_u32_e64 v26, s[2:3], s8, v15
	v_addc_co_u32_e64 v27, s[2:3], v16, v27, s[2:3]
	global_load_ushort v26, v[26:27], off
	s_waitcnt vmcnt(0)
	v_cvt_f32_f16_e32 v26, v26
.LBB193_13:                             ;   in Loop: Header=BB193_9 Depth=1
	s_or_b64 exec, exec, s[4:5]
	v_mov_b32_e32 v28, s15
	v_add_co_u32_e64 v27, s[2:3], s14, v21
	v_addc_co_u32_e64 v28, s[2:3], v22, v28, s[2:3]
	v_cmp_gt_u64_e64 s[2:3], s[12:13], v[27:28]
	s_and_saveexec_b64 s[6:7], s[2:3]
	s_cbranch_execz .LBB193_15
; %bb.14:                               ;   in Loop: Header=BB193_9 Depth=1
	v_mov_b32_e32 v24, s9
	v_add_co_u32_e64 v27, s[4:5], s8, v9
	v_addc_co_u32_e64 v28, s[4:5], v10, v24, s[4:5]
	global_load_ushort v24, v[27:28], off
	s_waitcnt vmcnt(0)
	v_cvt_f32_f16_e32 v24, v24
.LBB193_15:                             ;   in Loop: Header=BB193_9 Depth=1
	s_or_b64 exec, exec, s[6:7]
	v_mov_b32_e32 v28, s15
	v_add_co_u32_e64 v27, s[4:5], s14, v19
	v_addc_co_u32_e64 v28, s[4:5], v20, v28, s[4:5]
	v_cmp_gt_u64_e64 s[4:5], s[12:13], v[27:28]
	v_mov_b32_e32 v27, 0
	s_and_saveexec_b64 s[16:17], s[4:5]
	s_cbranch_execnz .LBB193_20
; %bb.16:                               ;   in Loop: Header=BB193_9 Depth=1
	s_or_b64 exec, exec, s[16:17]
	s_and_saveexec_b64 s[6:7], vcc
	s_cbranch_execnz .LBB193_21
.LBB193_17:                             ;   in Loop: Header=BB193_9 Depth=1
	s_or_b64 exec, exec, s[6:7]
	s_and_saveexec_b64 s[6:7], s[0:1]
	s_cbranch_execnz .LBB193_22
.LBB193_18:                             ;   in Loop: Header=BB193_9 Depth=1
	s_or_b64 exec, exec, s[6:7]
	s_and_saveexec_b64 s[0:1], s[2:3]
	s_cbranch_execnz .LBB193_23
.LBB193_19:                             ;   in Loop: Header=BB193_9 Depth=1
	s_or_b64 exec, exec, s[0:1]
	s_and_saveexec_b64 s[0:1], s[4:5]
	s_cbranch_execz .LBB193_8
	s_branch .LBB193_24
.LBB193_20:                             ;   in Loop: Header=BB193_9 Depth=1
	v_mov_b32_e32 v28, s9
	v_add_co_u32_e64 v27, s[6:7], s8, v5
	v_addc_co_u32_e64 v28, s[6:7], v6, v28, s[6:7]
	global_load_ushort v27, v[27:28], off
	s_waitcnt vmcnt(0)
	v_cvt_f32_f16_e32 v27, v27
	s_or_b64 exec, exec, s[16:17]
	s_and_saveexec_b64 s[6:7], vcc
	s_cbranch_execz .LBB193_17
.LBB193_21:                             ;   in Loop: Header=BB193_9 Depth=1
	v_cmp_gt_f32_e32 vcc, s20, v25
	v_cndmask_b32_e64 v29, 0, 32, vcc
	v_ldexp_f32 v25, v25, v29
	v_log_f32_e32 v25, v25
	v_cndmask_b32_e32 v28, 0, v23, vcc
	v_mov_b32_e32 v29, s9
	v_sub_f32_e32 v25, v25, v28
	v_cvt_f16_f32_e32 v25, v25
	v_add_co_u32_e32 v28, vcc, s8, v3
	v_addc_co_u32_e32 v29, vcc, v4, v29, vcc
	global_store_short v[28:29], v25, off
	s_or_b64 exec, exec, s[6:7]
	s_and_saveexec_b64 s[6:7], s[0:1]
	s_cbranch_execz .LBB193_18
.LBB193_22:                             ;   in Loop: Header=BB193_9 Depth=1
	v_cmp_gt_f32_e32 vcc, s20, v26
	v_cndmask_b32_e64 v28, 0, 32, vcc
	v_ldexp_f32 v26, v26, v28
	v_log_f32_e32 v26, v26
	v_cndmask_b32_e32 v25, 0, v23, vcc
	v_mov_b32_e32 v28, s9
	v_sub_f32_e32 v25, v26, v25
	v_cvt_f16_f32_e32 v29, v25
	v_add_co_u32_e32 v25, vcc, s8, v17
	v_addc_co_u32_e32 v26, vcc, v18, v28, vcc
	global_store_short v[25:26], v29, off
	s_or_b64 exec, exec, s[6:7]
	s_and_saveexec_b64 s[0:1], s[2:3]
	s_cbranch_execz .LBB193_19
.LBB193_23:                             ;   in Loop: Header=BB193_9 Depth=1
	v_cmp_gt_f32_e32 vcc, s20, v24
	v_cndmask_b32_e64 v26, 0, 32, vcc
	v_ldexp_f32 v24, v24, v26
	v_log_f32_e32 v24, v24
	v_cndmask_b32_e32 v25, 0, v23, vcc
	v_mov_b32_e32 v26, s9
	v_sub_f32_e32 v24, v24, v25
	v_cvt_f16_f32_e32 v28, v24
	v_add_co_u32_e32 v24, vcc, s8, v11
	v_addc_co_u32_e32 v25, vcc, v12, v26, vcc
	global_store_short v[24:25], v28, off
	s_or_b64 exec, exec, s[0:1]
	s_and_saveexec_b64 s[0:1], s[4:5]
	s_cbranch_execz .LBB193_8
.LBB193_24:                             ;   in Loop: Header=BB193_9 Depth=1
	v_cmp_gt_f32_e32 vcc, s20, v27
	v_cndmask_b32_e64 v25, 0, 32, vcc
	v_ldexp_f32 v25, v27, v25
	v_log_f32_e32 v25, v25
	v_cndmask_b32_e32 v24, 0, v23, vcc
	v_mov_b32_e32 v26, s9
	v_sub_f32_e32 v24, v25, v24
	v_cvt_f16_f32_e32 v27, v24
	v_add_co_u32_e32 v24, vcc, s8, v7
	v_addc_co_u32_e32 v25, vcc, v8, v26, vcc
	global_store_short v[24:25], v27, off
	s_branch .LBB193_8
.LBB193_25:
	s_endpgm
	.section	.rodata,"a",@progbits
	.p2align	6, 0x0
	.amdhsa_kernel _ZN2at6native12_GLOBAL__N_125multi_tensor_apply_kernelINS1_18TensorListMetadataILi2EEENS1_14UnaryOpFunctorIN3c104HalfELi2ELi1ELi1EEEJNS0_4Log2IfEEEEEvT_T0_DpT1_
		.amdhsa_group_segment_fixed_size 0
		.amdhsa_private_segment_fixed_size 0
		.amdhsa_kernarg_size 3408
		.amdhsa_user_sgpr_count 6
		.amdhsa_user_sgpr_private_segment_buffer 1
		.amdhsa_user_sgpr_dispatch_ptr 0
		.amdhsa_user_sgpr_queue_ptr 0
		.amdhsa_user_sgpr_kernarg_segment_ptr 1
		.amdhsa_user_sgpr_dispatch_id 0
		.amdhsa_user_sgpr_flat_scratch_init 0
		.amdhsa_user_sgpr_private_segment_size 0
		.amdhsa_uses_dynamic_stack 0
		.amdhsa_system_sgpr_private_segment_wavefront_offset 0
		.amdhsa_system_sgpr_workgroup_id_x 1
		.amdhsa_system_sgpr_workgroup_id_y 0
		.amdhsa_system_sgpr_workgroup_id_z 0
		.amdhsa_system_sgpr_workgroup_info 0
		.amdhsa_system_vgpr_workitem_id 0
		.amdhsa_next_free_vgpr 30
		.amdhsa_next_free_sgpr 21
		.amdhsa_reserve_vcc 1
		.amdhsa_reserve_flat_scratch 0
		.amdhsa_float_round_mode_32 0
		.amdhsa_float_round_mode_16_64 0
		.amdhsa_float_denorm_mode_32 3
		.amdhsa_float_denorm_mode_16_64 3
		.amdhsa_dx10_clamp 1
		.amdhsa_ieee_mode 1
		.amdhsa_fp16_overflow 0
		.amdhsa_exception_fp_ieee_invalid_op 0
		.amdhsa_exception_fp_denorm_src 0
		.amdhsa_exception_fp_ieee_div_zero 0
		.amdhsa_exception_fp_ieee_overflow 0
		.amdhsa_exception_fp_ieee_underflow 0
		.amdhsa_exception_fp_ieee_inexact 0
		.amdhsa_exception_int_div_zero 0
	.end_amdhsa_kernel
	.section	.text._ZN2at6native12_GLOBAL__N_125multi_tensor_apply_kernelINS1_18TensorListMetadataILi2EEENS1_14UnaryOpFunctorIN3c104HalfELi2ELi1ELi1EEEJNS0_4Log2IfEEEEEvT_T0_DpT1_,"axG",@progbits,_ZN2at6native12_GLOBAL__N_125multi_tensor_apply_kernelINS1_18TensorListMetadataILi2EEENS1_14UnaryOpFunctorIN3c104HalfELi2ELi1ELi1EEEJNS0_4Log2IfEEEEEvT_T0_DpT1_,comdat
.Lfunc_end193:
	.size	_ZN2at6native12_GLOBAL__N_125multi_tensor_apply_kernelINS1_18TensorListMetadataILi2EEENS1_14UnaryOpFunctorIN3c104HalfELi2ELi1ELi1EEEJNS0_4Log2IfEEEEEvT_T0_DpT1_, .Lfunc_end193-_ZN2at6native12_GLOBAL__N_125multi_tensor_apply_kernelINS1_18TensorListMetadataILi2EEENS1_14UnaryOpFunctorIN3c104HalfELi2ELi1ELi1EEEJNS0_4Log2IfEEEEEvT_T0_DpT1_
                                        ; -- End function
	.set _ZN2at6native12_GLOBAL__N_125multi_tensor_apply_kernelINS1_18TensorListMetadataILi2EEENS1_14UnaryOpFunctorIN3c104HalfELi2ELi1ELi1EEEJNS0_4Log2IfEEEEEvT_T0_DpT1_.num_vgpr, 30
	.set _ZN2at6native12_GLOBAL__N_125multi_tensor_apply_kernelINS1_18TensorListMetadataILi2EEENS1_14UnaryOpFunctorIN3c104HalfELi2ELi1ELi1EEEJNS0_4Log2IfEEEEEvT_T0_DpT1_.num_agpr, 0
	.set _ZN2at6native12_GLOBAL__N_125multi_tensor_apply_kernelINS1_18TensorListMetadataILi2EEENS1_14UnaryOpFunctorIN3c104HalfELi2ELi1ELi1EEEJNS0_4Log2IfEEEEEvT_T0_DpT1_.numbered_sgpr, 21
	.set _ZN2at6native12_GLOBAL__N_125multi_tensor_apply_kernelINS1_18TensorListMetadataILi2EEENS1_14UnaryOpFunctorIN3c104HalfELi2ELi1ELi1EEEJNS0_4Log2IfEEEEEvT_T0_DpT1_.num_named_barrier, 0
	.set _ZN2at6native12_GLOBAL__N_125multi_tensor_apply_kernelINS1_18TensorListMetadataILi2EEENS1_14UnaryOpFunctorIN3c104HalfELi2ELi1ELi1EEEJNS0_4Log2IfEEEEEvT_T0_DpT1_.private_seg_size, 0
	.set _ZN2at6native12_GLOBAL__N_125multi_tensor_apply_kernelINS1_18TensorListMetadataILi2EEENS1_14UnaryOpFunctorIN3c104HalfELi2ELi1ELi1EEEJNS0_4Log2IfEEEEEvT_T0_DpT1_.uses_vcc, 1
	.set _ZN2at6native12_GLOBAL__N_125multi_tensor_apply_kernelINS1_18TensorListMetadataILi2EEENS1_14UnaryOpFunctorIN3c104HalfELi2ELi1ELi1EEEJNS0_4Log2IfEEEEEvT_T0_DpT1_.uses_flat_scratch, 0
	.set _ZN2at6native12_GLOBAL__N_125multi_tensor_apply_kernelINS1_18TensorListMetadataILi2EEENS1_14UnaryOpFunctorIN3c104HalfELi2ELi1ELi1EEEJNS0_4Log2IfEEEEEvT_T0_DpT1_.has_dyn_sized_stack, 0
	.set _ZN2at6native12_GLOBAL__N_125multi_tensor_apply_kernelINS1_18TensorListMetadataILi2EEENS1_14UnaryOpFunctorIN3c104HalfELi2ELi1ELi1EEEJNS0_4Log2IfEEEEEvT_T0_DpT1_.has_recursion, 0
	.set _ZN2at6native12_GLOBAL__N_125multi_tensor_apply_kernelINS1_18TensorListMetadataILi2EEENS1_14UnaryOpFunctorIN3c104HalfELi2ELi1ELi1EEEJNS0_4Log2IfEEEEEvT_T0_DpT1_.has_indirect_call, 0
	.section	.AMDGPU.csdata,"",@progbits
; Kernel info:
; codeLenInByte = 1460
; TotalNumSgprs: 25
; NumVgprs: 30
; ScratchSize: 0
; MemoryBound: 0
; FloatMode: 240
; IeeeMode: 1
; LDSByteSize: 0 bytes/workgroup (compile time only)
; SGPRBlocks: 3
; VGPRBlocks: 7
; NumSGPRsForWavesPerEU: 25
; NumVGPRsForWavesPerEU: 30
; Occupancy: 8
; WaveLimiterHint : 0
; COMPUTE_PGM_RSRC2:SCRATCH_EN: 0
; COMPUTE_PGM_RSRC2:USER_SGPR: 6
; COMPUTE_PGM_RSRC2:TRAP_HANDLER: 0
; COMPUTE_PGM_RSRC2:TGID_X_EN: 1
; COMPUTE_PGM_RSRC2:TGID_Y_EN: 0
; COMPUTE_PGM_RSRC2:TGID_Z_EN: 0
; COMPUTE_PGM_RSRC2:TIDIG_COMP_CNT: 0
	.section	.text._ZN2at6native12_GLOBAL__N_125multi_tensor_apply_kernelINS1_18TensorListMetadataILi2EEENS1_14UnaryOpFunctorIN3c108BFloat16ELi2ELi1ELi1EEEJNS0_4Log2IfEEEEEvT_T0_DpT1_,"axG",@progbits,_ZN2at6native12_GLOBAL__N_125multi_tensor_apply_kernelINS1_18TensorListMetadataILi2EEENS1_14UnaryOpFunctorIN3c108BFloat16ELi2ELi1ELi1EEEJNS0_4Log2IfEEEEEvT_T0_DpT1_,comdat
	.globl	_ZN2at6native12_GLOBAL__N_125multi_tensor_apply_kernelINS1_18TensorListMetadataILi2EEENS1_14UnaryOpFunctorIN3c108BFloat16ELi2ELi1ELi1EEEJNS0_4Log2IfEEEEEvT_T0_DpT1_ ; -- Begin function _ZN2at6native12_GLOBAL__N_125multi_tensor_apply_kernelINS1_18TensorListMetadataILi2EEENS1_14UnaryOpFunctorIN3c108BFloat16ELi2ELi1ELi1EEEJNS0_4Log2IfEEEEEvT_T0_DpT1_
	.p2align	8
	.type	_ZN2at6native12_GLOBAL__N_125multi_tensor_apply_kernelINS1_18TensorListMetadataILi2EEENS1_14UnaryOpFunctorIN3c108BFloat16ELi2ELi1ELi1EEEJNS0_4Log2IfEEEEEvT_T0_DpT1_,@function
_ZN2at6native12_GLOBAL__N_125multi_tensor_apply_kernelINS1_18TensorListMetadataILi2EEENS1_14UnaryOpFunctorIN3c108BFloat16ELi2ELi1ELi1EEEJNS0_4Log2IfEEEEEvT_T0_DpT1_: ; @_ZN2at6native12_GLOBAL__N_125multi_tensor_apply_kernelINS1_18TensorListMetadataILi2EEENS1_14UnaryOpFunctorIN3c108BFloat16ELi2ELi1ELi1EEEJNS0_4Log2IfEEEEEvT_T0_DpT1_
; %bb.0:
	v_mov_b32_e32 v1, s6
	global_load_ubyte v1, v1, s[4:5] offset:1536
	s_add_u32 s0, s4, s6
	s_mul_hi_u32 s2, s6, 3
	s_mul_i32 s6, s6, 3
	s_addc_u32 s7, s5, 0
	s_add_u32 s6, s0, s6
	s_addc_u32 s7, s7, s2
	s_load_dword s10, s[6:7], 0x740
	s_mov_b32 s1, 0
	s_mov_b32 s3, s1
	s_waitcnt lgkmcnt(0)
	s_ashr_i32 s11, s10, 31
	s_lshl_b64 s[8:9], s[10:11], 17
	s_lshl_b64 s[10:11], s[10:11], 16
	s_waitcnt vmcnt(0)
	v_readfirstlane_b32 s0, v1
	s_lshl_b32 s0, s0, 3
	s_load_dwordx2 s[16:17], s[4:5], s0 offset:0x400
	s_load_dwordx2 s[14:15], s[4:5], s0 offset:0x0
	s_load_dwordx2 s[6:7], s[4:5], s0 offset:0x200
	s_waitcnt lgkmcnt(0)
	s_add_u32 s0, s14, s8
	s_and_b32 s2, s6, 7
	s_and_b32 s0, s0, 7
	s_sub_u32 s12, s16, s10
	s_subb_u32 s13, s17, s11
	s_and_b32 s10, s16, 3
	s_mov_b32 s11, s1
	s_or_b64 s[2:3], s[2:3], s[10:11]
	s_or_b64 s[0:1], s[2:3], s[0:1]
	s_cmp_eq_u64 s[0:1], 0
	s_mov_b64 s[0:1], -1
	s_cbranch_scc0 .LBB194_5
; %bb.1:
	v_mov_b32_e32 v1, 0x10000
	v_mov_b32_e32 v2, 0
	v_cmp_lt_i64_e32 vcc, s[12:13], v[1:2]
	v_mov_b32_e32 v2, 0
	s_and_b64 s[0:1], vcc, exec
	s_cselect_b32 s11, s13, 0
	s_cselect_b32 s10, s12, 0x10000
	v_lshlrev_b32_e32 v1, 2, v0
	v_cmp_gt_i64_e32 vcc, s[10:11], v[1:2]
	s_and_saveexec_b64 s[16:17], vcc
	s_cbranch_execz .LBB194_4
; %bb.2:
	s_load_dword s0, s[4:5], 0xc5c
	v_mov_b32_e32 v1, v2
	v_lshlrev_b32_e32 v2, 3, v0
	v_mov_b32_e32 v4, s9
	v_add_co_u32_e32 v3, vcc, s8, v2
	s_waitcnt lgkmcnt(0)
	s_and_b32 s20, s0, 0xffff
	v_mov_b32_e32 v2, v1
	v_addc_co_u32_e32 v4, vcc, 0, v4, vcc
	s_lshl_b32 s21, s20, 3
	s_mov_b64 s[18:19], 0
	v_mov_b32_e32 v5, s15
	s_mov_b32 s22, 0x800000
	v_mov_b32_e32 v6, 0x42000000
	s_movk_i32 s23, 0x7fff
	v_mov_b32_e32 v7, s7
	v_mov_b32_e32 v8, 0x7fc00000
	;; [unrolled: 1-line block ×4, first 2 shown]
.LBB194_3:                              ; =>This Inner Loop Header: Depth=1
	v_add_co_u32_e32 v10, vcc, s14, v3
	v_addc_co_u32_e32 v11, vcc, v5, v4, vcc
	global_load_dwordx2 v[10:11], v[10:11], off
	v_add_co_u32_e32 v12, vcc, s6, v3
	v_addc_co_u32_e32 v13, vcc, v7, v4, vcc
	v_add_co_u32_e32 v1, vcc, s20, v1
	v_addc_co_u32_e32 v2, vcc, 0, v2, vcc
	v_add_co_u32_e32 v3, vcc, s21, v3
	v_lshlrev_b64 v[14:15], 2, v[1:2]
	v_addc_co_u32_e32 v4, vcc, 0, v4, vcc
	v_cmp_le_i64_e32 vcc, s[10:11], v[14:15]
	s_or_b64 s[18:19], vcc, s[18:19]
	s_waitcnt vmcnt(0)
	v_lshlrev_b32_e32 v15, 16, v10
	v_and_b32_e32 v14, 0xffff0000, v10
	v_alignbit_b32 v10, v11, v10, 16
	v_and_b32_e32 v11, 0xffff0000, v11
	v_cmp_gt_f32_e32 vcc, s22, v15
	v_cndmask_b32_e64 v16, 0, 32, vcc
	v_cmp_gt_f32_e64 s[0:1], s22, v14
	v_and_b32_e32 v10, 0xffff0000, v10
	v_cmp_gt_f32_e64 s[2:3], s22, v11
	v_cndmask_b32_e64 v17, 0, 32, s[0:1]
	v_cndmask_b32_e64 v18, 0, 32, s[2:3]
	v_ldexp_f32 v15, v15, v16
	v_cndmask_b32_e32 v16, 0, v6, vcc
	v_cmp_gt_f32_e32 vcc, s22, v10
	v_ldexp_f32 v14, v14, v17
	v_cndmask_b32_e64 v19, 0, 32, vcc
	v_ldexp_f32 v11, v11, v18
	v_log_f32_e32 v15, v15
	v_log_f32_e32 v14, v14
	v_ldexp_f32 v10, v10, v19
	v_log_f32_e32 v11, v11
	v_log_f32_e32 v10, v10
	v_cndmask_b32_e64 v17, 0, v6, s[0:1]
	v_cndmask_b32_e64 v18, 0, v6, s[2:3]
	v_cndmask_b32_e32 v19, 0, v6, vcc
	v_sub_f32_e32 v15, v15, v16
	v_sub_f32_e32 v14, v14, v17
	;; [unrolled: 1-line block ×3, first 2 shown]
	v_bfe_u32 v16, v15, 16, 1
	v_bfe_u32 v17, v14, 16, 1
	v_sub_f32_e32 v10, v10, v19
	v_bfe_u32 v18, v11, 16, 1
	v_add3_u32 v16, v15, v16, s23
	v_add3_u32 v17, v14, v17, s23
	v_bfe_u32 v19, v10, 16, 1
	v_add3_u32 v18, v11, v18, s23
	v_lshrrev_b32_e32 v16, 16, v16
	v_and_b32_e32 v17, 0xffff0000, v17
	v_add3_u32 v19, v10, v19, s23
	v_and_b32_e32 v18, 0xffff0000, v18
	v_cmp_o_f32_e32 vcc, v11, v11
	v_cmp_o_f32_e64 s[0:1], v14, v14
	v_cmp_o_f32_e64 s[2:3], v15, v15
	v_lshrrev_b32_e32 v11, 16, v19
	v_cndmask_b32_e32 v14, v8, v18, vcc
	v_cndmask_b32_e64 v15, v8, v17, s[0:1]
	v_cndmask_b32_e64 v16, v9, v16, s[2:3]
	v_cmp_o_f32_e32 vcc, v10, v10
	v_cndmask_b32_e32 v10, v9, v11, vcc
	v_or_b32_e32 v15, v16, v15
	v_or3_b32 v11, 0, v10, v14
	v_or3_b32 v10, v15, 0, 0
	global_store_dwordx2 v[12:13], v[10:11], off
	s_andn2_b64 exec, exec, s[18:19]
	s_cbranch_execnz .LBB194_3
.LBB194_4:
	s_or_b64 exec, exec, s[16:17]
	s_mov_b64 s[0:1], 0
.LBB194_5:
	s_andn2_b64 vcc, exec, s[0:1]
	s_cbranch_vccnz .LBB194_25
; %bb.6:
	v_cmp_lt_i64_e64 s[0:1], s[12:13], 1
	s_and_b64 vcc, exec, s[0:1]
	s_cbranch_vccnz .LBB194_25
; %bb.7:
	v_mov_b32_e32 v1, 0x10000
	s_load_dword s2, s[4:5], 0xc5c
	v_mov_b32_e32 v2, 0
	v_cmp_lt_i64_e32 vcc, s[12:13], v[1:2]
	v_mov_b32_e32 v10, 0
	s_and_b64 s[0:1], vcc, exec
	v_cmp_lt_u64_e32 vcc, s[12:13], v[1:2]
	s_cselect_b32 s11, s13, 0
	s_cselect_b32 s10, s12, 0x10000
	s_waitcnt lgkmcnt(0)
	s_and_b32 s2, s2, 0xffff
	v_lshlrev_b32_e32 v9, 1, v0
	s_and_b64 s[0:1], vcc, exec
	v_mov_b32_e32 v2, s15
	v_add_co_u32_e32 v1, vcc, s14, v9
	v_mad_u64_u32 v[7:8], s[0:1], s2, 6, v[9:10]
	v_addc_co_u32_e32 v2, vcc, 0, v2, vcc
	v_mov_b32_e32 v4, s7
	v_add_co_u32_e32 v3, vcc, s6, v9
	v_addc_co_u32_e32 v4, vcc, 0, v4, vcc
	v_mov_b32_e32 v6, s15
	v_add_co_u32_e32 v5, vcc, s14, v7
	;; [unrolled: 3-line block ×3, first 2 shown]
	s_cselect_b32 s13, s13, 0
	s_cselect_b32 s12, s12, 0x10000
	s_lshl_b32 s18, s2, 2
	v_addc_co_u32_e32 v8, vcc, v10, v8, vcc
	v_add_co_u32_e32 v11, vcc, s18, v9
	v_addc_co_u32_e64 v12, s[0:1], 0, 0, vcc
	v_mov_b32_e32 v10, s15
	v_add_co_u32_e32 v9, vcc, s14, v11
	v_addc_co_u32_e32 v10, vcc, v10, v12, vcc
	v_mov_b32_e32 v13, s7
	v_add_co_u32_e32 v11, vcc, s6, v11
	v_addc_co_u32_e32 v12, vcc, v13, v12, vcc
	v_add_co_u32_e32 v13, vcc, s2, v0
	v_lshlrev_b32_e32 v17, 1, v13
	v_addc_co_u32_e64 v14, s[0:1], 0, 0, vcc
	v_mov_b32_e32 v16, s15
	v_add_co_u32_e32 v15, vcc, s14, v17
	v_addc_co_u32_e32 v16, vcc, 0, v16, vcc
	v_mov_b32_e32 v18, s7
	v_add_co_u32_e32 v17, vcc, s6, v17
	s_mul_i32 s4, s2, 3
	v_addc_co_u32_e32 v18, vcc, 0, v18, vcc
	s_lshl_b32 s3, s2, 1
	v_add_co_u32_e32 v19, vcc, s4, v0
	v_addc_co_u32_e64 v20, s[0:1], 0, 0, vcc
	v_add_co_u32_e32 v21, vcc, s3, v0
	s_lshl_b32 s19, s2, 3
	s_mov_b64 s[14:15], 0
	s_mov_b32 s20, 0x800000
	s_movk_i32 s21, 0x7fff
	v_addc_co_u32_e64 v22, s[0:1], 0, 0, vcc
	v_mov_b32_e32 v23, 0x42000000
	v_mov_b32_e32 v24, 0x7fc0
	s_branch .LBB194_9
.LBB194_8:                              ;   in Loop: Header=BB194_9 Depth=1
	s_or_b64 exec, exec, s[2:3]
	v_add_co_u32_e32 v1, vcc, s19, v1
	v_addc_co_u32_e32 v2, vcc, 0, v2, vcc
	v_add_co_u32_e32 v3, vcc, s19, v3
	v_addc_co_u32_e32 v4, vcc, 0, v4, vcc
	;; [unrolled: 2-line block ×6, first 2 shown]
	s_add_u32 s14, s14, s18
	v_add_co_u32_e32 v15, vcc, s19, v15
	v_mov_b32_e32 v26, s11
	s_addc_u32 s15, s15, 0
	v_addc_co_u32_e32 v16, vcc, 0, v16, vcc
	v_mov_b32_e32 v25, s10
	v_cmp_ge_i64_e32 vcc, s[14:15], v[25:26]
	v_add_co_u32_e64 v17, s[0:1], s19, v17
	v_addc_co_u32_e64 v18, s[0:1], 0, v18, s[0:1]
	s_cbranch_vccnz .LBB194_25
.LBB194_9:                              ; =>This Inner Loop Header: Depth=1
	v_mov_b32_e32 v26, s15
	v_add_co_u32_e32 v25, vcc, s14, v0
	v_addc_co_u32_e32 v26, vcc, 0, v26, vcc
	v_cmp_gt_u64_e32 vcc, s[12:13], v[25:26]
	v_mov_b32_e32 v27, 0
	s_and_saveexec_b64 s[2:3], vcc
	s_cbranch_execz .LBB194_11
; %bb.10:                               ;   in Loop: Header=BB194_9 Depth=1
	v_mov_b32_e32 v26, s9
	v_add_co_u32_e64 v25, s[0:1], s8, v1
	v_addc_co_u32_e64 v26, s[0:1], v2, v26, s[0:1]
	global_load_ushort v25, v[25:26], off
	s_waitcnt vmcnt(0)
	v_lshlrev_b32_e32 v27, 16, v25
.LBB194_11:                             ;   in Loop: Header=BB194_9 Depth=1
	s_or_b64 exec, exec, s[2:3]
	v_mov_b32_e32 v26, s15
	v_add_co_u32_e64 v25, s[0:1], s14, v13
	v_addc_co_u32_e64 v26, s[0:1], v14, v26, s[0:1]
	v_cmp_gt_u64_e64 s[2:3], s[12:13], v[25:26]
	v_mov_b32_e32 v25, 0
	v_mov_b32_e32 v28, 0
	s_and_saveexec_b64 s[4:5], s[2:3]
	s_cbranch_execz .LBB194_13
; %bb.12:                               ;   in Loop: Header=BB194_9 Depth=1
	v_mov_b32_e32 v26, s9
	v_add_co_u32_e64 v28, s[0:1], s8, v15
	v_addc_co_u32_e64 v29, s[0:1], v16, v26, s[0:1]
	global_load_ushort v26, v[28:29], off
	s_waitcnt vmcnt(0)
	v_lshlrev_b32_e32 v28, 16, v26
.LBB194_13:                             ;   in Loop: Header=BB194_9 Depth=1
	s_or_b64 exec, exec, s[4:5]
	v_mov_b32_e32 v26, s15
	v_add_co_u32_e64 v29, s[0:1], s14, v21
	v_addc_co_u32_e64 v30, s[0:1], v22, v26, s[0:1]
	v_cmp_gt_u64_e64 s[4:5], s[12:13], v[29:30]
	s_and_saveexec_b64 s[6:7], s[4:5]
	s_cbranch_execz .LBB194_15
; %bb.14:                               ;   in Loop: Header=BB194_9 Depth=1
	v_mov_b32_e32 v26, s9
	v_add_co_u32_e64 v25, s[0:1], s8, v9
	v_addc_co_u32_e64 v26, s[0:1], v10, v26, s[0:1]
	global_load_ushort v25, v[25:26], off
	s_waitcnt vmcnt(0)
	v_lshlrev_b32_e32 v25, 16, v25
.LBB194_15:                             ;   in Loop: Header=BB194_9 Depth=1
	s_or_b64 exec, exec, s[6:7]
	v_mov_b32_e32 v26, s15
	v_add_co_u32_e64 v29, s[0:1], s14, v19
	v_addc_co_u32_e64 v30, s[0:1], v20, v26, s[0:1]
	v_cmp_gt_u64_e64 s[0:1], s[12:13], v[29:30]
	v_mov_b32_e32 v26, 0
	s_and_saveexec_b64 s[16:17], s[0:1]
	s_cbranch_execnz .LBB194_20
; %bb.16:                               ;   in Loop: Header=BB194_9 Depth=1
	s_or_b64 exec, exec, s[16:17]
	s_and_saveexec_b64 s[6:7], vcc
	s_cbranch_execnz .LBB194_21
.LBB194_17:                             ;   in Loop: Header=BB194_9 Depth=1
	s_or_b64 exec, exec, s[6:7]
	s_and_saveexec_b64 s[6:7], s[2:3]
	s_cbranch_execnz .LBB194_22
.LBB194_18:                             ;   in Loop: Header=BB194_9 Depth=1
	s_or_b64 exec, exec, s[6:7]
	s_and_saveexec_b64 s[2:3], s[4:5]
	s_cbranch_execnz .LBB194_23
.LBB194_19:                             ;   in Loop: Header=BB194_9 Depth=1
	s_or_b64 exec, exec, s[2:3]
	s_and_saveexec_b64 s[2:3], s[0:1]
	s_cbranch_execz .LBB194_8
	s_branch .LBB194_24
.LBB194_20:                             ;   in Loop: Header=BB194_9 Depth=1
	v_mov_b32_e32 v26, s9
	v_add_co_u32_e64 v29, s[6:7], s8, v5
	v_addc_co_u32_e64 v30, s[6:7], v6, v26, s[6:7]
	global_load_ushort v26, v[29:30], off
	s_waitcnt vmcnt(0)
	v_lshlrev_b32_e32 v26, 16, v26
	s_or_b64 exec, exec, s[16:17]
	s_and_saveexec_b64 s[6:7], vcc
	s_cbranch_execz .LBB194_17
.LBB194_21:                             ;   in Loop: Header=BB194_9 Depth=1
	v_cmp_gt_f32_e32 vcc, s20, v27
	v_cndmask_b32_e64 v30, 0, 32, vcc
	v_ldexp_f32 v27, v27, v30
	v_log_f32_e32 v27, v27
	v_cndmask_b32_e32 v29, 0, v23, vcc
	v_mov_b32_e32 v30, s9
	v_sub_f32_e32 v27, v27, v29
	v_bfe_u32 v29, v27, 16, 1
	v_cmp_o_f32_e32 vcc, v27, v27
	v_add3_u32 v27, v27, v29, s21
	v_cndmask_b32_sdwa v27, v24, v27, vcc dst_sel:DWORD dst_unused:UNUSED_PAD src0_sel:DWORD src1_sel:WORD_1
	v_add_co_u32_e32 v29, vcc, s8, v3
	v_addc_co_u32_e32 v30, vcc, v4, v30, vcc
	global_store_short v[29:30], v27, off
	s_or_b64 exec, exec, s[6:7]
	s_and_saveexec_b64 s[6:7], s[2:3]
	s_cbranch_execz .LBB194_18
.LBB194_22:                             ;   in Loop: Header=BB194_9 Depth=1
	v_cmp_gt_f32_e32 vcc, s20, v28
	v_cndmask_b32_e64 v29, 0, 32, vcc
	v_ldexp_f32 v28, v28, v29
	v_log_f32_e32 v28, v28
	v_cndmask_b32_e32 v27, 0, v23, vcc
	v_sub_f32_e32 v27, v28, v27
	v_bfe_u32 v28, v27, 16, 1
	v_cmp_o_f32_e32 vcc, v27, v27
	v_add3_u32 v27, v27, v28, s21
	v_cndmask_b32_sdwa v29, v24, v27, vcc dst_sel:DWORD dst_unused:UNUSED_PAD src0_sel:DWORD src1_sel:WORD_1
	v_mov_b32_e32 v28, s9
	v_add_co_u32_e32 v27, vcc, s8, v17
	v_addc_co_u32_e32 v28, vcc, v18, v28, vcc
	global_store_short v[27:28], v29, off
	s_or_b64 exec, exec, s[6:7]
	s_and_saveexec_b64 s[2:3], s[4:5]
	s_cbranch_execz .LBB194_19
.LBB194_23:                             ;   in Loop: Header=BB194_9 Depth=1
	v_cmp_gt_f32_e32 vcc, s20, v25
	v_cndmask_b32_e64 v28, 0, 32, vcc
	v_ldexp_f32 v25, v25, v28
	v_log_f32_e32 v25, v25
	v_cndmask_b32_e32 v27, 0, v23, vcc
	v_mov_b32_e32 v28, s9
	v_sub_f32_e32 v25, v25, v27
	v_bfe_u32 v27, v25, 16, 1
	v_cmp_o_f32_e32 vcc, v25, v25
	v_add3_u32 v25, v25, v27, s21
	v_cndmask_b32_sdwa v25, v24, v25, vcc dst_sel:DWORD dst_unused:UNUSED_PAD src0_sel:DWORD src1_sel:WORD_1
	v_add_co_u32_e32 v27, vcc, s8, v11
	v_addc_co_u32_e32 v28, vcc, v12, v28, vcc
	global_store_short v[27:28], v25, off
	s_or_b64 exec, exec, s[2:3]
	s_and_saveexec_b64 s[2:3], s[0:1]
	s_cbranch_execz .LBB194_8
.LBB194_24:                             ;   in Loop: Header=BB194_9 Depth=1
	v_cmp_gt_f32_e32 vcc, s20, v26
	v_cndmask_b32_e64 v27, 0, 32, vcc
	v_ldexp_f32 v26, v26, v27
	v_log_f32_e32 v26, v26
	v_cndmask_b32_e32 v25, 0, v23, vcc
	v_sub_f32_e32 v25, v26, v25
	v_bfe_u32 v26, v25, 16, 1
	v_cmp_o_f32_e32 vcc, v25, v25
	v_add3_u32 v25, v25, v26, s21
	v_cndmask_b32_sdwa v27, v24, v25, vcc dst_sel:DWORD dst_unused:UNUSED_PAD src0_sel:DWORD src1_sel:WORD_1
	v_mov_b32_e32 v26, s9
	v_add_co_u32_e32 v25, vcc, s8, v7
	v_addc_co_u32_e32 v26, vcc, v8, v26, vcc
	global_store_short v[25:26], v27, off
	s_branch .LBB194_8
.LBB194_25:
	s_endpgm
	.section	.rodata,"a",@progbits
	.p2align	6, 0x0
	.amdhsa_kernel _ZN2at6native12_GLOBAL__N_125multi_tensor_apply_kernelINS1_18TensorListMetadataILi2EEENS1_14UnaryOpFunctorIN3c108BFloat16ELi2ELi1ELi1EEEJNS0_4Log2IfEEEEEvT_T0_DpT1_
		.amdhsa_group_segment_fixed_size 0
		.amdhsa_private_segment_fixed_size 0
		.amdhsa_kernarg_size 3408
		.amdhsa_user_sgpr_count 6
		.amdhsa_user_sgpr_private_segment_buffer 1
		.amdhsa_user_sgpr_dispatch_ptr 0
		.amdhsa_user_sgpr_queue_ptr 0
		.amdhsa_user_sgpr_kernarg_segment_ptr 1
		.amdhsa_user_sgpr_dispatch_id 0
		.amdhsa_user_sgpr_flat_scratch_init 0
		.amdhsa_user_sgpr_private_segment_size 0
		.amdhsa_uses_dynamic_stack 0
		.amdhsa_system_sgpr_private_segment_wavefront_offset 0
		.amdhsa_system_sgpr_workgroup_id_x 1
		.amdhsa_system_sgpr_workgroup_id_y 0
		.amdhsa_system_sgpr_workgroup_id_z 0
		.amdhsa_system_sgpr_workgroup_info 0
		.amdhsa_system_vgpr_workitem_id 0
		.amdhsa_next_free_vgpr 31
		.amdhsa_next_free_sgpr 24
		.amdhsa_reserve_vcc 1
		.amdhsa_reserve_flat_scratch 0
		.amdhsa_float_round_mode_32 0
		.amdhsa_float_round_mode_16_64 0
		.amdhsa_float_denorm_mode_32 3
		.amdhsa_float_denorm_mode_16_64 3
		.amdhsa_dx10_clamp 1
		.amdhsa_ieee_mode 1
		.amdhsa_fp16_overflow 0
		.amdhsa_exception_fp_ieee_invalid_op 0
		.amdhsa_exception_fp_denorm_src 0
		.amdhsa_exception_fp_ieee_div_zero 0
		.amdhsa_exception_fp_ieee_overflow 0
		.amdhsa_exception_fp_ieee_underflow 0
		.amdhsa_exception_fp_ieee_inexact 0
		.amdhsa_exception_int_div_zero 0
	.end_amdhsa_kernel
	.section	.text._ZN2at6native12_GLOBAL__N_125multi_tensor_apply_kernelINS1_18TensorListMetadataILi2EEENS1_14UnaryOpFunctorIN3c108BFloat16ELi2ELi1ELi1EEEJNS0_4Log2IfEEEEEvT_T0_DpT1_,"axG",@progbits,_ZN2at6native12_GLOBAL__N_125multi_tensor_apply_kernelINS1_18TensorListMetadataILi2EEENS1_14UnaryOpFunctorIN3c108BFloat16ELi2ELi1ELi1EEEJNS0_4Log2IfEEEEEvT_T0_DpT1_,comdat
.Lfunc_end194:
	.size	_ZN2at6native12_GLOBAL__N_125multi_tensor_apply_kernelINS1_18TensorListMetadataILi2EEENS1_14UnaryOpFunctorIN3c108BFloat16ELi2ELi1ELi1EEEJNS0_4Log2IfEEEEEvT_T0_DpT1_, .Lfunc_end194-_ZN2at6native12_GLOBAL__N_125multi_tensor_apply_kernelINS1_18TensorListMetadataILi2EEENS1_14UnaryOpFunctorIN3c108BFloat16ELi2ELi1ELi1EEEJNS0_4Log2IfEEEEEvT_T0_DpT1_
                                        ; -- End function
	.set _ZN2at6native12_GLOBAL__N_125multi_tensor_apply_kernelINS1_18TensorListMetadataILi2EEENS1_14UnaryOpFunctorIN3c108BFloat16ELi2ELi1ELi1EEEJNS0_4Log2IfEEEEEvT_T0_DpT1_.num_vgpr, 31
	.set _ZN2at6native12_GLOBAL__N_125multi_tensor_apply_kernelINS1_18TensorListMetadataILi2EEENS1_14UnaryOpFunctorIN3c108BFloat16ELi2ELi1ELi1EEEJNS0_4Log2IfEEEEEvT_T0_DpT1_.num_agpr, 0
	.set _ZN2at6native12_GLOBAL__N_125multi_tensor_apply_kernelINS1_18TensorListMetadataILi2EEENS1_14UnaryOpFunctorIN3c108BFloat16ELi2ELi1ELi1EEEJNS0_4Log2IfEEEEEvT_T0_DpT1_.numbered_sgpr, 24
	.set _ZN2at6native12_GLOBAL__N_125multi_tensor_apply_kernelINS1_18TensorListMetadataILi2EEENS1_14UnaryOpFunctorIN3c108BFloat16ELi2ELi1ELi1EEEJNS0_4Log2IfEEEEEvT_T0_DpT1_.num_named_barrier, 0
	.set _ZN2at6native12_GLOBAL__N_125multi_tensor_apply_kernelINS1_18TensorListMetadataILi2EEENS1_14UnaryOpFunctorIN3c108BFloat16ELi2ELi1ELi1EEEJNS0_4Log2IfEEEEEvT_T0_DpT1_.private_seg_size, 0
	.set _ZN2at6native12_GLOBAL__N_125multi_tensor_apply_kernelINS1_18TensorListMetadataILi2EEENS1_14UnaryOpFunctorIN3c108BFloat16ELi2ELi1ELi1EEEJNS0_4Log2IfEEEEEvT_T0_DpT1_.uses_vcc, 1
	.set _ZN2at6native12_GLOBAL__N_125multi_tensor_apply_kernelINS1_18TensorListMetadataILi2EEENS1_14UnaryOpFunctorIN3c108BFloat16ELi2ELi1ELi1EEEJNS0_4Log2IfEEEEEvT_T0_DpT1_.uses_flat_scratch, 0
	.set _ZN2at6native12_GLOBAL__N_125multi_tensor_apply_kernelINS1_18TensorListMetadataILi2EEENS1_14UnaryOpFunctorIN3c108BFloat16ELi2ELi1ELi1EEEJNS0_4Log2IfEEEEEvT_T0_DpT1_.has_dyn_sized_stack, 0
	.set _ZN2at6native12_GLOBAL__N_125multi_tensor_apply_kernelINS1_18TensorListMetadataILi2EEENS1_14UnaryOpFunctorIN3c108BFloat16ELi2ELi1ELi1EEEJNS0_4Log2IfEEEEEvT_T0_DpT1_.has_recursion, 0
	.set _ZN2at6native12_GLOBAL__N_125multi_tensor_apply_kernelINS1_18TensorListMetadataILi2EEENS1_14UnaryOpFunctorIN3c108BFloat16ELi2ELi1ELi1EEEJNS0_4Log2IfEEEEEvT_T0_DpT1_.has_indirect_call, 0
	.section	.AMDGPU.csdata,"",@progbits
; Kernel info:
; codeLenInByte = 1872
; TotalNumSgprs: 28
; NumVgprs: 31
; ScratchSize: 0
; MemoryBound: 0
; FloatMode: 240
; IeeeMode: 1
; LDSByteSize: 0 bytes/workgroup (compile time only)
; SGPRBlocks: 3
; VGPRBlocks: 7
; NumSGPRsForWavesPerEU: 28
; NumVGPRsForWavesPerEU: 31
; Occupancy: 8
; WaveLimiterHint : 0
; COMPUTE_PGM_RSRC2:SCRATCH_EN: 0
; COMPUTE_PGM_RSRC2:USER_SGPR: 6
; COMPUTE_PGM_RSRC2:TRAP_HANDLER: 0
; COMPUTE_PGM_RSRC2:TGID_X_EN: 1
; COMPUTE_PGM_RSRC2:TGID_Y_EN: 0
; COMPUTE_PGM_RSRC2:TGID_Z_EN: 0
; COMPUTE_PGM_RSRC2:TIDIG_COMP_CNT: 0
	.section	.text._ZN2at6native12_GLOBAL__N_125multi_tensor_apply_kernelINS1_18TensorListMetadataILi1EEENS1_14UnaryOpFunctorIdLi1ELi1ELi0EEEJNS0_4Log2IdEEEEEvT_T0_DpT1_,"axG",@progbits,_ZN2at6native12_GLOBAL__N_125multi_tensor_apply_kernelINS1_18TensorListMetadataILi1EEENS1_14UnaryOpFunctorIdLi1ELi1ELi0EEEJNS0_4Log2IdEEEEEvT_T0_DpT1_,comdat
	.globl	_ZN2at6native12_GLOBAL__N_125multi_tensor_apply_kernelINS1_18TensorListMetadataILi1EEENS1_14UnaryOpFunctorIdLi1ELi1ELi0EEEJNS0_4Log2IdEEEEEvT_T0_DpT1_ ; -- Begin function _ZN2at6native12_GLOBAL__N_125multi_tensor_apply_kernelINS1_18TensorListMetadataILi1EEENS1_14UnaryOpFunctorIdLi1ELi1ELi0EEEJNS0_4Log2IdEEEEEvT_T0_DpT1_
	.p2align	8
	.type	_ZN2at6native12_GLOBAL__N_125multi_tensor_apply_kernelINS1_18TensorListMetadataILi1EEENS1_14UnaryOpFunctorIdLi1ELi1ELi0EEEJNS0_4Log2IdEEEEEvT_T0_DpT1_,@function
_ZN2at6native12_GLOBAL__N_125multi_tensor_apply_kernelINS1_18TensorListMetadataILi1EEENS1_14UnaryOpFunctorIdLi1ELi1ELi0EEEJNS0_4Log2IdEEEEEvT_T0_DpT1_: ; @_ZN2at6native12_GLOBAL__N_125multi_tensor_apply_kernelINS1_18TensorListMetadataILi1EEENS1_14UnaryOpFunctorIdLi1ELi1ELi0EEEJNS0_4Log2IdEEEEEvT_T0_DpT1_
; %bb.0:
	v_mov_b32_e32 v1, s6
	global_load_ubyte v1, v1, s[4:5] offset:1760
	s_add_u32 s0, s4, s6
	s_mul_hi_u32 s1, s6, 3
	s_mul_i32 s6, s6, 3
	s_addc_u32 s2, s5, 0
	s_add_u32 s0, s0, s6
	s_addc_u32 s1, s2, s1
	s_load_dword s0, s[0:1], 0x820
	s_mov_b32 s7, 0
	s_waitcnt vmcnt(0)
	v_readfirstlane_b32 s1, v1
	s_lshl_b32 s1, s1, 3
	s_load_dwordx2 s[2:3], s[4:5], s1 offset:0x370
	s_load_dwordx2 s[14:15], s[4:5], s1 offset:0x0
	s_waitcnt lgkmcnt(0)
	s_ashr_i32 s1, s0, 31
	s_lshl_b64 s[16:17], s[0:1], 19
	s_lshl_b64 s[0:1], s[0:1], 16
	s_and_b32 s6, s14, 31
	s_sub_u32 s18, s2, s0
	s_subb_u32 s19, s3, s1
	s_and_b32 s0, s2, 3
	s_mov_b32 s1, s7
	s_or_b64 s[0:1], s[6:7], s[0:1]
	s_cmp_eq_u64 s[0:1], 0
	s_cbranch_scc1 .LBB195_21
; %bb.1:
	v_cmp_lt_i64_e64 s[0:1], s[18:19], 1
	s_and_b64 vcc, exec, s[0:1]
	s_cbranch_vccnz .LBB195_20
; %bb.2:
	v_mov_b32_e32 v1, 0x10000
	s_load_dword s2, s[4:5], 0xd3c
	v_mov_b32_e32 v2, 0
	v_cmp_lt_i64_e32 vcc, s[18:19], v[1:2]
	s_mov_b32 s26, 0x55555555
	s_and_b64 s[0:1], vcc, exec
	v_cmp_lt_u64_e32 vcc, s[18:19], v[1:2]
	s_cselect_b32 s21, s19, 0
	s_cselect_b32 s20, s18, 0x10000
	s_waitcnt lgkmcnt(0)
	s_and_b32 s2, s2, 0xffff
	s_and_b64 s[0:1], vcc, exec
	s_cselect_b32 s23, s19, 0
	s_cselect_b32 s22, s18, 0x10000
	s_lshl_b32 s3, s2, 1
	s_lshl_b32 s33, s2, 2
	s_add_u32 s6, s14, s16
	v_lshlrev_b32_e32 v1, 3, v0
	s_addc_u32 s7, s15, s17
	v_mov_b32_e32 v2, s7
	v_add_co_u32_e32 v1, vcc, s6, v1
	s_mul_i32 s0, s2, 3
	v_addc_co_u32_e32 v2, vcc, 0, v2, vcc
	v_add_co_u32_e32 v15, vcc, s0, v0
	v_addc_co_u32_e64 v16, s[0:1], 0, 0, vcc
	v_add_co_u32_e32 v17, vcc, s3, v0
	v_addc_co_u32_e64 v18, s[0:1], 0, 0, vcc
	v_add_co_u32_e32 v19, vcc, s2, v0
	v_lshlrev_b32_e32 v3, 3, v19
	v_addc_co_u32_e64 v20, s[0:1], 0, 0, vcc
	v_mov_b32_e32 v4, s7
	v_add_co_u32_e32 v3, vcc, s6, v3
	s_mov_b32 s28, 0xbf559e2b
	s_mov_b32 s30, 0xd7f4df2e
	;; [unrolled: 1-line block ×7, first 2 shown]
	s_lshl_b32 s48, s2, 5
	s_mul_i32 s49, s2, 24
	s_lshl_b32 s50, s2, 4
	v_addc_co_u32_e32 v4, vcc, 0, v4, vcc
	s_mov_b64 s[24:25], 0
	s_movk_i32 s51, 0x204
	s_mov_b32 s27, 0x3fe55555
	s_mov_b32 s29, 0x3fc3ab76
	;; [unrolled: 1-line block ×9, first 2 shown]
	v_mov_b32_e32 v5, 0x6b47b09a
	v_mov_b32_e32 v6, 0x3fc38538
	;; [unrolled: 1-line block ×4, first 2 shown]
	s_branch .LBB195_4
.LBB195_3:                              ;   in Loop: Header=BB195_4 Depth=1
	s_or_b64 exec, exec, s[0:1]
	s_add_u32 s24, s24, s33
	v_add_co_u32_e32 v1, vcc, s48, v1
	s_waitcnt vmcnt(0)
	v_mov_b32_e32 v7, s20
	s_addc_u32 s25, s25, 0
	v_addc_co_u32_e32 v2, vcc, 0, v2, vcc
	v_mov_b32_e32 v8, s21
	v_cmp_lt_i64_e32 vcc, s[24:25], v[7:8]
	v_add_co_u32_e64 v3, s[0:1], s48, v3
	v_addc_co_u32_e64 v4, s[0:1], 0, v4, s[0:1]
	s_cbranch_vccz .LBB195_20
.LBB195_4:                              ; =>This Inner Loop Header: Depth=1
	v_mov_b32_e32 v8, s25
	v_add_co_u32_e32 v7, vcc, s24, v0
	v_addc_co_u32_e32 v8, vcc, 0, v8, vcc
	v_cmp_gt_u64_e64 s[6:7], s[22:23], v[7:8]
	v_mov_b32_e32 v11, 0
	v_mov_b32_e32 v13, 0
	;; [unrolled: 1-line block ×4, first 2 shown]
	s_and_saveexec_b64 s[0:1], s[6:7]
	s_cbranch_execz .LBB195_6
; %bb.5:                                ;   in Loop: Header=BB195_4 Depth=1
	global_load_dwordx2 v[13:14], v[1:2], off
.LBB195_6:                              ;   in Loop: Header=BB195_4 Depth=1
	s_or_b64 exec, exec, s[0:1]
	v_mov_b32_e32 v8, s25
	v_add_co_u32_e32 v7, vcc, s24, v19
	v_addc_co_u32_e32 v8, vcc, v20, v8, vcc
	v_cmp_gt_u64_e64 s[2:3], s[22:23], v[7:8]
	s_and_saveexec_b64 s[0:1], s[2:3]
	s_cbranch_execz .LBB195_8
; %bb.7:                                ;   in Loop: Header=BB195_4 Depth=1
	global_load_dwordx2 v[11:12], v[3:4], off
.LBB195_8:                              ;   in Loop: Header=BB195_4 Depth=1
	s_or_b64 exec, exec, s[0:1]
	v_mov_b32_e32 v8, s25
	v_add_co_u32_e32 v7, vcc, s24, v17
	v_addc_co_u32_e32 v8, vcc, v18, v8, vcc
	v_cmp_gt_u64_e64 s[0:1], s[22:23], v[7:8]
	v_mov_b32_e32 v7, 0
	v_mov_b32_e32 v9, 0
	;; [unrolled: 1-line block ×4, first 2 shown]
	s_and_saveexec_b64 s[8:9], s[0:1]
	s_cbranch_execz .LBB195_10
; %bb.9:                                ;   in Loop: Header=BB195_4 Depth=1
	v_add_co_u32_e32 v9, vcc, s50, v1
	v_addc_co_u32_e32 v10, vcc, 0, v2, vcc
	global_load_dwordx2 v[9:10], v[9:10], off
.LBB195_10:                             ;   in Loop: Header=BB195_4 Depth=1
	s_or_b64 exec, exec, s[8:9]
	v_mov_b32_e32 v24, s25
	v_add_co_u32_e32 v23, vcc, s24, v15
	v_addc_co_u32_e32 v24, vcc, v16, v24, vcc
	v_cmp_gt_u64_e32 vcc, s[22:23], v[23:24]
	s_and_saveexec_b64 s[10:11], vcc
	s_cbranch_execnz .LBB195_15
; %bb.11:                               ;   in Loop: Header=BB195_4 Depth=1
	s_or_b64 exec, exec, s[10:11]
	s_and_saveexec_b64 s[46:47], s[6:7]
	s_cbranch_execnz .LBB195_16
.LBB195_12:                             ;   in Loop: Header=BB195_4 Depth=1
	s_or_b64 exec, exec, s[46:47]
	s_and_saveexec_b64 s[6:7], s[2:3]
	s_cbranch_execnz .LBB195_17
.LBB195_13:                             ;   in Loop: Header=BB195_4 Depth=1
	s_or_b64 exec, exec, s[6:7]
	s_and_saveexec_b64 s[2:3], s[0:1]
	s_cbranch_execnz .LBB195_18
.LBB195_14:                             ;   in Loop: Header=BB195_4 Depth=1
	s_or_b64 exec, exec, s[2:3]
	s_and_saveexec_b64 s[0:1], vcc
	s_cbranch_execz .LBB195_3
	s_branch .LBB195_19
.LBB195_15:                             ;   in Loop: Header=BB195_4 Depth=1
	v_add_co_u32_e64 v7, s[8:9], s49, v1
	v_addc_co_u32_e64 v8, s[8:9], 0, v2, s[8:9]
	global_load_dwordx2 v[7:8], v[7:8], off
	s_or_b64 exec, exec, s[10:11]
	s_and_saveexec_b64 s[46:47], s[6:7]
	s_cbranch_execz .LBB195_12
.LBB195_16:                             ;   in Loop: Header=BB195_4 Depth=1
	s_waitcnt vmcnt(0)
	v_frexp_mant_f64_e32 v[23:24], v[13:14]
	s_mov_b32 s41, s27
	v_cmp_ngt_f64_e64 s[8:9], 0, v[13:14]
	v_cmp_nge_f64_e64 s[10:11], 0, v[13:14]
	v_cmp_neq_f64_e64 s[12:13], 0, v[13:14]
	v_cmp_gt_f64_e64 s[6:7], s[26:27], v[23:24]
	v_cndmask_b32_e64 v25, 0, 1, s[6:7]
	v_ldexp_f64 v[23:24], v[23:24], v25
	v_add_f64 v[25:26], v[23:24], 1.0
	v_add_f64 v[31:32], v[23:24], -1.0
	v_rcp_f64_e32 v[27:28], v[25:26]
	v_add_f64 v[33:34], v[25:26], -1.0
	v_add_f64 v[23:24], v[23:24], -v[33:34]
	v_fma_f64 v[29:30], -v[25:26], v[27:28], 1.0
	v_fma_f64 v[27:28], v[29:30], v[27:28], v[27:28]
	v_fma_f64 v[29:30], -v[25:26], v[27:28], 1.0
	v_fma_f64 v[27:28], v[29:30], v[27:28], v[27:28]
	v_mul_f64 v[29:30], v[31:32], v[27:28]
	v_mul_f64 v[35:36], v[25:26], v[29:30]
	v_fma_f64 v[25:26], v[29:30], v[25:26], -v[35:36]
	v_fma_f64 v[23:24], v[29:30], v[23:24], v[25:26]
	v_add_f64 v[25:26], v[35:36], v[23:24]
	v_add_f64 v[33:34], v[31:32], -v[25:26]
	v_add_f64 v[35:36], v[25:26], -v[35:36]
	;; [unrolled: 1-line block ×5, first 2 shown]
	v_add_f64 v[23:24], v[23:24], v[25:26]
	v_add_f64 v[23:24], v[33:34], v[23:24]
	v_mul_f64 v[23:24], v[27:28], v[23:24]
	v_add_f64 v[25:26], v[29:30], v[23:24]
	v_mul_f64 v[27:28], v[25:26], v[25:26]
	v_fma_f64 v[31:32], v[27:28], s[28:29], v[5:6]
	v_mul_f64 v[33:34], v[25:26], v[27:28]
	v_fma_f64 v[31:32], v[27:28], v[31:32], s[30:31]
	v_fma_f64 v[31:32], v[27:28], v[31:32], s[34:35]
	;; [unrolled: 1-line block ×5, first 2 shown]
	v_ldexp_f64 v[31:32], v[25:26], 1
	v_add_f64 v[25:26], v[25:26], -v[29:30]
	v_mul_f64 v[27:28], v[33:34], v[27:28]
	v_add_f64 v[23:24], v[23:24], -v[25:26]
	v_add_f64 v[29:30], v[31:32], v[27:28]
	v_ldexp_f64 v[23:24], v[23:24], 1
	v_add_f64 v[25:26], v[29:30], -v[31:32]
	v_add_f64 v[25:26], v[27:28], -v[25:26]
	v_add_f64 v[23:24], v[23:24], v[25:26]
	v_add_f64 v[25:26], v[29:30], v[23:24]
	v_add_f64 v[27:28], v[25:26], -v[29:30]
	v_mul_f64 v[29:30], v[25:26], s[42:43]
	v_add_f64 v[23:24], v[23:24], -v[27:28]
	v_fma_f64 v[27:28], v[25:26], s[42:43], -v[29:30]
	v_fma_f64 v[23:24], v[23:24], s[42:43], v[27:28]
	v_frexp_exp_i32_f64_e32 v27, v[13:14]
	v_fma_f64 v[23:24], v[25:26], s[44:45], v[23:24]
	v_subbrev_co_u32_e64 v27, s[6:7], 0, v27, s[6:7]
	v_cvt_f64_i32_e32 v[27:28], v27
	v_cmp_class_f64_e64 s[6:7], v[13:14], s51
	v_add_f64 v[25:26], v[29:30], v[23:24]
	v_add_f64 v[31:32], v[25:26], v[27:28]
	v_add_f64 v[29:30], v[25:26], -v[29:30]
	v_add_f64 v[33:34], v[31:32], -v[27:28]
	;; [unrolled: 1-line block ×5, first 2 shown]
	v_add_f64 v[27:28], v[35:36], v[27:28]
	v_add_f64 v[25:26], v[25:26], v[27:28]
	;; [unrolled: 1-line block ×4, first 2 shown]
	v_cndmask_b32_e64 v14, v24, v14, s[6:7]
	v_cndmask_b32_e64 v13, v23, v13, s[6:7]
	;; [unrolled: 1-line block ×5, first 2 shown]
	global_store_dwordx2 v[1:2], v[13:14], off
	s_or_b64 exec, exec, s[46:47]
	s_and_saveexec_b64 s[6:7], s[2:3]
	s_cbranch_execz .LBB195_13
.LBB195_17:                             ;   in Loop: Header=BB195_4 Depth=1
	s_waitcnt vmcnt(0)
	v_frexp_mant_f64_e32 v[13:14], v[11:12]
	s_mov_b32 s41, s27
	v_cmp_gt_f64_e64 s[2:3], s[26:27], v[13:14]
	v_cndmask_b32_e64 v23, 0, 1, s[2:3]
	v_ldexp_f64 v[13:14], v[13:14], v23
	v_add_f64 v[23:24], v[13:14], 1.0
	v_add_f64 v[29:30], v[13:14], -1.0
	v_rcp_f64_e32 v[25:26], v[23:24]
	v_add_f64 v[31:32], v[23:24], -1.0
	v_add_f64 v[13:14], v[13:14], -v[31:32]
	v_fma_f64 v[27:28], -v[23:24], v[25:26], 1.0
	v_fma_f64 v[25:26], v[27:28], v[25:26], v[25:26]
	v_fma_f64 v[27:28], -v[23:24], v[25:26], 1.0
	v_fma_f64 v[25:26], v[27:28], v[25:26], v[25:26]
	v_mul_f64 v[27:28], v[29:30], v[25:26]
	v_mul_f64 v[33:34], v[23:24], v[27:28]
	v_fma_f64 v[23:24], v[27:28], v[23:24], -v[33:34]
	v_fma_f64 v[13:14], v[27:28], v[13:14], v[23:24]
	v_add_f64 v[23:24], v[33:34], v[13:14]
	v_add_f64 v[31:32], v[29:30], -v[23:24]
	v_add_f64 v[33:34], v[23:24], -v[33:34]
	;; [unrolled: 1-line block ×5, first 2 shown]
	v_add_f64 v[13:14], v[13:14], v[23:24]
	v_add_f64 v[13:14], v[31:32], v[13:14]
	v_mul_f64 v[13:14], v[25:26], v[13:14]
	v_add_f64 v[23:24], v[27:28], v[13:14]
	v_mul_f64 v[25:26], v[23:24], v[23:24]
	v_fma_f64 v[29:30], v[25:26], s[28:29], v[5:6]
	v_mul_f64 v[31:32], v[23:24], v[25:26]
	v_fma_f64 v[29:30], v[25:26], v[29:30], s[30:31]
	v_fma_f64 v[29:30], v[25:26], v[29:30], s[34:35]
	;; [unrolled: 1-line block ×5, first 2 shown]
	v_ldexp_f64 v[29:30], v[23:24], 1
	v_add_f64 v[23:24], v[23:24], -v[27:28]
	v_mul_f64 v[25:26], v[31:32], v[25:26]
	v_add_f64 v[13:14], v[13:14], -v[23:24]
	v_add_f64 v[27:28], v[29:30], v[25:26]
	v_ldexp_f64 v[13:14], v[13:14], 1
	v_add_f64 v[23:24], v[27:28], -v[29:30]
	v_add_f64 v[23:24], v[25:26], -v[23:24]
	v_add_f64 v[13:14], v[13:14], v[23:24]
	v_add_f64 v[23:24], v[27:28], v[13:14]
	v_add_f64 v[25:26], v[23:24], -v[27:28]
	v_mul_f64 v[27:28], v[23:24], s[42:43]
	v_add_f64 v[13:14], v[13:14], -v[25:26]
	v_fma_f64 v[25:26], v[23:24], s[42:43], -v[27:28]
	v_fma_f64 v[13:14], v[13:14], s[42:43], v[25:26]
	v_frexp_exp_i32_f64_e32 v25, v[11:12]
	v_fma_f64 v[13:14], v[23:24], s[44:45], v[13:14]
	v_subbrev_co_u32_e64 v25, s[2:3], 0, v25, s[2:3]
	v_cvt_f64_i32_e32 v[25:26], v25
	v_cmp_class_f64_e64 s[2:3], v[11:12], s51
	v_add_f64 v[23:24], v[27:28], v[13:14]
	v_add_f64 v[29:30], v[23:24], v[25:26]
	v_add_f64 v[27:28], v[23:24], -v[27:28]
	v_add_f64 v[31:32], v[29:30], -v[25:26]
	;; [unrolled: 1-line block ×5, first 2 shown]
	v_add_f64 v[25:26], v[33:34], v[25:26]
	v_add_f64 v[23:24], v[23:24], v[25:26]
	;; [unrolled: 1-line block ×4, first 2 shown]
	v_cndmask_b32_e64 v13, v13, v11, s[2:3]
	v_cndmask_b32_e64 v14, v14, v12, s[2:3]
	v_cmp_ngt_f64_e64 s[2:3], 0, v[11:12]
	v_cndmask_b32_e64 v14, v21, v14, s[2:3]
	v_cmp_nge_f64_e64 s[2:3], 0, v[11:12]
	v_cndmask_b32_e64 v13, 0, v13, s[2:3]
	v_cmp_neq_f64_e64 s[2:3], 0, v[11:12]
	v_cndmask_b32_e64 v14, v22, v14, s[2:3]
	global_store_dwordx2 v[3:4], v[13:14], off
	s_or_b64 exec, exec, s[6:7]
	s_and_saveexec_b64 s[2:3], s[0:1]
	s_cbranch_execz .LBB195_14
.LBB195_18:                             ;   in Loop: Header=BB195_4 Depth=1
	s_waitcnt vmcnt(0)
	v_frexp_mant_f64_e32 v[11:12], v[9:10]
	s_mov_b32 s41, s27
	v_cmp_gt_f64_e64 s[0:1], s[26:27], v[11:12]
	v_cndmask_b32_e64 v13, 0, 1, s[0:1]
	v_ldexp_f64 v[11:12], v[11:12], v13
	v_add_f64 v[13:14], v[11:12], 1.0
	v_add_f64 v[27:28], v[11:12], -1.0
	v_rcp_f64_e32 v[23:24], v[13:14]
	v_add_f64 v[29:30], v[13:14], -1.0
	v_add_f64 v[11:12], v[11:12], -v[29:30]
	v_fma_f64 v[25:26], -v[13:14], v[23:24], 1.0
	v_fma_f64 v[23:24], v[25:26], v[23:24], v[23:24]
	v_fma_f64 v[25:26], -v[13:14], v[23:24], 1.0
	v_fma_f64 v[23:24], v[25:26], v[23:24], v[23:24]
	v_mul_f64 v[25:26], v[27:28], v[23:24]
	v_mul_f64 v[31:32], v[13:14], v[25:26]
	v_fma_f64 v[13:14], v[25:26], v[13:14], -v[31:32]
	v_fma_f64 v[11:12], v[25:26], v[11:12], v[13:14]
	v_add_f64 v[13:14], v[31:32], v[11:12]
	v_add_f64 v[29:30], v[27:28], -v[13:14]
	v_add_f64 v[31:32], v[13:14], -v[31:32]
	v_add_f64 v[27:28], v[27:28], -v[29:30]
	v_add_f64 v[11:12], v[31:32], -v[11:12]
	v_add_f64 v[13:14], v[27:28], -v[13:14]
	v_add_f64 v[11:12], v[11:12], v[13:14]
	v_add_f64 v[11:12], v[29:30], v[11:12]
	v_mul_f64 v[11:12], v[23:24], v[11:12]
	v_add_f64 v[13:14], v[25:26], v[11:12]
	v_mul_f64 v[23:24], v[13:14], v[13:14]
	v_fma_f64 v[27:28], v[23:24], s[28:29], v[5:6]
	v_mul_f64 v[29:30], v[13:14], v[23:24]
	v_fma_f64 v[27:28], v[23:24], v[27:28], s[30:31]
	v_fma_f64 v[27:28], v[23:24], v[27:28], s[34:35]
	;; [unrolled: 1-line block ×5, first 2 shown]
	v_ldexp_f64 v[27:28], v[13:14], 1
	v_add_f64 v[13:14], v[13:14], -v[25:26]
	v_mul_f64 v[23:24], v[29:30], v[23:24]
	v_add_f64 v[11:12], v[11:12], -v[13:14]
	v_add_f64 v[25:26], v[27:28], v[23:24]
	v_ldexp_f64 v[11:12], v[11:12], 1
	v_add_f64 v[13:14], v[25:26], -v[27:28]
	v_add_f64 v[13:14], v[23:24], -v[13:14]
	v_add_f64 v[11:12], v[11:12], v[13:14]
	v_add_f64 v[13:14], v[25:26], v[11:12]
	v_add_f64 v[23:24], v[13:14], -v[25:26]
	v_mul_f64 v[25:26], v[13:14], s[42:43]
	v_add_f64 v[11:12], v[11:12], -v[23:24]
	v_fma_f64 v[23:24], v[13:14], s[42:43], -v[25:26]
	v_fma_f64 v[11:12], v[11:12], s[42:43], v[23:24]
	v_frexp_exp_i32_f64_e32 v23, v[9:10]
	v_fma_f64 v[11:12], v[13:14], s[44:45], v[11:12]
	v_subbrev_co_u32_e64 v23, s[0:1], 0, v23, s[0:1]
	v_cvt_f64_i32_e32 v[23:24], v23
	v_cmp_class_f64_e64 s[0:1], v[9:10], s51
	v_add_f64 v[13:14], v[25:26], v[11:12]
	v_add_f64 v[27:28], v[13:14], v[23:24]
	v_add_f64 v[25:26], v[13:14], -v[25:26]
	v_add_f64 v[29:30], v[27:28], -v[23:24]
	;; [unrolled: 1-line block ×5, first 2 shown]
	v_add_f64 v[23:24], v[31:32], v[23:24]
	v_add_f64 v[13:14], v[13:14], v[23:24]
	;; [unrolled: 1-line block ×4, first 2 shown]
	v_cndmask_b32_e64 v11, v11, v9, s[0:1]
	v_cndmask_b32_e64 v12, v12, v10, s[0:1]
	v_cmp_ngt_f64_e64 s[0:1], 0, v[9:10]
	v_cndmask_b32_e64 v12, v21, v12, s[0:1]
	v_cmp_nge_f64_e64 s[0:1], 0, v[9:10]
	v_cndmask_b32_e64 v11, 0, v11, s[0:1]
	v_cmp_neq_f64_e64 s[0:1], 0, v[9:10]
	v_cndmask_b32_e64 v12, v22, v12, s[0:1]
	v_add_co_u32_e64 v9, s[0:1], s50, v1
	v_addc_co_u32_e64 v10, s[0:1], 0, v2, s[0:1]
	global_store_dwordx2 v[9:10], v[11:12], off
	s_or_b64 exec, exec, s[2:3]
	s_and_saveexec_b64 s[0:1], vcc
	s_cbranch_execz .LBB195_3
.LBB195_19:                             ;   in Loop: Header=BB195_4 Depth=1
	s_waitcnt vmcnt(0)
	v_frexp_mant_f64_e32 v[9:10], v[7:8]
	s_mov_b32 s41, s27
	v_cmp_gt_f64_e32 vcc, s[26:27], v[9:10]
	v_cndmask_b32_e64 v11, 0, 1, vcc
	v_ldexp_f64 v[9:10], v[9:10], v11
	v_add_f64 v[11:12], v[9:10], 1.0
	v_add_f64 v[25:26], v[9:10], -1.0
	v_rcp_f64_e32 v[13:14], v[11:12]
	v_add_f64 v[27:28], v[11:12], -1.0
	v_add_f64 v[9:10], v[9:10], -v[27:28]
	v_fma_f64 v[23:24], -v[11:12], v[13:14], 1.0
	v_fma_f64 v[13:14], v[23:24], v[13:14], v[13:14]
	v_fma_f64 v[23:24], -v[11:12], v[13:14], 1.0
	v_fma_f64 v[13:14], v[23:24], v[13:14], v[13:14]
	v_mul_f64 v[23:24], v[25:26], v[13:14]
	v_mul_f64 v[29:30], v[11:12], v[23:24]
	v_fma_f64 v[11:12], v[23:24], v[11:12], -v[29:30]
	v_fma_f64 v[9:10], v[23:24], v[9:10], v[11:12]
	v_add_f64 v[11:12], v[29:30], v[9:10]
	v_add_f64 v[27:28], v[25:26], -v[11:12]
	v_add_f64 v[29:30], v[11:12], -v[29:30]
	v_add_f64 v[25:26], v[25:26], -v[27:28]
	v_add_f64 v[9:10], v[29:30], -v[9:10]
	v_add_f64 v[11:12], v[25:26], -v[11:12]
	v_add_f64 v[9:10], v[9:10], v[11:12]
	v_add_f64 v[9:10], v[27:28], v[9:10]
	v_mul_f64 v[9:10], v[13:14], v[9:10]
	v_add_f64 v[11:12], v[23:24], v[9:10]
	v_mul_f64 v[13:14], v[11:12], v[11:12]
	v_fma_f64 v[25:26], v[13:14], s[28:29], v[5:6]
	v_mul_f64 v[27:28], v[11:12], v[13:14]
	v_fma_f64 v[25:26], v[13:14], v[25:26], s[30:31]
	v_fma_f64 v[25:26], v[13:14], v[25:26], s[34:35]
	;; [unrolled: 1-line block ×5, first 2 shown]
	v_ldexp_f64 v[25:26], v[11:12], 1
	v_add_f64 v[11:12], v[11:12], -v[23:24]
	v_mul_f64 v[13:14], v[27:28], v[13:14]
	v_add_f64 v[9:10], v[9:10], -v[11:12]
	v_add_f64 v[23:24], v[25:26], v[13:14]
	v_ldexp_f64 v[9:10], v[9:10], 1
	v_add_f64 v[11:12], v[23:24], -v[25:26]
	v_add_f64 v[11:12], v[13:14], -v[11:12]
	v_add_f64 v[9:10], v[9:10], v[11:12]
	v_add_f64 v[11:12], v[23:24], v[9:10]
	v_add_f64 v[13:14], v[11:12], -v[23:24]
	v_mul_f64 v[23:24], v[11:12], s[42:43]
	v_add_f64 v[9:10], v[9:10], -v[13:14]
	v_fma_f64 v[13:14], v[11:12], s[42:43], -v[23:24]
	v_fma_f64 v[9:10], v[9:10], s[42:43], v[13:14]
	v_frexp_exp_i32_f64_e32 v13, v[7:8]
	v_fma_f64 v[9:10], v[11:12], s[44:45], v[9:10]
	v_subbrev_co_u32_e32 v13, vcc, 0, v13, vcc
	v_cvt_f64_i32_e32 v[13:14], v13
	v_cmp_class_f64_e64 vcc, v[7:8], s51
	v_add_f64 v[11:12], v[23:24], v[9:10]
	v_add_f64 v[25:26], v[11:12], v[13:14]
	v_add_f64 v[23:24], v[11:12], -v[23:24]
	v_add_f64 v[27:28], v[25:26], -v[13:14]
	;; [unrolled: 1-line block ×5, first 2 shown]
	v_add_f64 v[13:14], v[29:30], v[13:14]
	v_add_f64 v[11:12], v[11:12], v[13:14]
	v_add_f64 v[9:10], v[9:10], v[11:12]
	v_add_f64 v[9:10], v[25:26], v[9:10]
	v_cndmask_b32_e32 v9, v9, v7, vcc
	v_cndmask_b32_e32 v10, v10, v8, vcc
	v_cmp_ngt_f64_e32 vcc, 0, v[7:8]
	v_cndmask_b32_e32 v10, v21, v10, vcc
	v_cmp_nge_f64_e32 vcc, 0, v[7:8]
	v_cndmask_b32_e32 v9, 0, v9, vcc
	v_cmp_neq_f64_e32 vcc, 0, v[7:8]
	v_cndmask_b32_e32 v10, v22, v10, vcc
	v_add_co_u32_e32 v7, vcc, s49, v1
	v_addc_co_u32_e32 v8, vcc, 0, v2, vcc
	global_store_dwordx2 v[7:8], v[9:10], off
	s_branch .LBB195_3
.LBB195_20:
	s_cbranch_execz .LBB195_22
	s_branch .LBB195_25
.LBB195_21:
.LBB195_22:
	v_mov_b32_e32 v1, 0x10000
	v_mov_b32_e32 v2, 0
	v_cmp_lt_i64_e32 vcc, s[18:19], v[1:2]
	v_mov_b32_e32 v2, 0
	s_and_b64 s[0:1], vcc, exec
	s_cselect_b32 s1, s19, 0
	s_cselect_b32 s0, s18, 0x10000
	v_lshlrev_b32_e32 v1, 2, v0
	v_cmp_gt_i64_e32 vcc, s[0:1], v[1:2]
	s_and_saveexec_b64 s[2:3], vcc
	s_cbranch_execz .LBB195_25
; %bb.23:
	s_load_dword s2, s[4:5], 0xd3c
	v_mov_b32_e32 v1, v2
	v_lshlrev_b32_e32 v2, 5, v0
	s_mov_b32 s8, 0x6b47b09a
	s_mov_b32 s9, 0x3fc38538
	s_waitcnt lgkmcnt(0)
	s_and_b32 s22, s2, 0xffff
	s_add_u32 s2, s14, s16
	s_addc_u32 s3, s15, s17
	v_mov_b32_e32 v3, s3
	v_add_co_u32_e32 v2, vcc, s2, v2
	v_addc_co_u32_e32 v3, vcc, 0, v3, vcc
	s_mov_b32 s4, 0x55555555
	v_mov_b32_e32 v17, s9
	v_add_co_u32_e32 v14, vcc, 16, v2
	s_mov_b32 s5, 0x3fe55555
	s_mov_b32 s6, 0xbf559e2b
	v_mov_b32_e32 v16, s8
	s_mov_b32 s8, 0xd7f4df2e
	s_mov_b32 s10, 0x16291751
	;; [unrolled: 1-line block ×6, first 2 shown]
	v_addc_co_u32_e32 v15, vcc, 0, v3, vcc
	s_lshl_b32 s23, s22, 5
	s_mov_b64 s[2:3], 0
	s_mov_b32 s7, 0x3fc3ab76
	s_mov_b32 s9, 0x3fc7474d
	;; [unrolled: 1-line block ×8, first 2 shown]
	s_movk_i32 s24, 0x204
	v_mov_b32_e32 v18, 0x7ff80000
	v_mov_b32_e32 v19, 0xfff00000
	s_mov_b32 s17, s5
.LBB195_24:                             ; =>This Inner Loop Header: Depth=1
	global_load_dwordx4 v[2:5], v[14:15], off
	global_load_dwordx4 v[7:10], v[14:15], off offset:-16
	s_waitcnt vmcnt(0)
	v_frexp_mant_f64_e32 v[11:12], v[7:8]
	v_frexp_exp_i32_f64_e32 v6, v[7:8]
	v_cmp_gt_f64_e32 vcc, s[4:5], v[11:12]
	v_cndmask_b32_e64 v13, 0, 1, vcc
	v_ldexp_f64 v[11:12], v[11:12], v13
	v_subbrev_co_u32_e32 v6, vcc, 0, v6, vcc
	v_cmp_class_f64_e64 vcc, v[7:8], s24
	v_add_f64 v[22:23], v[11:12], 1.0
	v_add_f64 v[20:21], v[11:12], -1.0
	v_add_f64 v[24:25], v[22:23], -1.0
	v_add_f64 v[11:12], v[11:12], -v[24:25]
	v_rcp_f64_e32 v[24:25], v[22:23]
	v_fma_f64 v[26:27], -v[22:23], v[24:25], 1.0
	v_fma_f64 v[24:25], v[26:27], v[24:25], v[24:25]
	v_fma_f64 v[26:27], -v[22:23], v[24:25], 1.0
	v_fma_f64 v[24:25], v[26:27], v[24:25], v[24:25]
	v_mul_f64 v[26:27], v[20:21], v[24:25]
	v_mul_f64 v[28:29], v[22:23], v[26:27]
	v_fma_f64 v[22:23], v[26:27], v[22:23], -v[28:29]
	v_fma_f64 v[11:12], v[26:27], v[11:12], v[22:23]
	v_add_f64 v[22:23], v[28:29], v[11:12]
	v_add_f64 v[30:31], v[20:21], -v[22:23]
	v_add_f64 v[28:29], v[22:23], -v[28:29]
	;; [unrolled: 1-line block ×5, first 2 shown]
	v_add_f64 v[11:12], v[11:12], v[20:21]
	v_add_f64 v[11:12], v[30:31], v[11:12]
	v_mul_f64 v[11:12], v[24:25], v[11:12]
	v_add_f64 v[20:21], v[26:27], v[11:12]
	v_add_f64 v[22:23], v[20:21], -v[26:27]
	v_ldexp_f64 v[26:27], v[20:21], 1
	v_add_f64 v[11:12], v[11:12], -v[22:23]
	v_mul_f64 v[22:23], v[20:21], v[20:21]
	v_ldexp_f64 v[11:12], v[11:12], 1
	v_fma_f64 v[24:25], v[22:23], s[6:7], v[16:17]
	v_mul_f64 v[20:21], v[20:21], v[22:23]
	v_fma_f64 v[24:25], v[22:23], v[24:25], s[8:9]
	v_fma_f64 v[24:25], v[22:23], v[24:25], s[10:11]
	;; [unrolled: 1-line block ×5, first 2 shown]
	v_mul_f64 v[20:21], v[20:21], v[24:25]
	v_add_f64 v[22:23], v[26:27], v[20:21]
	v_add_f64 v[24:25], v[22:23], -v[26:27]
	v_add_f64 v[20:21], v[20:21], -v[24:25]
	v_add_f64 v[11:12], v[11:12], v[20:21]
	v_add_f64 v[20:21], v[22:23], v[11:12]
	v_add_f64 v[22:23], v[20:21], -v[22:23]
	v_mul_f64 v[24:25], v[20:21], s[18:19]
	v_add_f64 v[11:12], v[11:12], -v[22:23]
	v_fma_f64 v[26:27], v[20:21], s[18:19], -v[24:25]
	v_cvt_f64_i32_e32 v[22:23], v6
	v_fma_f64 v[11:12], v[11:12], s[18:19], v[26:27]
	v_fma_f64 v[11:12], v[20:21], s[20:21], v[11:12]
	v_add_f64 v[20:21], v[24:25], v[11:12]
	v_add_f64 v[24:25], v[20:21], -v[24:25]
	v_add_f64 v[11:12], v[11:12], -v[24:25]
	v_add_f64 v[24:25], v[20:21], v[22:23]
	v_add_f64 v[26:27], v[24:25], -v[22:23]
	v_add_f64 v[28:29], v[26:27], -v[24:25]
	;; [unrolled: 1-line block ×3, first 2 shown]
	v_add_f64 v[22:23], v[28:29], v[22:23]
	v_add_f64 v[20:21], v[20:21], v[22:23]
	;; [unrolled: 1-line block ×4, first 2 shown]
	v_cndmask_b32_e32 v6, v11, v7, vcc
	v_cndmask_b32_e32 v11, v12, v8, vcc
	v_cmp_ngt_f64_e32 vcc, 0, v[7:8]
	v_cndmask_b32_e32 v11, v18, v11, vcc
	v_cmp_nge_f64_e32 vcc, 0, v[7:8]
	v_cndmask_b32_e32 v6, 0, v6, vcc
	v_cmp_neq_f64_e32 vcc, 0, v[7:8]
	v_frexp_exp_i32_f64_e32 v8, v[9:10]
	v_cndmask_b32_e32 v7, v19, v11, vcc
	v_frexp_mant_f64_e32 v[11:12], v[9:10]
	v_cmp_gt_f64_e32 vcc, s[4:5], v[11:12]
	v_cndmask_b32_e64 v13, 0, 1, vcc
	v_ldexp_f64 v[11:12], v[11:12], v13
	v_subbrev_co_u32_e32 v8, vcc, 0, v8, vcc
	v_cmp_class_f64_e64 vcc, v[9:10], s24
	v_add_f64 v[22:23], v[11:12], 1.0
	v_add_f64 v[20:21], v[11:12], -1.0
	v_add_f64 v[24:25], v[22:23], -1.0
	v_add_f64 v[11:12], v[11:12], -v[24:25]
	v_rcp_f64_e32 v[24:25], v[22:23]
	v_fma_f64 v[26:27], -v[22:23], v[24:25], 1.0
	v_fma_f64 v[24:25], v[26:27], v[24:25], v[24:25]
	v_fma_f64 v[26:27], -v[22:23], v[24:25], 1.0
	v_fma_f64 v[24:25], v[26:27], v[24:25], v[24:25]
	v_mul_f64 v[26:27], v[20:21], v[24:25]
	v_mul_f64 v[28:29], v[22:23], v[26:27]
	v_fma_f64 v[22:23], v[26:27], v[22:23], -v[28:29]
	v_fma_f64 v[11:12], v[26:27], v[11:12], v[22:23]
	v_add_f64 v[22:23], v[28:29], v[11:12]
	v_add_f64 v[30:31], v[20:21], -v[22:23]
	v_add_f64 v[28:29], v[22:23], -v[28:29]
	;; [unrolled: 1-line block ×5, first 2 shown]
	v_add_f64 v[11:12], v[11:12], v[20:21]
	v_add_f64 v[11:12], v[30:31], v[11:12]
	v_mul_f64 v[11:12], v[24:25], v[11:12]
	v_add_f64 v[20:21], v[26:27], v[11:12]
	v_add_f64 v[22:23], v[20:21], -v[26:27]
	v_ldexp_f64 v[26:27], v[20:21], 1
	v_add_f64 v[11:12], v[11:12], -v[22:23]
	v_mul_f64 v[22:23], v[20:21], v[20:21]
	v_ldexp_f64 v[11:12], v[11:12], 1
	v_fma_f64 v[24:25], v[22:23], s[6:7], v[16:17]
	v_mul_f64 v[20:21], v[20:21], v[22:23]
	v_fma_f64 v[24:25], v[22:23], v[24:25], s[8:9]
	v_fma_f64 v[24:25], v[22:23], v[24:25], s[10:11]
	;; [unrolled: 1-line block ×5, first 2 shown]
	v_mul_f64 v[20:21], v[20:21], v[24:25]
	v_add_f64 v[22:23], v[26:27], v[20:21]
	v_add_f64 v[24:25], v[22:23], -v[26:27]
	v_add_f64 v[20:21], v[20:21], -v[24:25]
	v_add_f64 v[11:12], v[11:12], v[20:21]
	v_add_f64 v[20:21], v[22:23], v[11:12]
	v_add_f64 v[22:23], v[20:21], -v[22:23]
	v_mul_f64 v[24:25], v[20:21], s[18:19]
	v_add_f64 v[11:12], v[11:12], -v[22:23]
	v_fma_f64 v[26:27], v[20:21], s[18:19], -v[24:25]
	v_cvt_f64_i32_e32 v[22:23], v8
	v_fma_f64 v[11:12], v[11:12], s[18:19], v[26:27]
	v_fma_f64 v[11:12], v[20:21], s[20:21], v[11:12]
	v_add_f64 v[20:21], v[24:25], v[11:12]
	v_add_f64 v[24:25], v[20:21], -v[24:25]
	v_add_f64 v[11:12], v[11:12], -v[24:25]
	v_add_f64 v[24:25], v[20:21], v[22:23]
	v_add_f64 v[26:27], v[24:25], -v[22:23]
	v_add_f64 v[28:29], v[26:27], -v[24:25]
	v_add_f64 v[20:21], v[20:21], -v[26:27]
	v_add_f64 v[22:23], v[28:29], v[22:23]
	v_add_f64 v[20:21], v[20:21], v[22:23]
	;; [unrolled: 1-line block ×4, first 2 shown]
	v_cndmask_b32_e32 v8, v11, v9, vcc
	v_cndmask_b32_e32 v11, v12, v10, vcc
	v_cmp_ngt_f64_e32 vcc, 0, v[9:10]
	v_frexp_exp_i32_f64_e32 v12, v[2:3]
	v_cndmask_b32_e32 v11, v18, v11, vcc
	v_cmp_nge_f64_e32 vcc, 0, v[9:10]
	v_cndmask_b32_e32 v8, 0, v8, vcc
	v_cmp_neq_f64_e32 vcc, 0, v[9:10]
	v_cndmask_b32_e32 v9, v19, v11, vcc
	v_frexp_mant_f64_e32 v[10:11], v[2:3]
	v_cmp_gt_f64_e32 vcc, s[4:5], v[10:11]
	v_cndmask_b32_e64 v13, 0, 1, vcc
	v_ldexp_f64 v[10:11], v[10:11], v13
	v_subbrev_co_u32_e32 v30, vcc, 0, v12, vcc
	v_cmp_class_f64_e64 vcc, v[2:3], s24
	v_add_f64 v[20:21], v[10:11], 1.0
	v_add_f64 v[12:13], v[10:11], -1.0
	v_add_f64 v[22:23], v[20:21], -1.0
	v_add_f64 v[10:11], v[10:11], -v[22:23]
	v_rcp_f64_e32 v[22:23], v[20:21]
	v_fma_f64 v[24:25], -v[20:21], v[22:23], 1.0
	v_fma_f64 v[22:23], v[24:25], v[22:23], v[22:23]
	v_fma_f64 v[24:25], -v[20:21], v[22:23], 1.0
	v_fma_f64 v[22:23], v[24:25], v[22:23], v[22:23]
	v_mul_f64 v[24:25], v[12:13], v[22:23]
	v_mul_f64 v[26:27], v[20:21], v[24:25]
	v_fma_f64 v[20:21], v[24:25], v[20:21], -v[26:27]
	v_fma_f64 v[10:11], v[24:25], v[10:11], v[20:21]
	v_add_f64 v[20:21], v[26:27], v[10:11]
	v_add_f64 v[28:29], v[12:13], -v[20:21]
	v_add_f64 v[26:27], v[20:21], -v[26:27]
	;; [unrolled: 1-line block ×5, first 2 shown]
	v_add_f64 v[10:11], v[10:11], v[12:13]
	v_add_f64 v[10:11], v[28:29], v[10:11]
	v_mul_f64 v[10:11], v[22:23], v[10:11]
	v_add_f64 v[12:13], v[24:25], v[10:11]
	v_add_f64 v[20:21], v[12:13], -v[24:25]
	v_ldexp_f64 v[24:25], v[12:13], 1
	v_add_f64 v[10:11], v[10:11], -v[20:21]
	v_mul_f64 v[20:21], v[12:13], v[12:13]
	v_ldexp_f64 v[10:11], v[10:11], 1
	v_fma_f64 v[22:23], v[20:21], s[6:7], v[16:17]
	v_mul_f64 v[12:13], v[12:13], v[20:21]
	v_fma_f64 v[22:23], v[20:21], v[22:23], s[8:9]
	v_fma_f64 v[22:23], v[20:21], v[22:23], s[10:11]
	;; [unrolled: 1-line block ×5, first 2 shown]
	v_mul_f64 v[12:13], v[12:13], v[22:23]
	v_add_f64 v[20:21], v[24:25], v[12:13]
	v_add_f64 v[22:23], v[20:21], -v[24:25]
	v_add_f64 v[12:13], v[12:13], -v[22:23]
	v_add_f64 v[10:11], v[10:11], v[12:13]
	v_add_f64 v[12:13], v[20:21], v[10:11]
	v_add_f64 v[20:21], v[12:13], -v[20:21]
	v_mul_f64 v[22:23], v[12:13], s[18:19]
	v_add_f64 v[10:11], v[10:11], -v[20:21]
	v_fma_f64 v[24:25], v[12:13], s[18:19], -v[22:23]
	v_cvt_f64_i32_e32 v[20:21], v30
	v_fma_f64 v[10:11], v[10:11], s[18:19], v[24:25]
	v_fma_f64 v[10:11], v[12:13], s[20:21], v[10:11]
	v_add_f64 v[12:13], v[22:23], v[10:11]
	v_add_f64 v[22:23], v[12:13], -v[22:23]
	v_add_f64 v[10:11], v[10:11], -v[22:23]
	v_add_f64 v[22:23], v[12:13], v[20:21]
	v_add_f64 v[24:25], v[22:23], -v[20:21]
	v_add_f64 v[26:27], v[24:25], -v[22:23]
	;; [unrolled: 1-line block ×3, first 2 shown]
	v_add_f64 v[20:21], v[26:27], v[20:21]
	v_add_f64 v[12:13], v[12:13], v[20:21]
	;; [unrolled: 1-line block ×3, first 2 shown]
	v_frexp_exp_i32_f64_e32 v12, v[4:5]
	v_add_f64 v[10:11], v[22:23], v[10:11]
	v_cndmask_b32_e32 v10, v10, v2, vcc
	v_cndmask_b32_e32 v11, v11, v3, vcc
	v_cmp_ngt_f64_e32 vcc, 0, v[2:3]
	v_cndmask_b32_e32 v11, v18, v11, vcc
	v_cmp_nge_f64_e32 vcc, 0, v[2:3]
	v_cndmask_b32_e32 v10, 0, v10, vcc
	v_cmp_neq_f64_e32 vcc, 0, v[2:3]
	v_frexp_mant_f64_e32 v[2:3], v[4:5]
	v_cndmask_b32_e32 v11, v19, v11, vcc
	v_cmp_gt_f64_e32 vcc, s[4:5], v[2:3]
	v_cndmask_b32_e64 v13, 0, 1, vcc
	v_ldexp_f64 v[2:3], v[2:3], v13
	v_subbrev_co_u32_e32 v30, vcc, 0, v12, vcc
	v_cmp_class_f64_e64 vcc, v[4:5], s24
	v_add_f64 v[20:21], v[2:3], 1.0
	v_add_f64 v[12:13], v[2:3], -1.0
	v_add_f64 v[22:23], v[20:21], -1.0
	v_add_f64 v[2:3], v[2:3], -v[22:23]
	v_rcp_f64_e32 v[22:23], v[20:21]
	v_fma_f64 v[24:25], -v[20:21], v[22:23], 1.0
	v_fma_f64 v[22:23], v[24:25], v[22:23], v[22:23]
	v_fma_f64 v[24:25], -v[20:21], v[22:23], 1.0
	v_fma_f64 v[22:23], v[24:25], v[22:23], v[22:23]
	v_mul_f64 v[24:25], v[12:13], v[22:23]
	v_mul_f64 v[26:27], v[20:21], v[24:25]
	v_fma_f64 v[20:21], v[24:25], v[20:21], -v[26:27]
	v_fma_f64 v[2:3], v[24:25], v[2:3], v[20:21]
	v_add_f64 v[20:21], v[26:27], v[2:3]
	v_add_f64 v[28:29], v[12:13], -v[20:21]
	v_add_f64 v[26:27], v[20:21], -v[26:27]
	;; [unrolled: 1-line block ×5, first 2 shown]
	v_add_f64 v[2:3], v[2:3], v[12:13]
	v_add_f64 v[2:3], v[28:29], v[2:3]
	v_mul_f64 v[2:3], v[22:23], v[2:3]
	v_add_f64 v[12:13], v[24:25], v[2:3]
	v_add_f64 v[20:21], v[12:13], -v[24:25]
	v_ldexp_f64 v[24:25], v[12:13], 1
	v_add_f64 v[2:3], v[2:3], -v[20:21]
	v_mul_f64 v[20:21], v[12:13], v[12:13]
	v_ldexp_f64 v[2:3], v[2:3], 1
	v_fma_f64 v[22:23], v[20:21], s[6:7], v[16:17]
	v_mul_f64 v[12:13], v[12:13], v[20:21]
	v_fma_f64 v[22:23], v[20:21], v[22:23], s[8:9]
	v_fma_f64 v[22:23], v[20:21], v[22:23], s[10:11]
	;; [unrolled: 1-line block ×5, first 2 shown]
	v_mul_f64 v[12:13], v[12:13], v[22:23]
	v_add_f64 v[20:21], v[24:25], v[12:13]
	v_add_f64 v[22:23], v[20:21], -v[24:25]
	v_add_f64 v[12:13], v[12:13], -v[22:23]
	v_add_f64 v[2:3], v[2:3], v[12:13]
	v_add_f64 v[12:13], v[20:21], v[2:3]
	v_add_f64 v[20:21], v[12:13], -v[20:21]
	v_mul_f64 v[22:23], v[12:13], s[18:19]
	v_add_f64 v[2:3], v[2:3], -v[20:21]
	v_fma_f64 v[24:25], v[12:13], s[18:19], -v[22:23]
	v_cvt_f64_i32_e32 v[20:21], v30
	v_fma_f64 v[2:3], v[2:3], s[18:19], v[24:25]
	v_fma_f64 v[2:3], v[12:13], s[20:21], v[2:3]
	v_add_f64 v[12:13], v[22:23], v[2:3]
	v_add_f64 v[22:23], v[12:13], -v[22:23]
	v_add_f64 v[2:3], v[2:3], -v[22:23]
	v_add_f64 v[22:23], v[12:13], v[20:21]
	v_add_f64 v[24:25], v[22:23], -v[20:21]
	v_add_f64 v[26:27], v[24:25], -v[22:23]
	;; [unrolled: 1-line block ×3, first 2 shown]
	v_add_f64 v[20:21], v[26:27], v[20:21]
	v_add_f64 v[12:13], v[12:13], v[20:21]
	;; [unrolled: 1-line block ×4, first 2 shown]
	v_cndmask_b32_e32 v2, v2, v4, vcc
	v_cndmask_b32_e32 v3, v3, v5, vcc
	v_cmp_ngt_f64_e32 vcc, 0, v[4:5]
	v_cndmask_b32_e32 v3, v18, v3, vcc
	v_cmp_nge_f64_e32 vcc, 0, v[4:5]
	v_cndmask_b32_e32 v12, 0, v2, vcc
	v_cmp_neq_f64_e32 vcc, 0, v[4:5]
	v_cndmask_b32_e32 v13, v19, v3, vcc
	v_add_co_u32_e32 v0, vcc, s22, v0
	v_addc_co_u32_e32 v1, vcc, 0, v1, vcc
	global_store_dwordx4 v[14:15], v[6:9], off offset:-16
	global_store_dwordx4 v[14:15], v[10:13], off
	v_lshlrev_b64 v[2:3], 2, v[0:1]
	v_add_co_u32_e32 v14, vcc, s23, v14
	v_addc_co_u32_e32 v15, vcc, 0, v15, vcc
	v_cmp_le_i64_e32 vcc, s[0:1], v[2:3]
	s_or_b64 s[2:3], vcc, s[2:3]
	s_andn2_b64 exec, exec, s[2:3]
	s_cbranch_execnz .LBB195_24
.LBB195_25:
	s_endpgm
	.section	.rodata,"a",@progbits
	.p2align	6, 0x0
	.amdhsa_kernel _ZN2at6native12_GLOBAL__N_125multi_tensor_apply_kernelINS1_18TensorListMetadataILi1EEENS1_14UnaryOpFunctorIdLi1ELi1ELi0EEEJNS0_4Log2IdEEEEEvT_T0_DpT1_
		.amdhsa_group_segment_fixed_size 0
		.amdhsa_private_segment_fixed_size 0
		.amdhsa_kernarg_size 3632
		.amdhsa_user_sgpr_count 6
		.amdhsa_user_sgpr_private_segment_buffer 1
		.amdhsa_user_sgpr_dispatch_ptr 0
		.amdhsa_user_sgpr_queue_ptr 0
		.amdhsa_user_sgpr_kernarg_segment_ptr 1
		.amdhsa_user_sgpr_dispatch_id 0
		.amdhsa_user_sgpr_flat_scratch_init 0
		.amdhsa_user_sgpr_private_segment_size 0
		.amdhsa_uses_dynamic_stack 0
		.amdhsa_system_sgpr_private_segment_wavefront_offset 0
		.amdhsa_system_sgpr_workgroup_id_x 1
		.amdhsa_system_sgpr_workgroup_id_y 0
		.amdhsa_system_sgpr_workgroup_id_z 0
		.amdhsa_system_sgpr_workgroup_info 0
		.amdhsa_system_vgpr_workitem_id 0
		.amdhsa_next_free_vgpr 37
		.amdhsa_next_free_sgpr 52
		.amdhsa_reserve_vcc 1
		.amdhsa_reserve_flat_scratch 0
		.amdhsa_float_round_mode_32 0
		.amdhsa_float_round_mode_16_64 0
		.amdhsa_float_denorm_mode_32 3
		.amdhsa_float_denorm_mode_16_64 3
		.amdhsa_dx10_clamp 1
		.amdhsa_ieee_mode 1
		.amdhsa_fp16_overflow 0
		.amdhsa_exception_fp_ieee_invalid_op 0
		.amdhsa_exception_fp_denorm_src 0
		.amdhsa_exception_fp_ieee_div_zero 0
		.amdhsa_exception_fp_ieee_overflow 0
		.amdhsa_exception_fp_ieee_underflow 0
		.amdhsa_exception_fp_ieee_inexact 0
		.amdhsa_exception_int_div_zero 0
	.end_amdhsa_kernel
	.section	.text._ZN2at6native12_GLOBAL__N_125multi_tensor_apply_kernelINS1_18TensorListMetadataILi1EEENS1_14UnaryOpFunctorIdLi1ELi1ELi0EEEJNS0_4Log2IdEEEEEvT_T0_DpT1_,"axG",@progbits,_ZN2at6native12_GLOBAL__N_125multi_tensor_apply_kernelINS1_18TensorListMetadataILi1EEENS1_14UnaryOpFunctorIdLi1ELi1ELi0EEEJNS0_4Log2IdEEEEEvT_T0_DpT1_,comdat
.Lfunc_end195:
	.size	_ZN2at6native12_GLOBAL__N_125multi_tensor_apply_kernelINS1_18TensorListMetadataILi1EEENS1_14UnaryOpFunctorIdLi1ELi1ELi0EEEJNS0_4Log2IdEEEEEvT_T0_DpT1_, .Lfunc_end195-_ZN2at6native12_GLOBAL__N_125multi_tensor_apply_kernelINS1_18TensorListMetadataILi1EEENS1_14UnaryOpFunctorIdLi1ELi1ELi0EEEJNS0_4Log2IdEEEEEvT_T0_DpT1_
                                        ; -- End function
	.set _ZN2at6native12_GLOBAL__N_125multi_tensor_apply_kernelINS1_18TensorListMetadataILi1EEENS1_14UnaryOpFunctorIdLi1ELi1ELi0EEEJNS0_4Log2IdEEEEEvT_T0_DpT1_.num_vgpr, 37
	.set _ZN2at6native12_GLOBAL__N_125multi_tensor_apply_kernelINS1_18TensorListMetadataILi1EEENS1_14UnaryOpFunctorIdLi1ELi1ELi0EEEJNS0_4Log2IdEEEEEvT_T0_DpT1_.num_agpr, 0
	.set _ZN2at6native12_GLOBAL__N_125multi_tensor_apply_kernelINS1_18TensorListMetadataILi1EEENS1_14UnaryOpFunctorIdLi1ELi1ELi0EEEJNS0_4Log2IdEEEEEvT_T0_DpT1_.numbered_sgpr, 52
	.set _ZN2at6native12_GLOBAL__N_125multi_tensor_apply_kernelINS1_18TensorListMetadataILi1EEENS1_14UnaryOpFunctorIdLi1ELi1ELi0EEEJNS0_4Log2IdEEEEEvT_T0_DpT1_.num_named_barrier, 0
	.set _ZN2at6native12_GLOBAL__N_125multi_tensor_apply_kernelINS1_18TensorListMetadataILi1EEENS1_14UnaryOpFunctorIdLi1ELi1ELi0EEEJNS0_4Log2IdEEEEEvT_T0_DpT1_.private_seg_size, 0
	.set _ZN2at6native12_GLOBAL__N_125multi_tensor_apply_kernelINS1_18TensorListMetadataILi1EEENS1_14UnaryOpFunctorIdLi1ELi1ELi0EEEJNS0_4Log2IdEEEEEvT_T0_DpT1_.uses_vcc, 1
	.set _ZN2at6native12_GLOBAL__N_125multi_tensor_apply_kernelINS1_18TensorListMetadataILi1EEENS1_14UnaryOpFunctorIdLi1ELi1ELi0EEEJNS0_4Log2IdEEEEEvT_T0_DpT1_.uses_flat_scratch, 0
	.set _ZN2at6native12_GLOBAL__N_125multi_tensor_apply_kernelINS1_18TensorListMetadataILi1EEENS1_14UnaryOpFunctorIdLi1ELi1ELi0EEEJNS0_4Log2IdEEEEEvT_T0_DpT1_.has_dyn_sized_stack, 0
	.set _ZN2at6native12_GLOBAL__N_125multi_tensor_apply_kernelINS1_18TensorListMetadataILi1EEENS1_14UnaryOpFunctorIdLi1ELi1ELi0EEEJNS0_4Log2IdEEEEEvT_T0_DpT1_.has_recursion, 0
	.set _ZN2at6native12_GLOBAL__N_125multi_tensor_apply_kernelINS1_18TensorListMetadataILi1EEENS1_14UnaryOpFunctorIdLi1ELi1ELi0EEEJNS0_4Log2IdEEEEEvT_T0_DpT1_.has_indirect_call, 0
	.section	.AMDGPU.csdata,"",@progbits
; Kernel info:
; codeLenInByte = 5744
; TotalNumSgprs: 56
; NumVgprs: 37
; ScratchSize: 0
; MemoryBound: 0
; FloatMode: 240
; IeeeMode: 1
; LDSByteSize: 0 bytes/workgroup (compile time only)
; SGPRBlocks: 6
; VGPRBlocks: 9
; NumSGPRsForWavesPerEU: 56
; NumVGPRsForWavesPerEU: 37
; Occupancy: 6
; WaveLimiterHint : 0
; COMPUTE_PGM_RSRC2:SCRATCH_EN: 0
; COMPUTE_PGM_RSRC2:USER_SGPR: 6
; COMPUTE_PGM_RSRC2:TRAP_HANDLER: 0
; COMPUTE_PGM_RSRC2:TGID_X_EN: 1
; COMPUTE_PGM_RSRC2:TGID_Y_EN: 0
; COMPUTE_PGM_RSRC2:TGID_Z_EN: 0
; COMPUTE_PGM_RSRC2:TIDIG_COMP_CNT: 0
	.section	.text._ZN2at6native12_GLOBAL__N_125multi_tensor_apply_kernelINS1_18TensorListMetadataILi1EEENS1_14UnaryOpFunctorIfLi1ELi1ELi0EEEJNS0_4Log2IfEEEEEvT_T0_DpT1_,"axG",@progbits,_ZN2at6native12_GLOBAL__N_125multi_tensor_apply_kernelINS1_18TensorListMetadataILi1EEENS1_14UnaryOpFunctorIfLi1ELi1ELi0EEEJNS0_4Log2IfEEEEEvT_T0_DpT1_,comdat
	.globl	_ZN2at6native12_GLOBAL__N_125multi_tensor_apply_kernelINS1_18TensorListMetadataILi1EEENS1_14UnaryOpFunctorIfLi1ELi1ELi0EEEJNS0_4Log2IfEEEEEvT_T0_DpT1_ ; -- Begin function _ZN2at6native12_GLOBAL__N_125multi_tensor_apply_kernelINS1_18TensorListMetadataILi1EEENS1_14UnaryOpFunctorIfLi1ELi1ELi0EEEJNS0_4Log2IfEEEEEvT_T0_DpT1_
	.p2align	8
	.type	_ZN2at6native12_GLOBAL__N_125multi_tensor_apply_kernelINS1_18TensorListMetadataILi1EEENS1_14UnaryOpFunctorIfLi1ELi1ELi0EEEJNS0_4Log2IfEEEEEvT_T0_DpT1_,@function
_ZN2at6native12_GLOBAL__N_125multi_tensor_apply_kernelINS1_18TensorListMetadataILi1EEENS1_14UnaryOpFunctorIfLi1ELi1ELi0EEEJNS0_4Log2IfEEEEEvT_T0_DpT1_: ; @_ZN2at6native12_GLOBAL__N_125multi_tensor_apply_kernelINS1_18TensorListMetadataILi1EEENS1_14UnaryOpFunctorIfLi1ELi1ELi0EEEJNS0_4Log2IfEEEEEvT_T0_DpT1_
; %bb.0:
	v_mov_b32_e32 v1, s6
	global_load_ubyte v1, v1, s[4:5] offset:1760
	s_add_u32 s0, s4, s6
	s_mul_hi_u32 s1, s6, 3
	s_mul_i32 s6, s6, 3
	s_addc_u32 s2, s5, 0
	s_add_u32 s0, s0, s6
	s_addc_u32 s1, s2, s1
	s_load_dword s0, s[0:1], 0x820
	s_mov_b32 s7, 0
	s_waitcnt vmcnt(0)
	v_readfirstlane_b32 s1, v1
	s_lshl_b32 s1, s1, 3
	s_load_dwordx2 s[2:3], s[4:5], s1 offset:0x370
	s_load_dwordx2 s[10:11], s[4:5], s1 offset:0x0
	s_waitcnt lgkmcnt(0)
	s_ashr_i32 s1, s0, 31
	s_lshl_b64 s[12:13], s[0:1], 18
	s_lshl_b64 s[0:1], s[0:1], 16
	s_and_b32 s6, s10, 15
	s_sub_u32 s14, s2, s0
	s_subb_u32 s15, s3, s1
	s_and_b32 s0, s2, 3
	s_mov_b32 s1, s7
	s_or_b64 s[0:1], s[6:7], s[0:1]
	s_cmp_eq_u64 s[0:1], 0
	s_cbranch_scc1 .LBB196_21
; %bb.1:
	v_cmp_lt_i64_e64 s[0:1], s[14:15], 1
	s_and_b64 vcc, exec, s[0:1]
	s_cbranch_vccnz .LBB196_20
; %bb.2:
	v_mov_b32_e32 v1, 0x10000
	s_load_dword s2, s[4:5], 0xd3c
	v_mov_b32_e32 v2, 0
	v_cmp_lt_i64_e32 vcc, s[14:15], v[1:2]
	s_mov_b64 s[20:21], 0
	s_and_b64 s[0:1], vcc, exec
	v_cmp_lt_u64_e32 vcc, s[14:15], v[1:2]
	s_cselect_b32 s17, s15, 0
	s_cselect_b32 s16, s14, 0x10000
	s_waitcnt lgkmcnt(0)
	s_and_b32 s2, s2, 0xffff
	s_and_b64 s[0:1], vcc, exec
	s_cselect_b32 s19, s15, 0
	s_cselect_b32 s18, s14, 0x10000
	s_lshl_b32 s3, s2, 1
	s_lshl_b32 s24, s2, 2
	s_add_u32 s6, s10, s12
	v_lshlrev_b32_e32 v1, 2, v0
	s_addc_u32 s7, s11, s13
	v_mov_b32_e32 v2, s7
	v_add_co_u32_e32 v1, vcc, s6, v1
	s_mul_i32 s0, s2, 3
	v_addc_co_u32_e32 v2, vcc, 0, v2, vcc
	v_add_co_u32_e32 v5, vcc, s0, v0
	v_addc_co_u32_e64 v6, s[0:1], 0, 0, vcc
	v_add_co_u32_e32 v7, vcc, s3, v0
	v_addc_co_u32_e64 v8, s[0:1], 0, 0, vcc
	v_add_co_u32_e32 v9, vcc, s2, v0
	v_lshlrev_b32_e32 v3, 2, v9
	v_addc_co_u32_e64 v10, s[0:1], 0, 0, vcc
	v_mov_b32_e32 v4, s7
	v_add_co_u32_e32 v3, vcc, s6, v3
	s_lshl_b32 s25, s2, 4
	s_mul_i32 s26, s2, 12
	s_lshl_b32 s27, s2, 3
	v_addc_co_u32_e32 v4, vcc, 0, v4, vcc
	s_mov_b32 s28, 0x800000
	v_mov_b32_e32 v11, 0x42000000
	s_branch .LBB196_4
.LBB196_3:                              ;   in Loop: Header=BB196_4 Depth=1
	s_or_b64 exec, exec, s[0:1]
	s_add_u32 s20, s20, s24
	v_add_co_u32_e32 v1, vcc, s25, v1
	s_waitcnt vmcnt(0)
	v_mov_b32_e32 v12, s16
	s_addc_u32 s21, s21, 0
	v_addc_co_u32_e32 v2, vcc, 0, v2, vcc
	v_mov_b32_e32 v13, s17
	v_cmp_lt_i64_e32 vcc, s[20:21], v[12:13]
	v_add_co_u32_e64 v3, s[0:1], s25, v3
	v_addc_co_u32_e64 v4, s[0:1], 0, v4, s[0:1]
	s_cbranch_vccz .LBB196_20
.LBB196_4:                              ; =>This Inner Loop Header: Depth=1
	v_mov_b32_e32 v13, s21
	v_add_co_u32_e32 v12, vcc, s20, v0
	v_addc_co_u32_e32 v13, vcc, 0, v13, vcc
	v_cmp_gt_u64_e32 vcc, s[18:19], v[12:13]
	v_mov_b32_e32 v13, 0
	s_and_saveexec_b64 s[0:1], vcc
	s_cbranch_execz .LBB196_6
; %bb.5:                                ;   in Loop: Header=BB196_4 Depth=1
	global_load_dword v13, v[1:2], off
.LBB196_6:                              ;   in Loop: Header=BB196_4 Depth=1
	s_or_b64 exec, exec, s[0:1]
	v_mov_b32_e32 v12, s21
	v_add_co_u32_e64 v14, s[0:1], s20, v9
	v_addc_co_u32_e64 v15, s[0:1], v10, v12, s[0:1]
	v_cmp_gt_u64_e64 s[0:1], s[18:19], v[14:15]
	v_mov_b32_e32 v12, 0
	v_mov_b32_e32 v14, 0
	s_and_saveexec_b64 s[2:3], s[0:1]
	s_cbranch_execz .LBB196_8
; %bb.7:                                ;   in Loop: Header=BB196_4 Depth=1
	global_load_dword v14, v[3:4], off
.LBB196_8:                              ;   in Loop: Header=BB196_4 Depth=1
	s_or_b64 exec, exec, s[2:3]
	v_mov_b32_e32 v16, s21
	v_add_co_u32_e64 v15, s[2:3], s20, v7
	v_addc_co_u32_e64 v16, s[2:3], v8, v16, s[2:3]
	v_cmp_gt_u64_e64 s[2:3], s[18:19], v[15:16]
	s_and_saveexec_b64 s[8:9], s[2:3]
	s_cbranch_execz .LBB196_10
; %bb.9:                                ;   in Loop: Header=BB196_4 Depth=1
	v_add_co_u32_e64 v15, s[6:7], s27, v1
	v_addc_co_u32_e64 v16, s[6:7], 0, v2, s[6:7]
	global_load_dword v12, v[15:16], off
.LBB196_10:                             ;   in Loop: Header=BB196_4 Depth=1
	s_or_b64 exec, exec, s[8:9]
	v_mov_b32_e32 v16, s21
	v_add_co_u32_e64 v15, s[6:7], s20, v5
	v_addc_co_u32_e64 v16, s[6:7], v6, v16, s[6:7]
	v_cmp_gt_u64_e64 s[6:7], s[18:19], v[15:16]
	v_mov_b32_e32 v15, 0
	s_and_saveexec_b64 s[22:23], s[6:7]
	s_cbranch_execnz .LBB196_15
; %bb.11:                               ;   in Loop: Header=BB196_4 Depth=1
	s_or_b64 exec, exec, s[22:23]
	s_and_saveexec_b64 s[8:9], vcc
	s_cbranch_execnz .LBB196_16
.LBB196_12:                             ;   in Loop: Header=BB196_4 Depth=1
	s_or_b64 exec, exec, s[8:9]
	s_and_saveexec_b64 s[8:9], s[0:1]
	s_cbranch_execnz .LBB196_17
.LBB196_13:                             ;   in Loop: Header=BB196_4 Depth=1
	s_or_b64 exec, exec, s[8:9]
	s_and_saveexec_b64 s[0:1], s[2:3]
	s_cbranch_execnz .LBB196_18
.LBB196_14:                             ;   in Loop: Header=BB196_4 Depth=1
	s_or_b64 exec, exec, s[0:1]
	s_and_saveexec_b64 s[0:1], s[6:7]
	s_cbranch_execz .LBB196_3
	s_branch .LBB196_19
.LBB196_15:                             ;   in Loop: Header=BB196_4 Depth=1
	v_add_co_u32_e64 v15, s[8:9], s26, v1
	v_addc_co_u32_e64 v16, s[8:9], 0, v2, s[8:9]
	global_load_dword v15, v[15:16], off
	s_or_b64 exec, exec, s[22:23]
	s_and_saveexec_b64 s[8:9], vcc
	s_cbranch_execz .LBB196_12
.LBB196_16:                             ;   in Loop: Header=BB196_4 Depth=1
	s_waitcnt vmcnt(0)
	v_cmp_gt_f32_e32 vcc, s28, v13
	v_cndmask_b32_e64 v17, 0, 32, vcc
	v_ldexp_f32 v13, v13, v17
	v_log_f32_e32 v13, v13
	v_cndmask_b32_e32 v16, 0, v11, vcc
	v_sub_f32_e32 v13, v13, v16
	global_store_dword v[1:2], v13, off
	s_or_b64 exec, exec, s[8:9]
	s_and_saveexec_b64 s[8:9], s[0:1]
	s_cbranch_execz .LBB196_13
.LBB196_17:                             ;   in Loop: Header=BB196_4 Depth=1
	s_waitcnt vmcnt(0)
	v_cmp_gt_f32_e32 vcc, s28, v14
	v_cndmask_b32_e64 v16, 0, 32, vcc
	v_ldexp_f32 v14, v14, v16
	v_log_f32_e32 v14, v14
	v_cndmask_b32_e32 v13, 0, v11, vcc
	v_sub_f32_e32 v13, v14, v13
	global_store_dword v[3:4], v13, off
	s_or_b64 exec, exec, s[8:9]
	s_and_saveexec_b64 s[0:1], s[2:3]
	s_cbranch_execz .LBB196_14
.LBB196_18:                             ;   in Loop: Header=BB196_4 Depth=1
	s_waitcnt vmcnt(0)
	v_cmp_gt_f32_e32 vcc, s28, v12
	v_cndmask_b32_e64 v14, 0, 32, vcc
	v_ldexp_f32 v12, v12, v14
	v_log_f32_e32 v12, v12
	v_cndmask_b32_e32 v13, 0, v11, vcc
	v_sub_f32_e32 v14, v12, v13
	v_add_co_u32_e32 v12, vcc, s27, v1
	v_addc_co_u32_e32 v13, vcc, 0, v2, vcc
	global_store_dword v[12:13], v14, off
	s_or_b64 exec, exec, s[0:1]
	s_and_saveexec_b64 s[0:1], s[6:7]
	s_cbranch_execz .LBB196_3
.LBB196_19:                             ;   in Loop: Header=BB196_4 Depth=1
	s_waitcnt vmcnt(0)
	v_cmp_gt_f32_e32 vcc, s28, v15
	v_cndmask_b32_e64 v13, 0, 32, vcc
	v_ldexp_f32 v13, v15, v13
	v_log_f32_e32 v13, v13
	v_cndmask_b32_e32 v12, 0, v11, vcc
	v_sub_f32_e32 v14, v13, v12
	v_add_co_u32_e32 v12, vcc, s26, v1
	v_addc_co_u32_e32 v13, vcc, 0, v2, vcc
	global_store_dword v[12:13], v14, off
	s_branch .LBB196_3
.LBB196_20:
	s_cbranch_execz .LBB196_22
	s_branch .LBB196_25
.LBB196_21:
.LBB196_22:
	v_mov_b32_e32 v1, 0x10000
	v_mov_b32_e32 v2, 0
	v_cmp_lt_i64_e32 vcc, s[14:15], v[1:2]
	v_mov_b32_e32 v2, 0
	s_and_b64 s[0:1], vcc, exec
	s_cselect_b32 s7, s15, 0
	s_cselect_b32 s6, s14, 0x10000
	v_lshlrev_b32_e32 v1, 2, v0
	v_cmp_gt_i64_e32 vcc, s[6:7], v[1:2]
	s_and_saveexec_b64 s[0:1], vcc
	s_cbranch_execz .LBB196_25
; %bb.23:
	s_load_dword s0, s[4:5], 0xd3c
	v_mov_b32_e32 v1, v2
	v_lshlrev_b32_e32 v2, 4, v0
	s_mov_b64 s[8:9], 0
	v_mov_b32_e32 v4, 0x42000000
	s_waitcnt lgkmcnt(0)
	s_and_b32 s14, s0, 0xffff
	s_add_u32 s0, s10, s12
	s_addc_u32 s1, s11, s13
	v_mov_b32_e32 v3, s1
	v_add_co_u32_e32 v2, vcc, s0, v2
	v_addc_co_u32_e32 v3, vcc, 0, v3, vcc
	v_add_co_u32_e32 v2, vcc, 8, v2
	v_addc_co_u32_e32 v3, vcc, 0, v3, vcc
	s_lshl_b32 s10, s14, 4
	s_mov_b32 s11, 0x800000
.LBB196_24:                             ; =>This Inner Loop Header: Depth=1
	global_load_dwordx4 v[5:8], v[2:3], off offset:-8
	v_add_co_u32_e32 v0, vcc, s14, v0
	v_addc_co_u32_e32 v1, vcc, 0, v1, vcc
	v_lshlrev_b64 v[9:10], 2, v[0:1]
	v_cmp_le_i64_e32 vcc, s[6:7], v[9:10]
	s_or_b64 s[8:9], vcc, s[8:9]
	s_waitcnt vmcnt(0)
	v_cmp_gt_f32_e32 vcc, s11, v5
	v_cmp_gt_f32_e64 s[0:1], s11, v6
	v_cmp_gt_f32_e64 s[2:3], s11, v7
	;; [unrolled: 1-line block ×3, first 2 shown]
	v_cndmask_b32_e64 v13, 0, 32, vcc
	v_cndmask_b32_e64 v14, 0, 32, s[0:1]
	v_cndmask_b32_e64 v15, 0, 32, s[2:3]
	v_cndmask_b32_e64 v16, 0, 32, s[4:5]
	v_ldexp_f32 v5, v5, v13
	v_ldexp_f32 v6, v6, v14
	;; [unrolled: 1-line block ×4, first 2 shown]
	v_log_f32_e32 v5, v5
	v_log_f32_e32 v6, v6
	v_log_f32_e32 v7, v7
	v_log_f32_e32 v8, v8
	v_cndmask_b32_e32 v9, 0, v4, vcc
	v_cndmask_b32_e64 v10, 0, v4, s[0:1]
	v_cndmask_b32_e64 v11, 0, v4, s[2:3]
	;; [unrolled: 1-line block ×3, first 2 shown]
	v_sub_f32_e32 v5, v5, v9
	v_sub_f32_e32 v6, v6, v10
	;; [unrolled: 1-line block ×4, first 2 shown]
	global_store_dwordx4 v[2:3], v[5:8], off offset:-8
	v_add_co_u32_e32 v2, vcc, s10, v2
	v_addc_co_u32_e32 v3, vcc, 0, v3, vcc
	s_andn2_b64 exec, exec, s[8:9]
	s_cbranch_execnz .LBB196_24
.LBB196_25:
	s_endpgm
	.section	.rodata,"a",@progbits
	.p2align	6, 0x0
	.amdhsa_kernel _ZN2at6native12_GLOBAL__N_125multi_tensor_apply_kernelINS1_18TensorListMetadataILi1EEENS1_14UnaryOpFunctorIfLi1ELi1ELi0EEEJNS0_4Log2IfEEEEEvT_T0_DpT1_
		.amdhsa_group_segment_fixed_size 0
		.amdhsa_private_segment_fixed_size 0
		.amdhsa_kernarg_size 3632
		.amdhsa_user_sgpr_count 6
		.amdhsa_user_sgpr_private_segment_buffer 1
		.amdhsa_user_sgpr_dispatch_ptr 0
		.amdhsa_user_sgpr_queue_ptr 0
		.amdhsa_user_sgpr_kernarg_segment_ptr 1
		.amdhsa_user_sgpr_dispatch_id 0
		.amdhsa_user_sgpr_flat_scratch_init 0
		.amdhsa_user_sgpr_private_segment_size 0
		.amdhsa_uses_dynamic_stack 0
		.amdhsa_system_sgpr_private_segment_wavefront_offset 0
		.amdhsa_system_sgpr_workgroup_id_x 1
		.amdhsa_system_sgpr_workgroup_id_y 0
		.amdhsa_system_sgpr_workgroup_id_z 0
		.amdhsa_system_sgpr_workgroup_info 0
		.amdhsa_system_vgpr_workitem_id 0
		.amdhsa_next_free_vgpr 18
		.amdhsa_next_free_sgpr 29
		.amdhsa_reserve_vcc 1
		.amdhsa_reserve_flat_scratch 0
		.amdhsa_float_round_mode_32 0
		.amdhsa_float_round_mode_16_64 0
		.amdhsa_float_denorm_mode_32 3
		.amdhsa_float_denorm_mode_16_64 3
		.amdhsa_dx10_clamp 1
		.amdhsa_ieee_mode 1
		.amdhsa_fp16_overflow 0
		.amdhsa_exception_fp_ieee_invalid_op 0
		.amdhsa_exception_fp_denorm_src 0
		.amdhsa_exception_fp_ieee_div_zero 0
		.amdhsa_exception_fp_ieee_overflow 0
		.amdhsa_exception_fp_ieee_underflow 0
		.amdhsa_exception_fp_ieee_inexact 0
		.amdhsa_exception_int_div_zero 0
	.end_amdhsa_kernel
	.section	.text._ZN2at6native12_GLOBAL__N_125multi_tensor_apply_kernelINS1_18TensorListMetadataILi1EEENS1_14UnaryOpFunctorIfLi1ELi1ELi0EEEJNS0_4Log2IfEEEEEvT_T0_DpT1_,"axG",@progbits,_ZN2at6native12_GLOBAL__N_125multi_tensor_apply_kernelINS1_18TensorListMetadataILi1EEENS1_14UnaryOpFunctorIfLi1ELi1ELi0EEEJNS0_4Log2IfEEEEEvT_T0_DpT1_,comdat
.Lfunc_end196:
	.size	_ZN2at6native12_GLOBAL__N_125multi_tensor_apply_kernelINS1_18TensorListMetadataILi1EEENS1_14UnaryOpFunctorIfLi1ELi1ELi0EEEJNS0_4Log2IfEEEEEvT_T0_DpT1_, .Lfunc_end196-_ZN2at6native12_GLOBAL__N_125multi_tensor_apply_kernelINS1_18TensorListMetadataILi1EEENS1_14UnaryOpFunctorIfLi1ELi1ELi0EEEJNS0_4Log2IfEEEEEvT_T0_DpT1_
                                        ; -- End function
	.set _ZN2at6native12_GLOBAL__N_125multi_tensor_apply_kernelINS1_18TensorListMetadataILi1EEENS1_14UnaryOpFunctorIfLi1ELi1ELi0EEEJNS0_4Log2IfEEEEEvT_T0_DpT1_.num_vgpr, 18
	.set _ZN2at6native12_GLOBAL__N_125multi_tensor_apply_kernelINS1_18TensorListMetadataILi1EEENS1_14UnaryOpFunctorIfLi1ELi1ELi0EEEJNS0_4Log2IfEEEEEvT_T0_DpT1_.num_agpr, 0
	.set _ZN2at6native12_GLOBAL__N_125multi_tensor_apply_kernelINS1_18TensorListMetadataILi1EEENS1_14UnaryOpFunctorIfLi1ELi1ELi0EEEJNS0_4Log2IfEEEEEvT_T0_DpT1_.numbered_sgpr, 29
	.set _ZN2at6native12_GLOBAL__N_125multi_tensor_apply_kernelINS1_18TensorListMetadataILi1EEENS1_14UnaryOpFunctorIfLi1ELi1ELi0EEEJNS0_4Log2IfEEEEEvT_T0_DpT1_.num_named_barrier, 0
	.set _ZN2at6native12_GLOBAL__N_125multi_tensor_apply_kernelINS1_18TensorListMetadataILi1EEENS1_14UnaryOpFunctorIfLi1ELi1ELi0EEEJNS0_4Log2IfEEEEEvT_T0_DpT1_.private_seg_size, 0
	.set _ZN2at6native12_GLOBAL__N_125multi_tensor_apply_kernelINS1_18TensorListMetadataILi1EEENS1_14UnaryOpFunctorIfLi1ELi1ELi0EEEJNS0_4Log2IfEEEEEvT_T0_DpT1_.uses_vcc, 1
	.set _ZN2at6native12_GLOBAL__N_125multi_tensor_apply_kernelINS1_18TensorListMetadataILi1EEENS1_14UnaryOpFunctorIfLi1ELi1ELi0EEEJNS0_4Log2IfEEEEEvT_T0_DpT1_.uses_flat_scratch, 0
	.set _ZN2at6native12_GLOBAL__N_125multi_tensor_apply_kernelINS1_18TensorListMetadataILi1EEENS1_14UnaryOpFunctorIfLi1ELi1ELi0EEEJNS0_4Log2IfEEEEEvT_T0_DpT1_.has_dyn_sized_stack, 0
	.set _ZN2at6native12_GLOBAL__N_125multi_tensor_apply_kernelINS1_18TensorListMetadataILi1EEENS1_14UnaryOpFunctorIfLi1ELi1ELi0EEEJNS0_4Log2IfEEEEEvT_T0_DpT1_.has_recursion, 0
	.set _ZN2at6native12_GLOBAL__N_125multi_tensor_apply_kernelINS1_18TensorListMetadataILi1EEENS1_14UnaryOpFunctorIfLi1ELi1ELi0EEEJNS0_4Log2IfEEEEEvT_T0_DpT1_.has_indirect_call, 0
	.section	.AMDGPU.csdata,"",@progbits
; Kernel info:
; codeLenInByte = 1268
; TotalNumSgprs: 33
; NumVgprs: 18
; ScratchSize: 0
; MemoryBound: 0
; FloatMode: 240
; IeeeMode: 1
; LDSByteSize: 0 bytes/workgroup (compile time only)
; SGPRBlocks: 4
; VGPRBlocks: 4
; NumSGPRsForWavesPerEU: 33
; NumVGPRsForWavesPerEU: 18
; Occupancy: 10
; WaveLimiterHint : 0
; COMPUTE_PGM_RSRC2:SCRATCH_EN: 0
; COMPUTE_PGM_RSRC2:USER_SGPR: 6
; COMPUTE_PGM_RSRC2:TRAP_HANDLER: 0
; COMPUTE_PGM_RSRC2:TGID_X_EN: 1
; COMPUTE_PGM_RSRC2:TGID_Y_EN: 0
; COMPUTE_PGM_RSRC2:TGID_Z_EN: 0
; COMPUTE_PGM_RSRC2:TIDIG_COMP_CNT: 0
	.section	.text._ZN2at6native12_GLOBAL__N_125multi_tensor_apply_kernelINS1_18TensorListMetadataILi1EEENS1_14UnaryOpFunctorIN3c107complexIdEELi1ELi1ELi0EEEJNS0_4Log2IS8_EEEEEvT_T0_DpT1_,"axG",@progbits,_ZN2at6native12_GLOBAL__N_125multi_tensor_apply_kernelINS1_18TensorListMetadataILi1EEENS1_14UnaryOpFunctorIN3c107complexIdEELi1ELi1ELi0EEEJNS0_4Log2IS8_EEEEEvT_T0_DpT1_,comdat
	.globl	_ZN2at6native12_GLOBAL__N_125multi_tensor_apply_kernelINS1_18TensorListMetadataILi1EEENS1_14UnaryOpFunctorIN3c107complexIdEELi1ELi1ELi0EEEJNS0_4Log2IS8_EEEEEvT_T0_DpT1_ ; -- Begin function _ZN2at6native12_GLOBAL__N_125multi_tensor_apply_kernelINS1_18TensorListMetadataILi1EEENS1_14UnaryOpFunctorIN3c107complexIdEELi1ELi1ELi0EEEJNS0_4Log2IS8_EEEEEvT_T0_DpT1_
	.p2align	8
	.type	_ZN2at6native12_GLOBAL__N_125multi_tensor_apply_kernelINS1_18TensorListMetadataILi1EEENS1_14UnaryOpFunctorIN3c107complexIdEELi1ELi1ELi0EEEJNS0_4Log2IS8_EEEEEvT_T0_DpT1_,@function
_ZN2at6native12_GLOBAL__N_125multi_tensor_apply_kernelINS1_18TensorListMetadataILi1EEENS1_14UnaryOpFunctorIN3c107complexIdEELi1ELi1ELi0EEEJNS0_4Log2IS8_EEEEEvT_T0_DpT1_: ; @_ZN2at6native12_GLOBAL__N_125multi_tensor_apply_kernelINS1_18TensorListMetadataILi1EEENS1_14UnaryOpFunctorIN3c107complexIdEELi1ELi1ELi0EEEJNS0_4Log2IS8_EEEEEvT_T0_DpT1_
; %bb.0:
	v_mov_b32_e32 v1, s6
	global_load_ubyte v1, v1, s[4:5] offset:1760
	s_add_u32 s0, s4, s6
	s_mul_hi_u32 s1, s6, 3
	s_mul_i32 s6, s6, 3
	s_addc_u32 s2, s5, 0
	s_add_u32 s0, s0, s6
	s_addc_u32 s1, s2, s1
	s_load_dword s0, s[0:1], 0x820
                                        ; implicit-def: $vgpr78 : SGPR spill to VGPR lane
	s_mov_b32 s7, 0
	s_waitcnt vmcnt(0)
	v_readfirstlane_b32 s1, v1
	s_lshl_b32 s1, s1, 3
	s_load_dwordx2 s[2:3], s[4:5], s1 offset:0x0
	v_writelane_b32 v78, s4, 0
	v_writelane_b32 v78, s5, 1
	s_load_dwordx2 s[4:5], s[4:5], s1 offset:0x370
                                        ; kill: killed $sgpr1
	s_waitcnt lgkmcnt(0)
	s_ashr_i32 s1, s0, 31
	s_lshl_b64 s[8:9], s[0:1], 20
	s_add_u32 s33, s2, s8
	s_addc_u32 s60, s3, s9
	s_lshl_b64 s[0:1], s[0:1], 16
	s_and_b32 s6, s33, 63
	s_sub_u32 s2, s4, s0
	s_subb_u32 s3, s5, s1
	s_and_b32 s0, s4, 3
	s_mov_b32 s1, s7
	s_or_b64 s[0:1], s[6:7], s[0:1]
	s_cmp_eq_u64 s[0:1], 0
	s_cbranch_scc1 .LBB197_157
; %bb.1:
	v_writelane_b32 v78, s2, 2
	v_cmp_lt_i64_e64 s[0:1], s[2:3], 1
	v_writelane_b32 v78, s3, 3
	s_and_b64 vcc, exec, s[0:1]
	s_cbranch_vccnz .LBB197_156
; %bb.2:
	v_readlane_b32 s0, v78, 0
	v_readlane_b32 s1, v78, 1
	v_mov_b32_e32 v1, 0x10000
	v_readlane_b32 s4, v78, 2
	s_load_dword s2, s[0:1], 0xd3c
	v_mov_b32_e32 v2, 0
	v_readlane_b32 s5, v78, 3
	v_cmp_lt_i64_e32 vcc, s[4:5], v[1:2]
	s_mov_b32 s26, 0x55555555
	s_and_b64 s[0:1], vcc, exec
	v_cmp_lt_u64_e32 vcc, s[4:5], v[1:2]
	s_cselect_b32 s21, s5, 0
	s_cselect_b32 s20, s4, 0x10000
	s_waitcnt lgkmcnt(0)
	s_and_b32 s61, s2, 0xffff
	s_and_b64 s[0:1], vcc, exec
	s_mov_b32 s34, 0xbf559e2b
	s_mov_b32 s36, 0xd7f4df2e
	s_mov_b32 s38, 0x16291751
	s_mov_b32 s40, 0x9b27acf1
	s_mov_b32 s42, 0x998ef7b6
	s_mov_b32 s44, 0xfefa39ef
	s_mov_b32 s46, 0x3b39803f
	s_mov_b32 s58, 0xb5e68a13
	s_mov_b32 s56, 0x69efb384
	s_mov_b32 s66, 0x6ef28734
	s_mov_b32 s68, 0x6a214619
	s_mov_b32 s70, 0x8427b883
	s_mov_b32 s72, 0x8b207f05
	s_mov_b32 s74, 0x57b87036
	s_mov_b32 s76, 0x19378e4f
	s_mov_b32 s78, 0x17e1913c
	s_mov_b32 s80, 0x92376b7d
	s_mov_b32 s82, 0x999952cc
	s_mov_b32 s84, 0x55555523
	s_mov_b32 s18, 0x54442d18
	s_mov_b32 s92, 0x8b145769
	s_mov_b32 s94, 0x652b82fe
	s_mov_b32 s28, 0
	s_mov_b32 s90, 0
	v_mov_b32_e32 v17, 0
	s_cselect_b32 s23, s5, 0
	s_cselect_b32 s22, s4, 0x10000
	s_mov_b32 s27, 0x3fe55555
	s_mov_b32 s35, 0x3fc3ab76
	;; [unrolled: 1-line block ×23, first 2 shown]
	v_mov_b32_e32 v19, 0x6b47b09a
	v_mov_b32_e32 v20, 0x3fc38538
	v_mov_b32_e32 v63, 0x7ff00000
	v_mov_b32_e32 v64, 0x7ff80000
	v_mov_b32_e32 v65, 0xfff00000
	v_mov_b32_e32 v21, 0xbd3237f4
	v_mov_b32_e32 v22, 0xbf23e260
	v_mov_b32_e32 v66, 0x54442d18
	v_mov_b32_e32 v67, 0x7f3321d2
	v_mov_b32_e32 v68, 0x3fe921fb
	v_mov_b32_e32 v69, 0x4002d97c
	s_lshl_b32 s62, s61, 1
	s_lshl_b32 s63, s61, 2
	s_brev_b32 s64, -2
	s_movk_i32 s65, 0x204
	s_mov_b64 s[88:89], 0
	s_mov_b32 s30, 0x55555780
	s_brev_b32 s29, 4
	s_brev_b32 s91, 1
	s_mov_b32 s87, 0x400921fb
	s_branch .LBB197_4
.LBB197_3:                              ;   in Loop: Header=BB197_4 Depth=1
	s_or_b64 exec, exec, s[0:1]
	s_add_u32 s88, s88, s63
	v_mov_b32_e32 v1, s20
	s_addc_u32 s89, s89, 0
	v_mov_b32_e32 v2, s21
	v_cmp_ge_i64_e32 vcc, s[88:89], v[1:2]
	s_cbranch_vccnz .LBB197_156
.LBB197_4:                              ; =>This Loop Header: Depth=1
                                        ;     Child Loop BB197_23 Depth 2
                                        ;     Child Loop BB197_57 Depth 2
	;; [unrolled: 1-line block ×4, first 2 shown]
	v_mov_b32_e32 v1, s89
	v_add_co_u32_e32 v5, vcc, s88, v0
	v_addc_co_u32_e32 v6, vcc, 0, v1, vcc
	v_cmp_gt_u64_e64 s[0:1], s[22:23], v[5:6]
	v_mov_b32_e32 v3, 0
	v_lshlrev_b64 v[23:24], 4, v[5:6]
	v_mov_b32_e32 v11, 0
	v_mov_b32_e32 v9, 0
	;; [unrolled: 1-line block ×5, first 2 shown]
	s_and_saveexec_b64 s[2:3], s[0:1]
	s_cbranch_execz .LBB197_6
; %bb.5:                                ;   in Loop: Header=BB197_4 Depth=1
	v_mov_b32_e32 v2, s60
	v_add_co_u32_e32 v1, vcc, s33, v23
	v_addc_co_u32_e32 v2, vcc, v2, v24, vcc
	global_load_dwordx4 v[9:12], v[1:2], off
.LBB197_6:                              ;   in Loop: Header=BB197_4 Depth=1
	s_or_b64 exec, exec, s[2:3]
	v_add_co_u32_e32 v1, vcc, s61, v5
	v_addc_co_u32_e32 v2, vcc, 0, v6, vcc
	v_cmp_gt_u64_e64 s[2:3], s[22:23], v[1:2]
	v_lshlrev_b64 v[25:26], 4, v[1:2]
	v_mov_b32_e32 v1, 0
	v_mov_b32_e32 v2, 0
	s_and_saveexec_b64 s[4:5], s[2:3]
	s_cbranch_execz .LBB197_8
; %bb.7:                                ;   in Loop: Header=BB197_4 Depth=1
	v_mov_b32_e32 v2, s60
	v_add_co_u32_e32 v1, vcc, s33, v25
	v_addc_co_u32_e32 v2, vcc, v2, v26, vcc
	global_load_dwordx4 v[1:4], v[1:2], off
.LBB197_8:                              ;   in Loop: Header=BB197_4 Depth=1
	s_or_b64 exec, exec, s[4:5]
	v_add_co_u32_e32 v13, vcc, s62, v5
	v_addc_co_u32_e32 v14, vcc, 0, v6, vcc
	v_cmp_gt_u64_e64 s[6:7], s[22:23], v[13:14]
	v_mov_b32_e32 v7, 0
	v_lshlrev_b64 v[27:28], 4, v[13:14]
	v_mov_b32_e32 v15, 0
	v_mov_b32_e32 v13, 0
	;; [unrolled: 1-line block ×5, first 2 shown]
	s_and_saveexec_b64 s[4:5], s[6:7]
	s_cbranch_execz .LBB197_10
; %bb.9:                                ;   in Loop: Header=BB197_4 Depth=1
	v_mov_b32_e32 v14, s60
	v_add_co_u32_e32 v13, vcc, s33, v27
	v_addc_co_u32_e32 v14, vcc, v14, v28, vcc
	global_load_dwordx4 v[13:16], v[13:14], off
.LBB197_10:                             ;   in Loop: Header=BB197_4 Depth=1
	s_or_b64 exec, exec, s[4:5]
	s_mul_i32 s4, s61, 3
	v_add_co_u32_e32 v5, vcc, s4, v5
	v_addc_co_u32_e32 v6, vcc, 0, v6, vcc
	v_cmp_gt_u64_e64 s[8:9], s[22:23], v[5:6]
	v_lshlrev_b64 v[29:30], 4, v[5:6]
	v_mov_b32_e32 v5, 0
	v_mov_b32_e32 v6, 0
	s_and_saveexec_b64 s[4:5], s[8:9]
	s_cbranch_execz .LBB197_12
; %bb.11:                               ;   in Loop: Header=BB197_4 Depth=1
	v_mov_b32_e32 v6, s60
	v_add_co_u32_e32 v5, vcc, s33, v29
	v_addc_co_u32_e32 v6, vcc, v6, v30, vcc
	global_load_dwordx4 v[5:8], v[5:6], off
.LBB197_12:                             ;   in Loop: Header=BB197_4 Depth=1
	s_or_b64 exec, exec, s[4:5]
	s_waitcnt vmcnt(0)
	v_cmp_o_f64_e32 vcc, v[9:10], v[11:12]
                                        ; implicit-def: $vgpr33_vgpr34
                                        ; implicit-def: $vgpr31_vgpr32
	s_and_saveexec_b64 s[4:5], vcc
	s_xor_b64 s[4:5], exec, s[4:5]
	s_cbranch_execz .LBB197_40
; %bb.13:                               ;   in Loop: Header=BB197_4 Depth=1
	v_cmp_lt_f64_e64 s[10:11], |v[9:10]|, |v[11:12]|
	v_and_b32_e32 v18, 0x7fffffff, v10
	v_and_b32_e32 v35, 0x7fffffff, v12
	s_mov_b32 s12, 0x85ebc8a0
	s_mov_b32 s13, 0x7fd1ccf3
	v_mov_b32_e32 v36, v11
                                        ; implicit-def: $vgpr33_vgpr34
                                        ; implicit-def: $vgpr31_vgpr32
	v_cndmask_b32_e64 v38, v35, v18, s[10:11]
	v_cndmask_b32_e64 v37, v11, v9, s[10:11]
	v_cmp_nlt_f64_e32 vcc, s[12:13], v[37:38]
	s_and_saveexec_b64 s[12:13], vcc
	s_xor_b64 s[24:25], exec, s[12:13]
	s_cbranch_execz .LBB197_37
; %bb.14:                               ;   in Loop: Header=BB197_4 Depth=1
	v_cndmask_b32_e64 v40, v18, v35, s[10:11]
	v_cndmask_b32_e64 v39, v9, v36, s[10:11]
	v_cmp_neq_f64_e32 vcc, 1.0, v[39:40]
                                        ; implicit-def: $vgpr33_vgpr34
                                        ; implicit-def: $vgpr31_vgpr32
	s_and_saveexec_b64 s[12:13], vcc
	s_xor_b64 s[48:49], exec, s[12:13]
	s_cbranch_execz .LBB197_30
; %bb.15:                               ;   in Loop: Header=BB197_4 Depth=1
	v_max_f64 v[31:32], v[37:38], v[37:38]
	v_max_f64 v[33:34], v[39:40], v[39:40]
	s_mov_b32 s12, 0x4ad4b81f
	s_mov_b32 s13, 0x358dee7a
	v_min_f64 v[35:36], v[33:34], v[31:32]
	v_max_f64 v[31:32], v[33:34], v[31:32]
                                        ; implicit-def: $vgpr33_vgpr34
	v_cmp_ngt_f64_e32 vcc, s[12:13], v[35:36]
	s_mov_b32 s12, 0xc57e649a
	s_mov_b32 s13, 0x4a511b0e
	v_cmp_nlt_f64_e64 s[12:13], s[12:13], v[31:32]
                                        ; implicit-def: $vgpr31_vgpr32
	s_and_b64 s[12:13], s[12:13], vcc
	s_and_saveexec_b64 s[14:15], s[12:13]
	s_xor_b64 s[50:51], exec, s[14:15]
	s_cbranch_execz .LBB197_27
; %bb.16:                               ;   in Loop: Header=BB197_4 Depth=1
	v_cmp_le_f64_e32 vcc, 1.0, v[39:40]
                                        ; implicit-def: $vgpr33_vgpr34
                                        ; implicit-def: $vgpr31_vgpr32
	s_and_saveexec_b64 s[12:13], vcc
	s_xor_b64 s[52:53], exec, s[12:13]
	s_cbranch_execz .LBB197_18
; %bb.17:                               ;   in Loop: Header=BB197_4 Depth=1
	v_add_f64 v[31:32], v[39:40], -1.0
	v_add_f64 v[33:34], v[39:40], 1.0
	s_mov_b32 s31, s27
	s_mov_b32 s86, s18
	;; [unrolled: 1-line block ×4, first 2 shown]
	v_cmp_class_f64_e64 s[54:55], v[11:12], s65
	v_mul_f64 v[31:32], v[31:32], v[33:34]
	v_fma_f64 v[34:35], v[37:38], v[37:38], v[31:32]
	v_add_f64 v[31:32], v[34:35], 1.0
	v_cmp_nge_f64_e64 s[14:15], -1.0, v[34:35]
	v_cmp_neq_f64_e64 s[16:17], s[16:17], v[34:35]
	v_frexp_mant_f64_e32 v[38:39], v[31:32]
	v_frexp_exp_i32_f64_e32 v18, v[31:32]
	v_add_f64 v[36:37], v[31:32], -1.0
	v_cmp_gt_f64_e32 vcc, s[26:27], v[38:39]
	v_add_f64 v[40:41], v[36:37], -v[31:32]
	v_add_f64 v[36:37], v[34:35], -v[36:37]
	v_subbrev_co_u32_e32 v18, vcc, 0, v18, vcc
	v_sub_u32_e32 v33, 0, v18
	v_ldexp_f64 v[31:32], v[31:32], v33
	v_add_f64 v[38:39], v[40:41], 1.0
	v_add_f64 v[40:41], v[31:32], 1.0
	v_add_f64 v[36:37], v[36:37], v[38:39]
	v_add_f64 v[46:47], v[31:32], -1.0
	v_add_f64 v[38:39], v[40:41], -1.0
	v_ldexp_f64 v[36:37], v[36:37], v33
	v_add_f64 v[48:49], v[46:47], 1.0
	v_add_f64 v[38:39], v[31:32], -v[38:39]
	v_add_f64 v[31:32], v[31:32], -v[48:49]
	v_add_f64 v[42:43], v[36:37], v[38:39]
	v_add_f64 v[48:49], v[36:37], v[31:32]
	;; [unrolled: 1-line block ×3, first 2 shown]
	v_rcp_f64_e32 v[44:45], v[38:39]
	v_add_f64 v[40:41], v[38:39], -v[40:41]
	v_add_f64 v[42:43], v[42:43], -v[40:41]
	v_fma_f64 v[50:51], -v[38:39], v[44:45], 1.0
	v_fma_f64 v[44:45], v[50:51], v[44:45], v[44:45]
	v_add_f64 v[50:51], v[46:47], v[48:49]
	v_fma_f64 v[31:32], -v[38:39], v[44:45], 1.0
	v_add_f64 v[46:47], v[50:51], -v[46:47]
	v_fma_f64 v[31:32], v[31:32], v[44:45], v[44:45]
	v_add_f64 v[46:47], v[48:49], -v[46:47]
	v_mul_f64 v[36:37], v[50:51], v[31:32]
	v_mul_f64 v[44:45], v[38:39], v[36:37]
	v_fma_f64 v[40:41], v[36:37], v[38:39], -v[44:45]
	v_fma_f64 v[52:53], v[36:37], v[42:43], v[40:41]
	v_add_f64 v[54:55], v[44:45], v[52:53]
	v_add_f64 v[40:41], v[50:51], -v[54:55]
	v_add_f64 v[44:45], v[54:55], -v[44:45]
	;; [unrolled: 1-line block ×5, first 2 shown]
	v_add_f64 v[46:47], v[46:47], v[48:49]
	v_max_f64 v[48:49], |v[9:10]|, |v[9:10]|
	v_add_f64 v[44:45], v[44:45], v[46:47]
	v_max_f64 v[46:47], |v[11:12]|, |v[11:12]|
	v_add_f64 v[50:51], v[40:41], v[44:45]
	v_max_f64 v[52:53], v[48:49], v[46:47]
	v_min_f64 v[46:47], v[48:49], v[46:47]
	v_mul_f64 v[48:49], v[31:32], v[50:51]
	v_add_f64 v[40:41], v[40:41], -v[50:51]
	v_div_scale_f64 v[54:55], s[12:13], v[52:53], v[52:53], v[46:47]
	s_mov_b32 s12, 0xaf56de9b
	s_mov_b32 s13, 0xbf67952d
	v_mul_f64 v[56:57], v[38:39], v[48:49]
	v_add_f64 v[40:41], v[44:45], v[40:41]
	v_fma_f64 v[38:39], v[48:49], v[38:39], -v[56:57]
	v_rcp_f64_e32 v[58:59], v[54:55]
	v_fma_f64 v[38:39], v[48:49], v[42:43], v[38:39]
	v_add_f64 v[42:43], v[56:57], v[38:39]
	v_fma_f64 v[60:61], -v[54:55], v[58:59], 1.0
	v_add_f64 v[70:71], v[50:51], -v[42:43]
	v_add_f64 v[44:45], v[42:43], -v[56:57]
	v_fma_f64 v[58:59], v[58:59], v[60:61], v[58:59]
	v_div_scale_f64 v[60:61], vcc, v[46:47], v[52:53], v[46:47]
	v_add_f64 v[50:51], v[50:51], -v[70:71]
	v_add_f64 v[38:39], v[44:45], -v[38:39]
	v_fma_f64 v[72:73], -v[54:55], v[58:59], 1.0
	v_add_f64 v[44:45], v[36:37], v[48:49]
	v_add_f64 v[42:43], v[50:51], -v[42:43]
	v_fma_f64 v[50:51], v[58:59], v[72:73], v[58:59]
	v_add_f64 v[36:37], v[44:45], -v[36:37]
	v_add_f64 v[40:41], v[40:41], v[42:43]
	v_mul_f64 v[42:43], v[60:61], v[50:51]
	v_add_f64 v[36:37], v[48:49], -v[36:37]
	v_add_f64 v[38:39], v[38:39], v[40:41]
	v_fma_f64 v[40:41], -v[54:55], v[42:43], v[60:61]
	v_add_f64 v[38:39], v[70:71], v[38:39]
	v_div_fmas_f64 v[40:41], v[40:41], v[50:51], v[42:43]
	v_cmp_gt_i32_e32 vcc, 0, v10
	v_cndmask_b32_e32 v33, v68, v69, vcc
	v_mul_f64 v[31:32], v[31:32], v[38:39]
	v_add_f64 v[31:32], v[36:37], v[31:32]
	v_div_fixup_f64 v[36:37], v[40:41], v[52:53], v[46:47]
	v_add_f64 v[38:39], v[44:45], v[31:32]
	v_mul_f64 v[40:41], v[36:37], v[36:37]
	v_mul_f64 v[42:43], v[38:39], v[38:39]
	v_fma_f64 v[46:47], v[40:41], s[58:59], v[21:22]
	v_fma_f64 v[48:49], v[42:43], s[34:35], v[19:20]
	v_mul_f64 v[50:51], v[38:39], v[42:43]
	v_fma_f64 v[46:47], v[40:41], v[46:47], s[56:57]
	v_cmp_class_f64_e64 s[56:57], v[9:10], s65
	v_ashrrev_i32_e32 v9, 31, v10
	v_fma_f64 v[48:49], v[42:43], v[48:49], s[36:37]
	v_fma_f64 v[46:47], v[40:41], v[46:47], s[12:13]
	s_mov_b32 s12, 0xa595c56f
	s_mov_b32 s13, 0x3f7d6d43
	v_fma_f64 v[48:49], v[42:43], v[48:49], s[38:39]
	v_fma_f64 v[46:47], v[40:41], v[46:47], s[12:13]
	s_mov_b32 s12, 0xa57d9582
	s_mov_b32 s13, 0xbf8c6ea4
	;; [unrolled: 4-line block ×4, first 2 shown]
	v_fma_f64 v[42:43], v[42:43], v[48:49], s[30:31]
	v_ldexp_f64 v[48:49], v[38:39], 1
	v_fma_f64 v[46:47], v[40:41], v[46:47], s[12:13]
	s_mov_b32 s12, 0x5711927a
	s_mov_b32 s13, 0x3fa2c15b
	v_add_f64 v[38:39], v[38:39], -v[44:45]
	v_mul_f64 v[42:43], v[50:51], v[42:43]
	v_cvt_f64_i32_e32 v[50:51], v18
	v_fma_f64 v[46:47], v[40:41], v[46:47], s[12:13]
	s_mov_b32 s12, 0xe82d3ff0
	s_mov_b32 s13, 0xbfa59976
	v_mul_f64 v[52:53], v[50:51], s[44:45]
	v_add_f64 v[31:32], v[31:32], -v[38:39]
	v_cndmask_b32_e32 v18, v66, v67, vcc
	v_add_f64 v[44:45], v[48:49], v[42:43]
	v_fma_f64 v[46:47], v[40:41], v[46:47], s[12:13]
	v_cmp_eq_f64_e64 s[12:13], 0, v[11:12]
	v_ldexp_f64 v[31:32], v[31:32], 1
	v_add_f64 v[38:39], v[44:45], -v[48:49]
	v_fma_f64 v[48:49], v[50:51], s[44:45], -v[52:53]
	v_fma_f64 v[46:47], v[40:41], v[46:47], s[66:67]
	v_add_f64 v[38:39], v[42:43], -v[38:39]
	v_fma_f64 v[42:43], v[40:41], v[46:47], s[68:69]
	v_fma_f64 v[46:47], v[50:51], s[46:47], v[48:49]
	v_add_f64 v[31:32], v[31:32], v[38:39]
	v_fma_f64 v[38:39], v[40:41], v[42:43], s[70:71]
	v_add_f64 v[42:43], v[52:53], v[46:47]
	v_add_f64 v[48:49], v[44:45], v[31:32]
	v_fma_f64 v[38:39], v[40:41], v[38:39], s[72:73]
	v_add_f64 v[52:53], v[42:43], -v[52:53]
	v_add_f64 v[50:51], v[42:43], v[48:49]
	v_add_f64 v[44:45], v[48:49], -v[44:45]
	v_fma_f64 v[38:39], v[40:41], v[38:39], s[74:75]
	v_add_f64 v[46:47], v[46:47], -v[52:53]
	v_add_f64 v[54:55], v[50:51], -v[42:43]
	;; [unrolled: 1-line block ×3, first 2 shown]
	v_fma_f64 v[38:39], v[40:41], v[38:39], s[76:77]
	v_add_f64 v[56:57], v[50:51], -v[54:55]
	v_add_f64 v[44:45], v[48:49], -v[54:55]
	v_fma_f64 v[38:39], v[40:41], v[38:39], s[78:79]
	v_add_f64 v[48:49], v[46:47], v[31:32]
	v_add_f64 v[42:43], v[42:43], -v[56:57]
	v_fma_f64 v[38:39], v[40:41], v[38:39], s[80:81]
	v_add_f64 v[42:43], v[44:45], v[42:43]
	;; [unrolled: 3-line block ×3, first 2 shown]
	v_add_f64 v[48:49], v[48:49], -v[44:45]
	v_fma_f64 v[38:39], v[40:41], v[38:39], s[84:85]
	v_add_f64 v[31:32], v[31:32], -v[44:45]
	v_add_f64 v[52:53], v[50:51], v[42:43]
	v_mul_f64 v[38:39], v[40:41], v[38:39]
	v_add_f64 v[40:41], v[46:47], -v[48:49]
	v_add_f64 v[44:45], v[52:53], -v[50:51]
	v_fma_f64 v[36:37], v[36:37], v[38:39], v[36:37]
	v_add_f64 v[31:32], v[31:32], v[40:41]
	v_add_f64 v[38:39], v[42:43], -v[44:45]
	v_add_f64 v[40:41], -v[36:37], s[18:19]
	v_add_f64 v[31:32], v[31:32], v[38:39]
	v_cndmask_b32_e64 v37, v37, v41, s[10:11]
	v_cndmask_b32_e64 v36, v36, v40, s[10:11]
	v_add_f64 v[38:39], -v[36:37], s[86:87]
	v_and_b32_e32 v40, 0x54442d18, v9
	v_add_f64 v[31:32], v[52:53], v[31:32]
	v_cndmask_b32_e32 v36, v36, v38, vcc
	v_and_b32_e32 v38, 0x400921fb, v9
	v_cndmask_b32_e64 v36, v36, v40, s[12:13]
	v_mul_f64 v[9:10], v[31:32], 0.5
	v_cndmask_b32_e32 v32, v37, v39, vcc
	v_cndmask_b32_e64 v32, v32, v38, s[12:13]
	s_and_b64 s[12:13], s[14:15], s[16:17]
	v_bfi_b32 v31, s64, v33, v12
	s_and_b64 vcc, s[54:55], s[56:57]
	s_mov_b32 s56, 0x69efb384
	s_mov_b32 s57, 0x3f4b2bb0
	v_cndmask_b32_e64 v33, 0, v9, s[12:13]
	v_cmp_ngt_f64_e64 s[12:13], -1.0, v[34:35]
	v_cndmask_b32_e64 v10, v63, v10, s[16:17]
	v_cndmask_b32_e32 v32, v32, v31, vcc
	v_cndmask_b32_e32 v31, v36, v18, vcc
                                        ; implicit-def: $vgpr37_vgpr38
                                        ; implicit-def: $vgpr39_vgpr40
	v_cndmask_b32_e64 v9, v64, v10, s[12:13]
	v_cmp_neq_f64_e64 s[12:13], -1.0, v[34:35]
	v_cndmask_b32_e64 v34, v65, v9, s[12:13]
.LBB197_18:                             ;   in Loop: Header=BB197_4 Depth=1
	s_andn2_saveexec_b64 s[52:53], s[52:53]
	s_cbranch_execz .LBB197_26
; %bb.19:                               ;   in Loop: Header=BB197_4 Depth=1
	v_mul_f64 v[31:32], v[37:38], v[37:38]
	s_mov_b32 s12, 0x66666666
	s_mov_b32 s13, 0x3fe66666
                                        ; implicit-def: $vgpr33_vgpr34
	v_fma_f64 v[35:36], v[39:40], v[39:40], v[31:32]
                                        ; implicit-def: $vgpr31_vgpr32
	v_cmp_ge_f64_e32 vcc, s[12:13], v[35:36]
	s_and_saveexec_b64 s[12:13], vcc
	s_xor_b64 s[16:17], exec, s[12:13]
	s_cbranch_execz .LBB197_21
; %bb.20:                               ;   in Loop: Header=BB197_4 Depth=1
	v_frexp_mant_f64_e32 v[31:32], v[35:36]
	v_max_f64 v[41:42], |v[11:12]|, |v[11:12]|
	v_max_f64 v[43:44], |v[9:10]|, |v[9:10]|
	s_mov_b32 s31, s27
	s_mov_b32 s86, s18
	v_cmp_class_f64_e64 s[54:55], v[11:12], s65
	v_cmp_gt_f64_e64 s[12:13], s[26:27], v[31:32]
	v_cndmask_b32_e64 v18, 0, 1, s[12:13]
	v_ldexp_f64 v[31:32], v[31:32], v18
	v_frexp_exp_i32_f64_e32 v18, v[35:36]
	v_add_f64 v[33:34], v[31:32], 1.0
	v_add_f64 v[47:48], v[31:32], -1.0
	v_rcp_f64_e32 v[37:38], v[33:34]
	v_add_f64 v[51:52], v[33:34], -1.0
	v_add_f64 v[31:32], v[31:32], -v[51:52]
	v_fma_f64 v[39:40], -v[33:34], v[37:38], 1.0
	v_fma_f64 v[37:38], v[39:40], v[37:38], v[37:38]
	v_max_f64 v[39:40], v[43:44], v[41:42]
	v_min_f64 v[41:42], v[43:44], v[41:42]
	v_fma_f64 v[43:44], -v[33:34], v[37:38], 1.0
	v_div_scale_f64 v[45:46], s[14:15], v[39:40], v[39:40], v[41:42]
	s_mov_b32 s14, 0xaf56de9b
	s_mov_b32 s15, 0xbf67952d
	v_fma_f64 v[37:38], v[43:44], v[37:38], v[37:38]
	v_mul_f64 v[43:44], v[47:48], v[37:38]
	v_rcp_f64_e32 v[49:50], v[45:46]
	v_mul_f64 v[53:54], v[33:34], v[43:44]
	v_fma_f64 v[33:34], v[43:44], v[33:34], -v[53:54]
	v_fma_f64 v[51:52], -v[45:46], v[49:50], 1.0
	v_fma_f64 v[31:32], v[43:44], v[31:32], v[33:34]
	v_fma_f64 v[33:34], v[49:50], v[51:52], v[49:50]
	v_div_scale_f64 v[51:52], vcc, v[41:42], v[39:40], v[41:42]
	v_add_f64 v[49:50], v[53:54], v[31:32]
	v_fma_f64 v[55:56], -v[45:46], v[33:34], 1.0
	v_add_f64 v[57:58], v[47:48], -v[49:50]
	v_add_f64 v[53:54], v[49:50], -v[53:54]
	v_fma_f64 v[33:34], v[33:34], v[55:56], v[33:34]
	v_add_f64 v[47:48], v[47:48], -v[57:58]
	v_add_f64 v[31:32], v[53:54], -v[31:32]
	v_mul_f64 v[55:56], v[51:52], v[33:34]
	v_add_f64 v[47:48], v[47:48], -v[49:50]
	v_fma_f64 v[45:46], -v[45:46], v[55:56], v[51:52]
	v_add_f64 v[31:32], v[31:32], v[47:48]
	v_div_fmas_f64 v[33:34], v[45:46], v[33:34], v[55:56]
	v_subbrev_co_u32_e64 v18, vcc, 0, v18, s[12:13]
	s_mov_b32 s12, 0xe82d3ff0
	s_mov_b32 s13, 0xbfa59976
	v_cmp_gt_i32_e32 vcc, 0, v10
	v_add_f64 v[31:32], v[57:58], v[31:32]
	v_mul_f64 v[31:32], v[37:38], v[31:32]
	v_div_fixup_f64 v[33:34], v[33:34], v[39:40], v[41:42]
	v_add_f64 v[37:38], v[43:44], v[31:32]
	v_mul_f64 v[39:40], v[33:34], v[33:34]
	v_mul_f64 v[41:42], v[37:38], v[37:38]
	v_fma_f64 v[45:46], v[39:40], s[58:59], v[21:22]
	v_fma_f64 v[47:48], v[41:42], s[34:35], v[19:20]
	v_mul_f64 v[49:50], v[37:38], v[41:42]
	v_fma_f64 v[45:46], v[39:40], v[45:46], s[56:57]
	v_cmp_class_f64_e64 s[56:57], v[9:10], s65
	v_ashrrev_i32_e32 v9, 31, v10
	v_fma_f64 v[47:48], v[41:42], v[47:48], s[36:37]
	v_fma_f64 v[45:46], v[39:40], v[45:46], s[14:15]
	s_mov_b32 s14, 0xa595c56f
	s_mov_b32 s15, 0x3f7d6d43
	v_fma_f64 v[47:48], v[41:42], v[47:48], s[38:39]
	v_fma_f64 v[45:46], v[39:40], v[45:46], s[14:15]
	s_mov_b32 s14, 0xa57d9582
	s_mov_b32 s15, 0xbf8c6ea4
	;; [unrolled: 4-line block ×4, first 2 shown]
	v_fma_f64 v[41:42], v[41:42], v[47:48], s[30:31]
	v_ldexp_f64 v[47:48], v[37:38], 1
	v_fma_f64 v[45:46], v[39:40], v[45:46], s[14:15]
	s_mov_b32 s14, 0x5711927a
	s_mov_b32 s15, 0x3fa2c15b
	v_add_f64 v[37:38], v[37:38], -v[43:44]
	v_mul_f64 v[41:42], v[49:50], v[41:42]
	v_cvt_f64_i32_e32 v[49:50], v18
	v_fma_f64 v[45:46], v[39:40], v[45:46], s[14:15]
	v_cmp_neq_f64_e64 s[14:15], 0, v[35:36]
	v_cndmask_b32_e32 v18, v66, v67, vcc
	v_mul_f64 v[51:52], v[49:50], s[44:45]
	v_add_f64 v[31:32], v[31:32], -v[37:38]
	v_add_f64 v[43:44], v[47:48], v[41:42]
	v_fma_f64 v[45:46], v[39:40], v[45:46], s[12:13]
	v_cmp_eq_f64_e64 s[12:13], 0, v[11:12]
	v_ldexp_f64 v[31:32], v[31:32], 1
	v_add_f64 v[37:38], v[43:44], -v[47:48]
	v_fma_f64 v[47:48], v[49:50], s[44:45], -v[51:52]
	v_fma_f64 v[45:46], v[39:40], v[45:46], s[66:67]
	v_add_f64 v[37:38], v[41:42], -v[37:38]
	v_fma_f64 v[41:42], v[39:40], v[45:46], s[68:69]
	v_fma_f64 v[45:46], v[49:50], s[46:47], v[47:48]
	v_add_f64 v[31:32], v[31:32], v[37:38]
	v_fma_f64 v[37:38], v[39:40], v[41:42], s[70:71]
	v_add_f64 v[41:42], v[51:52], v[45:46]
	v_add_f64 v[47:48], v[43:44], v[31:32]
	v_fma_f64 v[37:38], v[39:40], v[37:38], s[72:73]
	v_add_f64 v[51:52], v[41:42], -v[51:52]
	v_add_f64 v[49:50], v[41:42], v[47:48]
	v_add_f64 v[43:44], v[47:48], -v[43:44]
	v_fma_f64 v[37:38], v[39:40], v[37:38], s[74:75]
	v_add_f64 v[45:46], v[45:46], -v[51:52]
	v_add_f64 v[53:54], v[49:50], -v[41:42]
	v_add_f64 v[31:32], v[31:32], -v[43:44]
	v_fma_f64 v[37:38], v[39:40], v[37:38], s[76:77]
	v_add_f64 v[55:56], v[49:50], -v[53:54]
	v_add_f64 v[43:44], v[47:48], -v[53:54]
	v_fma_f64 v[37:38], v[39:40], v[37:38], s[78:79]
	v_add_f64 v[47:48], v[45:46], v[31:32]
	v_add_f64 v[41:42], v[41:42], -v[55:56]
	v_fma_f64 v[37:38], v[39:40], v[37:38], s[80:81]
	v_add_f64 v[41:42], v[43:44], v[41:42]
	;; [unrolled: 3-line block ×3, first 2 shown]
	v_add_f64 v[47:48], v[47:48], -v[43:44]
	v_fma_f64 v[37:38], v[39:40], v[37:38], s[84:85]
	v_add_f64 v[31:32], v[31:32], -v[43:44]
	v_add_f64 v[51:52], v[49:50], v[41:42]
	v_mul_f64 v[37:38], v[39:40], v[37:38]
	v_add_f64 v[39:40], v[45:46], -v[47:48]
	v_add_f64 v[43:44], v[51:52], -v[49:50]
	v_fma_f64 v[33:34], v[33:34], v[37:38], v[33:34]
	v_add_f64 v[31:32], v[31:32], v[39:40]
	v_add_f64 v[37:38], v[41:42], -v[43:44]
	v_add_f64 v[39:40], -v[33:34], s[18:19]
	v_add_f64 v[31:32], v[31:32], v[37:38]
	v_cndmask_b32_e64 v34, v34, v40, s[10:11]
	v_cndmask_b32_e64 v33, v33, v39, s[10:11]
	v_add_f64 v[37:38], -v[33:34], s[86:87]
	v_and_b32_e32 v39, 0x54442d18, v9
	v_and_b32_e32 v40, 0x400921fb, v9
	v_add_f64 v[31:32], v[51:52], v[31:32]
	v_cndmask_b32_e32 v33, v33, v37, vcc
	v_cndmask_b32_e32 v37, v68, v69, vcc
	v_cndmask_b32_e64 v35, v33, v39, s[12:13]
	v_mul_f64 v[9:10], v[31:32], 0.5
	v_cndmask_b32_e32 v32, v34, v38, vcc
	v_bfi_b32 v31, s64, v37, v12
	v_cndmask_b32_e64 v32, v32, v40, s[12:13]
	s_and_b64 vcc, s[54:55], s[56:57]
	s_mov_b32 s56, 0x69efb384
	s_mov_b32 s57, 0x3f4b2bb0
	v_cndmask_b32_e32 v32, v32, v31, vcc
	v_cndmask_b32_e64 v34, v65, v10, s[14:15]
	v_cndmask_b32_e64 v33, 0, v9, s[14:15]
	v_cndmask_b32_e32 v31, v35, v18, vcc
                                        ; implicit-def: $vgpr39_vgpr40
                                        ; implicit-def: $vgpr37_vgpr38
.LBB197_21:                             ;   in Loop: Header=BB197_4 Depth=1
	s_andn2_saveexec_b64 s[54:55], s[16:17]
	s_cbranch_execz .LBB197_25
; %bb.22:                               ;   in Loop: Header=BB197_4 Depth=1
	v_and_b32_e32 v18, 0x7ffffff8, v40
	v_and_b32_e32 v34, 0x7ffffff8, v38
	v_mov_b32_e32 v33, v17
	v_add_f64 v[31:32], v[39:40], -v[17:18]
	v_add_f64 v[35:36], v[37:38], -v[33:34]
	v_mov_b32_e32 v39, v17
	v_mov_b32_e32 v43, v17
	v_add_f64 v[45:46], v[17:18], v[17:18]
	v_add_f64 v[47:48], v[33:34], v[33:34]
	v_mul_f64 v[33:34], v[33:34], v[33:34]
	s_mov_b64 s[56:57], 0
	v_and_b32_e32 v40, -8, v32
	v_and_b32_e32 v44, -8, v36
	v_add_f64 v[53:54], v[31:32], -v[39:40]
	v_add_f64 v[55:56], v[35:36], -v[43:44]
	v_add_f64 v[57:58], v[39:40], v[39:40]
	v_add_f64 v[59:60], v[43:44], v[43:44]
	v_mul_f64 v[31:32], v[17:18], v[17:18]
	v_mul_f64 v[37:38], v[45:46], v[39:40]
	;; [unrolled: 1-line block ×11, first 2 shown]
.LBB197_23:                             ;   Parent Loop BB197_4 Depth=1
                                        ; =>  This Inner Loop Header: Depth=2
	v_cmp_nlt_f64_e32 vcc, v[31:32], v[33:34]
	v_cndmask_b32_e32 v56, v32, v34, vcc
	v_cndmask_b32_e32 v55, v31, v33, vcc
	v_cmp_nlt_f64_e64 s[12:13], v[55:56], v[37:38]
	v_cndmask_b32_e32 v32, v34, v32, vcc
	v_cndmask_b32_e32 v31, v33, v31, vcc
	v_cndmask_b32_e64 v58, v56, v38, s[12:13]
	v_cndmask_b32_e64 v57, v55, v37, s[12:13]
	v_cmp_nlt_f64_e64 s[14:15], v[57:58], v[35:36]
	v_cndmask_b32_e64 v34, v38, v56, s[12:13]
	v_cndmask_b32_e64 v33, v37, v55, s[12:13]
	s_and_b64 s[58:59], vcc, s[12:13]
	v_cndmask_b32_e64 v60, v58, v36, s[14:15]
	v_cndmask_b32_e64 v59, v57, v35, s[14:15]
	v_cmp_nlt_f64_e64 s[16:17], v[59:60], v[41:42]
	v_cndmask_b32_e64 v38, v36, v58, s[14:15]
	v_cndmask_b32_e64 v37, v35, v57, s[14:15]
	;; [unrolled: 1-line block ×4, first 2 shown]
	v_cmp_nlt_f64_e32 vcc, v[55:56], v[43:44]
	v_cndmask_b32_e64 v36, v42, v60, s[16:17]
	v_cndmask_b32_e64 v35, v41, v59, s[16:17]
	s_and_b64 s[16:17], s[14:15], s[16:17]
	v_cndmask_b32_e32 v58, v56, v44, vcc
	v_cndmask_b32_e32 v57, v55, v43, vcc
	v_cmp_nlt_f64_e64 s[12:13], v[57:58], v[51:52]
	v_cndmask_b32_e32 v42, v44, v56, vcc
	v_cndmask_b32_e32 v41, v43, v55, vcc
	v_cndmask_b32_e64 v56, v58, v52, s[12:13]
	v_cndmask_b32_e64 v55, v57, v51, s[12:13]
	v_cmp_nlt_f64_e64 s[14:15], v[55:56], v[49:50]
	v_cndmask_b32_e64 v44, v52, v58, s[12:13]
	v_cndmask_b32_e64 v43, v51, v57, s[12:13]
	s_and_b64 s[12:13], vcc, s[12:13]
	v_cndmask_b32_e64 v58, v56, v50, s[14:15]
	v_cndmask_b32_e64 v57, v55, v49, s[14:15]
	v_cmp_nlt_f64_e32 vcc, v[57:58], v[47:48]
	v_cndmask_b32_e64 v52, v50, v56, s[14:15]
	v_cndmask_b32_e64 v51, v49, v55, s[14:15]
	s_and_b64 s[14:15], s[12:13], s[14:15]
	v_cndmask_b32_e32 v56, v58, v48, vcc
	v_cndmask_b32_e32 v55, v57, v47, vcc
	v_cmp_nlt_f64_e64 s[12:13], v[55:56], v[45:46]
	v_cndmask_b32_e32 v50, v48, v58, vcc
	v_cndmask_b32_e32 v49, v47, v57, vcc
	s_and_b64 s[14:15], s[14:15], vcc
	v_cndmask_b32_e64 v58, v56, v46, s[12:13]
	v_cndmask_b32_e64 v57, v55, v45, s[12:13]
	v_cmp_nlt_f64_e32 vcc, v[57:58], v[39:40]
	v_cndmask_b32_e64 v48, v46, v56, s[12:13]
	v_cndmask_b32_e64 v47, v45, v55, s[12:13]
	s_and_b64 s[14:15], s[14:15], s[12:13]
	v_cndmask_b32_e32 v60, v58, v40, vcc
	v_cndmask_b32_e32 v59, v57, v39, vcc
	v_cmp_nlt_f64_e64 s[12:13], v[59:60], v[53:54]
	s_and_b64 s[14:15], s[14:15], vcc
	v_cndmask_b32_e32 v46, v40, v58, vcc
	v_cndmask_b32_e32 v45, v39, v57, vcc
	v_cndmask_b32_e64 v56, v60, v54, s[12:13]
	v_cndmask_b32_e64 v55, v59, v53, s[12:13]
	;; [unrolled: 1-line block ×4, first 2 shown]
	s_and_b64 s[12:13], s[14:15], s[12:13]
	s_and_b64 s[12:13], s[12:13], s[16:17]
	;; [unrolled: 1-line block ×3, first 2 shown]
	s_and_b64 s[12:13], exec, s[12:13]
	v_mov_b32_e32 v53, v55
	s_or_b64 s[56:57], s[12:13], s[56:57]
	v_mov_b32_e32 v54, v56
	s_andn2_b64 exec, exec, s[56:57]
	s_cbranch_execnz .LBB197_23
; %bb.24:                               ;   in Loop: Header=BB197_4 Depth=1
	s_or_b64 exec, exec, s[56:57]
	v_add_f64 v[31:32], v[31:32], -1.0
	s_mov_b32 s31, s27
	s_mov_b32 s86, s18
	s_mov_b32 s16, 0
	s_mov_b32 s17, 0x7ff00000
	v_cmp_class_f64_e64 s[58:59], v[9:10], s65
	v_cmp_class_f64_e64 s[56:57], v[11:12], s65
	v_add_f64 v[31:32], v[31:32], v[33:34]
	v_add_f64 v[31:32], v[31:32], v[37:38]
	;; [unrolled: 1-line block ×11, first 2 shown]
	v_add_f64 v[31:32], v[34:35], 1.0
	v_cmp_nge_f64_e64 s[14:15], -1.0, v[34:35]
	v_cmp_neq_f64_e64 s[16:17], s[16:17], v[34:35]
	v_frexp_mant_f64_e32 v[38:39], v[31:32]
	v_frexp_exp_i32_f64_e32 v18, v[31:32]
	v_add_f64 v[36:37], v[31:32], -1.0
	v_cmp_gt_f64_e32 vcc, s[26:27], v[38:39]
	v_add_f64 v[40:41], v[36:37], -v[31:32]
	v_add_f64 v[36:37], v[34:35], -v[36:37]
	v_subbrev_co_u32_e32 v18, vcc, 0, v18, vcc
	v_sub_u32_e32 v33, 0, v18
	v_ldexp_f64 v[31:32], v[31:32], v33
	v_add_f64 v[38:39], v[40:41], 1.0
	v_add_f64 v[40:41], v[31:32], 1.0
	v_add_f64 v[36:37], v[36:37], v[38:39]
	v_add_f64 v[46:47], v[31:32], -1.0
	v_add_f64 v[38:39], v[40:41], -1.0
	v_ldexp_f64 v[36:37], v[36:37], v33
	v_add_f64 v[48:49], v[46:47], 1.0
	v_add_f64 v[38:39], v[31:32], -v[38:39]
	v_add_f64 v[31:32], v[31:32], -v[48:49]
	v_add_f64 v[42:43], v[36:37], v[38:39]
	v_add_f64 v[48:49], v[36:37], v[31:32]
	v_add_f64 v[38:39], v[40:41], v[42:43]
	v_rcp_f64_e32 v[44:45], v[38:39]
	v_add_f64 v[40:41], v[38:39], -v[40:41]
	v_add_f64 v[42:43], v[42:43], -v[40:41]
	v_fma_f64 v[50:51], -v[38:39], v[44:45], 1.0
	v_fma_f64 v[44:45], v[50:51], v[44:45], v[44:45]
	v_add_f64 v[50:51], v[46:47], v[48:49]
	v_fma_f64 v[31:32], -v[38:39], v[44:45], 1.0
	v_add_f64 v[46:47], v[50:51], -v[46:47]
	v_fma_f64 v[31:32], v[31:32], v[44:45], v[44:45]
	v_add_f64 v[46:47], v[48:49], -v[46:47]
	v_mul_f64 v[36:37], v[50:51], v[31:32]
	v_mul_f64 v[44:45], v[38:39], v[36:37]
	v_fma_f64 v[40:41], v[36:37], v[38:39], -v[44:45]
	v_fma_f64 v[52:53], v[36:37], v[42:43], v[40:41]
	v_add_f64 v[54:55], v[44:45], v[52:53]
	v_add_f64 v[40:41], v[50:51], -v[54:55]
	v_add_f64 v[44:45], v[54:55], -v[44:45]
	;; [unrolled: 1-line block ×5, first 2 shown]
	v_add_f64 v[46:47], v[46:47], v[48:49]
	v_max_f64 v[48:49], |v[9:10]|, |v[9:10]|
	v_ashrrev_i32_e32 v9, 31, v10
	v_add_f64 v[44:45], v[44:45], v[46:47]
	v_max_f64 v[46:47], |v[11:12]|, |v[11:12]|
	v_add_f64 v[50:51], v[40:41], v[44:45]
	v_max_f64 v[52:53], v[48:49], v[46:47]
	v_min_f64 v[46:47], v[48:49], v[46:47]
	v_mul_f64 v[48:49], v[31:32], v[50:51]
	v_add_f64 v[40:41], v[40:41], -v[50:51]
	v_div_scale_f64 v[54:55], s[12:13], v[52:53], v[52:53], v[46:47]
	s_mov_b32 s12, 0xb5e68a13
	s_mov_b32 s13, 0x3eeba404
	v_mul_f64 v[56:57], v[38:39], v[48:49]
	v_add_f64 v[40:41], v[44:45], v[40:41]
	v_fma_f64 v[38:39], v[48:49], v[38:39], -v[56:57]
	v_rcp_f64_e32 v[58:59], v[54:55]
	v_fma_f64 v[38:39], v[48:49], v[42:43], v[38:39]
	v_add_f64 v[42:43], v[56:57], v[38:39]
	v_fma_f64 v[60:61], -v[54:55], v[58:59], 1.0
	v_add_f64 v[70:71], v[50:51], -v[42:43]
	v_add_f64 v[44:45], v[42:43], -v[56:57]
	v_fma_f64 v[58:59], v[58:59], v[60:61], v[58:59]
	v_div_scale_f64 v[60:61], vcc, v[46:47], v[52:53], v[46:47]
	v_add_f64 v[50:51], v[50:51], -v[70:71]
	v_add_f64 v[38:39], v[44:45], -v[38:39]
	v_fma_f64 v[72:73], -v[54:55], v[58:59], 1.0
	v_add_f64 v[44:45], v[36:37], v[48:49]
	v_add_f64 v[42:43], v[50:51], -v[42:43]
	v_fma_f64 v[50:51], v[58:59], v[72:73], v[58:59]
	v_add_f64 v[36:37], v[44:45], -v[36:37]
	v_add_f64 v[40:41], v[40:41], v[42:43]
	v_mul_f64 v[42:43], v[60:61], v[50:51]
	v_add_f64 v[36:37], v[48:49], -v[36:37]
	v_add_f64 v[38:39], v[38:39], v[40:41]
	v_fma_f64 v[40:41], -v[54:55], v[42:43], v[60:61]
	v_add_f64 v[38:39], v[70:71], v[38:39]
	v_div_fmas_f64 v[40:41], v[40:41], v[50:51], v[42:43]
	v_cmp_gt_i32_e32 vcc, 0, v10
	v_cndmask_b32_e32 v33, v68, v69, vcc
	v_mul_f64 v[31:32], v[31:32], v[38:39]
	v_add_f64 v[31:32], v[36:37], v[31:32]
	v_div_fixup_f64 v[36:37], v[40:41], v[52:53], v[46:47]
	v_add_f64 v[38:39], v[44:45], v[31:32]
	v_mul_f64 v[40:41], v[36:37], v[36:37]
	v_mul_f64 v[42:43], v[38:39], v[38:39]
	v_fma_f64 v[46:47], v[40:41], s[12:13], v[21:22]
	s_mov_b32 s12, 0x69efb384
	s_mov_b32 s13, 0x3f4b2bb0
	v_fma_f64 v[48:49], v[42:43], s[34:35], v[19:20]
	v_mul_f64 v[50:51], v[38:39], v[42:43]
	v_fma_f64 v[46:47], v[40:41], v[46:47], s[12:13]
	s_mov_b32 s12, 0xaf56de9b
	s_mov_b32 s13, 0xbf67952d
	v_fma_f64 v[48:49], v[42:43], v[48:49], s[36:37]
	v_fma_f64 v[46:47], v[40:41], v[46:47], s[12:13]
	s_mov_b32 s12, 0xa595c56f
	s_mov_b32 s13, 0x3f7d6d43
	v_fma_f64 v[48:49], v[42:43], v[48:49], s[38:39]
	v_fma_f64 v[46:47], v[40:41], v[46:47], s[12:13]
	s_mov_b32 s12, 0xa57d9582
	s_mov_b32 s13, 0xbf8c6ea4
	v_fma_f64 v[48:49], v[42:43], v[48:49], s[40:41]
	v_fma_f64 v[46:47], v[40:41], v[46:47], s[12:13]
	s_mov_b32 s12, 0x5f08b19f
	s_mov_b32 s13, 0x3f967e29
	v_fma_f64 v[48:49], v[42:43], v[48:49], s[42:43]
	v_fma_f64 v[46:47], v[40:41], v[46:47], s[12:13]
	s_mov_b32 s12, 0xfc27006a
	s_mov_b32 s13, 0xbf9e9ae6
	v_fma_f64 v[42:43], v[42:43], v[48:49], s[30:31]
	v_ldexp_f64 v[48:49], v[38:39], 1
	v_fma_f64 v[46:47], v[40:41], v[46:47], s[12:13]
	s_mov_b32 s12, 0x5711927a
	s_mov_b32 s13, 0x3fa2c15b
	v_add_f64 v[38:39], v[38:39], -v[44:45]
	v_mul_f64 v[42:43], v[50:51], v[42:43]
	v_cvt_f64_i32_e32 v[50:51], v18
	v_fma_f64 v[46:47], v[40:41], v[46:47], s[12:13]
	s_mov_b32 s12, 0xe82d3ff0
	s_mov_b32 s13, 0xbfa59976
	v_mul_f64 v[52:53], v[50:51], s[44:45]
	v_add_f64 v[31:32], v[31:32], -v[38:39]
	v_cndmask_b32_e32 v18, v66, v67, vcc
	v_add_f64 v[44:45], v[48:49], v[42:43]
	v_fma_f64 v[46:47], v[40:41], v[46:47], s[12:13]
	v_cmp_eq_f64_e64 s[12:13], 0, v[11:12]
	v_ldexp_f64 v[31:32], v[31:32], 1
	v_add_f64 v[38:39], v[44:45], -v[48:49]
	v_fma_f64 v[48:49], v[50:51], s[44:45], -v[52:53]
	v_fma_f64 v[46:47], v[40:41], v[46:47], s[66:67]
	v_add_f64 v[38:39], v[42:43], -v[38:39]
	v_fma_f64 v[42:43], v[40:41], v[46:47], s[68:69]
	v_fma_f64 v[46:47], v[50:51], s[46:47], v[48:49]
	v_add_f64 v[31:32], v[31:32], v[38:39]
	v_fma_f64 v[38:39], v[40:41], v[42:43], s[70:71]
	v_add_f64 v[42:43], v[52:53], v[46:47]
	v_add_f64 v[48:49], v[44:45], v[31:32]
	v_fma_f64 v[38:39], v[40:41], v[38:39], s[72:73]
	v_add_f64 v[52:53], v[42:43], -v[52:53]
	v_add_f64 v[50:51], v[42:43], v[48:49]
	v_add_f64 v[44:45], v[48:49], -v[44:45]
	v_fma_f64 v[38:39], v[40:41], v[38:39], s[74:75]
	v_add_f64 v[46:47], v[46:47], -v[52:53]
	v_add_f64 v[54:55], v[50:51], -v[42:43]
	;; [unrolled: 1-line block ×3, first 2 shown]
	v_fma_f64 v[38:39], v[40:41], v[38:39], s[76:77]
	v_add_f64 v[56:57], v[50:51], -v[54:55]
	v_add_f64 v[44:45], v[48:49], -v[54:55]
	v_fma_f64 v[38:39], v[40:41], v[38:39], s[78:79]
	v_add_f64 v[48:49], v[46:47], v[31:32]
	v_add_f64 v[42:43], v[42:43], -v[56:57]
	v_fma_f64 v[38:39], v[40:41], v[38:39], s[80:81]
	v_add_f64 v[42:43], v[44:45], v[42:43]
	;; [unrolled: 3-line block ×3, first 2 shown]
	v_add_f64 v[48:49], v[48:49], -v[44:45]
	v_fma_f64 v[38:39], v[40:41], v[38:39], s[84:85]
	v_add_f64 v[31:32], v[31:32], -v[44:45]
	v_add_f64 v[52:53], v[50:51], v[42:43]
	v_mul_f64 v[38:39], v[40:41], v[38:39]
	v_add_f64 v[40:41], v[46:47], -v[48:49]
	v_add_f64 v[44:45], v[52:53], -v[50:51]
	v_fma_f64 v[36:37], v[36:37], v[38:39], v[36:37]
	v_add_f64 v[31:32], v[31:32], v[40:41]
	v_add_f64 v[38:39], v[42:43], -v[44:45]
	v_add_f64 v[40:41], -v[36:37], s[18:19]
	v_add_f64 v[31:32], v[31:32], v[38:39]
	v_cndmask_b32_e64 v37, v37, v41, s[10:11]
	v_cndmask_b32_e64 v36, v36, v40, s[10:11]
	v_add_f64 v[38:39], -v[36:37], s[86:87]
	v_and_b32_e32 v40, 0x54442d18, v9
	v_add_f64 v[31:32], v[52:53], v[31:32]
	v_cndmask_b32_e32 v36, v36, v38, vcc
	v_and_b32_e32 v38, 0x400921fb, v9
	v_cndmask_b32_e64 v36, v36, v40, s[12:13]
	v_mul_f64 v[9:10], v[31:32], 0.5
	v_cndmask_b32_e32 v32, v37, v39, vcc
	v_cndmask_b32_e64 v32, v32, v38, s[12:13]
	s_and_b64 s[12:13], s[14:15], s[16:17]
	v_bfi_b32 v31, s64, v33, v12
	s_and_b64 vcc, s[56:57], s[58:59]
	s_mov_b32 s56, 0x69efb384
	s_mov_b32 s58, 0xb5e68a13
	v_cndmask_b32_e64 v33, 0, v9, s[12:13]
	v_cmp_ngt_f64_e64 s[12:13], -1.0, v[34:35]
	v_cndmask_b32_e64 v10, v63, v10, s[16:17]
	s_mov_b32 s57, 0x3f4b2bb0
	s_mov_b32 s59, 0x3eeba404
	v_cndmask_b32_e32 v32, v32, v31, vcc
	v_cndmask_b32_e32 v31, v36, v18, vcc
	v_cndmask_b32_e64 v9, v64, v10, s[12:13]
	v_cmp_neq_f64_e64 s[12:13], -1.0, v[34:35]
	v_cndmask_b32_e64 v34, v65, v9, s[12:13]
.LBB197_25:                             ;   in Loop: Header=BB197_4 Depth=1
	s_or_b64 exec, exec, s[54:55]
.LBB197_26:                             ;   in Loop: Header=BB197_4 Depth=1
	s_or_b64 exec, exec, s[52:53]
.LBB197_27:                             ;   in Loop: Header=BB197_4 Depth=1
	s_andn2_saveexec_b64 s[16:17], s[50:51]
	s_cbranch_execz .LBB197_29
; %bb.28:                               ;   in Loop: Header=BB197_4 Depth=1
	v_max_f64 v[36:37], |v[11:12]|, |v[11:12]|
	v_max_f64 v[38:39], |v[9:10]|, |v[9:10]|
	v_cmp_class_f64_e64 s[50:51], v[9:10], s65
	v_cmp_class_f64_e64 s[52:53], v[11:12], s65
	s_mov_b32 s31, s27
	s_mov_b32 s86, s18
	v_max_f64 v[31:32], v[38:39], v[36:37]
	v_min_f64 v[36:37], v[38:39], v[36:37]
	v_frexp_exp_i32_f64_e32 v18, v[31:32]
	v_sub_u32_e32 v35, 0, v18
	v_ldexp_f64 v[33:34], |v[11:12]|, v35
	v_ldexp_f64 v[40:41], |v[9:10]|, v35
	v_mul_f64 v[33:34], v[33:34], v[33:34]
	v_fma_f64 v[33:34], v[40:41], v[40:41], v[33:34]
	v_rsq_f64_e32 v[40:41], v[33:34]
	v_cmp_eq_f64_e32 vcc, 0, v[33:34]
	v_mul_f64 v[42:43], v[33:34], v[40:41]
	v_mul_f64 v[40:41], v[40:41], 0.5
	v_fma_f64 v[44:45], -v[40:41], v[42:43], 0.5
	v_fma_f64 v[42:43], v[42:43], v[44:45], v[42:43]
	v_fma_f64 v[40:41], v[40:41], v[44:45], v[40:41]
	v_fma_f64 v[44:45], -v[42:43], v[42:43], v[33:34]
	v_fma_f64 v[40:41], v[44:45], v[40:41], v[42:43]
	v_cndmask_b32_e32 v34, v41, v34, vcc
	v_cndmask_b32_e32 v33, v40, v33, vcc
	v_ldexp_f64 v[33:34], v[33:34], v18
	s_or_b64 vcc, s[52:53], s[50:51]
	v_cndmask_b32_e32 v35, v34, v63, vcc
	v_cndmask_b32_e64 v34, v33, 0, vcc
	v_frexp_mant_f64_e32 v[40:41], v[34:35]
	v_cmp_gt_f64_e64 s[12:13], s[26:27], v[40:41]
	v_cndmask_b32_e64 v9, 0, 1, s[12:13]
	v_ldexp_f64 v[40:41], v[40:41], v9
	v_frexp_exp_i32_f64_e32 v9, v[34:35]
	v_add_f64 v[42:43], v[40:41], 1.0
	v_add_f64 v[48:49], v[40:41], -1.0
	v_rcp_f64_e32 v[44:45], v[42:43]
	v_add_f64 v[52:53], v[42:43], -1.0
	v_add_f64 v[40:41], v[40:41], -v[52:53]
	v_fma_f64 v[46:47], -v[42:43], v[44:45], 1.0
	v_fma_f64 v[38:39], v[46:47], v[44:45], v[44:45]
	v_div_scale_f64 v[44:45], s[14:15], v[31:32], v[31:32], v[36:37]
	s_mov_b32 s14, 0xaf56de9b
	s_mov_b32 s15, 0xbf67952d
	v_fma_f64 v[46:47], -v[42:43], v[38:39], 1.0
	v_fma_f64 v[38:39], v[46:47], v[38:39], v[38:39]
	v_rcp_f64_e32 v[46:47], v[44:45]
	v_mul_f64 v[50:51], v[48:49], v[38:39]
	v_mul_f64 v[54:55], v[42:43], v[50:51]
	v_fma_f64 v[56:57], -v[44:45], v[46:47], 1.0
	v_fma_f64 v[42:43], v[50:51], v[42:43], -v[54:55]
	v_fma_f64 v[46:47], v[46:47], v[56:57], v[46:47]
	v_fma_f64 v[40:41], v[50:51], v[40:41], v[42:43]
	v_div_scale_f64 v[42:43], vcc, v[36:37], v[31:32], v[36:37]
	v_fma_f64 v[52:53], -v[44:45], v[46:47], 1.0
	v_add_f64 v[56:57], v[54:55], v[40:41]
	v_fma_f64 v[46:47], v[46:47], v[52:53], v[46:47]
	v_add_f64 v[52:53], v[48:49], -v[56:57]
	v_add_f64 v[54:55], v[56:57], -v[54:55]
	v_mul_f64 v[58:59], v[42:43], v[46:47]
	v_add_f64 v[48:49], v[48:49], -v[52:53]
	v_add_f64 v[40:41], v[54:55], -v[40:41]
	v_fma_f64 v[42:43], -v[44:45], v[58:59], v[42:43]
	v_add_f64 v[44:45], v[48:49], -v[56:57]
	v_div_fmas_f64 v[42:43], v[42:43], v[46:47], v[58:59]
	v_subbrev_co_u32_e64 v9, vcc, 0, v9, s[12:13]
	v_cmp_eq_f64_e64 s[12:13], 0, v[11:12]
	v_cmp_gt_i32_e32 vcc, 0, v10
	v_add_f64 v[40:41], v[40:41], v[44:45]
	v_cndmask_b32_e32 v18, v66, v67, vcc
	v_add_f64 v[40:41], v[52:53], v[40:41]
	v_div_fixup_f64 v[31:32], v[42:43], v[31:32], v[36:37]
	v_mul_f64 v[36:37], v[38:39], v[40:41]
	v_mul_f64 v[38:39], v[31:32], v[31:32]
	v_add_f64 v[40:41], v[50:51], v[36:37]
	v_fma_f64 v[42:43], v[38:39], s[58:59], v[21:22]
	v_mul_f64 v[44:45], v[40:41], v[40:41]
	v_fma_f64 v[42:43], v[38:39], v[42:43], s[56:57]
	v_fma_f64 v[46:47], v[44:45], s[34:35], v[19:20]
	v_mul_f64 v[48:49], v[40:41], v[44:45]
	v_fma_f64 v[42:43], v[38:39], v[42:43], s[14:15]
	s_mov_b32 s14, 0xa595c56f
	s_mov_b32 s15, 0x3f7d6d43
	v_fma_f64 v[46:47], v[44:45], v[46:47], s[36:37]
	v_fma_f64 v[42:43], v[38:39], v[42:43], s[14:15]
	s_mov_b32 s14, 0xa57d9582
	s_mov_b32 s15, 0xbf8c6ea4
	v_fma_f64 v[46:47], v[44:45], v[46:47], s[38:39]
	;; [unrolled: 4-line block ×5, first 2 shown]
	v_ldexp_f64 v[46:47], v[40:41], 1
	v_add_f64 v[40:41], v[40:41], -v[50:51]
	v_fma_f64 v[42:43], v[38:39], v[42:43], s[14:15]
	s_mov_b32 s14, 0xe82d3ff0
	s_mov_b32 s15, 0xbfa59976
	v_cvt_f64_i32_e32 v[50:51], v9
	v_ashrrev_i32_e32 v9, 31, v10
	v_mul_f64 v[44:45], v[48:49], v[44:45]
	v_and_b32_e32 v33, 0x54442d18, v9
	v_mul_f64 v[52:53], v[50:51], s[44:45]
	v_fma_f64 v[42:43], v[38:39], v[42:43], s[14:15]
	v_add_f64 v[36:37], v[36:37], -v[40:41]
	v_cmp_class_f64_e64 s[14:15], v[34:35], s65
	v_add_f64 v[48:49], v[46:47], v[44:45]
	v_fma_f64 v[42:43], v[38:39], v[42:43], s[66:67]
	v_ldexp_f64 v[36:37], v[36:37], 1
	v_add_f64 v[40:41], v[48:49], -v[46:47]
	v_fma_f64 v[46:47], v[50:51], s[44:45], -v[52:53]
	v_fma_f64 v[42:43], v[38:39], v[42:43], s[68:69]
	v_add_f64 v[40:41], v[44:45], -v[40:41]
	v_fma_f64 v[44:45], v[50:51], s[46:47], v[46:47]
	v_fma_f64 v[42:43], v[38:39], v[42:43], s[70:71]
	v_add_f64 v[36:37], v[36:37], v[40:41]
	v_fma_f64 v[40:41], v[38:39], v[42:43], s[72:73]
	v_add_f64 v[42:43], v[52:53], v[44:45]
	v_add_f64 v[46:47], v[48:49], v[36:37]
	v_fma_f64 v[40:41], v[38:39], v[40:41], s[74:75]
	v_add_f64 v[52:53], v[42:43], -v[52:53]
	v_add_f64 v[50:51], v[42:43], v[46:47]
	v_add_f64 v[48:49], v[46:47], -v[48:49]
	v_fma_f64 v[40:41], v[38:39], v[40:41], s[76:77]
	v_add_f64 v[44:45], v[44:45], -v[52:53]
	v_add_f64 v[54:55], v[50:51], -v[42:43]
	v_add_f64 v[36:37], v[36:37], -v[48:49]
	v_fma_f64 v[40:41], v[38:39], v[40:41], s[78:79]
	v_add_f64 v[56:57], v[50:51], -v[54:55]
	v_add_f64 v[46:47], v[46:47], -v[54:55]
	v_add_f64 v[48:49], v[44:45], v[36:37]
	v_fma_f64 v[40:41], v[38:39], v[40:41], s[80:81]
	v_add_f64 v[42:43], v[42:43], -v[56:57]
	v_fma_f64 v[40:41], v[38:39], v[40:41], s[82:83]
	v_add_f64 v[42:43], v[46:47], v[42:43]
	v_add_f64 v[46:47], v[48:49], -v[44:45]
	v_fma_f64 v[40:41], v[38:39], v[40:41], s[84:85]
	v_add_f64 v[42:43], v[48:49], v[42:43]
	v_add_f64 v[36:37], v[36:37], -v[46:47]
	v_mul_f64 v[38:39], v[38:39], v[40:41]
	v_add_f64 v[40:41], v[48:49], -v[46:47]
	v_add_f64 v[48:49], v[50:51], v[42:43]
	v_fma_f64 v[31:32], v[31:32], v[38:39], v[31:32]
	v_add_f64 v[38:39], v[44:45], -v[40:41]
	v_add_f64 v[40:41], v[48:49], -v[50:51]
	v_add_f64 v[44:45], -v[31:32], s[18:19]
	v_add_f64 v[36:37], v[36:37], v[38:39]
	v_add_f64 v[38:39], v[42:43], -v[40:41]
	v_cndmask_b32_e64 v32, v32, v45, s[10:11]
	v_cndmask_b32_e64 v31, v31, v44, s[10:11]
	v_add_f64 v[40:41], -v[31:32], s[86:87]
	v_add_f64 v[36:37], v[36:37], v[38:39]
	v_and_b32_e32 v39, 0x400921fb, v9
	v_cndmask_b32_e32 v38, v68, v69, vcc
	v_cndmask_b32_e32 v31, v31, v40, vcc
	;; [unrolled: 1-line block ×3, first 2 shown]
	v_cndmask_b32_e64 v31, v31, v33, s[12:13]
	v_add_f64 v[9:10], v[48:49], v[36:37]
	v_cndmask_b32_e64 v32, v32, v39, s[12:13]
	v_cmp_ngt_f64_e64 s[12:13], 0, v[34:35]
	v_bfi_b32 v36, s64, v38, v12
	s_and_b64 vcc, s[52:53], s[50:51]
	v_cndmask_b32_e32 v32, v32, v36, vcc
	v_cndmask_b32_e32 v31, v31, v18, vcc
	v_cndmask_b32_e64 v10, v10, v35, s[14:15]
	v_cndmask_b32_e64 v9, v9, v34, s[14:15]
	;; [unrolled: 1-line block ×3, first 2 shown]
	v_cmp_nge_f64_e64 s[12:13], 0, v[34:35]
	v_cndmask_b32_e64 v33, 0, v9, s[12:13]
	v_cmp_neq_f64_e64 s[12:13], 0, v[34:35]
	v_cndmask_b32_e64 v34, v65, v10, s[12:13]
.LBB197_29:                             ;   in Loop: Header=BB197_4 Depth=1
	s_or_b64 exec, exec, s[16:17]
                                        ; implicit-def: $vgpr37_vgpr38
.LBB197_30:                             ;   in Loop: Header=BB197_4 Depth=1
	s_andn2_saveexec_b64 s[16:17], s[48:49]
	s_cbranch_execz .LBB197_36
; %bb.31:                               ;   in Loop: Header=BB197_4 Depth=1
	s_mov_b32 s12, 0x6a3f9475
	s_mov_b32 s13, 0x20ca2fe7
	v_cmp_ngt_f64_e32 vcc, s[12:13], v[37:38]
                                        ; implicit-def: $vgpr33_vgpr34
                                        ; implicit-def: $vgpr31_vgpr32
	s_and_saveexec_b64 s[12:13], vcc
	s_xor_b64 s[48:49], exec, s[12:13]
	s_cbranch_execz .LBB197_33
; %bb.32:                               ;   in Loop: Header=BB197_4 Depth=1
	v_mul_f64 v[31:32], v[37:38], v[37:38]
	s_mov_b32 s31, s27
	s_mov_b32 s86, s18
	;; [unrolled: 1-line block ×3, first 2 shown]
	v_cmp_class_f64_e64 s[50:51], v[11:12], s65
	v_cmp_class_f64_e64 s[52:53], v[9:10], s65
	s_mov_b32 s15, 0x7ff00000
	v_add_f64 v[33:34], v[31:32], 1.0
	v_cmp_neq_f64_e64 s[14:15], s[14:15], v[31:32]
	v_frexp_mant_f64_e32 v[37:38], v[33:34]
	v_frexp_exp_i32_f64_e32 v18, v[33:34]
	v_add_f64 v[35:36], v[33:34], -1.0
	v_cmp_gt_f64_e32 vcc, s[26:27], v[37:38]
	v_add_f64 v[39:40], v[35:36], -v[33:34]
	v_add_f64 v[35:36], v[31:32], -v[35:36]
	v_subbrev_co_u32_e32 v18, vcc, 0, v18, vcc
	v_sub_u32_e32 v41, 0, v18
	v_ldexp_f64 v[33:34], v[33:34], v41
	v_add_f64 v[37:38], v[39:40], 1.0
	v_add_f64 v[39:40], v[33:34], 1.0
	v_add_f64 v[35:36], v[35:36], v[37:38]
	v_add_f64 v[45:46], v[33:34], -1.0
	v_add_f64 v[37:38], v[39:40], -1.0
	v_ldexp_f64 v[35:36], v[35:36], v41
	v_add_f64 v[47:48], v[45:46], 1.0
	v_add_f64 v[37:38], v[33:34], -v[37:38]
	v_add_f64 v[33:34], v[33:34], -v[47:48]
	v_add_f64 v[41:42], v[35:36], v[37:38]
	v_add_f64 v[47:48], v[35:36], v[33:34]
	;; [unrolled: 1-line block ×3, first 2 shown]
	v_rcp_f64_e32 v[43:44], v[37:38]
	v_add_f64 v[39:40], v[39:40], -v[37:38]
	v_add_f64 v[41:42], v[41:42], v[39:40]
	v_fma_f64 v[49:50], -v[37:38], v[43:44], 1.0
	v_fma_f64 v[43:44], v[49:50], v[43:44], v[43:44]
	v_add_f64 v[49:50], v[45:46], v[47:48]
	v_fma_f64 v[33:34], -v[37:38], v[43:44], 1.0
	v_add_f64 v[45:46], v[45:46], -v[49:50]
	v_fma_f64 v[33:34], v[33:34], v[43:44], v[43:44]
	v_add_f64 v[45:46], v[47:48], v[45:46]
	v_mul_f64 v[35:36], v[49:50], v[33:34]
	v_mul_f64 v[43:44], v[37:38], v[35:36]
	v_fma_f64 v[39:40], v[35:36], v[37:38], -v[43:44]
	v_fma_f64 v[51:52], v[35:36], v[41:42], v[39:40]
	v_add_f64 v[53:54], v[43:44], v[51:52]
	v_add_f64 v[39:40], v[49:50], -v[53:54]
	v_add_f64 v[43:44], v[53:54], -v[43:44]
	;; [unrolled: 1-line block ×5, first 2 shown]
	v_add_f64 v[45:46], v[45:46], v[47:48]
	v_max_f64 v[47:48], |v[9:10]|, |v[9:10]|
	v_ashrrev_i32_e32 v9, 31, v10
	v_add_f64 v[43:44], v[43:44], v[45:46]
	v_max_f64 v[45:46], |v[11:12]|, |v[11:12]|
	v_add_f64 v[49:50], v[39:40], v[43:44]
	v_max_f64 v[51:52], v[47:48], v[45:46]
	v_min_f64 v[45:46], v[47:48], v[45:46]
	v_mul_f64 v[47:48], v[33:34], v[49:50]
	v_add_f64 v[39:40], v[39:40], -v[49:50]
	v_div_scale_f64 v[53:54], s[12:13], v[51:52], v[51:52], v[45:46]
	s_mov_b32 s12, 0xaf56de9b
	s_mov_b32 s13, 0xbf67952d
	v_mul_f64 v[55:56], v[37:38], v[47:48]
	v_add_f64 v[39:40], v[43:44], v[39:40]
	v_fma_f64 v[37:38], v[47:48], v[37:38], -v[55:56]
	v_rcp_f64_e32 v[57:58], v[53:54]
	v_fma_f64 v[37:38], v[47:48], v[41:42], v[37:38]
	v_add_f64 v[41:42], v[55:56], v[37:38]
	v_fma_f64 v[59:60], -v[53:54], v[57:58], 1.0
	v_add_f64 v[61:62], v[49:50], -v[41:42]
	v_add_f64 v[43:44], v[41:42], -v[55:56]
	v_fma_f64 v[57:58], v[57:58], v[59:60], v[57:58]
	v_div_scale_f64 v[59:60], vcc, v[45:46], v[51:52], v[45:46]
	v_add_f64 v[49:50], v[49:50], -v[61:62]
	v_add_f64 v[37:38], v[43:44], -v[37:38]
	v_fma_f64 v[70:71], -v[53:54], v[57:58], 1.0
	v_add_f64 v[43:44], v[35:36], v[47:48]
	v_add_f64 v[41:42], v[49:50], -v[41:42]
	v_fma_f64 v[49:50], v[57:58], v[70:71], v[57:58]
	v_add_f64 v[35:36], v[43:44], -v[35:36]
	v_add_f64 v[39:40], v[39:40], v[41:42]
	v_mul_f64 v[41:42], v[59:60], v[49:50]
	v_add_f64 v[35:36], v[47:48], -v[35:36]
	v_add_f64 v[37:38], v[37:38], v[39:40]
	v_fma_f64 v[39:40], -v[53:54], v[41:42], v[59:60]
	v_add_f64 v[37:38], v[61:62], v[37:38]
	v_div_fmas_f64 v[39:40], v[39:40], v[49:50], v[41:42]
	v_cmp_gt_i32_e32 vcc, 0, v10
	v_mul_f64 v[33:34], v[33:34], v[37:38]
	v_add_f64 v[33:34], v[35:36], v[33:34]
	v_div_fixup_f64 v[35:36], v[39:40], v[51:52], v[45:46]
	v_add_f64 v[37:38], v[43:44], v[33:34]
	v_mul_f64 v[39:40], v[35:36], v[35:36]
	v_mul_f64 v[41:42], v[37:38], v[37:38]
	v_fma_f64 v[45:46], v[39:40], s[58:59], v[21:22]
	v_fma_f64 v[47:48], v[41:42], s[34:35], v[19:20]
	v_mul_f64 v[49:50], v[37:38], v[41:42]
	v_fma_f64 v[45:46], v[39:40], v[45:46], s[56:57]
	v_fma_f64 v[47:48], v[41:42], v[47:48], s[36:37]
	;; [unrolled: 1-line block ×3, first 2 shown]
	s_mov_b32 s12, 0xa595c56f
	s_mov_b32 s13, 0x3f7d6d43
	v_fma_f64 v[47:48], v[41:42], v[47:48], s[38:39]
	v_fma_f64 v[45:46], v[39:40], v[45:46], s[12:13]
	s_mov_b32 s12, 0xa57d9582
	s_mov_b32 s13, 0xbf8c6ea4
	v_fma_f64 v[47:48], v[41:42], v[47:48], s[40:41]
	v_fma_f64 v[45:46], v[39:40], v[45:46], s[12:13]
	;; [unrolled: 4-line block ×3, first 2 shown]
	s_mov_b32 s12, 0xfc27006a
	s_mov_b32 s13, 0xbf9e9ae6
	v_fma_f64 v[41:42], v[41:42], v[47:48], s[30:31]
	v_ldexp_f64 v[47:48], v[37:38], 1
	v_fma_f64 v[45:46], v[39:40], v[45:46], s[12:13]
	s_mov_b32 s12, 0x5711927a
	s_mov_b32 s13, 0x3fa2c15b
	v_add_f64 v[37:38], v[37:38], -v[43:44]
	v_mul_f64 v[41:42], v[49:50], v[41:42]
	v_cvt_f64_i32_e32 v[49:50], v18
	v_fma_f64 v[45:46], v[39:40], v[45:46], s[12:13]
	s_mov_b32 s12, 0xe82d3ff0
	s_mov_b32 s13, 0xbfa59976
	v_mul_f64 v[51:52], v[49:50], s[44:45]
	v_add_f64 v[33:34], v[33:34], -v[37:38]
	v_cndmask_b32_e32 v18, v66, v67, vcc
	v_add_f64 v[43:44], v[47:48], v[41:42]
	v_fma_f64 v[45:46], v[39:40], v[45:46], s[12:13]
	v_cmp_eq_f64_e64 s[12:13], 0, v[11:12]
	v_ldexp_f64 v[33:34], v[33:34], 1
	v_add_f64 v[37:38], v[43:44], -v[47:48]
	v_fma_f64 v[47:48], v[49:50], s[44:45], -v[51:52]
	v_fma_f64 v[45:46], v[39:40], v[45:46], s[66:67]
	v_add_f64 v[37:38], v[41:42], -v[37:38]
	v_fma_f64 v[41:42], v[39:40], v[45:46], s[68:69]
	v_fma_f64 v[45:46], v[49:50], s[46:47], v[47:48]
	v_add_f64 v[33:34], v[33:34], v[37:38]
	v_fma_f64 v[37:38], v[39:40], v[41:42], s[70:71]
	v_add_f64 v[41:42], v[51:52], v[45:46]
	v_add_f64 v[47:48], v[43:44], v[33:34]
	v_fma_f64 v[37:38], v[39:40], v[37:38], s[72:73]
	v_add_f64 v[51:52], v[41:42], -v[51:52]
	v_add_f64 v[49:50], v[41:42], v[47:48]
	v_add_f64 v[43:44], v[47:48], -v[43:44]
	v_fma_f64 v[37:38], v[39:40], v[37:38], s[74:75]
	v_add_f64 v[45:46], v[45:46], -v[51:52]
	v_add_f64 v[53:54], v[49:50], -v[41:42]
	;; [unrolled: 1-line block ×3, first 2 shown]
	v_fma_f64 v[37:38], v[39:40], v[37:38], s[76:77]
	v_add_f64 v[55:56], v[49:50], -v[53:54]
	v_add_f64 v[43:44], v[47:48], -v[53:54]
	v_fma_f64 v[37:38], v[39:40], v[37:38], s[78:79]
	v_add_f64 v[47:48], v[45:46], v[33:34]
	v_add_f64 v[41:42], v[41:42], -v[55:56]
	v_fma_f64 v[37:38], v[39:40], v[37:38], s[80:81]
	v_add_f64 v[41:42], v[43:44], v[41:42]
	;; [unrolled: 3-line block ×3, first 2 shown]
	v_add_f64 v[47:48], v[47:48], -v[43:44]
	v_fma_f64 v[37:38], v[39:40], v[37:38], s[84:85]
	v_add_f64 v[33:34], v[33:34], -v[43:44]
	v_add_f64 v[51:52], v[49:50], v[41:42]
	v_mul_f64 v[37:38], v[39:40], v[37:38]
	v_add_f64 v[39:40], v[45:46], -v[47:48]
	v_add_f64 v[43:44], v[51:52], -v[49:50]
	v_fma_f64 v[35:36], v[35:36], v[37:38], v[35:36]
	v_add_f64 v[33:34], v[33:34], v[39:40]
	v_add_f64 v[37:38], v[41:42], -v[43:44]
	v_add_f64 v[39:40], -v[35:36], s[18:19]
	v_add_f64 v[33:34], v[33:34], v[37:38]
	v_cndmask_b32_e64 v36, v36, v40, s[10:11]
	v_cndmask_b32_e64 v35, v35, v39, s[10:11]
	v_add_f64 v[37:38], -v[35:36], s[86:87]
	v_and_b32_e32 v39, 0x54442d18, v9
	v_and_b32_e32 v40, 0x400921fb, v9
	v_add_f64 v[33:34], v[51:52], v[33:34]
	v_cndmask_b32_e32 v35, v35, v37, vcc
	v_cndmask_b32_e32 v37, v68, v69, vcc
	;; [unrolled: 1-line block ×3, first 2 shown]
	v_bfi_b32 v31, s64, v37, v12
	v_mul_f64 v[9:10], v[33:34], 0.5
	v_cndmask_b32_e64 v35, v35, v39, s[12:13]
	v_cndmask_b32_e64 v32, v32, v40, s[12:13]
	s_and_b64 vcc, s[50:51], s[52:53]
	v_cndmask_b32_e32 v32, v32, v31, vcc
	v_cndmask_b32_e32 v31, v35, v18, vcc
                                        ; implicit-def: $vgpr37_vgpr38
	v_cndmask_b32_e64 v34, v63, v10, s[14:15]
	v_cndmask_b32_e64 v33, 0, v9, s[14:15]
.LBB197_33:                             ;   in Loop: Header=BB197_4 Depth=1
	s_andn2_saveexec_b64 s[14:15], s[48:49]
	s_cbranch_execz .LBB197_35
; %bb.34:                               ;   in Loop: Header=BB197_4 Depth=1
	v_max_f64 v[31:32], |v[11:12]|, |v[11:12]|
	v_max_f64 v[33:34], |v[9:10]|, |v[9:10]|
	s_mov_b32 s86, s18
	v_cmp_class_f64_e64 s[48:49], v[11:12], s65
	v_cmp_class_f64_e64 s[50:51], v[9:10], s65
	v_ashrrev_i32_e32 v18, 31, v10
	v_max_f64 v[35:36], v[33:34], v[31:32]
	v_min_f64 v[31:32], v[33:34], v[31:32]
	v_div_scale_f64 v[33:34], s[12:13], v[35:36], v[35:36], v[31:32]
	s_mov_b32 s12, 0xaf56de9b
	s_mov_b32 s13, 0xbf67952d
	v_rcp_f64_e32 v[39:40], v[33:34]
	v_fma_f64 v[41:42], -v[33:34], v[39:40], 1.0
	v_fma_f64 v[39:40], v[39:40], v[41:42], v[39:40]
	v_div_scale_f64 v[41:42], vcc, v[31:32], v[35:36], v[31:32]
	v_fma_f64 v[43:44], -v[33:34], v[39:40], 1.0
	v_fma_f64 v[39:40], v[39:40], v[43:44], v[39:40]
	v_mul_f64 v[43:44], v[41:42], v[39:40]
	v_fma_f64 v[33:34], -v[33:34], v[43:44], v[41:42]
	v_and_b32_e32 v41, 0x54442d18, v18
	v_div_fmas_f64 v[33:34], v[33:34], v[39:40], v[43:44]
	v_mul_f64 v[39:40], v[37:38], 0.5
	v_cmp_gt_i32_e32 vcc, 0, v10
	v_cndmask_b32_e32 v9, v68, v69, vcc
	v_and_b32_e32 v10, 0x400921fb, v18
	v_bfi_b32 v9, s64, v9, v12
	v_div_fixup_f64 v[31:32], v[33:34], v[35:36], v[31:32]
	v_mul_f64 v[33:34], v[31:32], v[31:32]
	v_fma_f64 v[35:36], v[33:34], s[58:59], v[21:22]
	v_fma_f64 v[35:36], v[33:34], v[35:36], s[56:57]
	;; [unrolled: 1-line block ×3, first 2 shown]
	s_mov_b32 s12, 0xa595c56f
	s_mov_b32 s13, 0x3f7d6d43
	v_fma_f64 v[35:36], v[33:34], v[35:36], s[12:13]
	s_mov_b32 s12, 0xa57d9582
	s_mov_b32 s13, 0xbf8c6ea4
	v_fma_f64 v[35:36], v[33:34], v[35:36], s[12:13]
	;; [unrolled: 3-line block ×6, first 2 shown]
	v_cmp_eq_f64_e64 s[12:13], 0, v[11:12]
	v_fma_f64 v[35:36], v[33:34], v[35:36], s[66:67]
	v_fma_f64 v[35:36], v[33:34], v[35:36], s[68:69]
	;; [unrolled: 1-line block ×10, first 2 shown]
	v_mul_f64 v[33:34], v[33:34], v[35:36]
	v_cndmask_b32_e32 v36, v66, v67, vcc
	v_fma_f64 v[31:32], v[31:32], v[33:34], v[31:32]
	v_add_f64 v[33:34], -v[31:32], s[18:19]
	v_cndmask_b32_e64 v32, v32, v34, s[10:11]
	v_cndmask_b32_e64 v31, v31, v33, s[10:11]
	v_add_f64 v[34:35], -v[31:32], s[86:87]
	v_cndmask_b32_e32 v31, v31, v34, vcc
	v_mul_f64 v[33:34], v[37:38], v[39:40]
	v_cndmask_b32_e32 v18, v32, v35, vcc
	v_cndmask_b32_e64 v31, v31, v41, s[12:13]
	v_cndmask_b32_e64 v10, v18, v10, s[12:13]
	s_and_b64 vcc, s[48:49], s[50:51]
	v_cndmask_b32_e32 v32, v10, v9, vcc
	v_cndmask_b32_e32 v31, v31, v36, vcc
.LBB197_35:                             ;   in Loop: Header=BB197_4 Depth=1
	s_or_b64 exec, exec, s[14:15]
.LBB197_36:                             ;   in Loop: Header=BB197_4 Depth=1
	s_or_b64 exec, exec, s[16:17]
.LBB197_37:                             ;   in Loop: Header=BB197_4 Depth=1
	s_andn2_saveexec_b64 s[14:15], s[24:25]
	s_cbranch_execz .LBB197_39
; %bb.38:                               ;   in Loop: Header=BB197_4 Depth=1
	v_div_scale_f64 v[31:32], s[12:13], s[92:93], s[92:93], v[9:10]
	v_div_scale_f64 v[33:34], s[12:13], s[92:93], s[92:93], v[11:12]
	;; [unrolled: 1-line block ×3, first 2 shown]
	s_mov_b32 s31, s27
	s_mov_b32 s86, s18
	v_cmp_class_f64_e64 s[24:25], v[9:10], s65
	v_rcp_f64_e32 v[35:36], v[31:32]
	v_rcp_f64_e32 v[37:38], v[33:34]
	v_fma_f64 v[39:40], -v[31:32], v[35:36], 1.0
	v_fma_f64 v[41:42], -v[33:34], v[37:38], 1.0
	v_fma_f64 v[35:36], v[35:36], v[39:40], v[35:36]
	v_div_scale_f64 v[39:40], vcc, v[9:10], s[92:93], v[9:10]
	v_fma_f64 v[37:38], v[37:38], v[41:42], v[37:38]
	v_fma_f64 v[41:42], -v[31:32], v[35:36], 1.0
	v_fma_f64 v[45:46], -v[33:34], v[37:38], 1.0
	v_fma_f64 v[35:36], v[35:36], v[41:42], v[35:36]
	v_fma_f64 v[37:38], v[37:38], v[45:46], v[37:38]
	v_mul_f64 v[41:42], v[39:40], v[35:36]
	v_mul_f64 v[45:46], v[43:44], v[37:38]
	v_fma_f64 v[31:32], -v[31:32], v[41:42], v[39:40]
	v_fma_f64 v[33:34], -v[33:34], v[45:46], v[43:44]
	v_div_fmas_f64 v[31:32], v[31:32], v[35:36], v[41:42]
	s_mov_b64 vcc, s[12:13]
	v_div_fmas_f64 v[33:34], v[33:34], v[37:38], v[45:46]
	v_max_f64 v[44:45], |v[9:10]|, |v[9:10]|
	v_div_fixup_f64 v[31:32], v[31:32], s[92:93], v[9:10]
	v_ashrrev_i32_e32 v9, 31, v10
	v_div_fixup_f64 v[33:34], v[33:34], s[92:93], v[11:12]
	v_cmp_class_f64_e64 s[12:13], v[31:32], s65
	v_max_f64 v[35:36], |v[31:32]|, |v[33:34]|
	v_cmp_class_f64_e64 s[16:17], v[33:34], s65
	v_frexp_exp_i32_f64_e32 v18, v[35:36]
	v_sub_u32_e32 v37, 0, v18
	v_ldexp_f64 v[35:36], |v[33:34]|, v37
	v_ldexp_f64 v[37:38], |v[31:32]|, v37
	v_mul_f64 v[35:36], v[35:36], v[35:36]
	v_fma_f64 v[35:36], v[37:38], v[37:38], v[35:36]
	v_rsq_f64_e32 v[37:38], v[35:36]
	v_cmp_eq_f64_e32 vcc, 0, v[35:36]
	v_mul_f64 v[39:40], v[35:36], v[37:38]
	v_mul_f64 v[37:38], v[37:38], 0.5
	v_fma_f64 v[41:42], -v[37:38], v[39:40], 0.5
	v_fma_f64 v[39:40], v[39:40], v[41:42], v[39:40]
	v_fma_f64 v[37:38], v[37:38], v[41:42], v[37:38]
	v_fma_f64 v[41:42], -v[39:40], v[39:40], v[35:36]
	v_fma_f64 v[37:38], v[41:42], v[37:38], v[39:40]
	v_max_f64 v[42:43], |v[11:12]|, |v[11:12]|
	v_cndmask_b32_e32 v36, v38, v36, vcc
	v_cndmask_b32_e32 v35, v37, v35, vcc
	v_ldexp_f64 v[35:36], v[35:36], v18
	v_cmp_o_f64_e32 vcc, v[31:32], v[33:34]
	v_cndmask_b32_e32 v18, 0, v35, vcc
	v_cndmask_b32_e32 v31, v64, v36, vcc
	s_or_b64 vcc, s[16:17], s[12:13]
	v_cndmask_b32_e32 v35, v31, v63, vcc
	v_cndmask_b32_e64 v34, v18, 0, vcc
	v_frexp_mant_f64_e32 v[31:32], v[34:35]
	v_cmp_gt_f64_e64 s[12:13], s[26:27], v[31:32]
	v_cndmask_b32_e64 v18, 0, 1, s[12:13]
	v_ldexp_f64 v[31:32], v[31:32], v18
	v_frexp_exp_i32_f64_e32 v18, v[34:35]
	v_add_f64 v[36:37], v[31:32], 1.0
	v_add_f64 v[48:49], v[31:32], -1.0
	v_rcp_f64_e32 v[38:39], v[36:37]
	v_add_f64 v[52:53], v[36:37], -1.0
	v_add_f64 v[31:32], v[31:32], -v[52:53]
	v_fma_f64 v[40:41], -v[36:37], v[38:39], 1.0
	v_fma_f64 v[38:39], v[40:41], v[38:39], v[38:39]
	v_max_f64 v[40:41], v[44:45], v[42:43]
	v_min_f64 v[42:43], v[44:45], v[42:43]
	v_fma_f64 v[44:45], -v[36:37], v[38:39], 1.0
	v_div_scale_f64 v[46:47], s[16:17], v[40:41], v[40:41], v[42:43]
	s_mov_b32 s16, 0xaf56de9b
	s_mov_b32 s17, 0xbf67952d
	v_fma_f64 v[38:39], v[44:45], v[38:39], v[38:39]
	v_mul_f64 v[44:45], v[48:49], v[38:39]
	v_rcp_f64_e32 v[50:51], v[46:47]
	v_mul_f64 v[54:55], v[36:37], v[44:45]
	v_fma_f64 v[36:37], v[44:45], v[36:37], -v[54:55]
	v_fma_f64 v[52:53], -v[46:47], v[50:51], 1.0
	v_fma_f64 v[31:32], v[44:45], v[31:32], v[36:37]
	v_fma_f64 v[36:37], v[50:51], v[52:53], v[50:51]
	v_div_scale_f64 v[52:53], vcc, v[42:43], v[40:41], v[42:43]
	v_add_f64 v[50:51], v[54:55], v[31:32]
	v_fma_f64 v[56:57], -v[46:47], v[36:37], 1.0
	v_add_f64 v[58:59], v[48:49], -v[50:51]
	v_add_f64 v[54:55], v[50:51], -v[54:55]
	v_fma_f64 v[36:37], v[36:37], v[56:57], v[36:37]
	v_add_f64 v[48:49], v[48:49], -v[58:59]
	v_add_f64 v[31:32], v[54:55], -v[31:32]
	v_mul_f64 v[56:57], v[52:53], v[36:37]
	v_add_f64 v[48:49], v[48:49], -v[50:51]
	v_fma_f64 v[46:47], -v[46:47], v[56:57], v[52:53]
	v_add_f64 v[31:32], v[31:32], v[48:49]
	v_div_fmas_f64 v[36:37], v[46:47], v[36:37], v[56:57]
	v_subbrev_co_u32_e64 v18, vcc, 0, v18, s[12:13]
	s_mov_b32 s12, 0xe82d3ff0
	s_mov_b32 s13, 0xbfa59976
	v_cmp_gt_i32_e32 vcc, 0, v10
	v_add_f64 v[31:32], v[58:59], v[31:32]
	v_cndmask_b32_e32 v33, v68, v69, vcc
	v_mul_f64 v[31:32], v[38:39], v[31:32]
	v_div_fixup_f64 v[36:37], v[36:37], v[40:41], v[42:43]
	v_add_f64 v[38:39], v[44:45], v[31:32]
	v_mul_f64 v[40:41], v[36:37], v[36:37]
	v_mul_f64 v[42:43], v[38:39], v[38:39]
	v_fma_f64 v[46:47], v[40:41], s[58:59], v[21:22]
	v_fma_f64 v[48:49], v[42:43], s[34:35], v[19:20]
	v_mul_f64 v[50:51], v[38:39], v[42:43]
	v_fma_f64 v[46:47], v[40:41], v[46:47], s[56:57]
	v_fma_f64 v[48:49], v[42:43], v[48:49], s[36:37]
	;; [unrolled: 1-line block ×3, first 2 shown]
	s_mov_b32 s16, 0xa595c56f
	s_mov_b32 s17, 0x3f7d6d43
	v_fma_f64 v[48:49], v[42:43], v[48:49], s[38:39]
	v_fma_f64 v[46:47], v[40:41], v[46:47], s[16:17]
	s_mov_b32 s16, 0xa57d9582
	s_mov_b32 s17, 0xbf8c6ea4
	v_fma_f64 v[48:49], v[42:43], v[48:49], s[40:41]
	v_fma_f64 v[46:47], v[40:41], v[46:47], s[16:17]
	;; [unrolled: 4-line block ×3, first 2 shown]
	s_mov_b32 s16, 0xfc27006a
	s_mov_b32 s17, 0xbf9e9ae6
	v_fma_f64 v[42:43], v[42:43], v[48:49], s[30:31]
	v_ldexp_f64 v[48:49], v[38:39], 1
	v_fma_f64 v[46:47], v[40:41], v[46:47], s[16:17]
	s_mov_b32 s16, 0x5711927a
	s_mov_b32 s17, 0x3fa2c15b
	v_add_f64 v[38:39], v[38:39], -v[44:45]
	v_mul_f64 v[42:43], v[50:51], v[42:43]
	v_cvt_f64_i32_e32 v[50:51], v18
	v_fma_f64 v[46:47], v[40:41], v[46:47], s[16:17]
	v_cmp_class_f64_e64 s[16:17], v[11:12], s65
	v_cndmask_b32_e32 v18, v66, v67, vcc
	v_mul_f64 v[52:53], v[50:51], s[44:45]
	v_add_f64 v[31:32], v[31:32], -v[38:39]
	v_add_f64 v[44:45], v[48:49], v[42:43]
	v_fma_f64 v[46:47], v[40:41], v[46:47], s[12:13]
	v_cmp_eq_f64_e64 s[12:13], 0, v[11:12]
	v_ldexp_f64 v[31:32], v[31:32], 1
	v_add_f64 v[38:39], v[44:45], -v[48:49]
	v_fma_f64 v[48:49], v[50:51], s[44:45], -v[52:53]
	v_fma_f64 v[46:47], v[40:41], v[46:47], s[66:67]
	v_add_f64 v[38:39], v[42:43], -v[38:39]
	v_fma_f64 v[42:43], v[40:41], v[46:47], s[68:69]
	v_fma_f64 v[46:47], v[50:51], s[46:47], v[48:49]
	v_add_f64 v[31:32], v[31:32], v[38:39]
	v_fma_f64 v[38:39], v[40:41], v[42:43], s[70:71]
	v_add_f64 v[42:43], v[52:53], v[46:47]
	v_add_f64 v[48:49], v[44:45], v[31:32]
	v_fma_f64 v[38:39], v[40:41], v[38:39], s[72:73]
	v_add_f64 v[52:53], v[42:43], -v[52:53]
	v_add_f64 v[50:51], v[42:43], v[48:49]
	v_add_f64 v[44:45], v[48:49], -v[44:45]
	v_fma_f64 v[38:39], v[40:41], v[38:39], s[74:75]
	v_add_f64 v[46:47], v[46:47], -v[52:53]
	v_add_f64 v[54:55], v[50:51], -v[42:43]
	;; [unrolled: 1-line block ×3, first 2 shown]
	v_fma_f64 v[38:39], v[40:41], v[38:39], s[76:77]
	v_add_f64 v[56:57], v[50:51], -v[54:55]
	v_add_f64 v[44:45], v[48:49], -v[54:55]
	v_fma_f64 v[38:39], v[40:41], v[38:39], s[78:79]
	v_add_f64 v[48:49], v[46:47], v[31:32]
	v_add_f64 v[42:43], v[42:43], -v[56:57]
	v_fma_f64 v[38:39], v[40:41], v[38:39], s[80:81]
	v_add_f64 v[42:43], v[44:45], v[42:43]
	v_add_f64 v[44:45], v[48:49], -v[46:47]
	v_fma_f64 v[38:39], v[40:41], v[38:39], s[82:83]
	v_add_f64 v[42:43], v[48:49], v[42:43]
	v_add_f64 v[48:49], v[48:49], -v[44:45]
	v_fma_f64 v[38:39], v[40:41], v[38:39], s[84:85]
	v_add_f64 v[31:32], v[31:32], -v[44:45]
	v_add_f64 v[52:53], v[50:51], v[42:43]
	v_mul_f64 v[38:39], v[40:41], v[38:39]
	v_add_f64 v[40:41], v[46:47], -v[48:49]
	v_add_f64 v[44:45], v[52:53], -v[50:51]
	v_fma_f64 v[36:37], v[36:37], v[38:39], v[36:37]
	v_add_f64 v[31:32], v[31:32], v[40:41]
	v_add_f64 v[38:39], v[42:43], -v[44:45]
	v_add_f64 v[40:41], -v[36:37], s[18:19]
	v_add_f64 v[31:32], v[31:32], v[38:39]
	v_cndmask_b32_e64 v37, v37, v41, s[10:11]
	v_cndmask_b32_e64 v36, v36, v40, s[10:11]
	v_add_f64 v[38:39], -v[36:37], s[86:87]
	v_cmp_class_f64_e64 s[10:11], v[34:35], s65
	v_and_b32_e32 v40, 0x54442d18, v9
	v_add_f64 v[31:32], v[52:53], v[31:32]
	v_cndmask_b32_e32 v36, v36, v38, vcc
	v_and_b32_e32 v38, 0x400921fb, v9
	v_cndmask_b32_e64 v36, v36, v40, s[12:13]
	v_cndmask_b32_e64 v10, v32, v35, s[10:11]
	;; [unrolled: 1-line block ×3, first 2 shown]
	v_add_f64 v[9:10], v[9:10], 1.0
	v_cmp_ngt_f64_e64 s[10:11], 0, v[34:35]
	v_bfi_b32 v31, s64, v33, v12
	v_cndmask_b32_e32 v32, v37, v39, vcc
	v_cndmask_b32_e64 v32, v32, v38, s[12:13]
	s_and_b64 vcc, s[16:17], s[24:25]
	v_cndmask_b32_e32 v32, v32, v31, vcc
	v_cndmask_b32_e32 v31, v36, v18, vcc
	v_cndmask_b32_e64 v10, v64, v10, s[10:11]
	v_cmp_nge_f64_e64 s[10:11], 0, v[34:35]
	v_cndmask_b32_e64 v33, 0, v9, s[10:11]
	v_cmp_neq_f64_e64 s[10:11], 0, v[34:35]
	v_cndmask_b32_e64 v34, v65, v10, s[10:11]
.LBB197_39:                             ;   in Loop: Header=BB197_4 Depth=1
	s_or_b64 exec, exec, s[14:15]
.LBB197_40:                             ;   in Loop: Header=BB197_4 Depth=1
	s_andn2_saveexec_b64 s[4:5], s[4:5]
	s_cbranch_execz .LBB197_46
; %bb.41:                               ;   in Loop: Header=BB197_4 Depth=1
	v_cmp_nlt_f64_e64 s[10:11], |v[9:10]|, s[28:29]
	v_cmp_nlt_f64_e64 s[12:13], |v[11:12]|, s[28:29]
                                        ; implicit-def: $vgpr34_vgpr35
	s_or_b64 s[10:11], s[12:13], s[10:11]
	s_and_saveexec_b64 s[12:13], s[10:11]
	s_xor_b64 s[10:11], exec, s[12:13]
	s_cbranch_execz .LBB197_43
; %bb.42:                               ;   in Loop: Header=BB197_4 Depth=1
	v_mul_f64 v[9:10], v[9:10], v[9:10]
	v_fma_f64 v[34:35], v[11:12], v[11:12], v[9:10]
.LBB197_43:                             ;   in Loop: Header=BB197_4 Depth=1
	s_andn2_saveexec_b64 s[10:11], s[10:11]
	s_cbranch_execz .LBB197_45
; %bb.44:                               ;   in Loop: Header=BB197_4 Depth=1
	v_mul_f64 v[9:10], v[9:10], 4.0
	v_mul_f64 v[31:32], v[11:12], 4.0
	v_mul_f64 v[9:10], v[9:10], v[9:10]
	v_fma_f64 v[9:10], v[31:32], v[31:32], v[9:10]
	v_ldexp_f64 v[34:35], v[9:10], -4
.LBB197_45:                             ;   in Loop: Header=BB197_4 Depth=1
	s_or_b64 exec, exec, s[10:11]
	v_frexp_mant_f64_e32 v[9:10], v[34:35]
	s_mov_b32 s31, s27
	v_cmp_gt_f64_e32 vcc, s[26:27], v[9:10]
	v_cndmask_b32_e64 v11, 0, 1, vcc
	v_ldexp_f64 v[9:10], v[9:10], v11
	v_frexp_exp_i32_f64_e32 v11, v[34:35]
	v_add_f64 v[31:32], v[9:10], 1.0
	v_add_f64 v[40:41], v[9:10], -1.0
	v_subbrev_co_u32_e32 v11, vcc, 0, v11, vcc
	v_cmp_class_f64_e64 vcc, v[34:35], s65
	v_rcp_f64_e32 v[36:37], v[31:32]
	v_add_f64 v[42:43], v[31:32], -1.0
	v_add_f64 v[9:10], v[9:10], -v[42:43]
	v_fma_f64 v[38:39], -v[31:32], v[36:37], 1.0
	v_fma_f64 v[36:37], v[38:39], v[36:37], v[36:37]
	v_fma_f64 v[38:39], -v[31:32], v[36:37], 1.0
	v_fma_f64 v[36:37], v[38:39], v[36:37], v[36:37]
	v_mul_f64 v[38:39], v[40:41], v[36:37]
	v_mul_f64 v[44:45], v[31:32], v[38:39]
	v_fma_f64 v[31:32], v[38:39], v[31:32], -v[44:45]
	v_fma_f64 v[9:10], v[38:39], v[9:10], v[31:32]
	v_add_f64 v[31:32], v[44:45], v[9:10]
	v_add_f64 v[42:43], v[40:41], -v[31:32]
	v_add_f64 v[44:45], v[31:32], -v[44:45]
	;; [unrolled: 1-line block ×5, first 2 shown]
	v_add_f64 v[9:10], v[9:10], v[31:32]
	v_add_f64 v[9:10], v[42:43], v[9:10]
	v_mul_f64 v[9:10], v[36:37], v[9:10]
	v_add_f64 v[31:32], v[38:39], v[9:10]
	v_mul_f64 v[36:37], v[31:32], v[31:32]
	v_fma_f64 v[40:41], v[36:37], s[34:35], v[19:20]
	v_mul_f64 v[42:43], v[31:32], v[36:37]
	v_fma_f64 v[40:41], v[36:37], v[40:41], s[36:37]
	v_fma_f64 v[40:41], v[36:37], v[40:41], s[38:39]
	v_fma_f64 v[40:41], v[36:37], v[40:41], s[40:41]
	v_fma_f64 v[40:41], v[36:37], v[40:41], s[42:43]
	v_fma_f64 v[36:37], v[36:37], v[40:41], s[30:31]
	v_ldexp_f64 v[40:41], v[31:32], 1
	v_add_f64 v[31:32], v[31:32], -v[38:39]
	v_mul_f64 v[36:37], v[42:43], v[36:37]
	v_cvt_f64_i32_e32 v[42:43], v11
	v_add_f64 v[9:10], v[9:10], -v[31:32]
	v_mul_f64 v[44:45], v[42:43], s[44:45]
	v_add_f64 v[38:39], v[40:41], v[36:37]
	v_ldexp_f64 v[9:10], v[9:10], 1
	v_add_f64 v[31:32], v[38:39], -v[40:41]
	v_fma_f64 v[40:41], v[42:43], s[44:45], -v[44:45]
	v_add_f64 v[31:32], v[36:37], -v[31:32]
	v_fma_f64 v[36:37], v[42:43], s[46:47], v[40:41]
	v_add_f64 v[9:10], v[9:10], v[31:32]
	v_add_f64 v[31:32], v[44:45], v[36:37]
	;; [unrolled: 1-line block ×3, first 2 shown]
	v_add_f64 v[44:45], v[31:32], -v[44:45]
	v_add_f64 v[42:43], v[31:32], v[40:41]
	v_add_f64 v[38:39], v[40:41], -v[38:39]
	v_add_f64 v[36:37], v[36:37], -v[44:45]
	v_add_f64 v[46:47], v[42:43], -v[31:32]
	v_add_f64 v[9:10], v[9:10], -v[38:39]
	v_add_f64 v[48:49], v[42:43], -v[46:47]
	v_add_f64 v[38:39], v[40:41], -v[46:47]
	v_add_f64 v[40:41], v[36:37], v[9:10]
	v_add_f64 v[31:32], v[31:32], -v[48:49]
	v_add_f64 v[31:32], v[38:39], v[31:32]
	v_add_f64 v[38:39], v[40:41], -v[36:37]
	;; [unrolled: 2-line block ×3, first 2 shown]
	v_add_f64 v[9:10], v[9:10], -v[38:39]
	v_add_f64 v[44:45], v[42:43], v[31:32]
	v_add_f64 v[36:37], v[36:37], -v[40:41]
	v_add_f64 v[38:39], v[44:45], -v[42:43]
	v_add_f64 v[9:10], v[9:10], v[36:37]
	v_add_f64 v[31:32], v[31:32], -v[38:39]
	v_add_f64 v[9:10], v[9:10], v[31:32]
	v_mov_b32_e32 v31, 0
	v_mov_b32_e32 v32, 0x7ff80000
	v_add_f64 v[9:10], v[44:45], v[9:10]
	v_cndmask_b32_e32 v9, v9, v34, vcc
	v_cndmask_b32_e32 v10, v10, v35, vcc
	v_cmp_ngt_f64_e32 vcc, 0, v[34:35]
	v_cndmask_b32_e32 v10, v64, v10, vcc
	v_cmp_nge_f64_e32 vcc, 0, v[34:35]
	v_cndmask_b32_e32 v33, 0, v9, vcc
	v_cmp_neq_f64_e32 vcc, 0, v[34:35]
	v_cndmask_b32_e32 v34, v65, v10, vcc
.LBB197_46:                             ;   in Loop: Header=BB197_4 Depth=1
	s_or_b64 exec, exec, s[4:5]
	v_cmp_o_f64_e32 vcc, v[1:2], v[3:4]
                                        ; implicit-def: $vgpr35_vgpr36
                                        ; implicit-def: $vgpr9_vgpr10
	s_and_saveexec_b64 s[4:5], vcc
	s_xor_b64 s[4:5], exec, s[4:5]
	s_cbranch_execz .LBB197_74
; %bb.47:                               ;   in Loop: Header=BB197_4 Depth=1
	v_cmp_lt_f64_e64 s[10:11], |v[1:2]|, |v[3:4]|
	v_and_b32_e32 v11, 0x7fffffff, v2
	v_and_b32_e32 v18, 0x7fffffff, v4
	s_mov_b32 s12, 0x85ebc8a0
	s_mov_b32 s13, 0x7fd1ccf3
	v_mov_b32_e32 v37, v3
                                        ; implicit-def: $vgpr35_vgpr36
                                        ; implicit-def: $vgpr9_vgpr10
	v_cndmask_b32_e64 v40, v18, v11, s[10:11]
	v_cndmask_b32_e64 v39, v3, v1, s[10:11]
	v_cmp_nlt_f64_e32 vcc, s[12:13], v[39:40]
	s_and_saveexec_b64 s[12:13], vcc
	s_xor_b64 s[24:25], exec, s[12:13]
	s_cbranch_execz .LBB197_71
; %bb.48:                               ;   in Loop: Header=BB197_4 Depth=1
	v_cndmask_b32_e64 v42, v11, v18, s[10:11]
	v_cndmask_b32_e64 v41, v1, v37, s[10:11]
	v_cmp_neq_f64_e32 vcc, 1.0, v[41:42]
                                        ; implicit-def: $vgpr35_vgpr36
                                        ; implicit-def: $vgpr9_vgpr10
	s_and_saveexec_b64 s[12:13], vcc
	s_xor_b64 s[48:49], exec, s[12:13]
	s_cbranch_execz .LBB197_64
; %bb.49:                               ;   in Loop: Header=BB197_4 Depth=1
	v_max_f64 v[9:10], v[39:40], v[39:40]
	v_max_f64 v[35:36], v[41:42], v[41:42]
	s_mov_b32 s12, 0x4ad4b81f
	s_mov_b32 s13, 0x358dee7a
	v_min_f64 v[37:38], v[35:36], v[9:10]
	v_max_f64 v[9:10], v[35:36], v[9:10]
                                        ; implicit-def: $vgpr35_vgpr36
	v_cmp_ngt_f64_e32 vcc, s[12:13], v[37:38]
	s_mov_b32 s12, 0xc57e649a
	s_mov_b32 s13, 0x4a511b0e
	v_cmp_nlt_f64_e64 s[12:13], s[12:13], v[9:10]
                                        ; implicit-def: $vgpr9_vgpr10
	s_and_b64 s[12:13], s[12:13], vcc
	s_and_saveexec_b64 s[14:15], s[12:13]
	s_xor_b64 s[50:51], exec, s[14:15]
	s_cbranch_execz .LBB197_61
; %bb.50:                               ;   in Loop: Header=BB197_4 Depth=1
	v_cmp_le_f64_e32 vcc, 1.0, v[41:42]
                                        ; implicit-def: $vgpr35_vgpr36
                                        ; implicit-def: $vgpr9_vgpr10
	s_and_saveexec_b64 s[12:13], vcc
	s_xor_b64 s[52:53], exec, s[12:13]
	s_cbranch_execz .LBB197_52
; %bb.51:                               ;   in Loop: Header=BB197_4 Depth=1
	v_add_f64 v[9:10], v[41:42], -1.0
	v_add_f64 v[35:36], v[41:42], 1.0
	s_mov_b32 s31, s27
	s_mov_b32 s86, s18
	;; [unrolled: 1-line block ×4, first 2 shown]
	v_cmp_class_f64_e64 s[54:55], v[3:4], s65
	v_mul_f64 v[9:10], v[9:10], v[35:36]
	v_fma_f64 v[36:37], v[39:40], v[39:40], v[9:10]
	v_add_f64 v[9:10], v[36:37], 1.0
	v_cmp_nge_f64_e64 s[14:15], -1.0, v[36:37]
	v_cmp_neq_f64_e64 s[16:17], s[16:17], v[36:37]
	v_frexp_mant_f64_e32 v[40:41], v[9:10]
	v_frexp_exp_i32_f64_e32 v11, v[9:10]
	v_add_f64 v[38:39], v[9:10], -1.0
	v_cmp_gt_f64_e32 vcc, s[26:27], v[40:41]
	v_add_f64 v[42:43], v[38:39], -v[9:10]
	v_add_f64 v[38:39], v[36:37], -v[38:39]
	v_subbrev_co_u32_e32 v11, vcc, 0, v11, vcc
	v_sub_u32_e32 v18, 0, v11
	v_ldexp_f64 v[9:10], v[9:10], v18
	v_add_f64 v[40:41], v[42:43], 1.0
	v_add_f64 v[42:43], v[9:10], 1.0
	v_add_f64 v[38:39], v[38:39], v[40:41]
	v_add_f64 v[48:49], v[9:10], -1.0
	v_add_f64 v[40:41], v[42:43], -1.0
	v_ldexp_f64 v[38:39], v[38:39], v18
	v_add_f64 v[50:51], v[48:49], 1.0
	v_add_f64 v[40:41], v[9:10], -v[40:41]
	v_add_f64 v[9:10], v[9:10], -v[50:51]
	v_add_f64 v[44:45], v[38:39], v[40:41]
	v_add_f64 v[50:51], v[38:39], v[9:10]
	;; [unrolled: 1-line block ×3, first 2 shown]
	v_rcp_f64_e32 v[46:47], v[40:41]
	v_add_f64 v[42:43], v[40:41], -v[42:43]
	v_add_f64 v[44:45], v[44:45], -v[42:43]
	v_fma_f64 v[52:53], -v[40:41], v[46:47], 1.0
	v_fma_f64 v[46:47], v[52:53], v[46:47], v[46:47]
	v_add_f64 v[52:53], v[48:49], v[50:51]
	v_fma_f64 v[9:10], -v[40:41], v[46:47], 1.0
	v_add_f64 v[48:49], v[52:53], -v[48:49]
	v_fma_f64 v[9:10], v[9:10], v[46:47], v[46:47]
	v_add_f64 v[48:49], v[50:51], -v[48:49]
	v_mul_f64 v[38:39], v[52:53], v[9:10]
	v_mul_f64 v[46:47], v[40:41], v[38:39]
	v_fma_f64 v[42:43], v[38:39], v[40:41], -v[46:47]
	v_fma_f64 v[54:55], v[38:39], v[44:45], v[42:43]
	v_add_f64 v[56:57], v[46:47], v[54:55]
	v_add_f64 v[42:43], v[52:53], -v[56:57]
	v_add_f64 v[46:47], v[56:57], -v[46:47]
	;; [unrolled: 1-line block ×5, first 2 shown]
	v_add_f64 v[48:49], v[48:49], v[50:51]
	v_max_f64 v[50:51], |v[1:2]|, |v[1:2]|
	v_add_f64 v[46:47], v[46:47], v[48:49]
	v_max_f64 v[48:49], |v[3:4]|, |v[3:4]|
	v_add_f64 v[52:53], v[42:43], v[46:47]
	v_max_f64 v[54:55], v[50:51], v[48:49]
	v_min_f64 v[48:49], v[50:51], v[48:49]
	v_mul_f64 v[50:51], v[9:10], v[52:53]
	v_add_f64 v[42:43], v[42:43], -v[52:53]
	v_div_scale_f64 v[56:57], s[12:13], v[54:55], v[54:55], v[48:49]
	s_mov_b32 s12, 0xaf56de9b
	s_mov_b32 s13, 0xbf67952d
	v_mul_f64 v[58:59], v[40:41], v[50:51]
	v_add_f64 v[42:43], v[46:47], v[42:43]
	v_fma_f64 v[40:41], v[50:51], v[40:41], -v[58:59]
	v_rcp_f64_e32 v[60:61], v[56:57]
	v_fma_f64 v[40:41], v[50:51], v[44:45], v[40:41]
	v_add_f64 v[44:45], v[58:59], v[40:41]
	v_fma_f64 v[70:71], -v[56:57], v[60:61], 1.0
	v_add_f64 v[72:73], v[52:53], -v[44:45]
	v_add_f64 v[46:47], v[44:45], -v[58:59]
	v_fma_f64 v[60:61], v[60:61], v[70:71], v[60:61]
	v_div_scale_f64 v[70:71], vcc, v[48:49], v[54:55], v[48:49]
	v_add_f64 v[52:53], v[52:53], -v[72:73]
	v_add_f64 v[40:41], v[46:47], -v[40:41]
	v_fma_f64 v[74:75], -v[56:57], v[60:61], 1.0
	v_add_f64 v[46:47], v[38:39], v[50:51]
	v_add_f64 v[44:45], v[52:53], -v[44:45]
	v_fma_f64 v[52:53], v[60:61], v[74:75], v[60:61]
	v_add_f64 v[38:39], v[46:47], -v[38:39]
	v_add_f64 v[42:43], v[42:43], v[44:45]
	v_mul_f64 v[44:45], v[70:71], v[52:53]
	v_add_f64 v[38:39], v[50:51], -v[38:39]
	v_add_f64 v[40:41], v[40:41], v[42:43]
	v_fma_f64 v[42:43], -v[56:57], v[44:45], v[70:71]
	v_add_f64 v[40:41], v[72:73], v[40:41]
	v_div_fmas_f64 v[42:43], v[42:43], v[52:53], v[44:45]
	v_cmp_gt_i32_e32 vcc, 0, v2
	v_cndmask_b32_e32 v18, v68, v69, vcc
	v_mul_f64 v[9:10], v[9:10], v[40:41]
	v_add_f64 v[9:10], v[38:39], v[9:10]
	v_div_fixup_f64 v[38:39], v[42:43], v[54:55], v[48:49]
	v_add_f64 v[40:41], v[46:47], v[9:10]
	v_mul_f64 v[42:43], v[38:39], v[38:39]
	v_mul_f64 v[44:45], v[40:41], v[40:41]
	v_fma_f64 v[48:49], v[42:43], s[58:59], v[21:22]
	v_fma_f64 v[50:51], v[44:45], s[34:35], v[19:20]
	v_mul_f64 v[52:53], v[40:41], v[44:45]
	v_fma_f64 v[48:49], v[42:43], v[48:49], s[56:57]
	v_cmp_class_f64_e64 s[56:57], v[1:2], s65
	v_ashrrev_i32_e32 v1, 31, v2
	v_and_b32_e32 v35, 0x54442d18, v1
	v_fma_f64 v[50:51], v[44:45], v[50:51], s[36:37]
	v_fma_f64 v[48:49], v[42:43], v[48:49], s[12:13]
	s_mov_b32 s12, 0xa595c56f
	s_mov_b32 s13, 0x3f7d6d43
	v_fma_f64 v[50:51], v[44:45], v[50:51], s[38:39]
	v_fma_f64 v[48:49], v[42:43], v[48:49], s[12:13]
	s_mov_b32 s12, 0xa57d9582
	s_mov_b32 s13, 0xbf8c6ea4
	;; [unrolled: 4-line block ×4, first 2 shown]
	v_fma_f64 v[44:45], v[44:45], v[50:51], s[30:31]
	v_ldexp_f64 v[50:51], v[40:41], 1
	v_fma_f64 v[48:49], v[42:43], v[48:49], s[12:13]
	s_mov_b32 s12, 0x5711927a
	s_mov_b32 s13, 0x3fa2c15b
	v_add_f64 v[40:41], v[40:41], -v[46:47]
	v_mul_f64 v[44:45], v[52:53], v[44:45]
	v_cvt_f64_i32_e32 v[52:53], v11
	v_fma_f64 v[48:49], v[42:43], v[48:49], s[12:13]
	s_mov_b32 s12, 0xe82d3ff0
	s_mov_b32 s13, 0xbfa59976
	v_mul_f64 v[54:55], v[52:53], s[44:45]
	v_add_f64 v[9:10], v[9:10], -v[40:41]
	v_cndmask_b32_e32 v11, v66, v67, vcc
	v_add_f64 v[46:47], v[50:51], v[44:45]
	v_fma_f64 v[48:49], v[42:43], v[48:49], s[12:13]
	v_cmp_eq_f64_e64 s[12:13], 0, v[3:4]
	v_ldexp_f64 v[9:10], v[9:10], 1
	v_add_f64 v[40:41], v[46:47], -v[50:51]
	v_fma_f64 v[50:51], v[52:53], s[44:45], -v[54:55]
	v_fma_f64 v[48:49], v[42:43], v[48:49], s[66:67]
	v_add_f64 v[40:41], v[44:45], -v[40:41]
	v_fma_f64 v[44:45], v[42:43], v[48:49], s[68:69]
	v_fma_f64 v[48:49], v[52:53], s[46:47], v[50:51]
	v_add_f64 v[9:10], v[9:10], v[40:41]
	v_fma_f64 v[40:41], v[42:43], v[44:45], s[70:71]
	v_add_f64 v[44:45], v[54:55], v[48:49]
	v_add_f64 v[50:51], v[46:47], v[9:10]
	v_fma_f64 v[40:41], v[42:43], v[40:41], s[72:73]
	v_add_f64 v[54:55], v[44:45], -v[54:55]
	v_add_f64 v[52:53], v[44:45], v[50:51]
	v_add_f64 v[46:47], v[50:51], -v[46:47]
	v_fma_f64 v[40:41], v[42:43], v[40:41], s[74:75]
	v_add_f64 v[48:49], v[48:49], -v[54:55]
	v_add_f64 v[56:57], v[52:53], -v[44:45]
	;; [unrolled: 1-line block ×3, first 2 shown]
	v_fma_f64 v[40:41], v[42:43], v[40:41], s[76:77]
	v_add_f64 v[58:59], v[52:53], -v[56:57]
	v_add_f64 v[46:47], v[50:51], -v[56:57]
	v_fma_f64 v[40:41], v[42:43], v[40:41], s[78:79]
	v_add_f64 v[50:51], v[48:49], v[9:10]
	v_add_f64 v[44:45], v[44:45], -v[58:59]
	v_fma_f64 v[40:41], v[42:43], v[40:41], s[80:81]
	v_add_f64 v[44:45], v[46:47], v[44:45]
	;; [unrolled: 3-line block ×3, first 2 shown]
	v_add_f64 v[50:51], v[50:51], -v[46:47]
	v_fma_f64 v[40:41], v[42:43], v[40:41], s[84:85]
	v_add_f64 v[9:10], v[9:10], -v[46:47]
	v_add_f64 v[54:55], v[52:53], v[44:45]
	v_mul_f64 v[40:41], v[42:43], v[40:41]
	v_add_f64 v[42:43], v[48:49], -v[50:51]
	v_add_f64 v[46:47], v[54:55], -v[52:53]
	v_fma_f64 v[38:39], v[38:39], v[40:41], v[38:39]
	v_add_f64 v[9:10], v[9:10], v[42:43]
	v_add_f64 v[40:41], v[44:45], -v[46:47]
	v_add_f64 v[42:43], -v[38:39], s[18:19]
	v_add_f64 v[9:10], v[9:10], v[40:41]
	v_cndmask_b32_e64 v39, v39, v43, s[10:11]
	v_cndmask_b32_e64 v38, v38, v42, s[10:11]
	v_add_f64 v[40:41], -v[38:39], s[86:87]
	v_add_f64 v[9:10], v[54:55], v[9:10]
	v_cndmask_b32_e32 v38, v38, v40, vcc
	v_and_b32_e32 v40, 0x400921fb, v1
	v_mul_f64 v[1:2], v[9:10], 0.5
	v_cndmask_b32_e32 v10, v39, v41, vcc
	v_bfi_b32 v9, s64, v18, v4
	v_cndmask_b32_e64 v18, v38, v35, s[12:13]
	v_cndmask_b32_e64 v10, v10, v40, s[12:13]
	s_and_b64 s[12:13], s[14:15], s[16:17]
	s_and_b64 vcc, s[54:55], s[56:57]
	s_mov_b32 s56, 0x69efb384
	v_cndmask_b32_e64 v35, 0, v1, s[12:13]
	v_cmp_ngt_f64_e64 s[12:13], -1.0, v[36:37]
	v_cndmask_b32_e64 v2, v63, v2, s[16:17]
	s_mov_b32 s57, 0x3f4b2bb0
	v_cndmask_b32_e32 v10, v10, v9, vcc
	v_cndmask_b32_e32 v9, v18, v11, vcc
                                        ; implicit-def: $vgpr39_vgpr40
                                        ; implicit-def: $vgpr41_vgpr42
	v_cndmask_b32_e64 v1, v64, v2, s[12:13]
	v_cmp_neq_f64_e64 s[12:13], -1.0, v[36:37]
	v_cndmask_b32_e64 v36, v65, v1, s[12:13]
.LBB197_52:                             ;   in Loop: Header=BB197_4 Depth=1
	s_andn2_saveexec_b64 s[52:53], s[52:53]
	s_cbranch_execz .LBB197_60
; %bb.53:                               ;   in Loop: Header=BB197_4 Depth=1
	v_mul_f64 v[9:10], v[39:40], v[39:40]
	s_mov_b32 s12, 0x66666666
	s_mov_b32 s13, 0x3fe66666
                                        ; implicit-def: $vgpr35_vgpr36
	v_fma_f64 v[37:38], v[41:42], v[41:42], v[9:10]
                                        ; implicit-def: $vgpr9_vgpr10
	v_cmp_ge_f64_e32 vcc, s[12:13], v[37:38]
	s_and_saveexec_b64 s[12:13], vcc
	s_xor_b64 s[16:17], exec, s[12:13]
	s_cbranch_execz .LBB197_55
; %bb.54:                               ;   in Loop: Header=BB197_4 Depth=1
	v_frexp_mant_f64_e32 v[9:10], v[37:38]
	v_max_f64 v[43:44], |v[3:4]|, |v[3:4]|
	v_max_f64 v[45:46], |v[1:2]|, |v[1:2]|
	s_mov_b32 s31, s27
	s_mov_b32 s86, s18
	v_cmp_class_f64_e64 s[54:55], v[3:4], s65
	v_cmp_gt_f64_e64 s[12:13], s[26:27], v[9:10]
	v_cndmask_b32_e64 v11, 0, 1, s[12:13]
	v_ldexp_f64 v[9:10], v[9:10], v11
	v_frexp_exp_i32_f64_e32 v11, v[37:38]
	v_add_f64 v[35:36], v[9:10], 1.0
	v_add_f64 v[49:50], v[9:10], -1.0
	v_rcp_f64_e32 v[39:40], v[35:36]
	v_add_f64 v[53:54], v[35:36], -1.0
	v_add_f64 v[9:10], v[9:10], -v[53:54]
	v_fma_f64 v[41:42], -v[35:36], v[39:40], 1.0
	v_fma_f64 v[39:40], v[41:42], v[39:40], v[39:40]
	v_max_f64 v[41:42], v[45:46], v[43:44]
	v_min_f64 v[43:44], v[45:46], v[43:44]
	v_fma_f64 v[45:46], -v[35:36], v[39:40], 1.0
	v_div_scale_f64 v[47:48], s[14:15], v[41:42], v[41:42], v[43:44]
	s_mov_b32 s14, 0xaf56de9b
	s_mov_b32 s15, 0xbf67952d
	v_fma_f64 v[39:40], v[45:46], v[39:40], v[39:40]
	v_mul_f64 v[45:46], v[49:50], v[39:40]
	v_rcp_f64_e32 v[51:52], v[47:48]
	v_mul_f64 v[55:56], v[35:36], v[45:46]
	v_fma_f64 v[35:36], v[45:46], v[35:36], -v[55:56]
	v_fma_f64 v[53:54], -v[47:48], v[51:52], 1.0
	v_fma_f64 v[9:10], v[45:46], v[9:10], v[35:36]
	v_fma_f64 v[35:36], v[51:52], v[53:54], v[51:52]
	v_div_scale_f64 v[53:54], vcc, v[43:44], v[41:42], v[43:44]
	v_add_f64 v[51:52], v[55:56], v[9:10]
	v_fma_f64 v[57:58], -v[47:48], v[35:36], 1.0
	v_add_f64 v[59:60], v[49:50], -v[51:52]
	v_add_f64 v[55:56], v[51:52], -v[55:56]
	v_fma_f64 v[35:36], v[35:36], v[57:58], v[35:36]
	v_add_f64 v[49:50], v[49:50], -v[59:60]
	v_add_f64 v[9:10], v[55:56], -v[9:10]
	v_mul_f64 v[57:58], v[53:54], v[35:36]
	v_add_f64 v[49:50], v[49:50], -v[51:52]
	v_fma_f64 v[47:48], -v[47:48], v[57:58], v[53:54]
	v_add_f64 v[9:10], v[9:10], v[49:50]
	v_div_fmas_f64 v[35:36], v[47:48], v[35:36], v[57:58]
	v_subbrev_co_u32_e64 v11, vcc, 0, v11, s[12:13]
	s_mov_b32 s12, 0xe82d3ff0
	s_mov_b32 s13, 0xbfa59976
	v_cmp_gt_i32_e32 vcc, 0, v2
	v_add_f64 v[9:10], v[59:60], v[9:10]
	v_mul_f64 v[9:10], v[39:40], v[9:10]
	v_div_fixup_f64 v[35:36], v[35:36], v[41:42], v[43:44]
	v_add_f64 v[39:40], v[45:46], v[9:10]
	v_mul_f64 v[41:42], v[35:36], v[35:36]
	v_mul_f64 v[43:44], v[39:40], v[39:40]
	v_fma_f64 v[47:48], v[41:42], s[58:59], v[21:22]
	v_fma_f64 v[49:50], v[43:44], s[34:35], v[19:20]
	v_mul_f64 v[51:52], v[39:40], v[43:44]
	v_fma_f64 v[47:48], v[41:42], v[47:48], s[56:57]
	v_cmp_class_f64_e64 s[56:57], v[1:2], s65
	v_ashrrev_i32_e32 v1, 31, v2
	v_and_b32_e32 v18, 0x54442d18, v1
	v_fma_f64 v[49:50], v[43:44], v[49:50], s[36:37]
	v_fma_f64 v[47:48], v[41:42], v[47:48], s[14:15]
	s_mov_b32 s14, 0xa595c56f
	s_mov_b32 s15, 0x3f7d6d43
	v_fma_f64 v[49:50], v[43:44], v[49:50], s[38:39]
	v_fma_f64 v[47:48], v[41:42], v[47:48], s[14:15]
	s_mov_b32 s14, 0xa57d9582
	s_mov_b32 s15, 0xbf8c6ea4
	;; [unrolled: 4-line block ×4, first 2 shown]
	v_fma_f64 v[43:44], v[43:44], v[49:50], s[30:31]
	v_ldexp_f64 v[49:50], v[39:40], 1
	v_fma_f64 v[47:48], v[41:42], v[47:48], s[14:15]
	s_mov_b32 s14, 0x5711927a
	s_mov_b32 s15, 0x3fa2c15b
	v_add_f64 v[39:40], v[39:40], -v[45:46]
	v_mul_f64 v[43:44], v[51:52], v[43:44]
	v_cvt_f64_i32_e32 v[51:52], v11
	v_fma_f64 v[47:48], v[41:42], v[47:48], s[14:15]
	v_cmp_neq_f64_e64 s[14:15], 0, v[37:38]
	v_cndmask_b32_e32 v11, v66, v67, vcc
	v_mul_f64 v[53:54], v[51:52], s[44:45]
	v_add_f64 v[9:10], v[9:10], -v[39:40]
	v_add_f64 v[45:46], v[49:50], v[43:44]
	v_fma_f64 v[47:48], v[41:42], v[47:48], s[12:13]
	v_cmp_eq_f64_e64 s[12:13], 0, v[3:4]
	v_ldexp_f64 v[9:10], v[9:10], 1
	v_add_f64 v[39:40], v[45:46], -v[49:50]
	v_fma_f64 v[49:50], v[51:52], s[44:45], -v[53:54]
	v_fma_f64 v[47:48], v[41:42], v[47:48], s[66:67]
	v_add_f64 v[39:40], v[43:44], -v[39:40]
	v_fma_f64 v[43:44], v[41:42], v[47:48], s[68:69]
	v_fma_f64 v[47:48], v[51:52], s[46:47], v[49:50]
	v_add_f64 v[9:10], v[9:10], v[39:40]
	v_fma_f64 v[39:40], v[41:42], v[43:44], s[70:71]
	v_add_f64 v[43:44], v[53:54], v[47:48]
	v_add_f64 v[49:50], v[45:46], v[9:10]
	v_fma_f64 v[39:40], v[41:42], v[39:40], s[72:73]
	v_add_f64 v[53:54], v[43:44], -v[53:54]
	v_add_f64 v[51:52], v[43:44], v[49:50]
	v_add_f64 v[45:46], v[49:50], -v[45:46]
	v_fma_f64 v[39:40], v[41:42], v[39:40], s[74:75]
	v_add_f64 v[47:48], v[47:48], -v[53:54]
	v_add_f64 v[55:56], v[51:52], -v[43:44]
	v_add_f64 v[9:10], v[9:10], -v[45:46]
	v_fma_f64 v[39:40], v[41:42], v[39:40], s[76:77]
	v_add_f64 v[57:58], v[51:52], -v[55:56]
	v_add_f64 v[45:46], v[49:50], -v[55:56]
	v_fma_f64 v[39:40], v[41:42], v[39:40], s[78:79]
	v_add_f64 v[49:50], v[47:48], v[9:10]
	v_add_f64 v[43:44], v[43:44], -v[57:58]
	v_fma_f64 v[39:40], v[41:42], v[39:40], s[80:81]
	v_add_f64 v[43:44], v[45:46], v[43:44]
	;; [unrolled: 3-line block ×3, first 2 shown]
	v_add_f64 v[49:50], v[49:50], -v[45:46]
	v_fma_f64 v[39:40], v[41:42], v[39:40], s[84:85]
	v_add_f64 v[9:10], v[9:10], -v[45:46]
	v_add_f64 v[53:54], v[51:52], v[43:44]
	v_mul_f64 v[39:40], v[41:42], v[39:40]
	v_add_f64 v[41:42], v[47:48], -v[49:50]
	v_add_f64 v[45:46], v[53:54], -v[51:52]
	v_fma_f64 v[35:36], v[35:36], v[39:40], v[35:36]
	v_add_f64 v[9:10], v[9:10], v[41:42]
	v_add_f64 v[39:40], v[43:44], -v[45:46]
	v_add_f64 v[41:42], -v[35:36], s[18:19]
	v_add_f64 v[9:10], v[9:10], v[39:40]
	v_cndmask_b32_e64 v36, v36, v42, s[10:11]
	v_cndmask_b32_e64 v35, v35, v41, s[10:11]
	v_add_f64 v[39:40], -v[35:36], s[86:87]
	v_and_b32_e32 v41, 0x400921fb, v1
	v_add_f64 v[9:10], v[53:54], v[9:10]
	v_cndmask_b32_e32 v35, v35, v39, vcc
	v_cndmask_b32_e32 v39, v68, v69, vcc
	v_cndmask_b32_e64 v18, v35, v18, s[12:13]
	v_mul_f64 v[1:2], v[9:10], 0.5
	v_cndmask_b32_e32 v10, v36, v40, vcc
	v_bfi_b32 v9, s64, v39, v4
	v_cndmask_b32_e64 v10, v10, v41, s[12:13]
	s_and_b64 vcc, s[54:55], s[56:57]
	s_mov_b32 s56, 0x69efb384
	s_mov_b32 s57, 0x3f4b2bb0
	v_cndmask_b32_e32 v10, v10, v9, vcc
	v_cndmask_b32_e64 v36, v65, v2, s[14:15]
	v_cndmask_b32_e64 v35, 0, v1, s[14:15]
	v_cndmask_b32_e32 v9, v18, v11, vcc
                                        ; implicit-def: $vgpr41_vgpr42
                                        ; implicit-def: $vgpr39_vgpr40
.LBB197_55:                             ;   in Loop: Header=BB197_4 Depth=1
	s_andn2_saveexec_b64 s[54:55], s[16:17]
	s_cbranch_execz .LBB197_59
; %bb.56:                               ;   in Loop: Header=BB197_4 Depth=1
	v_and_b32_e32 v18, 0x7ffffff8, v42
	v_and_b32_e32 v36, 0x7ffffff8, v40
	v_mov_b32_e32 v35, v17
	v_add_f64 v[9:10], v[41:42], -v[17:18]
	v_add_f64 v[37:38], v[39:40], -v[35:36]
	v_mov_b32_e32 v41, v17
	v_mov_b32_e32 v49, v17
	v_add_f64 v[45:46], v[17:18], v[17:18]
	v_add_f64 v[47:48], v[35:36], v[35:36]
	v_mul_f64 v[35:36], v[35:36], v[35:36]
	s_mov_b64 s[56:57], 0
	v_and_b32_e32 v42, -8, v10
	v_and_b32_e32 v50, -8, v38
	v_add_f64 v[55:56], v[9:10], -v[41:42]
	v_add_f64 v[57:58], v[37:38], -v[49:50]
	v_add_f64 v[59:60], v[41:42], v[41:42]
	v_add_f64 v[61:62], v[49:50], v[49:50]
	v_mul_f64 v[9:10], v[17:18], v[17:18]
	v_mul_f64 v[39:40], v[45:46], v[41:42]
	;; [unrolled: 1-line block ×11, first 2 shown]
.LBB197_57:                             ;   Parent Loop BB197_4 Depth=1
                                        ; =>  This Inner Loop Header: Depth=2
	v_cmp_nlt_f64_e32 vcc, v[9:10], v[35:36]
	v_cndmask_b32_e32 v58, v10, v36, vcc
	v_cndmask_b32_e32 v57, v9, v35, vcc
	v_cmp_nlt_f64_e64 s[12:13], v[57:58], v[39:40]
	v_cndmask_b32_e32 v10, v36, v10, vcc
	v_cndmask_b32_e32 v9, v35, v9, vcc
	v_cndmask_b32_e64 v60, v58, v40, s[12:13]
	v_cndmask_b32_e64 v59, v57, v39, s[12:13]
	v_cmp_nlt_f64_e64 s[14:15], v[59:60], v[37:38]
	v_cndmask_b32_e64 v36, v40, v58, s[12:13]
	v_cndmask_b32_e64 v35, v39, v57, s[12:13]
	s_and_b64 s[58:59], vcc, s[12:13]
	v_cndmask_b32_e64 v62, v60, v38, s[14:15]
	v_cndmask_b32_e64 v61, v59, v37, s[14:15]
	v_cmp_nlt_f64_e64 s[16:17], v[61:62], v[43:44]
	v_cndmask_b32_e64 v40, v38, v60, s[14:15]
	v_cndmask_b32_e64 v39, v37, v59, s[14:15]
	;; [unrolled: 1-line block ×4, first 2 shown]
	v_cmp_nlt_f64_e32 vcc, v[57:58], v[49:50]
	v_cndmask_b32_e64 v38, v44, v62, s[16:17]
	v_cndmask_b32_e64 v37, v43, v61, s[16:17]
	s_and_b64 s[16:17], s[14:15], s[16:17]
	v_cndmask_b32_e32 v60, v58, v50, vcc
	v_cndmask_b32_e32 v59, v57, v49, vcc
	v_cmp_nlt_f64_e64 s[12:13], v[59:60], v[53:54]
	v_cndmask_b32_e32 v44, v50, v58, vcc
	v_cndmask_b32_e32 v43, v49, v57, vcc
	v_cndmask_b32_e64 v58, v60, v54, s[12:13]
	v_cndmask_b32_e64 v57, v59, v53, s[12:13]
	v_cmp_nlt_f64_e64 s[14:15], v[57:58], v[51:52]
	v_cndmask_b32_e64 v50, v54, v60, s[12:13]
	v_cndmask_b32_e64 v49, v53, v59, s[12:13]
	s_and_b64 s[12:13], vcc, s[12:13]
	v_cndmask_b32_e64 v60, v58, v52, s[14:15]
	v_cndmask_b32_e64 v59, v57, v51, s[14:15]
	v_cmp_nlt_f64_e32 vcc, v[59:60], v[47:48]
	v_cndmask_b32_e64 v54, v52, v58, s[14:15]
	v_cndmask_b32_e64 v53, v51, v57, s[14:15]
	s_and_b64 s[14:15], s[12:13], s[14:15]
	v_cndmask_b32_e32 v58, v60, v48, vcc
	v_cndmask_b32_e32 v57, v59, v47, vcc
	v_cmp_nlt_f64_e64 s[12:13], v[57:58], v[45:46]
	v_cndmask_b32_e32 v52, v48, v60, vcc
	v_cndmask_b32_e32 v51, v47, v59, vcc
	s_and_b64 s[14:15], s[14:15], vcc
	v_cndmask_b32_e64 v60, v58, v46, s[12:13]
	v_cndmask_b32_e64 v59, v57, v45, s[12:13]
	v_cmp_nlt_f64_e32 vcc, v[59:60], v[41:42]
	v_cndmask_b32_e64 v48, v46, v58, s[12:13]
	v_cndmask_b32_e64 v47, v45, v57, s[12:13]
	s_and_b64 s[14:15], s[14:15], s[12:13]
	v_cndmask_b32_e32 v62, v60, v42, vcc
	v_cndmask_b32_e32 v61, v59, v41, vcc
	v_cmp_nlt_f64_e64 s[12:13], v[61:62], v[55:56]
	s_and_b64 s[14:15], s[14:15], vcc
	v_cndmask_b32_e32 v46, v42, v60, vcc
	v_cndmask_b32_e32 v45, v41, v59, vcc
	v_cndmask_b32_e64 v58, v62, v56, s[12:13]
	v_cndmask_b32_e64 v57, v61, v55, s[12:13]
	v_cndmask_b32_e64 v42, v56, v62, s[12:13]
	v_cndmask_b32_e64 v41, v55, v61, s[12:13]
	s_and_b64 s[12:13], s[14:15], s[12:13]
	s_and_b64 s[12:13], s[12:13], s[16:17]
	;; [unrolled: 1-line block ×3, first 2 shown]
	s_and_b64 s[12:13], exec, s[12:13]
	v_mov_b32_e32 v55, v57
	s_or_b64 s[56:57], s[12:13], s[56:57]
	v_mov_b32_e32 v56, v58
	s_andn2_b64 exec, exec, s[56:57]
	s_cbranch_execnz .LBB197_57
; %bb.58:                               ;   in Loop: Header=BB197_4 Depth=1
	s_or_b64 exec, exec, s[56:57]
	v_add_f64 v[9:10], v[9:10], -1.0
	s_mov_b32 s31, s27
	s_mov_b32 s86, s18
	s_mov_b32 s16, 0
	s_mov_b32 s17, 0x7ff00000
	v_cmp_class_f64_e64 s[58:59], v[1:2], s65
	v_cmp_class_f64_e64 s[56:57], v[3:4], s65
	v_add_f64 v[9:10], v[9:10], v[35:36]
	v_add_f64 v[9:10], v[9:10], v[39:40]
	v_add_f64 v[9:10], v[9:10], v[37:38]
	v_add_f64 v[9:10], v[9:10], v[43:44]
	v_add_f64 v[9:10], v[9:10], v[49:50]
	v_add_f64 v[9:10], v[9:10], v[53:54]
	v_add_f64 v[9:10], v[9:10], v[51:52]
	v_add_f64 v[9:10], v[9:10], v[47:48]
	v_add_f64 v[9:10], v[9:10], v[45:46]
	v_add_f64 v[9:10], v[9:10], v[41:42]
	v_add_f64 v[36:37], v[57:58], v[9:10]
	v_add_f64 v[10:11], v[36:37], 1.0
	v_cmp_nge_f64_e64 s[14:15], -1.0, v[36:37]
	v_cmp_neq_f64_e64 s[16:17], s[16:17], v[36:37]
	v_frexp_mant_f64_e32 v[40:41], v[10:11]
	v_frexp_exp_i32_f64_e32 v9, v[10:11]
	v_add_f64 v[38:39], v[10:11], -1.0
	v_cmp_gt_f64_e32 vcc, s[26:27], v[40:41]
	v_add_f64 v[42:43], v[38:39], -v[10:11]
	v_add_f64 v[38:39], v[36:37], -v[38:39]
	v_subbrev_co_u32_e32 v9, vcc, 0, v9, vcc
	v_sub_u32_e32 v18, 0, v9
	v_ldexp_f64 v[10:11], v[10:11], v18
	v_add_f64 v[40:41], v[42:43], 1.0
	v_add_f64 v[42:43], v[10:11], 1.0
	v_add_f64 v[38:39], v[38:39], v[40:41]
	v_add_f64 v[48:49], v[10:11], -1.0
	v_add_f64 v[40:41], v[42:43], -1.0
	v_ldexp_f64 v[38:39], v[38:39], v18
	v_add_f64 v[50:51], v[48:49], 1.0
	v_add_f64 v[40:41], v[10:11], -v[40:41]
	v_add_f64 v[10:11], v[10:11], -v[50:51]
	v_add_f64 v[40:41], v[38:39], v[40:41]
	v_add_f64 v[10:11], v[38:39], v[10:11]
	;; [unrolled: 1-line block ×4, first 2 shown]
	v_rcp_f64_e32 v[46:47], v[44:45]
	v_add_f64 v[42:43], v[44:45], -v[42:43]
	v_add_f64 v[48:49], v[50:51], -v[48:49]
	;; [unrolled: 1-line block ×4, first 2 shown]
	v_fma_f64 v[52:53], -v[44:45], v[46:47], 1.0
	v_fma_f64 v[46:47], v[52:53], v[46:47], v[46:47]
	v_fma_f64 v[38:39], -v[44:45], v[46:47], 1.0
	v_fma_f64 v[38:39], v[38:39], v[46:47], v[46:47]
	v_mul_f64 v[46:47], v[50:51], v[38:39]
	v_mul_f64 v[52:53], v[44:45], v[46:47]
	v_fma_f64 v[42:43], v[46:47], v[44:45], -v[52:53]
	v_fma_f64 v[42:43], v[46:47], v[40:41], v[42:43]
	v_add_f64 v[54:55], v[52:53], v[42:43]
	v_add_f64 v[56:57], v[50:51], -v[54:55]
	v_add_f64 v[48:49], v[54:55], -v[52:53]
	;; [unrolled: 1-line block ×4, first 2 shown]
	v_max_f64 v[48:49], |v[1:2]|, |v[1:2]|
	v_ashrrev_i32_e32 v1, 31, v2
	v_and_b32_e32 v35, 0x54442d18, v1
	v_add_f64 v[50:51], v[50:51], -v[54:55]
	v_add_f64 v[10:11], v[10:11], v[50:51]
	v_add_f64 v[10:11], v[42:43], v[10:11]
	v_max_f64 v[42:43], |v[3:4]|, |v[3:4]|
	v_add_f64 v[50:51], v[56:57], v[10:11]
	v_max_f64 v[52:53], v[48:49], v[42:43]
	v_min_f64 v[42:43], v[48:49], v[42:43]
	v_mul_f64 v[48:49], v[38:39], v[50:51]
	v_add_f64 v[56:57], v[56:57], -v[50:51]
	v_div_scale_f64 v[54:55], s[12:13], v[52:53], v[52:53], v[42:43]
	s_mov_b32 s12, 0xb5e68a13
	s_mov_b32 s13, 0x3eeba404
	v_mul_f64 v[58:59], v[44:45], v[48:49]
	v_add_f64 v[10:11], v[10:11], v[56:57]
	v_fma_f64 v[44:45], v[48:49], v[44:45], -v[58:59]
	v_rcp_f64_e32 v[60:61], v[54:55]
	v_fma_f64 v[40:41], v[48:49], v[40:41], v[44:45]
	v_add_f64 v[44:45], v[58:59], v[40:41]
	v_fma_f64 v[70:71], -v[54:55], v[60:61], 1.0
	v_add_f64 v[72:73], v[50:51], -v[44:45]
	v_add_f64 v[56:57], v[44:45], -v[58:59]
	v_fma_f64 v[60:61], v[60:61], v[70:71], v[60:61]
	v_div_scale_f64 v[70:71], vcc, v[42:43], v[52:53], v[42:43]
	v_add_f64 v[50:51], v[50:51], -v[72:73]
	v_add_f64 v[40:41], v[56:57], -v[40:41]
	v_fma_f64 v[74:75], -v[54:55], v[60:61], 1.0
	v_add_f64 v[56:57], v[46:47], v[48:49]
	v_add_f64 v[44:45], v[50:51], -v[44:45]
	v_fma_f64 v[50:51], v[60:61], v[74:75], v[60:61]
	v_add_f64 v[46:47], v[56:57], -v[46:47]
	v_add_f64 v[10:11], v[10:11], v[44:45]
	v_mul_f64 v[44:45], v[70:71], v[50:51]
	v_add_f64 v[10:11], v[40:41], v[10:11]
	v_fma_f64 v[40:41], -v[54:55], v[44:45], v[70:71]
	v_add_f64 v[10:11], v[72:73], v[10:11]
	v_div_fmas_f64 v[40:41], v[40:41], v[50:51], v[44:45]
	v_add_f64 v[44:45], v[48:49], -v[46:47]
	v_cmp_gt_i32_e32 vcc, 0, v2
	v_cndmask_b32_e32 v18, v68, v69, vcc
	v_mul_f64 v[10:11], v[38:39], v[10:11]
	v_add_f64 v[10:11], v[44:45], v[10:11]
	v_div_fixup_f64 v[38:39], v[40:41], v[52:53], v[42:43]
	v_cvt_f64_i32_e32 v[52:53], v9
	v_mul_f64 v[54:55], v[52:53], s[44:45]
	v_add_f64 v[40:41], v[56:57], v[10:11]
	v_mul_f64 v[42:43], v[38:39], v[38:39]
	v_mul_f64 v[44:45], v[40:41], v[40:41]
	v_fma_f64 v[46:47], v[42:43], s[12:13], v[21:22]
	s_mov_b32 s12, 0x69efb384
	s_mov_b32 s13, 0x3f4b2bb0
	v_fma_f64 v[48:49], v[44:45], s[34:35], v[19:20]
	v_mul_f64 v[50:51], v[40:41], v[44:45]
	v_fma_f64 v[46:47], v[42:43], v[46:47], s[12:13]
	s_mov_b32 s12, 0xaf56de9b
	s_mov_b32 s13, 0xbf67952d
	v_fma_f64 v[48:49], v[44:45], v[48:49], s[36:37]
	v_fma_f64 v[46:47], v[42:43], v[46:47], s[12:13]
	s_mov_b32 s12, 0xa595c56f
	s_mov_b32 s13, 0x3f7d6d43
	v_fma_f64 v[48:49], v[44:45], v[48:49], s[38:39]
	;; [unrolled: 4-line block ×5, first 2 shown]
	v_ldexp_f64 v[48:49], v[40:41], 1
	v_fma_f64 v[46:47], v[42:43], v[46:47], s[12:13]
	s_mov_b32 s12, 0x5711927a
	s_mov_b32 s13, 0x3fa2c15b
	v_add_f64 v[40:41], v[40:41], -v[56:57]
	v_mul_f64 v[44:45], v[50:51], v[44:45]
	v_fma_f64 v[46:47], v[42:43], v[46:47], s[12:13]
	s_mov_b32 s12, 0xe82d3ff0
	s_mov_b32 s13, 0xbfa59976
	v_add_f64 v[9:10], v[10:11], -v[40:41]
	v_cndmask_b32_e32 v11, v66, v67, vcc
	v_add_f64 v[50:51], v[48:49], v[44:45]
	v_fma_f64 v[46:47], v[42:43], v[46:47], s[12:13]
	v_cmp_eq_f64_e64 s[12:13], 0, v[3:4]
	v_ldexp_f64 v[9:10], v[9:10], 1
	v_add_f64 v[40:41], v[50:51], -v[48:49]
	v_fma_f64 v[48:49], v[52:53], s[44:45], -v[54:55]
	v_fma_f64 v[46:47], v[42:43], v[46:47], s[66:67]
	v_add_f64 v[40:41], v[44:45], -v[40:41]
	v_fma_f64 v[44:45], v[42:43], v[46:47], s[68:69]
	v_fma_f64 v[46:47], v[52:53], s[46:47], v[48:49]
	v_add_f64 v[9:10], v[9:10], v[40:41]
	v_fma_f64 v[40:41], v[42:43], v[44:45], s[70:71]
	v_add_f64 v[44:45], v[54:55], v[46:47]
	v_add_f64 v[48:49], v[50:51], v[9:10]
	v_fma_f64 v[40:41], v[42:43], v[40:41], s[72:73]
	v_add_f64 v[54:55], v[44:45], -v[54:55]
	v_add_f64 v[52:53], v[44:45], v[48:49]
	v_add_f64 v[50:51], v[48:49], -v[50:51]
	v_fma_f64 v[40:41], v[42:43], v[40:41], s[74:75]
	v_add_f64 v[46:47], v[46:47], -v[54:55]
	v_add_f64 v[56:57], v[52:53], -v[44:45]
	;; [unrolled: 1-line block ×3, first 2 shown]
	v_fma_f64 v[40:41], v[42:43], v[40:41], s[76:77]
	v_add_f64 v[58:59], v[52:53], -v[56:57]
	v_add_f64 v[48:49], v[48:49], -v[56:57]
	v_fma_f64 v[40:41], v[42:43], v[40:41], s[78:79]
	v_add_f64 v[50:51], v[46:47], v[9:10]
	v_add_f64 v[44:45], v[44:45], -v[58:59]
	v_fma_f64 v[40:41], v[42:43], v[40:41], s[80:81]
	v_add_f64 v[44:45], v[48:49], v[44:45]
	;; [unrolled: 3-line block ×3, first 2 shown]
	v_add_f64 v[50:51], v[50:51], -v[48:49]
	v_fma_f64 v[40:41], v[42:43], v[40:41], s[84:85]
	v_add_f64 v[9:10], v[9:10], -v[48:49]
	v_add_f64 v[54:55], v[52:53], v[44:45]
	v_mul_f64 v[40:41], v[42:43], v[40:41]
	v_add_f64 v[42:43], v[46:47], -v[50:51]
	v_add_f64 v[46:47], v[54:55], -v[52:53]
	v_fma_f64 v[38:39], v[38:39], v[40:41], v[38:39]
	v_add_f64 v[9:10], v[9:10], v[42:43]
	v_add_f64 v[40:41], v[44:45], -v[46:47]
	v_add_f64 v[42:43], -v[38:39], s[18:19]
	v_add_f64 v[9:10], v[9:10], v[40:41]
	v_cndmask_b32_e64 v39, v39, v43, s[10:11]
	v_cndmask_b32_e64 v38, v38, v42, s[10:11]
	v_add_f64 v[40:41], -v[38:39], s[86:87]
	v_add_f64 v[9:10], v[54:55], v[9:10]
	v_cndmask_b32_e32 v38, v38, v40, vcc
	v_and_b32_e32 v40, 0x400921fb, v1
	v_mul_f64 v[1:2], v[9:10], 0.5
	v_cndmask_b32_e32 v10, v39, v41, vcc
	v_bfi_b32 v9, s64, v18, v4
	v_cndmask_b32_e64 v18, v38, v35, s[12:13]
	v_cndmask_b32_e64 v10, v10, v40, s[12:13]
	s_and_b64 s[12:13], s[14:15], s[16:17]
	s_and_b64 vcc, s[56:57], s[58:59]
	s_mov_b32 s56, 0x69efb384
	v_cndmask_b32_e64 v35, 0, v1, s[12:13]
	v_cmp_ngt_f64_e64 s[12:13], -1.0, v[36:37]
	v_cndmask_b32_e64 v2, v63, v2, s[16:17]
	s_mov_b32 s58, 0xb5e68a13
	s_mov_b32 s57, 0x3f4b2bb0
	;; [unrolled: 1-line block ×3, first 2 shown]
	v_cndmask_b32_e32 v10, v10, v9, vcc
	v_cndmask_b32_e32 v9, v18, v11, vcc
	v_cndmask_b32_e64 v1, v64, v2, s[12:13]
	v_cmp_neq_f64_e64 s[12:13], -1.0, v[36:37]
	v_cndmask_b32_e64 v36, v65, v1, s[12:13]
.LBB197_59:                             ;   in Loop: Header=BB197_4 Depth=1
	s_or_b64 exec, exec, s[54:55]
.LBB197_60:                             ;   in Loop: Header=BB197_4 Depth=1
	s_or_b64 exec, exec, s[52:53]
.LBB197_61:                             ;   in Loop: Header=BB197_4 Depth=1
	s_andn2_saveexec_b64 s[16:17], s[50:51]
	s_cbranch_execz .LBB197_63
; %bb.62:                               ;   in Loop: Header=BB197_4 Depth=1
	v_max_f64 v[9:10], |v[3:4]|, |v[3:4]|
	v_max_f64 v[38:39], |v[1:2]|, |v[1:2]|
	v_cmp_class_f64_e64 s[50:51], v[1:2], s65
	v_cmp_class_f64_e64 s[52:53], v[3:4], s65
	s_mov_b32 s31, s27
	s_mov_b32 s86, s18
	v_max_f64 v[40:41], v[38:39], v[9:10]
	v_min_f64 v[9:10], v[38:39], v[9:10]
	v_frexp_exp_i32_f64_e32 v11, v[40:41]
	v_sub_u32_e32 v18, 0, v11
	v_ldexp_f64 v[35:36], |v[3:4]|, v18
	v_ldexp_f64 v[42:43], |v[1:2]|, v18
	v_mul_f64 v[35:36], v[35:36], v[35:36]
	v_fma_f64 v[35:36], v[42:43], v[42:43], v[35:36]
	v_rsq_f64_e32 v[42:43], v[35:36]
	v_cmp_eq_f64_e32 vcc, 0, v[35:36]
	v_mul_f64 v[44:45], v[35:36], v[42:43]
	v_mul_f64 v[42:43], v[42:43], 0.5
	v_fma_f64 v[46:47], -v[42:43], v[44:45], 0.5
	v_fma_f64 v[44:45], v[44:45], v[46:47], v[44:45]
	v_fma_f64 v[42:43], v[42:43], v[46:47], v[42:43]
	v_fma_f64 v[46:47], -v[44:45], v[44:45], v[35:36]
	v_fma_f64 v[42:43], v[46:47], v[42:43], v[44:45]
	v_cndmask_b32_e32 v36, v43, v36, vcc
	v_cndmask_b32_e32 v35, v42, v35, vcc
	v_ldexp_f64 v[35:36], v[35:36], v11
	s_or_b64 vcc, s[52:53], s[50:51]
	v_cndmask_b32_e32 v37, v36, v63, vcc
	v_cndmask_b32_e64 v36, v35, 0, vcc
	v_frexp_mant_f64_e32 v[42:43], v[36:37]
	v_cmp_gt_f64_e64 s[12:13], s[26:27], v[42:43]
	v_cndmask_b32_e64 v1, 0, 1, s[12:13]
	v_ldexp_f64 v[42:43], v[42:43], v1
	v_frexp_exp_i32_f64_e32 v1, v[36:37]
	v_add_f64 v[44:45], v[42:43], 1.0
	v_add_f64 v[50:51], v[42:43], -1.0
	v_rcp_f64_e32 v[46:47], v[44:45]
	v_add_f64 v[54:55], v[44:45], -1.0
	v_add_f64 v[42:43], v[42:43], -v[54:55]
	v_fma_f64 v[48:49], -v[44:45], v[46:47], 1.0
	v_fma_f64 v[38:39], v[48:49], v[46:47], v[46:47]
	v_div_scale_f64 v[46:47], s[14:15], v[40:41], v[40:41], v[9:10]
	s_mov_b32 s14, 0xaf56de9b
	s_mov_b32 s15, 0xbf67952d
	v_fma_f64 v[48:49], -v[44:45], v[38:39], 1.0
	v_fma_f64 v[38:39], v[48:49], v[38:39], v[38:39]
	v_rcp_f64_e32 v[48:49], v[46:47]
	v_mul_f64 v[52:53], v[50:51], v[38:39]
	v_mul_f64 v[56:57], v[44:45], v[52:53]
	v_fma_f64 v[58:59], -v[46:47], v[48:49], 1.0
	v_fma_f64 v[44:45], v[52:53], v[44:45], -v[56:57]
	v_fma_f64 v[48:49], v[48:49], v[58:59], v[48:49]
	v_fma_f64 v[42:43], v[52:53], v[42:43], v[44:45]
	v_div_scale_f64 v[44:45], vcc, v[9:10], v[40:41], v[9:10]
	v_fma_f64 v[54:55], -v[46:47], v[48:49], 1.0
	v_add_f64 v[58:59], v[56:57], v[42:43]
	v_fma_f64 v[48:49], v[48:49], v[54:55], v[48:49]
	v_add_f64 v[54:55], v[50:51], -v[58:59]
	v_add_f64 v[56:57], v[58:59], -v[56:57]
	v_mul_f64 v[60:61], v[44:45], v[48:49]
	v_add_f64 v[50:51], v[50:51], -v[54:55]
	v_add_f64 v[42:43], v[56:57], -v[42:43]
	v_fma_f64 v[44:45], -v[46:47], v[60:61], v[44:45]
	v_add_f64 v[46:47], v[50:51], -v[58:59]
	v_div_fmas_f64 v[44:45], v[44:45], v[48:49], v[60:61]
	v_subbrev_co_u32_e64 v1, vcc, 0, v1, s[12:13]
	v_cmp_eq_f64_e64 s[12:13], 0, v[3:4]
	v_cmp_gt_i32_e32 vcc, 0, v2
	v_add_f64 v[42:43], v[42:43], v[46:47]
	v_cndmask_b32_e32 v35, v68, v69, vcc
	v_cndmask_b32_e32 v11, v66, v67, vcc
	v_bfi_b32 v35, s64, v35, v4
	v_add_f64 v[42:43], v[54:55], v[42:43]
	v_div_fixup_f64 v[9:10], v[44:45], v[40:41], v[9:10]
	v_mul_f64 v[38:39], v[38:39], v[42:43]
	v_mul_f64 v[40:41], v[9:10], v[9:10]
	v_add_f64 v[42:43], v[52:53], v[38:39]
	v_fma_f64 v[44:45], v[40:41], s[58:59], v[21:22]
	v_mul_f64 v[46:47], v[42:43], v[42:43]
	v_fma_f64 v[44:45], v[40:41], v[44:45], s[56:57]
	v_fma_f64 v[48:49], v[46:47], s[34:35], v[19:20]
	v_mul_f64 v[50:51], v[42:43], v[46:47]
	v_fma_f64 v[44:45], v[40:41], v[44:45], s[14:15]
	s_mov_b32 s14, 0xa595c56f
	s_mov_b32 s15, 0x3f7d6d43
	v_fma_f64 v[48:49], v[46:47], v[48:49], s[36:37]
	v_fma_f64 v[44:45], v[40:41], v[44:45], s[14:15]
	s_mov_b32 s14, 0xa57d9582
	s_mov_b32 s15, 0xbf8c6ea4
	v_fma_f64 v[48:49], v[46:47], v[48:49], s[38:39]
	;; [unrolled: 4-line block ×5, first 2 shown]
	v_ldexp_f64 v[48:49], v[42:43], 1
	v_add_f64 v[42:43], v[42:43], -v[52:53]
	v_fma_f64 v[44:45], v[40:41], v[44:45], s[14:15]
	s_mov_b32 s14, 0xe82d3ff0
	s_mov_b32 s15, 0xbfa59976
	v_cvt_f64_i32_e32 v[52:53], v1
	v_ashrrev_i32_e32 v1, 31, v2
	v_mul_f64 v[46:47], v[50:51], v[46:47]
	v_and_b32_e32 v18, 0x54442d18, v1
	v_mul_f64 v[54:55], v[52:53], s[44:45]
	v_fma_f64 v[44:45], v[40:41], v[44:45], s[14:15]
	v_add_f64 v[38:39], v[38:39], -v[42:43]
	v_cmp_class_f64_e64 s[14:15], v[36:37], s65
	v_add_f64 v[50:51], v[48:49], v[46:47]
	v_fma_f64 v[44:45], v[40:41], v[44:45], s[66:67]
	v_ldexp_f64 v[38:39], v[38:39], 1
	v_add_f64 v[42:43], v[50:51], -v[48:49]
	v_fma_f64 v[48:49], v[52:53], s[44:45], -v[54:55]
	v_fma_f64 v[44:45], v[40:41], v[44:45], s[68:69]
	v_add_f64 v[42:43], v[46:47], -v[42:43]
	v_fma_f64 v[46:47], v[52:53], s[46:47], v[48:49]
	v_fma_f64 v[44:45], v[40:41], v[44:45], s[70:71]
	v_add_f64 v[38:39], v[38:39], v[42:43]
	v_fma_f64 v[42:43], v[40:41], v[44:45], s[72:73]
	v_add_f64 v[44:45], v[54:55], v[46:47]
	v_add_f64 v[48:49], v[50:51], v[38:39]
	v_fma_f64 v[42:43], v[40:41], v[42:43], s[74:75]
	v_add_f64 v[54:55], v[44:45], -v[54:55]
	v_add_f64 v[52:53], v[44:45], v[48:49]
	v_add_f64 v[50:51], v[48:49], -v[50:51]
	v_fma_f64 v[42:43], v[40:41], v[42:43], s[76:77]
	v_add_f64 v[46:47], v[46:47], -v[54:55]
	v_add_f64 v[56:57], v[52:53], -v[44:45]
	;; [unrolled: 1-line block ×3, first 2 shown]
	v_fma_f64 v[42:43], v[40:41], v[42:43], s[78:79]
	v_add_f64 v[58:59], v[52:53], -v[56:57]
	v_add_f64 v[48:49], v[48:49], -v[56:57]
	v_add_f64 v[50:51], v[46:47], v[38:39]
	v_fma_f64 v[42:43], v[40:41], v[42:43], s[80:81]
	v_add_f64 v[44:45], v[44:45], -v[58:59]
	v_fma_f64 v[42:43], v[40:41], v[42:43], s[82:83]
	v_add_f64 v[44:45], v[48:49], v[44:45]
	v_add_f64 v[48:49], v[50:51], -v[46:47]
	v_fma_f64 v[42:43], v[40:41], v[42:43], s[84:85]
	v_add_f64 v[44:45], v[50:51], v[44:45]
	v_add_f64 v[38:39], v[38:39], -v[48:49]
	v_mul_f64 v[40:41], v[40:41], v[42:43]
	v_add_f64 v[42:43], v[50:51], -v[48:49]
	v_add_f64 v[50:51], v[52:53], v[44:45]
	v_fma_f64 v[9:10], v[9:10], v[40:41], v[9:10]
	v_add_f64 v[40:41], v[46:47], -v[42:43]
	v_add_f64 v[42:43], v[50:51], -v[52:53]
	v_add_f64 v[46:47], -v[9:10], s[18:19]
	v_add_f64 v[38:39], v[38:39], v[40:41]
	v_add_f64 v[40:41], v[44:45], -v[42:43]
	v_cndmask_b32_e64 v10, v10, v47, s[10:11]
	v_cndmask_b32_e64 v9, v9, v46, s[10:11]
	v_add_f64 v[42:43], -v[9:10], s[86:87]
	v_add_f64 v[38:39], v[38:39], v[40:41]
	v_and_b32_e32 v40, 0x400921fb, v1
	v_cndmask_b32_e32 v9, v9, v42, vcc
	v_cndmask_b32_e32 v10, v10, v43, vcc
	v_cndmask_b32_e64 v9, v9, v18, s[12:13]
	v_add_f64 v[1:2], v[50:51], v[38:39]
	v_cndmask_b32_e64 v10, v10, v40, s[12:13]
	v_cmp_ngt_f64_e64 s[12:13], 0, v[36:37]
	s_and_b64 vcc, s[52:53], s[50:51]
	v_cndmask_b32_e32 v10, v10, v35, vcc
	v_cndmask_b32_e32 v9, v9, v11, vcc
	v_cndmask_b32_e64 v2, v2, v37, s[14:15]
	v_cndmask_b32_e64 v1, v1, v36, s[14:15]
	v_cndmask_b32_e64 v2, v64, v2, s[12:13]
	v_cmp_nge_f64_e64 s[12:13], 0, v[36:37]
	v_cndmask_b32_e64 v35, 0, v1, s[12:13]
	v_cmp_neq_f64_e64 s[12:13], 0, v[36:37]
	v_cndmask_b32_e64 v36, v65, v2, s[12:13]
.LBB197_63:                             ;   in Loop: Header=BB197_4 Depth=1
	s_or_b64 exec, exec, s[16:17]
                                        ; implicit-def: $vgpr39_vgpr40
.LBB197_64:                             ;   in Loop: Header=BB197_4 Depth=1
	s_andn2_saveexec_b64 s[16:17], s[48:49]
	s_cbranch_execz .LBB197_70
; %bb.65:                               ;   in Loop: Header=BB197_4 Depth=1
	s_mov_b32 s12, 0x6a3f9475
	s_mov_b32 s13, 0x20ca2fe7
	v_cmp_ngt_f64_e32 vcc, s[12:13], v[39:40]
                                        ; implicit-def: $vgpr35_vgpr36
                                        ; implicit-def: $vgpr9_vgpr10
	s_and_saveexec_b64 s[12:13], vcc
	s_xor_b64 s[48:49], exec, s[12:13]
	s_cbranch_execz .LBB197_67
; %bb.66:                               ;   in Loop: Header=BB197_4 Depth=1
	v_mul_f64 v[9:10], v[39:40], v[39:40]
	s_mov_b32 s31, s27
	s_mov_b32 s86, s18
	;; [unrolled: 1-line block ×3, first 2 shown]
	v_cmp_class_f64_e64 s[50:51], v[3:4], s65
	v_cmp_class_f64_e64 s[52:53], v[1:2], s65
	s_mov_b32 s15, 0x7ff00000
	v_add_f64 v[35:36], v[9:10], 1.0
	v_cmp_neq_f64_e64 s[14:15], s[14:15], v[9:10]
	v_frexp_mant_f64_e32 v[39:40], v[35:36]
	v_frexp_exp_i32_f64_e32 v11, v[35:36]
	v_add_f64 v[37:38], v[35:36], -1.0
	v_cmp_gt_f64_e32 vcc, s[26:27], v[39:40]
	v_add_f64 v[41:42], v[37:38], -v[35:36]
	v_add_f64 v[37:38], v[9:10], -v[37:38]
	v_subbrev_co_u32_e32 v11, vcc, 0, v11, vcc
	v_sub_u32_e32 v18, 0, v11
	v_ldexp_f64 v[35:36], v[35:36], v18
	v_add_f64 v[39:40], v[41:42], 1.0
	v_add_f64 v[41:42], v[35:36], 1.0
	v_add_f64 v[37:38], v[37:38], v[39:40]
	v_add_f64 v[47:48], v[35:36], -1.0
	v_add_f64 v[39:40], v[41:42], -1.0
	v_ldexp_f64 v[37:38], v[37:38], v18
	v_add_f64 v[49:50], v[47:48], 1.0
	v_add_f64 v[39:40], v[35:36], -v[39:40]
	v_add_f64 v[35:36], v[35:36], -v[49:50]
	v_add_f64 v[39:40], v[37:38], v[39:40]
	v_add_f64 v[35:36], v[37:38], v[35:36]
	;; [unrolled: 1-line block ×4, first 2 shown]
	v_rcp_f64_e32 v[45:46], v[43:44]
	v_add_f64 v[41:42], v[41:42], -v[43:44]
	v_add_f64 v[47:48], v[47:48], -v[49:50]
	v_add_f64 v[39:40], v[39:40], v[41:42]
	v_add_f64 v[35:36], v[35:36], v[47:48]
	v_fma_f64 v[51:52], -v[43:44], v[45:46], 1.0
	v_fma_f64 v[45:46], v[51:52], v[45:46], v[45:46]
	v_fma_f64 v[37:38], -v[43:44], v[45:46], 1.0
	v_fma_f64 v[37:38], v[37:38], v[45:46], v[45:46]
	v_mul_f64 v[45:46], v[49:50], v[37:38]
	v_mul_f64 v[51:52], v[43:44], v[45:46]
	v_fma_f64 v[41:42], v[45:46], v[43:44], -v[51:52]
	v_fma_f64 v[41:42], v[45:46], v[39:40], v[41:42]
	v_add_f64 v[53:54], v[51:52], v[41:42]
	v_add_f64 v[55:56], v[49:50], -v[53:54]
	v_add_f64 v[47:48], v[53:54], -v[51:52]
	;; [unrolled: 1-line block ×4, first 2 shown]
	v_max_f64 v[47:48], |v[1:2]|, |v[1:2]|
	v_ashrrev_i32_e32 v1, 31, v2
	v_and_b32_e32 v18, 0x54442d18, v1
	v_add_f64 v[49:50], v[49:50], -v[53:54]
	v_add_f64 v[35:36], v[35:36], v[49:50]
	v_add_f64 v[35:36], v[41:42], v[35:36]
	v_max_f64 v[41:42], |v[3:4]|, |v[3:4]|
	v_add_f64 v[49:50], v[55:56], v[35:36]
	v_max_f64 v[51:52], v[47:48], v[41:42]
	v_min_f64 v[41:42], v[47:48], v[41:42]
	v_mul_f64 v[47:48], v[37:38], v[49:50]
	v_add_f64 v[55:56], v[55:56], -v[49:50]
	v_div_scale_f64 v[53:54], s[12:13], v[51:52], v[51:52], v[41:42]
	s_mov_b32 s12, 0xaf56de9b
	s_mov_b32 s13, 0xbf67952d
	v_mul_f64 v[57:58], v[43:44], v[47:48]
	v_add_f64 v[35:36], v[35:36], v[55:56]
	v_fma_f64 v[43:44], v[47:48], v[43:44], -v[57:58]
	v_rcp_f64_e32 v[59:60], v[53:54]
	v_fma_f64 v[39:40], v[47:48], v[39:40], v[43:44]
	v_add_f64 v[43:44], v[57:58], v[39:40]
	v_fma_f64 v[61:62], -v[53:54], v[59:60], 1.0
	v_add_f64 v[70:71], v[49:50], -v[43:44]
	v_add_f64 v[55:56], v[43:44], -v[57:58]
	v_fma_f64 v[59:60], v[59:60], v[61:62], v[59:60]
	v_div_scale_f64 v[61:62], vcc, v[41:42], v[51:52], v[41:42]
	v_add_f64 v[49:50], v[49:50], -v[70:71]
	v_add_f64 v[39:40], v[55:56], -v[39:40]
	v_fma_f64 v[72:73], -v[53:54], v[59:60], 1.0
	v_add_f64 v[55:56], v[45:46], v[47:48]
	v_add_f64 v[43:44], v[49:50], -v[43:44]
	v_fma_f64 v[49:50], v[59:60], v[72:73], v[59:60]
	v_add_f64 v[45:46], v[55:56], -v[45:46]
	v_add_f64 v[35:36], v[35:36], v[43:44]
	v_mul_f64 v[43:44], v[61:62], v[49:50]
	v_add_f64 v[35:36], v[39:40], v[35:36]
	v_fma_f64 v[39:40], -v[53:54], v[43:44], v[61:62]
	v_add_f64 v[35:36], v[70:71], v[35:36]
	v_div_fmas_f64 v[39:40], v[39:40], v[49:50], v[43:44]
	v_add_f64 v[43:44], v[47:48], -v[45:46]
	v_cmp_gt_i32_e32 vcc, 0, v2
	v_mul_f64 v[35:36], v[37:38], v[35:36]
	v_add_f64 v[35:36], v[43:44], v[35:36]
	v_div_fixup_f64 v[37:38], v[39:40], v[51:52], v[41:42]
	v_cvt_f64_i32_e32 v[51:52], v11
	v_cndmask_b32_e32 v11, v66, v67, vcc
	v_mul_f64 v[53:54], v[51:52], s[44:45]
	v_add_f64 v[39:40], v[55:56], v[35:36]
	v_mul_f64 v[41:42], v[37:38], v[37:38]
	v_mul_f64 v[43:44], v[39:40], v[39:40]
	v_fma_f64 v[45:46], v[41:42], s[58:59], v[21:22]
	v_fma_f64 v[47:48], v[43:44], s[34:35], v[19:20]
	v_mul_f64 v[49:50], v[39:40], v[43:44]
	v_fma_f64 v[45:46], v[41:42], v[45:46], s[56:57]
	v_fma_f64 v[47:48], v[43:44], v[47:48], s[36:37]
	;; [unrolled: 1-line block ×3, first 2 shown]
	s_mov_b32 s12, 0xa595c56f
	s_mov_b32 s13, 0x3f7d6d43
	v_fma_f64 v[47:48], v[43:44], v[47:48], s[38:39]
	v_fma_f64 v[45:46], v[41:42], v[45:46], s[12:13]
	s_mov_b32 s12, 0xa57d9582
	s_mov_b32 s13, 0xbf8c6ea4
	v_fma_f64 v[47:48], v[43:44], v[47:48], s[40:41]
	v_fma_f64 v[45:46], v[41:42], v[45:46], s[12:13]
	;; [unrolled: 4-line block ×3, first 2 shown]
	s_mov_b32 s12, 0xfc27006a
	s_mov_b32 s13, 0xbf9e9ae6
	v_fma_f64 v[43:44], v[43:44], v[47:48], s[30:31]
	v_ldexp_f64 v[47:48], v[39:40], 1
	v_fma_f64 v[45:46], v[41:42], v[45:46], s[12:13]
	s_mov_b32 s12, 0x5711927a
	s_mov_b32 s13, 0x3fa2c15b
	v_add_f64 v[39:40], v[39:40], -v[55:56]
	v_mul_f64 v[43:44], v[49:50], v[43:44]
	v_fma_f64 v[45:46], v[41:42], v[45:46], s[12:13]
	s_mov_b32 s12, 0xe82d3ff0
	s_mov_b32 s13, 0xbfa59976
	v_add_f64 v[35:36], v[35:36], -v[39:40]
	v_add_f64 v[49:50], v[47:48], v[43:44]
	v_fma_f64 v[45:46], v[41:42], v[45:46], s[12:13]
	v_cmp_eq_f64_e64 s[12:13], 0, v[3:4]
	v_ldexp_f64 v[35:36], v[35:36], 1
	v_add_f64 v[39:40], v[49:50], -v[47:48]
	v_fma_f64 v[47:48], v[51:52], s[44:45], -v[53:54]
	v_fma_f64 v[45:46], v[41:42], v[45:46], s[66:67]
	v_add_f64 v[39:40], v[43:44], -v[39:40]
	v_fma_f64 v[43:44], v[41:42], v[45:46], s[68:69]
	v_fma_f64 v[45:46], v[51:52], s[46:47], v[47:48]
	v_add_f64 v[35:36], v[35:36], v[39:40]
	v_fma_f64 v[39:40], v[41:42], v[43:44], s[70:71]
	v_add_f64 v[43:44], v[53:54], v[45:46]
	v_add_f64 v[47:48], v[49:50], v[35:36]
	v_fma_f64 v[39:40], v[41:42], v[39:40], s[72:73]
	v_add_f64 v[53:54], v[43:44], -v[53:54]
	v_add_f64 v[51:52], v[43:44], v[47:48]
	v_add_f64 v[49:50], v[47:48], -v[49:50]
	v_fma_f64 v[39:40], v[41:42], v[39:40], s[74:75]
	v_add_f64 v[45:46], v[45:46], -v[53:54]
	v_add_f64 v[55:56], v[51:52], -v[43:44]
	;; [unrolled: 1-line block ×3, first 2 shown]
	v_fma_f64 v[39:40], v[41:42], v[39:40], s[76:77]
	v_add_f64 v[57:58], v[51:52], -v[55:56]
	v_add_f64 v[47:48], v[47:48], -v[55:56]
	v_fma_f64 v[39:40], v[41:42], v[39:40], s[78:79]
	v_add_f64 v[49:50], v[45:46], v[35:36]
	v_add_f64 v[43:44], v[43:44], -v[57:58]
	v_fma_f64 v[39:40], v[41:42], v[39:40], s[80:81]
	v_add_f64 v[43:44], v[47:48], v[43:44]
	;; [unrolled: 3-line block ×3, first 2 shown]
	v_add_f64 v[49:50], v[49:50], -v[47:48]
	v_fma_f64 v[39:40], v[41:42], v[39:40], s[84:85]
	v_add_f64 v[35:36], v[35:36], -v[47:48]
	v_add_f64 v[53:54], v[51:52], v[43:44]
	v_mul_f64 v[39:40], v[41:42], v[39:40]
	v_add_f64 v[41:42], v[45:46], -v[49:50]
	v_add_f64 v[45:46], v[53:54], -v[51:52]
	v_fma_f64 v[37:38], v[37:38], v[39:40], v[37:38]
	v_add_f64 v[35:36], v[35:36], v[41:42]
	v_add_f64 v[39:40], v[43:44], -v[45:46]
	v_add_f64 v[41:42], -v[37:38], s[18:19]
	v_add_f64 v[35:36], v[35:36], v[39:40]
	v_cndmask_b32_e64 v38, v38, v42, s[10:11]
	v_cndmask_b32_e64 v37, v37, v41, s[10:11]
	v_add_f64 v[39:40], -v[37:38], s[86:87]
	v_and_b32_e32 v41, 0x400921fb, v1
	v_add_f64 v[35:36], v[53:54], v[35:36]
	v_cndmask_b32_e32 v37, v37, v39, vcc
	v_cndmask_b32_e32 v39, v68, v69, vcc
	;; [unrolled: 1-line block ×3, first 2 shown]
	v_bfi_b32 v9, s64, v39, v4
	v_mul_f64 v[1:2], v[35:36], 0.5
	v_cndmask_b32_e64 v18, v37, v18, s[12:13]
	v_cndmask_b32_e64 v10, v10, v41, s[12:13]
	s_and_b64 vcc, s[50:51], s[52:53]
	v_cndmask_b32_e32 v10, v10, v9, vcc
	v_cndmask_b32_e32 v9, v18, v11, vcc
                                        ; implicit-def: $vgpr39_vgpr40
	v_cndmask_b32_e64 v36, v63, v2, s[14:15]
	v_cndmask_b32_e64 v35, 0, v1, s[14:15]
.LBB197_67:                             ;   in Loop: Header=BB197_4 Depth=1
	s_andn2_saveexec_b64 s[14:15], s[48:49]
	s_cbranch_execz .LBB197_69
; %bb.68:                               ;   in Loop: Header=BB197_4 Depth=1
	v_max_f64 v[9:10], |v[3:4]|, |v[3:4]|
	v_max_f64 v[35:36], |v[1:2]|, |v[1:2]|
	s_mov_b32 s86, s18
	v_cmp_class_f64_e64 s[48:49], v[3:4], s65
	v_cmp_class_f64_e64 s[50:51], v[1:2], s65
	v_ashrrev_i32_e32 v11, 31, v2
	v_max_f64 v[37:38], v[35:36], v[9:10]
	v_min_f64 v[9:10], v[35:36], v[9:10]
	v_div_scale_f64 v[35:36], s[12:13], v[37:38], v[37:38], v[9:10]
	s_mov_b32 s12, 0xaf56de9b
	s_mov_b32 s13, 0xbf67952d
	v_rcp_f64_e32 v[41:42], v[35:36]
	v_fma_f64 v[43:44], -v[35:36], v[41:42], 1.0
	v_fma_f64 v[41:42], v[41:42], v[43:44], v[41:42]
	v_div_scale_f64 v[43:44], vcc, v[9:10], v[37:38], v[9:10]
	v_fma_f64 v[45:46], -v[35:36], v[41:42], 1.0
	v_fma_f64 v[41:42], v[41:42], v[45:46], v[41:42]
	v_mul_f64 v[45:46], v[43:44], v[41:42]
	v_fma_f64 v[35:36], -v[35:36], v[45:46], v[43:44]
	v_div_fmas_f64 v[35:36], v[35:36], v[41:42], v[45:46]
	v_mul_f64 v[41:42], v[39:40], 0.5
	v_cmp_gt_i32_e32 vcc, 0, v2
	v_cndmask_b32_e32 v1, v68, v69, vcc
	v_and_b32_e32 v2, 0x400921fb, v11
	v_cndmask_b32_e32 v18, v66, v67, vcc
	v_bfi_b32 v1, s64, v1, v4
	v_div_fixup_f64 v[9:10], v[35:36], v[37:38], v[9:10]
	v_mul_f64 v[35:36], v[9:10], v[9:10]
	v_fma_f64 v[37:38], v[35:36], s[58:59], v[21:22]
	v_fma_f64 v[37:38], v[35:36], v[37:38], s[56:57]
	;; [unrolled: 1-line block ×3, first 2 shown]
	s_mov_b32 s12, 0xa595c56f
	s_mov_b32 s13, 0x3f7d6d43
	v_fma_f64 v[37:38], v[35:36], v[37:38], s[12:13]
	s_mov_b32 s12, 0xa57d9582
	s_mov_b32 s13, 0xbf8c6ea4
	v_fma_f64 v[37:38], v[35:36], v[37:38], s[12:13]
	s_mov_b32 s12, 0x5f08b19f
	s_mov_b32 s13, 0x3f967e29
	v_fma_f64 v[37:38], v[35:36], v[37:38], s[12:13]
	s_mov_b32 s12, 0xfc27006a
	s_mov_b32 s13, 0xbf9e9ae6
	v_fma_f64 v[37:38], v[35:36], v[37:38], s[12:13]
	s_mov_b32 s12, 0x5711927a
	s_mov_b32 s13, 0x3fa2c15b
	v_fma_f64 v[37:38], v[35:36], v[37:38], s[12:13]
	s_mov_b32 s12, 0xe82d3ff0
	s_mov_b32 s13, 0xbfa59976
	v_fma_f64 v[37:38], v[35:36], v[37:38], s[12:13]
	v_cmp_eq_f64_e64 s[12:13], 0, v[3:4]
	v_fma_f64 v[37:38], v[35:36], v[37:38], s[66:67]
	v_fma_f64 v[37:38], v[35:36], v[37:38], s[68:69]
	;; [unrolled: 1-line block ×10, first 2 shown]
	v_mul_f64 v[35:36], v[35:36], v[37:38]
	v_and_b32_e32 v38, 0x54442d18, v11
	v_fma_f64 v[9:10], v[9:10], v[35:36], v[9:10]
	v_add_f64 v[35:36], -v[9:10], s[18:19]
	v_cndmask_b32_e64 v10, v10, v36, s[10:11]
	v_cndmask_b32_e64 v9, v9, v35, s[10:11]
	v_add_f64 v[36:37], -v[9:10], s[86:87]
	v_cndmask_b32_e32 v9, v9, v36, vcc
	v_mul_f64 v[35:36], v[39:40], v[41:42]
	v_cndmask_b32_e32 v10, v10, v37, vcc
	v_cndmask_b32_e64 v9, v9, v38, s[12:13]
	v_cndmask_b32_e64 v2, v10, v2, s[12:13]
	s_and_b64 vcc, s[48:49], s[50:51]
	v_cndmask_b32_e32 v10, v2, v1, vcc
	v_cndmask_b32_e32 v9, v9, v18, vcc
.LBB197_69:                             ;   in Loop: Header=BB197_4 Depth=1
	s_or_b64 exec, exec, s[14:15]
.LBB197_70:                             ;   in Loop: Header=BB197_4 Depth=1
	s_or_b64 exec, exec, s[16:17]
.LBB197_71:                             ;   in Loop: Header=BB197_4 Depth=1
	s_andn2_saveexec_b64 s[14:15], s[24:25]
	s_cbranch_execz .LBB197_73
; %bb.72:                               ;   in Loop: Header=BB197_4 Depth=1
	v_div_scale_f64 v[9:10], s[12:13], s[92:93], s[92:93], v[1:2]
	v_div_scale_f64 v[35:36], s[12:13], s[92:93], s[92:93], v[3:4]
	;; [unrolled: 1-line block ×3, first 2 shown]
	s_mov_b32 s31, s27
	s_mov_b32 s86, s18
	v_cmp_class_f64_e64 s[24:25], v[1:2], s65
	v_rcp_f64_e32 v[37:38], v[9:10]
	v_rcp_f64_e32 v[39:40], v[35:36]
	v_fma_f64 v[41:42], -v[9:10], v[37:38], 1.0
	v_fma_f64 v[43:44], -v[35:36], v[39:40], 1.0
	v_fma_f64 v[37:38], v[37:38], v[41:42], v[37:38]
	v_div_scale_f64 v[41:42], vcc, v[1:2], s[92:93], v[1:2]
	v_fma_f64 v[39:40], v[39:40], v[43:44], v[39:40]
	v_fma_f64 v[43:44], -v[9:10], v[37:38], 1.0
	v_fma_f64 v[47:48], -v[35:36], v[39:40], 1.0
	v_fma_f64 v[37:38], v[37:38], v[43:44], v[37:38]
	v_fma_f64 v[39:40], v[39:40], v[47:48], v[39:40]
	v_mul_f64 v[43:44], v[41:42], v[37:38]
	v_mul_f64 v[47:48], v[45:46], v[39:40]
	v_fma_f64 v[9:10], -v[9:10], v[43:44], v[41:42]
	v_fma_f64 v[35:36], -v[35:36], v[47:48], v[45:46]
	v_div_fmas_f64 v[9:10], v[9:10], v[37:38], v[43:44]
	s_mov_b64 vcc, s[12:13]
	v_div_fmas_f64 v[35:36], v[35:36], v[39:40], v[47:48]
	v_max_f64 v[46:47], |v[1:2]|, |v[1:2]|
	v_div_fixup_f64 v[9:10], v[9:10], s[92:93], v[1:2]
	v_ashrrev_i32_e32 v1, 31, v2
	v_div_fixup_f64 v[35:36], v[35:36], s[92:93], v[3:4]
	v_cmp_class_f64_e64 s[12:13], v[9:10], s65
	v_max_f64 v[37:38], |v[9:10]|, |v[35:36]|
	v_cmp_class_f64_e64 s[16:17], v[35:36], s65
	v_frexp_exp_i32_f64_e32 v11, v[37:38]
	v_sub_u32_e32 v18, 0, v11
	v_ldexp_f64 v[37:38], |v[35:36]|, v18
	v_ldexp_f64 v[39:40], |v[9:10]|, v18
	v_mul_f64 v[37:38], v[37:38], v[37:38]
	v_fma_f64 v[37:38], v[39:40], v[39:40], v[37:38]
	v_rsq_f64_e32 v[39:40], v[37:38]
	v_cmp_eq_f64_e32 vcc, 0, v[37:38]
	v_mul_f64 v[41:42], v[37:38], v[39:40]
	v_mul_f64 v[39:40], v[39:40], 0.5
	v_fma_f64 v[43:44], -v[39:40], v[41:42], 0.5
	v_fma_f64 v[41:42], v[41:42], v[43:44], v[41:42]
	v_fma_f64 v[39:40], v[39:40], v[43:44], v[39:40]
	v_fma_f64 v[43:44], -v[41:42], v[41:42], v[37:38]
	v_fma_f64 v[39:40], v[43:44], v[39:40], v[41:42]
	v_max_f64 v[44:45], |v[3:4]|, |v[3:4]|
	v_cndmask_b32_e32 v38, v40, v38, vcc
	v_cndmask_b32_e32 v37, v39, v37, vcc
	v_ldexp_f64 v[37:38], v[37:38], v11
	v_cmp_o_f64_e32 vcc, v[9:10], v[35:36]
	v_and_b32_e32 v35, 0x54442d18, v1
	v_cndmask_b32_e32 v9, 0, v37, vcc
	v_cndmask_b32_e32 v10, v64, v38, vcc
	s_or_b64 vcc, s[16:17], s[12:13]
	v_cndmask_b32_e32 v37, v10, v63, vcc
	v_cndmask_b32_e64 v36, v9, 0, vcc
	v_frexp_mant_f64_e32 v[9:10], v[36:37]
	v_cmp_gt_f64_e64 s[12:13], s[26:27], v[9:10]
	v_cndmask_b32_e64 v11, 0, 1, s[12:13]
	v_ldexp_f64 v[9:10], v[9:10], v11
	v_frexp_exp_i32_f64_e32 v11, v[36:37]
	v_add_f64 v[38:39], v[9:10], 1.0
	v_add_f64 v[50:51], v[9:10], -1.0
	v_rcp_f64_e32 v[40:41], v[38:39]
	v_add_f64 v[54:55], v[38:39], -1.0
	v_add_f64 v[9:10], v[9:10], -v[54:55]
	v_fma_f64 v[42:43], -v[38:39], v[40:41], 1.0
	v_fma_f64 v[40:41], v[42:43], v[40:41], v[40:41]
	v_max_f64 v[42:43], v[46:47], v[44:45]
	v_min_f64 v[44:45], v[46:47], v[44:45]
	v_fma_f64 v[46:47], -v[38:39], v[40:41], 1.0
	v_div_scale_f64 v[48:49], s[16:17], v[42:43], v[42:43], v[44:45]
	s_mov_b32 s16, 0xaf56de9b
	s_mov_b32 s17, 0xbf67952d
	v_fma_f64 v[40:41], v[46:47], v[40:41], v[40:41]
	v_mul_f64 v[46:47], v[50:51], v[40:41]
	v_rcp_f64_e32 v[52:53], v[48:49]
	v_mul_f64 v[56:57], v[38:39], v[46:47]
	v_fma_f64 v[38:39], v[46:47], v[38:39], -v[56:57]
	v_fma_f64 v[54:55], -v[48:49], v[52:53], 1.0
	v_fma_f64 v[9:10], v[46:47], v[9:10], v[38:39]
	v_fma_f64 v[38:39], v[52:53], v[54:55], v[52:53]
	v_div_scale_f64 v[54:55], vcc, v[44:45], v[42:43], v[44:45]
	v_add_f64 v[52:53], v[56:57], v[9:10]
	v_fma_f64 v[58:59], -v[48:49], v[38:39], 1.0
	v_add_f64 v[60:61], v[50:51], -v[52:53]
	v_add_f64 v[56:57], v[52:53], -v[56:57]
	v_fma_f64 v[38:39], v[38:39], v[58:59], v[38:39]
	v_add_f64 v[50:51], v[50:51], -v[60:61]
	v_add_f64 v[9:10], v[56:57], -v[9:10]
	v_mul_f64 v[58:59], v[54:55], v[38:39]
	v_add_f64 v[50:51], v[50:51], -v[52:53]
	v_fma_f64 v[48:49], -v[48:49], v[58:59], v[54:55]
	v_add_f64 v[9:10], v[9:10], v[50:51]
	v_div_fmas_f64 v[38:39], v[48:49], v[38:39], v[58:59]
	v_subbrev_co_u32_e64 v11, vcc, 0, v11, s[12:13]
	s_mov_b32 s12, 0xe82d3ff0
	s_mov_b32 s13, 0xbfa59976
	v_cmp_class_f64_e64 vcc, v[36:37], s65
	v_add_f64 v[9:10], v[60:61], v[9:10]
	v_mul_f64 v[9:10], v[40:41], v[9:10]
	v_div_fixup_f64 v[38:39], v[38:39], v[42:43], v[44:45]
	v_add_f64 v[40:41], v[46:47], v[9:10]
	v_mul_f64 v[42:43], v[38:39], v[38:39]
	v_mul_f64 v[44:45], v[40:41], v[40:41]
	v_fma_f64 v[48:49], v[42:43], s[58:59], v[21:22]
	v_fma_f64 v[50:51], v[44:45], s[34:35], v[19:20]
	v_mul_f64 v[52:53], v[40:41], v[44:45]
	v_fma_f64 v[48:49], v[42:43], v[48:49], s[56:57]
	v_fma_f64 v[50:51], v[44:45], v[50:51], s[36:37]
	;; [unrolled: 1-line block ×3, first 2 shown]
	s_mov_b32 s16, 0xa595c56f
	s_mov_b32 s17, 0x3f7d6d43
	v_fma_f64 v[50:51], v[44:45], v[50:51], s[38:39]
	v_fma_f64 v[48:49], v[42:43], v[48:49], s[16:17]
	s_mov_b32 s16, 0xa57d9582
	s_mov_b32 s17, 0xbf8c6ea4
	v_fma_f64 v[50:51], v[44:45], v[50:51], s[40:41]
	v_fma_f64 v[48:49], v[42:43], v[48:49], s[16:17]
	;; [unrolled: 4-line block ×3, first 2 shown]
	s_mov_b32 s16, 0xfc27006a
	s_mov_b32 s17, 0xbf9e9ae6
	v_fma_f64 v[44:45], v[44:45], v[50:51], s[30:31]
	v_ldexp_f64 v[50:51], v[40:41], 1
	v_fma_f64 v[48:49], v[42:43], v[48:49], s[16:17]
	s_mov_b32 s16, 0x5711927a
	s_mov_b32 s17, 0x3fa2c15b
	v_add_f64 v[40:41], v[40:41], -v[46:47]
	v_mul_f64 v[44:45], v[52:53], v[44:45]
	v_cvt_f64_i32_e32 v[52:53], v11
	v_fma_f64 v[48:49], v[42:43], v[48:49], s[16:17]
	v_cmp_class_f64_e64 s[16:17], v[3:4], s65
	v_mul_f64 v[54:55], v[52:53], s[44:45]
	v_add_f64 v[9:10], v[9:10], -v[40:41]
	v_add_f64 v[46:47], v[50:51], v[44:45]
	v_fma_f64 v[48:49], v[42:43], v[48:49], s[12:13]
	v_cmp_eq_f64_e64 s[12:13], 0, v[3:4]
	v_ldexp_f64 v[9:10], v[9:10], 1
	v_add_f64 v[40:41], v[46:47], -v[50:51]
	v_fma_f64 v[50:51], v[52:53], s[44:45], -v[54:55]
	v_fma_f64 v[48:49], v[42:43], v[48:49], s[66:67]
	v_add_f64 v[40:41], v[44:45], -v[40:41]
	v_fma_f64 v[44:45], v[42:43], v[48:49], s[68:69]
	v_fma_f64 v[48:49], v[52:53], s[46:47], v[50:51]
	v_add_f64 v[9:10], v[9:10], v[40:41]
	v_fma_f64 v[40:41], v[42:43], v[44:45], s[70:71]
	v_add_f64 v[44:45], v[54:55], v[48:49]
	v_add_f64 v[50:51], v[46:47], v[9:10]
	v_fma_f64 v[40:41], v[42:43], v[40:41], s[72:73]
	v_add_f64 v[54:55], v[44:45], -v[54:55]
	v_add_f64 v[52:53], v[44:45], v[50:51]
	v_add_f64 v[46:47], v[50:51], -v[46:47]
	v_fma_f64 v[40:41], v[42:43], v[40:41], s[74:75]
	v_add_f64 v[48:49], v[48:49], -v[54:55]
	v_add_f64 v[56:57], v[52:53], -v[44:45]
	;; [unrolled: 1-line block ×3, first 2 shown]
	v_fma_f64 v[40:41], v[42:43], v[40:41], s[76:77]
	v_add_f64 v[58:59], v[52:53], -v[56:57]
	v_add_f64 v[46:47], v[50:51], -v[56:57]
	v_fma_f64 v[40:41], v[42:43], v[40:41], s[78:79]
	v_add_f64 v[50:51], v[48:49], v[9:10]
	v_add_f64 v[44:45], v[44:45], -v[58:59]
	v_fma_f64 v[40:41], v[42:43], v[40:41], s[80:81]
	v_add_f64 v[44:45], v[46:47], v[44:45]
	;; [unrolled: 3-line block ×3, first 2 shown]
	v_add_f64 v[50:51], v[50:51], -v[46:47]
	v_fma_f64 v[40:41], v[42:43], v[40:41], s[84:85]
	v_add_f64 v[9:10], v[9:10], -v[46:47]
	v_add_f64 v[54:55], v[52:53], v[44:45]
	v_mul_f64 v[40:41], v[42:43], v[40:41]
	v_add_f64 v[42:43], v[48:49], -v[50:51]
	v_add_f64 v[46:47], v[54:55], -v[52:53]
	v_fma_f64 v[38:39], v[38:39], v[40:41], v[38:39]
	v_add_f64 v[9:10], v[9:10], v[42:43]
	v_add_f64 v[40:41], v[44:45], -v[46:47]
	v_add_f64 v[42:43], -v[38:39], s[18:19]
	v_add_f64 v[9:10], v[9:10], v[40:41]
	v_cndmask_b32_e64 v39, v39, v43, s[10:11]
	v_cndmask_b32_e64 v38, v38, v42, s[10:11]
	v_add_f64 v[40:41], -v[38:39], s[86:87]
	v_cmp_gt_i32_e64 s[10:11], 0, v2
	v_cndmask_b32_e64 v11, v66, v67, s[10:11]
	v_cndmask_b32_e64 v18, v68, v69, s[10:11]
	v_add_f64 v[9:10], v[54:55], v[9:10]
	v_cndmask_b32_e64 v38, v38, v40, s[10:11]
	v_and_b32_e32 v40, 0x400921fb, v1
	v_cndmask_b32_e32 v2, v10, v37, vcc
	v_cndmask_b32_e32 v1, v9, v36, vcc
	v_add_f64 v[1:2], v[1:2], 1.0
	v_cndmask_b32_e64 v10, v39, v41, s[10:11]
	v_cmp_ngt_f64_e64 s[10:11], 0, v[36:37]
	v_bfi_b32 v9, s64, v18, v4
	v_cndmask_b32_e64 v18, v38, v35, s[12:13]
	v_cndmask_b32_e64 v10, v10, v40, s[12:13]
	s_and_b64 vcc, s[16:17], s[24:25]
	v_cndmask_b32_e32 v10, v10, v9, vcc
	v_cndmask_b32_e32 v9, v18, v11, vcc
	v_cndmask_b32_e64 v2, v64, v2, s[10:11]
	v_cmp_nge_f64_e64 s[10:11], 0, v[36:37]
	v_cndmask_b32_e64 v35, 0, v1, s[10:11]
	v_cmp_neq_f64_e64 s[10:11], 0, v[36:37]
	v_cndmask_b32_e64 v36, v65, v2, s[10:11]
.LBB197_73:                             ;   in Loop: Header=BB197_4 Depth=1
	s_or_b64 exec, exec, s[14:15]
.LBB197_74:                             ;   in Loop: Header=BB197_4 Depth=1
	s_andn2_saveexec_b64 s[4:5], s[4:5]
	s_cbranch_execz .LBB197_80
; %bb.75:                               ;   in Loop: Header=BB197_4 Depth=1
	v_cmp_nlt_f64_e64 s[10:11], |v[1:2]|, s[28:29]
	v_cmp_nlt_f64_e64 s[12:13], |v[3:4]|, s[28:29]
                                        ; implicit-def: $vgpr36_vgpr37
	s_or_b64 s[10:11], s[12:13], s[10:11]
	s_and_saveexec_b64 s[12:13], s[10:11]
	s_xor_b64 s[10:11], exec, s[12:13]
	s_cbranch_execz .LBB197_77
; %bb.76:                               ;   in Loop: Header=BB197_4 Depth=1
	v_mul_f64 v[1:2], v[1:2], v[1:2]
	v_fma_f64 v[36:37], v[3:4], v[3:4], v[1:2]
.LBB197_77:                             ;   in Loop: Header=BB197_4 Depth=1
	s_andn2_saveexec_b64 s[10:11], s[10:11]
	s_cbranch_execz .LBB197_79
; %bb.78:                               ;   in Loop: Header=BB197_4 Depth=1
	v_mul_f64 v[1:2], v[1:2], 4.0
	v_mul_f64 v[9:10], v[3:4], 4.0
	v_mul_f64 v[1:2], v[1:2], v[1:2]
	v_fma_f64 v[1:2], v[9:10], v[9:10], v[1:2]
	v_ldexp_f64 v[36:37], v[1:2], -4
.LBB197_79:                             ;   in Loop: Header=BB197_4 Depth=1
	s_or_b64 exec, exec, s[10:11]
	v_frexp_mant_f64_e32 v[1:2], v[36:37]
	s_mov_b32 s31, s27
	v_cmp_gt_f64_e32 vcc, s[26:27], v[1:2]
	v_cndmask_b32_e64 v3, 0, 1, vcc
	v_ldexp_f64 v[1:2], v[1:2], v3
	v_frexp_exp_i32_f64_e32 v3, v[36:37]
	v_add_f64 v[9:10], v[1:2], 1.0
	v_add_f64 v[42:43], v[1:2], -1.0
	v_subbrev_co_u32_e32 v3, vcc, 0, v3, vcc
	v_cmp_class_f64_e64 vcc, v[36:37], s65
	v_rcp_f64_e32 v[38:39], v[9:10]
	v_add_f64 v[44:45], v[9:10], -1.0
	v_add_f64 v[1:2], v[1:2], -v[44:45]
	v_fma_f64 v[40:41], -v[9:10], v[38:39], 1.0
	v_fma_f64 v[38:39], v[40:41], v[38:39], v[38:39]
	v_fma_f64 v[40:41], -v[9:10], v[38:39], 1.0
	v_fma_f64 v[38:39], v[40:41], v[38:39], v[38:39]
	v_mul_f64 v[40:41], v[42:43], v[38:39]
	v_mul_f64 v[46:47], v[9:10], v[40:41]
	v_fma_f64 v[9:10], v[40:41], v[9:10], -v[46:47]
	v_fma_f64 v[1:2], v[40:41], v[1:2], v[9:10]
	v_add_f64 v[9:10], v[46:47], v[1:2]
	v_add_f64 v[44:45], v[42:43], -v[9:10]
	v_add_f64 v[46:47], v[9:10], -v[46:47]
	v_add_f64 v[42:43], v[42:43], -v[44:45]
	v_add_f64 v[1:2], v[46:47], -v[1:2]
	v_add_f64 v[9:10], v[42:43], -v[9:10]
	v_add_f64 v[1:2], v[1:2], v[9:10]
	v_add_f64 v[1:2], v[44:45], v[1:2]
	v_mul_f64 v[1:2], v[38:39], v[1:2]
	v_add_f64 v[9:10], v[40:41], v[1:2]
	v_mul_f64 v[38:39], v[9:10], v[9:10]
	v_fma_f64 v[42:43], v[38:39], s[34:35], v[19:20]
	v_mul_f64 v[44:45], v[9:10], v[38:39]
	v_fma_f64 v[42:43], v[38:39], v[42:43], s[36:37]
	v_fma_f64 v[42:43], v[38:39], v[42:43], s[38:39]
	v_fma_f64 v[42:43], v[38:39], v[42:43], s[40:41]
	v_fma_f64 v[42:43], v[38:39], v[42:43], s[42:43]
	v_fma_f64 v[38:39], v[38:39], v[42:43], s[30:31]
	v_ldexp_f64 v[42:43], v[9:10], 1
	v_add_f64 v[9:10], v[9:10], -v[40:41]
	v_mul_f64 v[38:39], v[44:45], v[38:39]
	v_cvt_f64_i32_e32 v[44:45], v3
	v_add_f64 v[1:2], v[1:2], -v[9:10]
	v_mul_f64 v[46:47], v[44:45], s[44:45]
	v_add_f64 v[40:41], v[42:43], v[38:39]
	v_ldexp_f64 v[1:2], v[1:2], 1
	v_add_f64 v[9:10], v[40:41], -v[42:43]
	v_fma_f64 v[42:43], v[44:45], s[44:45], -v[46:47]
	v_add_f64 v[9:10], v[38:39], -v[9:10]
	v_fma_f64 v[38:39], v[44:45], s[46:47], v[42:43]
	v_add_f64 v[1:2], v[1:2], v[9:10]
	v_add_f64 v[9:10], v[46:47], v[38:39]
	;; [unrolled: 1-line block ×3, first 2 shown]
	v_add_f64 v[46:47], v[9:10], -v[46:47]
	v_add_f64 v[44:45], v[9:10], v[42:43]
	v_add_f64 v[40:41], v[42:43], -v[40:41]
	v_add_f64 v[38:39], v[38:39], -v[46:47]
	;; [unrolled: 1-line block ×6, first 2 shown]
	v_add_f64 v[42:43], v[38:39], v[1:2]
	v_add_f64 v[9:10], v[9:10], -v[50:51]
	v_add_f64 v[9:10], v[40:41], v[9:10]
	v_add_f64 v[40:41], v[42:43], -v[38:39]
	;; [unrolled: 2-line block ×3, first 2 shown]
	v_add_f64 v[1:2], v[1:2], -v[40:41]
	v_add_f64 v[46:47], v[44:45], v[9:10]
	v_add_f64 v[38:39], v[38:39], -v[42:43]
	v_add_f64 v[40:41], v[46:47], -v[44:45]
	v_add_f64 v[1:2], v[1:2], v[38:39]
	v_add_f64 v[9:10], v[9:10], -v[40:41]
	v_add_f64 v[1:2], v[1:2], v[9:10]
	v_mov_b32_e32 v9, 0
	v_mov_b32_e32 v10, 0x7ff80000
	v_add_f64 v[1:2], v[46:47], v[1:2]
	v_cndmask_b32_e32 v1, v1, v36, vcc
	v_cndmask_b32_e32 v2, v2, v37, vcc
	v_cmp_ngt_f64_e32 vcc, 0, v[36:37]
	v_cndmask_b32_e32 v2, v64, v2, vcc
	v_cmp_nge_f64_e32 vcc, 0, v[36:37]
	v_cndmask_b32_e32 v35, 0, v1, vcc
	v_cmp_neq_f64_e32 vcc, 0, v[36:37]
	v_cndmask_b32_e32 v36, v65, v2, vcc
.LBB197_80:                             ;   in Loop: Header=BB197_4 Depth=1
	s_or_b64 exec, exec, s[4:5]
	v_cmp_o_f64_e32 vcc, v[13:14], v[15:16]
                                        ; implicit-def: $vgpr37_vgpr38
                                        ; implicit-def: $vgpr1_vgpr2
	s_and_saveexec_b64 s[4:5], vcc
	s_xor_b64 s[4:5], exec, s[4:5]
	s_cbranch_execz .LBB197_108
; %bb.81:                               ;   in Loop: Header=BB197_4 Depth=1
	v_cmp_lt_f64_e64 s[10:11], |v[13:14]|, |v[15:16]|
	v_and_b32_e32 v3, 0x7fffffff, v14
	v_and_b32_e32 v11, 0x7fffffff, v16
	s_mov_b32 s12, 0x85ebc8a0
	s_mov_b32 s13, 0x7fd1ccf3
	v_mov_b32_e32 v18, v15
                                        ; implicit-def: $vgpr37_vgpr38
                                        ; implicit-def: $vgpr1_vgpr2
	v_cndmask_b32_e64 v42, v11, v3, s[10:11]
	v_cndmask_b32_e64 v41, v15, v13, s[10:11]
	v_cmp_nlt_f64_e32 vcc, s[12:13], v[41:42]
	s_and_saveexec_b64 s[12:13], vcc
	s_xor_b64 s[24:25], exec, s[12:13]
	s_cbranch_execz .LBB197_105
; %bb.82:                               ;   in Loop: Header=BB197_4 Depth=1
	v_cndmask_b32_e64 v44, v3, v11, s[10:11]
	v_cndmask_b32_e64 v43, v13, v18, s[10:11]
	v_cmp_neq_f64_e32 vcc, 1.0, v[43:44]
                                        ; implicit-def: $vgpr37_vgpr38
                                        ; implicit-def: $vgpr1_vgpr2
	s_and_saveexec_b64 s[12:13], vcc
	s_xor_b64 s[48:49], exec, s[12:13]
	s_cbranch_execz .LBB197_98
; %bb.83:                               ;   in Loop: Header=BB197_4 Depth=1
	v_max_f64 v[1:2], v[41:42], v[41:42]
	v_max_f64 v[37:38], v[43:44], v[43:44]
	s_mov_b32 s12, 0x4ad4b81f
	s_mov_b32 s13, 0x358dee7a
	v_min_f64 v[39:40], v[37:38], v[1:2]
	v_max_f64 v[1:2], v[37:38], v[1:2]
                                        ; implicit-def: $vgpr37_vgpr38
	v_cmp_ngt_f64_e32 vcc, s[12:13], v[39:40]
	s_mov_b32 s12, 0xc57e649a
	s_mov_b32 s13, 0x4a511b0e
	v_cmp_nlt_f64_e64 s[12:13], s[12:13], v[1:2]
                                        ; implicit-def: $vgpr1_vgpr2
	s_and_b64 s[12:13], s[12:13], vcc
	s_and_saveexec_b64 s[14:15], s[12:13]
	s_xor_b64 s[50:51], exec, s[14:15]
	s_cbranch_execz .LBB197_95
; %bb.84:                               ;   in Loop: Header=BB197_4 Depth=1
	v_cmp_le_f64_e32 vcc, 1.0, v[43:44]
                                        ; implicit-def: $vgpr37_vgpr38
                                        ; implicit-def: $vgpr1_vgpr2
	s_and_saveexec_b64 s[12:13], vcc
	s_xor_b64 s[52:53], exec, s[12:13]
	s_cbranch_execz .LBB197_86
; %bb.85:                               ;   in Loop: Header=BB197_4 Depth=1
	v_add_f64 v[1:2], v[43:44], -1.0
	v_add_f64 v[37:38], v[43:44], 1.0
	s_mov_b32 s31, s27
	s_mov_b32 s86, s18
	;; [unrolled: 1-line block ×4, first 2 shown]
	v_cmp_class_f64_e64 s[54:55], v[15:16], s65
	v_mul_f64 v[1:2], v[1:2], v[37:38]
	v_fma_f64 v[38:39], v[41:42], v[41:42], v[1:2]
	v_add_f64 v[2:3], v[38:39], 1.0
	v_cmp_nge_f64_e64 s[14:15], -1.0, v[38:39]
	v_cmp_neq_f64_e64 s[16:17], s[16:17], v[38:39]
	v_frexp_mant_f64_e32 v[42:43], v[2:3]
	v_frexp_exp_i32_f64_e32 v1, v[2:3]
	v_add_f64 v[40:41], v[2:3], -1.0
	v_cmp_gt_f64_e32 vcc, s[26:27], v[42:43]
	v_add_f64 v[44:45], v[40:41], -v[2:3]
	v_add_f64 v[40:41], v[38:39], -v[40:41]
	v_subbrev_co_u32_e32 v1, vcc, 0, v1, vcc
	v_sub_u32_e32 v11, 0, v1
	v_ldexp_f64 v[2:3], v[2:3], v11
	v_add_f64 v[42:43], v[44:45], 1.0
	v_add_f64 v[44:45], v[2:3], 1.0
	v_add_f64 v[40:41], v[40:41], v[42:43]
	v_add_f64 v[50:51], v[2:3], -1.0
	v_add_f64 v[42:43], v[44:45], -1.0
	v_ldexp_f64 v[40:41], v[40:41], v11
	v_add_f64 v[52:53], v[50:51], 1.0
	v_add_f64 v[42:43], v[2:3], -v[42:43]
	v_add_f64 v[2:3], v[2:3], -v[52:53]
	v_add_f64 v[42:43], v[40:41], v[42:43]
	v_add_f64 v[2:3], v[40:41], v[2:3]
	;; [unrolled: 1-line block ×4, first 2 shown]
	v_rcp_f64_e32 v[48:49], v[46:47]
	v_add_f64 v[44:45], v[46:47], -v[44:45]
	v_add_f64 v[50:51], v[52:53], -v[50:51]
	;; [unrolled: 1-line block ×4, first 2 shown]
	v_fma_f64 v[54:55], -v[46:47], v[48:49], 1.0
	v_fma_f64 v[48:49], v[54:55], v[48:49], v[48:49]
	v_fma_f64 v[40:41], -v[46:47], v[48:49], 1.0
	v_fma_f64 v[40:41], v[40:41], v[48:49], v[48:49]
	v_mul_f64 v[48:49], v[52:53], v[40:41]
	v_mul_f64 v[54:55], v[46:47], v[48:49]
	v_fma_f64 v[44:45], v[48:49], v[46:47], -v[54:55]
	v_fma_f64 v[44:45], v[48:49], v[42:43], v[44:45]
	v_add_f64 v[56:57], v[54:55], v[44:45]
	v_add_f64 v[58:59], v[52:53], -v[56:57]
	v_add_f64 v[50:51], v[56:57], -v[54:55]
	v_add_f64 v[52:53], v[52:53], -v[58:59]
	v_add_f64 v[44:45], v[50:51], -v[44:45]
	v_max_f64 v[50:51], |v[13:14]|, |v[13:14]|
	v_add_f64 v[52:53], v[52:53], -v[56:57]
	v_add_f64 v[2:3], v[2:3], v[52:53]
	v_add_f64 v[2:3], v[44:45], v[2:3]
	v_max_f64 v[44:45], |v[15:16]|, |v[15:16]|
	v_add_f64 v[52:53], v[58:59], v[2:3]
	v_max_f64 v[54:55], v[50:51], v[44:45]
	v_min_f64 v[44:45], v[50:51], v[44:45]
	v_mul_f64 v[50:51], v[40:41], v[52:53]
	v_add_f64 v[58:59], v[58:59], -v[52:53]
	v_div_scale_f64 v[56:57], s[12:13], v[54:55], v[54:55], v[44:45]
	s_mov_b32 s12, 0xaf56de9b
	s_mov_b32 s13, 0xbf67952d
	v_mul_f64 v[60:61], v[46:47], v[50:51]
	v_add_f64 v[2:3], v[2:3], v[58:59]
	v_fma_f64 v[46:47], v[50:51], v[46:47], -v[60:61]
	v_rcp_f64_e32 v[70:71], v[56:57]
	v_fma_f64 v[42:43], v[50:51], v[42:43], v[46:47]
	v_add_f64 v[46:47], v[60:61], v[42:43]
	v_fma_f64 v[72:73], -v[56:57], v[70:71], 1.0
	v_add_f64 v[74:75], v[52:53], -v[46:47]
	v_add_f64 v[58:59], v[46:47], -v[60:61]
	v_fma_f64 v[70:71], v[70:71], v[72:73], v[70:71]
	v_div_scale_f64 v[72:73], vcc, v[44:45], v[54:55], v[44:45]
	v_add_f64 v[52:53], v[52:53], -v[74:75]
	v_add_f64 v[42:43], v[58:59], -v[42:43]
	v_fma_f64 v[76:77], -v[56:57], v[70:71], 1.0
	v_add_f64 v[58:59], v[48:49], v[50:51]
	v_add_f64 v[46:47], v[52:53], -v[46:47]
	v_fma_f64 v[52:53], v[70:71], v[76:77], v[70:71]
	v_add_f64 v[48:49], v[58:59], -v[48:49]
	v_add_f64 v[2:3], v[2:3], v[46:47]
	v_mul_f64 v[46:47], v[72:73], v[52:53]
	v_add_f64 v[2:3], v[42:43], v[2:3]
	v_fma_f64 v[42:43], -v[56:57], v[46:47], v[72:73]
	v_add_f64 v[2:3], v[74:75], v[2:3]
	v_div_fmas_f64 v[42:43], v[42:43], v[52:53], v[46:47]
	v_add_f64 v[46:47], v[50:51], -v[48:49]
	v_cmp_gt_i32_e32 vcc, 0, v14
	v_cndmask_b32_e32 v18, v68, v69, vcc
	v_cndmask_b32_e32 v11, v66, v67, vcc
	v_mul_f64 v[2:3], v[40:41], v[2:3]
	v_add_f64 v[2:3], v[46:47], v[2:3]
	v_div_fixup_f64 v[40:41], v[42:43], v[54:55], v[44:45]
	v_cvt_f64_i32_e32 v[54:55], v1
	v_mul_f64 v[56:57], v[54:55], s[44:45]
	v_add_f64 v[42:43], v[58:59], v[2:3]
	v_mul_f64 v[44:45], v[40:41], v[40:41]
	v_mul_f64 v[46:47], v[42:43], v[42:43]
	v_fma_f64 v[48:49], v[44:45], s[58:59], v[21:22]
	v_fma_f64 v[50:51], v[46:47], s[34:35], v[19:20]
	v_mul_f64 v[52:53], v[42:43], v[46:47]
	v_fma_f64 v[48:49], v[44:45], v[48:49], s[56:57]
	v_cmp_class_f64_e64 s[56:57], v[13:14], s65
	v_fma_f64 v[50:51], v[46:47], v[50:51], s[36:37]
	v_fma_f64 v[48:49], v[44:45], v[48:49], s[12:13]
	s_mov_b32 s12, 0xa595c56f
	s_mov_b32 s13, 0x3f7d6d43
	v_fma_f64 v[50:51], v[46:47], v[50:51], s[38:39]
	v_fma_f64 v[48:49], v[44:45], v[48:49], s[12:13]
	s_mov_b32 s12, 0xa57d9582
	s_mov_b32 s13, 0xbf8c6ea4
	;; [unrolled: 4-line block ×4, first 2 shown]
	v_fma_f64 v[46:47], v[46:47], v[50:51], s[30:31]
	v_ldexp_f64 v[50:51], v[42:43], 1
	v_fma_f64 v[48:49], v[44:45], v[48:49], s[12:13]
	s_mov_b32 s12, 0x5711927a
	s_mov_b32 s13, 0x3fa2c15b
	v_add_f64 v[42:43], v[42:43], -v[58:59]
	v_mul_f64 v[46:47], v[52:53], v[46:47]
	v_fma_f64 v[48:49], v[44:45], v[48:49], s[12:13]
	s_mov_b32 s12, 0xe82d3ff0
	s_mov_b32 s13, 0xbfa59976
	v_add_f64 v[1:2], v[2:3], -v[42:43]
	v_ashrrev_i32_e32 v3, 31, v14
	v_and_b32_e32 v37, 0x54442d18, v3
	v_add_f64 v[52:53], v[50:51], v[46:47]
	v_and_b32_e32 v3, 0x400921fb, v3
	v_fma_f64 v[48:49], v[44:45], v[48:49], s[12:13]
	v_cmp_eq_f64_e64 s[12:13], 0, v[15:16]
	v_ldexp_f64 v[1:2], v[1:2], 1
	v_add_f64 v[42:43], v[52:53], -v[50:51]
	v_fma_f64 v[50:51], v[54:55], s[44:45], -v[56:57]
	v_fma_f64 v[48:49], v[44:45], v[48:49], s[66:67]
	v_add_f64 v[42:43], v[46:47], -v[42:43]
	v_fma_f64 v[46:47], v[44:45], v[48:49], s[68:69]
	v_fma_f64 v[48:49], v[54:55], s[46:47], v[50:51]
	v_add_f64 v[1:2], v[1:2], v[42:43]
	v_fma_f64 v[42:43], v[44:45], v[46:47], s[70:71]
	v_add_f64 v[46:47], v[56:57], v[48:49]
	v_add_f64 v[50:51], v[52:53], v[1:2]
	v_fma_f64 v[42:43], v[44:45], v[42:43], s[72:73]
	v_add_f64 v[56:57], v[46:47], -v[56:57]
	v_add_f64 v[54:55], v[46:47], v[50:51]
	v_add_f64 v[52:53], v[50:51], -v[52:53]
	v_fma_f64 v[42:43], v[44:45], v[42:43], s[74:75]
	v_add_f64 v[48:49], v[48:49], -v[56:57]
	v_add_f64 v[58:59], v[54:55], -v[46:47]
	;; [unrolled: 1-line block ×3, first 2 shown]
	v_fma_f64 v[42:43], v[44:45], v[42:43], s[76:77]
	v_add_f64 v[60:61], v[54:55], -v[58:59]
	v_add_f64 v[50:51], v[50:51], -v[58:59]
	v_fma_f64 v[42:43], v[44:45], v[42:43], s[78:79]
	v_add_f64 v[52:53], v[48:49], v[1:2]
	v_add_f64 v[46:47], v[46:47], -v[60:61]
	v_fma_f64 v[42:43], v[44:45], v[42:43], s[80:81]
	v_add_f64 v[46:47], v[50:51], v[46:47]
	;; [unrolled: 3-line block ×3, first 2 shown]
	v_add_f64 v[52:53], v[52:53], -v[50:51]
	v_fma_f64 v[42:43], v[44:45], v[42:43], s[84:85]
	v_add_f64 v[1:2], v[1:2], -v[50:51]
	v_add_f64 v[56:57], v[54:55], v[46:47]
	v_mul_f64 v[42:43], v[44:45], v[42:43]
	v_add_f64 v[44:45], v[48:49], -v[52:53]
	v_add_f64 v[48:49], v[56:57], -v[54:55]
	v_fma_f64 v[40:41], v[40:41], v[42:43], v[40:41]
	v_add_f64 v[1:2], v[1:2], v[44:45]
	v_add_f64 v[42:43], v[46:47], -v[48:49]
	v_add_f64 v[44:45], -v[40:41], s[18:19]
	v_add_f64 v[1:2], v[1:2], v[42:43]
	v_cndmask_b32_e64 v41, v41, v45, s[10:11]
	v_cndmask_b32_e64 v40, v40, v44, s[10:11]
	v_add_f64 v[42:43], -v[40:41], s[86:87]
	v_add_f64 v[1:2], v[56:57], v[1:2]
	v_cndmask_b32_e32 v40, v40, v42, vcc
	v_mul_f64 v[13:14], v[1:2], 0.5
	v_cndmask_b32_e32 v2, v41, v43, vcc
	v_bfi_b32 v1, s64, v18, v16
	v_cndmask_b32_e64 v18, v40, v37, s[12:13]
	v_cndmask_b32_e64 v2, v2, v3, s[12:13]
	s_and_b64 s[12:13], s[14:15], s[16:17]
	s_and_b64 vcc, s[54:55], s[56:57]
	v_cndmask_b32_e32 v2, v2, v1, vcc
	v_cndmask_b32_e64 v37, 0, v13, s[12:13]
	v_cmp_ngt_f64_e64 s[12:13], -1.0, v[38:39]
	v_cndmask_b32_e64 v1, v63, v14, s[16:17]
	s_mov_b32 s56, 0x69efb384
	s_mov_b32 s57, 0x3f4b2bb0
                                        ; implicit-def: $vgpr41_vgpr42
                                        ; implicit-def: $vgpr43_vgpr44
	v_cndmask_b32_e64 v1, v64, v1, s[12:13]
	v_cmp_neq_f64_e64 s[12:13], -1.0, v[38:39]
	v_cndmask_b32_e64 v38, v65, v1, s[12:13]
	v_cndmask_b32_e32 v1, v18, v11, vcc
.LBB197_86:                             ;   in Loop: Header=BB197_4 Depth=1
	s_andn2_saveexec_b64 s[52:53], s[52:53]
	s_cbranch_execz .LBB197_94
; %bb.87:                               ;   in Loop: Header=BB197_4 Depth=1
	v_mul_f64 v[1:2], v[41:42], v[41:42]
	s_mov_b32 s12, 0x66666666
	s_mov_b32 s13, 0x3fe66666
                                        ; implicit-def: $vgpr37_vgpr38
	v_fma_f64 v[39:40], v[43:44], v[43:44], v[1:2]
                                        ; implicit-def: $vgpr1_vgpr2
	v_cmp_ge_f64_e32 vcc, s[12:13], v[39:40]
	s_and_saveexec_b64 s[12:13], vcc
	s_xor_b64 s[16:17], exec, s[12:13]
	s_cbranch_execz .LBB197_89
; %bb.88:                               ;   in Loop: Header=BB197_4 Depth=1
	v_frexp_mant_f64_e32 v[1:2], v[39:40]
	v_max_f64 v[45:46], |v[15:16]|, |v[15:16]|
	v_max_f64 v[47:48], |v[13:14]|, |v[13:14]|
	s_mov_b32 s31, s27
	s_mov_b32 s86, s18
	v_cmp_class_f64_e64 s[54:55], v[15:16], s65
	v_cmp_gt_f64_e64 s[12:13], s[26:27], v[1:2]
	v_cndmask_b32_e64 v3, 0, 1, s[12:13]
	v_ldexp_f64 v[1:2], v[1:2], v3
	v_frexp_exp_i32_f64_e32 v3, v[39:40]
	v_add_f64 v[37:38], v[1:2], 1.0
	v_add_f64 v[51:52], v[1:2], -1.0
	v_rcp_f64_e32 v[41:42], v[37:38]
	v_add_f64 v[55:56], v[37:38], -1.0
	v_add_f64 v[1:2], v[1:2], -v[55:56]
	v_fma_f64 v[43:44], -v[37:38], v[41:42], 1.0
	v_fma_f64 v[41:42], v[43:44], v[41:42], v[41:42]
	v_max_f64 v[43:44], v[47:48], v[45:46]
	v_min_f64 v[45:46], v[47:48], v[45:46]
	v_fma_f64 v[47:48], -v[37:38], v[41:42], 1.0
	v_div_scale_f64 v[49:50], s[14:15], v[43:44], v[43:44], v[45:46]
	s_mov_b32 s14, 0xaf56de9b
	s_mov_b32 s15, 0xbf67952d
	v_fma_f64 v[41:42], v[47:48], v[41:42], v[41:42]
	v_mul_f64 v[47:48], v[51:52], v[41:42]
	v_rcp_f64_e32 v[53:54], v[49:50]
	v_mul_f64 v[57:58], v[37:38], v[47:48]
	v_fma_f64 v[37:38], v[47:48], v[37:38], -v[57:58]
	v_fma_f64 v[55:56], -v[49:50], v[53:54], 1.0
	v_fma_f64 v[1:2], v[47:48], v[1:2], v[37:38]
	v_fma_f64 v[37:38], v[53:54], v[55:56], v[53:54]
	v_div_scale_f64 v[55:56], vcc, v[45:46], v[43:44], v[45:46]
	v_add_f64 v[53:54], v[57:58], v[1:2]
	v_fma_f64 v[59:60], -v[49:50], v[37:38], 1.0
	v_add_f64 v[61:62], v[51:52], -v[53:54]
	v_add_f64 v[57:58], v[53:54], -v[57:58]
	v_fma_f64 v[37:38], v[37:38], v[59:60], v[37:38]
	v_add_f64 v[51:52], v[51:52], -v[61:62]
	v_add_f64 v[1:2], v[57:58], -v[1:2]
	v_mul_f64 v[59:60], v[55:56], v[37:38]
	v_add_f64 v[51:52], v[51:52], -v[53:54]
	v_fma_f64 v[49:50], -v[49:50], v[59:60], v[55:56]
	v_add_f64 v[1:2], v[1:2], v[51:52]
	v_div_fmas_f64 v[37:38], v[49:50], v[37:38], v[59:60]
	v_subbrev_co_u32_e64 v3, vcc, 0, v3, s[12:13]
	s_mov_b32 s12, 0xe82d3ff0
	s_mov_b32 s13, 0xbfa59976
	v_cmp_gt_i32_e32 vcc, 0, v14
	v_add_f64 v[1:2], v[61:62], v[1:2]
	v_cndmask_b32_e32 v11, v66, v67, vcc
	v_mul_f64 v[1:2], v[41:42], v[1:2]
	v_div_fixup_f64 v[37:38], v[37:38], v[43:44], v[45:46]
	v_add_f64 v[41:42], v[47:48], v[1:2]
	v_mul_f64 v[43:44], v[37:38], v[37:38]
	v_mul_f64 v[45:46], v[41:42], v[41:42]
	v_fma_f64 v[49:50], v[43:44], s[58:59], v[21:22]
	v_fma_f64 v[51:52], v[45:46], s[34:35], v[19:20]
	v_mul_f64 v[53:54], v[41:42], v[45:46]
	v_fma_f64 v[49:50], v[43:44], v[49:50], s[56:57]
	v_cmp_class_f64_e64 s[56:57], v[13:14], s65
	v_fma_f64 v[51:52], v[45:46], v[51:52], s[36:37]
	v_fma_f64 v[49:50], v[43:44], v[49:50], s[14:15]
	s_mov_b32 s14, 0xa595c56f
	s_mov_b32 s15, 0x3f7d6d43
	v_fma_f64 v[51:52], v[45:46], v[51:52], s[38:39]
	v_fma_f64 v[49:50], v[43:44], v[49:50], s[14:15]
	s_mov_b32 s14, 0xa57d9582
	s_mov_b32 s15, 0xbf8c6ea4
	;; [unrolled: 4-line block ×4, first 2 shown]
	v_fma_f64 v[45:46], v[45:46], v[51:52], s[30:31]
	v_ldexp_f64 v[51:52], v[41:42], 1
	v_fma_f64 v[49:50], v[43:44], v[49:50], s[14:15]
	s_mov_b32 s14, 0x5711927a
	s_mov_b32 s15, 0x3fa2c15b
	v_add_f64 v[41:42], v[41:42], -v[47:48]
	v_mul_f64 v[45:46], v[53:54], v[45:46]
	v_cvt_f64_i32_e32 v[53:54], v3
	v_fma_f64 v[49:50], v[43:44], v[49:50], s[14:15]
	v_ashrrev_i32_e32 v3, 31, v14
	v_cmp_neq_f64_e64 s[14:15], 0, v[39:40]
	v_mul_f64 v[55:56], v[53:54], s[44:45]
	v_add_f64 v[1:2], v[1:2], -v[41:42]
	v_and_b32_e32 v18, 0x54442d18, v3
	v_add_f64 v[47:48], v[51:52], v[45:46]
	v_and_b32_e32 v3, 0x400921fb, v3
	v_fma_f64 v[49:50], v[43:44], v[49:50], s[12:13]
	v_cmp_eq_f64_e64 s[12:13], 0, v[15:16]
	v_ldexp_f64 v[1:2], v[1:2], 1
	v_add_f64 v[41:42], v[47:48], -v[51:52]
	v_fma_f64 v[51:52], v[53:54], s[44:45], -v[55:56]
	v_fma_f64 v[49:50], v[43:44], v[49:50], s[66:67]
	v_add_f64 v[41:42], v[45:46], -v[41:42]
	v_fma_f64 v[45:46], v[43:44], v[49:50], s[68:69]
	v_fma_f64 v[49:50], v[53:54], s[46:47], v[51:52]
	v_add_f64 v[1:2], v[1:2], v[41:42]
	v_fma_f64 v[41:42], v[43:44], v[45:46], s[70:71]
	v_add_f64 v[45:46], v[55:56], v[49:50]
	v_add_f64 v[51:52], v[47:48], v[1:2]
	v_fma_f64 v[41:42], v[43:44], v[41:42], s[72:73]
	v_add_f64 v[55:56], v[45:46], -v[55:56]
	v_add_f64 v[53:54], v[45:46], v[51:52]
	v_add_f64 v[47:48], v[51:52], -v[47:48]
	v_fma_f64 v[41:42], v[43:44], v[41:42], s[74:75]
	v_add_f64 v[49:50], v[49:50], -v[55:56]
	v_add_f64 v[57:58], v[53:54], -v[45:46]
	;; [unrolled: 1-line block ×3, first 2 shown]
	v_fma_f64 v[41:42], v[43:44], v[41:42], s[76:77]
	v_add_f64 v[59:60], v[53:54], -v[57:58]
	v_add_f64 v[47:48], v[51:52], -v[57:58]
	v_fma_f64 v[41:42], v[43:44], v[41:42], s[78:79]
	v_add_f64 v[51:52], v[49:50], v[1:2]
	v_add_f64 v[45:46], v[45:46], -v[59:60]
	v_fma_f64 v[41:42], v[43:44], v[41:42], s[80:81]
	v_add_f64 v[45:46], v[47:48], v[45:46]
	;; [unrolled: 3-line block ×3, first 2 shown]
	v_add_f64 v[51:52], v[51:52], -v[47:48]
	v_fma_f64 v[41:42], v[43:44], v[41:42], s[84:85]
	v_add_f64 v[1:2], v[1:2], -v[47:48]
	v_add_f64 v[55:56], v[53:54], v[45:46]
	v_mul_f64 v[41:42], v[43:44], v[41:42]
	v_add_f64 v[43:44], v[49:50], -v[51:52]
	v_add_f64 v[47:48], v[55:56], -v[53:54]
	v_fma_f64 v[37:38], v[37:38], v[41:42], v[37:38]
	v_add_f64 v[1:2], v[1:2], v[43:44]
	v_add_f64 v[41:42], v[45:46], -v[47:48]
	v_add_f64 v[43:44], -v[37:38], s[18:19]
	v_add_f64 v[1:2], v[1:2], v[41:42]
	v_cndmask_b32_e64 v38, v38, v44, s[10:11]
	v_cndmask_b32_e64 v37, v37, v43, s[10:11]
	v_add_f64 v[41:42], -v[37:38], s[86:87]
                                        ; implicit-def: $vgpr43_vgpr44
	v_add_f64 v[1:2], v[55:56], v[1:2]
	v_cndmask_b32_e32 v37, v37, v41, vcc
	v_cndmask_b32_e32 v41, v68, v69, vcc
	v_cndmask_b32_e64 v18, v37, v18, s[12:13]
	v_mul_f64 v[13:14], v[1:2], 0.5
	v_cndmask_b32_e32 v2, v38, v42, vcc
	v_bfi_b32 v1, s64, v41, v16
	v_cndmask_b32_e64 v2, v2, v3, s[12:13]
	s_and_b64 vcc, s[54:55], s[56:57]
	s_mov_b32 s56, 0x69efb384
	s_mov_b32 s57, 0x3f4b2bb0
	v_cndmask_b32_e32 v2, v2, v1, vcc
	v_cndmask_b32_e64 v38, v65, v14, s[14:15]
	v_cndmask_b32_e64 v37, 0, v13, s[14:15]
	v_cndmask_b32_e32 v1, v18, v11, vcc
                                        ; implicit-def: $vgpr41_vgpr42
.LBB197_89:                             ;   in Loop: Header=BB197_4 Depth=1
	s_andn2_saveexec_b64 s[54:55], s[16:17]
	s_cbranch_execz .LBB197_93
; %bb.90:                               ;   in Loop: Header=BB197_4 Depth=1
	v_and_b32_e32 v18, 0x7ffffff8, v44
	v_and_b32_e32 v38, 0x7ffffff8, v42
	v_mov_b32_e32 v37, v17
	v_add_f64 v[1:2], v[43:44], -v[17:18]
	v_add_f64 v[39:40], v[41:42], -v[37:38]
	v_mov_b32_e32 v43, v17
	v_mov_b32_e32 v51, v17
	v_add_f64 v[47:48], v[17:18], v[17:18]
	v_add_f64 v[49:50], v[37:38], v[37:38]
	v_mul_f64 v[37:38], v[37:38], v[37:38]
	s_mov_b64 s[56:57], 0
	v_and_b32_e32 v44, -8, v2
	v_and_b32_e32 v52, -8, v40
	v_add_f64 v[57:58], v[1:2], -v[43:44]
	v_add_f64 v[59:60], v[39:40], -v[51:52]
	v_add_f64 v[61:62], v[43:44], v[43:44]
	v_add_f64 v[70:71], v[51:52], v[51:52]
	v_mul_f64 v[1:2], v[17:18], v[17:18]
	v_mul_f64 v[41:42], v[47:48], v[43:44]
	;; [unrolled: 1-line block ×11, first 2 shown]
.LBB197_91:                             ;   Parent Loop BB197_4 Depth=1
                                        ; =>  This Inner Loop Header: Depth=2
	v_cmp_nlt_f64_e32 vcc, v[1:2], v[37:38]
	v_cndmask_b32_e32 v60, v2, v38, vcc
	v_cndmask_b32_e32 v59, v1, v37, vcc
	v_cmp_nlt_f64_e64 s[12:13], v[59:60], v[41:42]
	v_cndmask_b32_e32 v2, v38, v2, vcc
	v_cndmask_b32_e32 v1, v37, v1, vcc
	v_cndmask_b32_e64 v62, v60, v42, s[12:13]
	v_cndmask_b32_e64 v61, v59, v41, s[12:13]
	v_cmp_nlt_f64_e64 s[14:15], v[61:62], v[39:40]
	v_cndmask_b32_e64 v38, v42, v60, s[12:13]
	v_cndmask_b32_e64 v37, v41, v59, s[12:13]
	s_and_b64 s[58:59], vcc, s[12:13]
	v_cndmask_b32_e64 v71, v62, v40, s[14:15]
	v_cndmask_b32_e64 v70, v61, v39, s[14:15]
	v_cmp_nlt_f64_e64 s[16:17], v[70:71], v[45:46]
	v_cndmask_b32_e64 v42, v40, v62, s[14:15]
	v_cndmask_b32_e64 v41, v39, v61, s[14:15]
	;; [unrolled: 1-line block ×4, first 2 shown]
	v_cmp_nlt_f64_e32 vcc, v[59:60], v[51:52]
	v_cndmask_b32_e64 v40, v46, v71, s[16:17]
	v_cndmask_b32_e64 v39, v45, v70, s[16:17]
	s_and_b64 s[16:17], s[14:15], s[16:17]
	v_cndmask_b32_e32 v62, v60, v52, vcc
	v_cndmask_b32_e32 v61, v59, v51, vcc
	v_cmp_nlt_f64_e64 s[12:13], v[61:62], v[55:56]
	v_cndmask_b32_e32 v46, v52, v60, vcc
	v_cndmask_b32_e32 v45, v51, v59, vcc
	v_cndmask_b32_e64 v60, v62, v56, s[12:13]
	v_cndmask_b32_e64 v59, v61, v55, s[12:13]
	v_cmp_nlt_f64_e64 s[14:15], v[59:60], v[53:54]
	v_cndmask_b32_e64 v52, v56, v62, s[12:13]
	v_cndmask_b32_e64 v51, v55, v61, s[12:13]
	s_and_b64 s[12:13], vcc, s[12:13]
	v_cndmask_b32_e64 v62, v60, v54, s[14:15]
	v_cndmask_b32_e64 v61, v59, v53, s[14:15]
	v_cmp_nlt_f64_e32 vcc, v[61:62], v[49:50]
	v_cndmask_b32_e64 v56, v54, v60, s[14:15]
	v_cndmask_b32_e64 v55, v53, v59, s[14:15]
	s_and_b64 s[14:15], s[12:13], s[14:15]
	v_cndmask_b32_e32 v60, v62, v50, vcc
	v_cndmask_b32_e32 v59, v61, v49, vcc
	v_cmp_nlt_f64_e64 s[12:13], v[59:60], v[47:48]
	v_cndmask_b32_e32 v54, v50, v62, vcc
	v_cndmask_b32_e32 v53, v49, v61, vcc
	s_and_b64 s[14:15], s[14:15], vcc
	v_cndmask_b32_e64 v62, v60, v48, s[12:13]
	v_cndmask_b32_e64 v61, v59, v47, s[12:13]
	v_cmp_nlt_f64_e32 vcc, v[61:62], v[43:44]
	v_cndmask_b32_e64 v50, v48, v60, s[12:13]
	v_cndmask_b32_e64 v49, v47, v59, s[12:13]
	s_and_b64 s[14:15], s[14:15], s[12:13]
	v_cndmask_b32_e32 v71, v62, v44, vcc
	v_cndmask_b32_e32 v70, v61, v43, vcc
	v_cmp_nlt_f64_e64 s[12:13], v[70:71], v[57:58]
	s_and_b64 s[14:15], s[14:15], vcc
	v_cndmask_b32_e32 v48, v44, v62, vcc
	v_cndmask_b32_e32 v47, v43, v61, vcc
	v_cndmask_b32_e64 v60, v71, v58, s[12:13]
	v_cndmask_b32_e64 v59, v70, v57, s[12:13]
	v_cndmask_b32_e64 v44, v58, v71, s[12:13]
	v_cndmask_b32_e64 v43, v57, v70, s[12:13]
	s_and_b64 s[12:13], s[14:15], s[12:13]
	s_and_b64 s[12:13], s[12:13], s[16:17]
	;; [unrolled: 1-line block ×3, first 2 shown]
	s_and_b64 s[12:13], exec, s[12:13]
	v_mov_b32_e32 v57, v59
	s_or_b64 s[56:57], s[12:13], s[56:57]
	v_mov_b32_e32 v58, v60
	s_andn2_b64 exec, exec, s[56:57]
	s_cbranch_execnz .LBB197_91
; %bb.92:                               ;   in Loop: Header=BB197_4 Depth=1
	s_or_b64 exec, exec, s[56:57]
	v_add_f64 v[1:2], v[1:2], -1.0
	s_mov_b32 s31, s27
	s_mov_b32 s86, s18
	;; [unrolled: 1-line block ×4, first 2 shown]
	v_cmp_class_f64_e64 s[58:59], v[13:14], s65
	v_cmp_class_f64_e64 s[56:57], v[15:16], s65
	v_add_f64 v[1:2], v[1:2], v[37:38]
	v_add_f64 v[1:2], v[1:2], v[41:42]
	v_add_f64 v[1:2], v[1:2], v[39:40]
	v_add_f64 v[1:2], v[1:2], v[45:46]
	v_add_f64 v[1:2], v[1:2], v[51:52]
	v_add_f64 v[1:2], v[1:2], v[55:56]
	v_add_f64 v[1:2], v[1:2], v[53:54]
	v_add_f64 v[1:2], v[1:2], v[49:50]
	v_add_f64 v[1:2], v[1:2], v[47:48]
	v_add_f64 v[1:2], v[1:2], v[43:44]
	v_add_f64 v[38:39], v[59:60], v[1:2]
	v_add_f64 v[2:3], v[38:39], 1.0
	v_cmp_nge_f64_e64 s[14:15], -1.0, v[38:39]
	v_cmp_neq_f64_e64 s[16:17], s[16:17], v[38:39]
	v_frexp_mant_f64_e32 v[42:43], v[2:3]
	v_frexp_exp_i32_f64_e32 v1, v[2:3]
	v_add_f64 v[40:41], v[2:3], -1.0
	v_cmp_gt_f64_e32 vcc, s[26:27], v[42:43]
	v_add_f64 v[44:45], v[40:41], -v[2:3]
	v_add_f64 v[40:41], v[38:39], -v[40:41]
	v_subbrev_co_u32_e32 v1, vcc, 0, v1, vcc
	v_sub_u32_e32 v11, 0, v1
	v_ldexp_f64 v[2:3], v[2:3], v11
	v_add_f64 v[42:43], v[44:45], 1.0
	v_add_f64 v[44:45], v[2:3], 1.0
	v_add_f64 v[40:41], v[40:41], v[42:43]
	v_add_f64 v[50:51], v[2:3], -1.0
	v_add_f64 v[42:43], v[44:45], -1.0
	v_ldexp_f64 v[40:41], v[40:41], v11
	v_add_f64 v[52:53], v[50:51], 1.0
	v_add_f64 v[42:43], v[2:3], -v[42:43]
	v_add_f64 v[2:3], v[2:3], -v[52:53]
	v_add_f64 v[42:43], v[40:41], v[42:43]
	v_add_f64 v[2:3], v[40:41], v[2:3]
	;; [unrolled: 1-line block ×4, first 2 shown]
	v_rcp_f64_e32 v[48:49], v[46:47]
	v_add_f64 v[44:45], v[46:47], -v[44:45]
	v_add_f64 v[50:51], v[52:53], -v[50:51]
	;; [unrolled: 1-line block ×4, first 2 shown]
	v_fma_f64 v[54:55], -v[46:47], v[48:49], 1.0
	v_fma_f64 v[48:49], v[54:55], v[48:49], v[48:49]
	v_fma_f64 v[40:41], -v[46:47], v[48:49], 1.0
	v_fma_f64 v[40:41], v[40:41], v[48:49], v[48:49]
	v_mul_f64 v[48:49], v[52:53], v[40:41]
	v_mul_f64 v[54:55], v[46:47], v[48:49]
	v_fma_f64 v[44:45], v[48:49], v[46:47], -v[54:55]
	v_fma_f64 v[44:45], v[48:49], v[42:43], v[44:45]
	v_add_f64 v[56:57], v[54:55], v[44:45]
	v_add_f64 v[58:59], v[52:53], -v[56:57]
	v_add_f64 v[50:51], v[56:57], -v[54:55]
	v_add_f64 v[52:53], v[52:53], -v[58:59]
	v_add_f64 v[44:45], v[50:51], -v[44:45]
	v_max_f64 v[50:51], |v[13:14]|, |v[13:14]|
	v_add_f64 v[52:53], v[52:53], -v[56:57]
	v_add_f64 v[2:3], v[2:3], v[52:53]
	v_add_f64 v[2:3], v[44:45], v[2:3]
	v_max_f64 v[44:45], |v[15:16]|, |v[15:16]|
	v_add_f64 v[52:53], v[58:59], v[2:3]
	v_max_f64 v[54:55], v[50:51], v[44:45]
	v_min_f64 v[44:45], v[50:51], v[44:45]
	v_mul_f64 v[50:51], v[40:41], v[52:53]
	v_add_f64 v[58:59], v[58:59], -v[52:53]
	v_div_scale_f64 v[56:57], s[12:13], v[54:55], v[54:55], v[44:45]
	s_mov_b32 s12, 0xb5e68a13
	s_mov_b32 s13, 0x3eeba404
	v_mul_f64 v[60:61], v[46:47], v[50:51]
	v_add_f64 v[2:3], v[2:3], v[58:59]
	v_fma_f64 v[46:47], v[50:51], v[46:47], -v[60:61]
	v_rcp_f64_e32 v[70:71], v[56:57]
	v_fma_f64 v[42:43], v[50:51], v[42:43], v[46:47]
	v_add_f64 v[46:47], v[60:61], v[42:43]
	v_fma_f64 v[72:73], -v[56:57], v[70:71], 1.0
	v_add_f64 v[74:75], v[52:53], -v[46:47]
	v_add_f64 v[58:59], v[46:47], -v[60:61]
	v_fma_f64 v[70:71], v[70:71], v[72:73], v[70:71]
	v_div_scale_f64 v[72:73], vcc, v[44:45], v[54:55], v[44:45]
	v_add_f64 v[52:53], v[52:53], -v[74:75]
	v_add_f64 v[42:43], v[58:59], -v[42:43]
	v_fma_f64 v[76:77], -v[56:57], v[70:71], 1.0
	v_add_f64 v[58:59], v[48:49], v[50:51]
	v_add_f64 v[46:47], v[52:53], -v[46:47]
	v_fma_f64 v[52:53], v[70:71], v[76:77], v[70:71]
	v_add_f64 v[48:49], v[58:59], -v[48:49]
	v_add_f64 v[2:3], v[2:3], v[46:47]
	v_mul_f64 v[46:47], v[72:73], v[52:53]
	v_add_f64 v[2:3], v[42:43], v[2:3]
	v_fma_f64 v[42:43], -v[56:57], v[46:47], v[72:73]
	v_add_f64 v[2:3], v[74:75], v[2:3]
	v_div_fmas_f64 v[42:43], v[42:43], v[52:53], v[46:47]
	v_add_f64 v[46:47], v[50:51], -v[48:49]
	v_cmp_gt_i32_e32 vcc, 0, v14
	v_cndmask_b32_e32 v18, v68, v69, vcc
	v_cndmask_b32_e32 v11, v66, v67, vcc
	v_mul_f64 v[2:3], v[40:41], v[2:3]
	v_add_f64 v[2:3], v[46:47], v[2:3]
	v_div_fixup_f64 v[40:41], v[42:43], v[54:55], v[44:45]
	v_cvt_f64_i32_e32 v[54:55], v1
	v_mul_f64 v[56:57], v[54:55], s[44:45]
	v_add_f64 v[42:43], v[58:59], v[2:3]
	v_mul_f64 v[44:45], v[40:41], v[40:41]
	v_mul_f64 v[46:47], v[42:43], v[42:43]
	v_fma_f64 v[48:49], v[44:45], s[12:13], v[21:22]
	s_mov_b32 s12, 0x69efb384
	s_mov_b32 s13, 0x3f4b2bb0
	v_fma_f64 v[50:51], v[46:47], s[34:35], v[19:20]
	v_mul_f64 v[52:53], v[42:43], v[46:47]
	v_fma_f64 v[48:49], v[44:45], v[48:49], s[12:13]
	s_mov_b32 s12, 0xaf56de9b
	s_mov_b32 s13, 0xbf67952d
	v_fma_f64 v[50:51], v[46:47], v[50:51], s[36:37]
	v_fma_f64 v[48:49], v[44:45], v[48:49], s[12:13]
	s_mov_b32 s12, 0xa595c56f
	s_mov_b32 s13, 0x3f7d6d43
	v_fma_f64 v[50:51], v[46:47], v[50:51], s[38:39]
	;; [unrolled: 4-line block ×5, first 2 shown]
	v_ldexp_f64 v[50:51], v[42:43], 1
	v_fma_f64 v[48:49], v[44:45], v[48:49], s[12:13]
	s_mov_b32 s12, 0x5711927a
	s_mov_b32 s13, 0x3fa2c15b
	v_add_f64 v[42:43], v[42:43], -v[58:59]
	v_mul_f64 v[46:47], v[52:53], v[46:47]
	v_fma_f64 v[48:49], v[44:45], v[48:49], s[12:13]
	s_mov_b32 s12, 0xe82d3ff0
	s_mov_b32 s13, 0xbfa59976
	v_add_f64 v[1:2], v[2:3], -v[42:43]
	v_ashrrev_i32_e32 v3, 31, v14
	v_and_b32_e32 v37, 0x54442d18, v3
	v_add_f64 v[52:53], v[50:51], v[46:47]
	v_and_b32_e32 v3, 0x400921fb, v3
	v_fma_f64 v[48:49], v[44:45], v[48:49], s[12:13]
	v_cmp_eq_f64_e64 s[12:13], 0, v[15:16]
	v_ldexp_f64 v[1:2], v[1:2], 1
	v_add_f64 v[42:43], v[52:53], -v[50:51]
	v_fma_f64 v[50:51], v[54:55], s[44:45], -v[56:57]
	v_fma_f64 v[48:49], v[44:45], v[48:49], s[66:67]
	v_add_f64 v[42:43], v[46:47], -v[42:43]
	v_fma_f64 v[46:47], v[44:45], v[48:49], s[68:69]
	v_fma_f64 v[48:49], v[54:55], s[46:47], v[50:51]
	v_add_f64 v[1:2], v[1:2], v[42:43]
	v_fma_f64 v[42:43], v[44:45], v[46:47], s[70:71]
	v_add_f64 v[46:47], v[56:57], v[48:49]
	v_add_f64 v[50:51], v[52:53], v[1:2]
	v_fma_f64 v[42:43], v[44:45], v[42:43], s[72:73]
	v_add_f64 v[56:57], v[46:47], -v[56:57]
	v_add_f64 v[54:55], v[46:47], v[50:51]
	v_add_f64 v[52:53], v[50:51], -v[52:53]
	v_fma_f64 v[42:43], v[44:45], v[42:43], s[74:75]
	v_add_f64 v[48:49], v[48:49], -v[56:57]
	v_add_f64 v[58:59], v[54:55], -v[46:47]
	;; [unrolled: 1-line block ×3, first 2 shown]
	v_fma_f64 v[42:43], v[44:45], v[42:43], s[76:77]
	v_add_f64 v[60:61], v[54:55], -v[58:59]
	v_add_f64 v[50:51], v[50:51], -v[58:59]
	v_fma_f64 v[42:43], v[44:45], v[42:43], s[78:79]
	v_add_f64 v[52:53], v[48:49], v[1:2]
	v_add_f64 v[46:47], v[46:47], -v[60:61]
	v_fma_f64 v[42:43], v[44:45], v[42:43], s[80:81]
	v_add_f64 v[46:47], v[50:51], v[46:47]
	;; [unrolled: 3-line block ×3, first 2 shown]
	v_add_f64 v[52:53], v[52:53], -v[50:51]
	v_fma_f64 v[42:43], v[44:45], v[42:43], s[84:85]
	v_add_f64 v[1:2], v[1:2], -v[50:51]
	v_add_f64 v[56:57], v[54:55], v[46:47]
	v_mul_f64 v[42:43], v[44:45], v[42:43]
	v_add_f64 v[44:45], v[48:49], -v[52:53]
	v_add_f64 v[48:49], v[56:57], -v[54:55]
	v_fma_f64 v[40:41], v[40:41], v[42:43], v[40:41]
	v_add_f64 v[1:2], v[1:2], v[44:45]
	v_add_f64 v[42:43], v[46:47], -v[48:49]
	v_add_f64 v[44:45], -v[40:41], s[18:19]
	v_add_f64 v[1:2], v[1:2], v[42:43]
	v_cndmask_b32_e64 v41, v41, v45, s[10:11]
	v_cndmask_b32_e64 v40, v40, v44, s[10:11]
	v_add_f64 v[42:43], -v[40:41], s[86:87]
	v_add_f64 v[1:2], v[56:57], v[1:2]
	v_cndmask_b32_e32 v40, v40, v42, vcc
	v_mul_f64 v[13:14], v[1:2], 0.5
	v_cndmask_b32_e32 v2, v41, v43, vcc
	v_bfi_b32 v1, s64, v18, v16
	v_cndmask_b32_e64 v18, v40, v37, s[12:13]
	v_cndmask_b32_e64 v2, v2, v3, s[12:13]
	s_and_b64 s[12:13], s[14:15], s[16:17]
	s_and_b64 vcc, s[56:57], s[58:59]
	v_cndmask_b32_e32 v2, v2, v1, vcc
	v_cndmask_b32_e64 v37, 0, v13, s[12:13]
	v_cmp_ngt_f64_e64 s[12:13], -1.0, v[38:39]
	v_cndmask_b32_e64 v1, v63, v14, s[16:17]
	s_mov_b32 s56, 0x69efb384
	s_mov_b32 s58, 0xb5e68a13
	;; [unrolled: 1-line block ×4, first 2 shown]
	v_cndmask_b32_e64 v1, v64, v1, s[12:13]
	v_cmp_neq_f64_e64 s[12:13], -1.0, v[38:39]
	v_cndmask_b32_e64 v38, v65, v1, s[12:13]
	v_cndmask_b32_e32 v1, v18, v11, vcc
.LBB197_93:                             ;   in Loop: Header=BB197_4 Depth=1
	s_or_b64 exec, exec, s[54:55]
.LBB197_94:                             ;   in Loop: Header=BB197_4 Depth=1
	s_or_b64 exec, exec, s[52:53]
.LBB197_95:                             ;   in Loop: Header=BB197_4 Depth=1
	s_andn2_saveexec_b64 s[16:17], s[50:51]
	s_cbranch_execz .LBB197_97
; %bb.96:                               ;   in Loop: Header=BB197_4 Depth=1
	v_max_f64 v[1:2], |v[15:16]|, |v[15:16]|
	v_max_f64 v[40:41], |v[13:14]|, |v[13:14]|
	v_cmp_class_f64_e64 s[50:51], v[13:14], s65
	v_cmp_class_f64_e64 s[52:53], v[15:16], s65
	s_mov_b32 s31, s27
	s_mov_b32 s86, s18
	v_max_f64 v[42:43], v[40:41], v[1:2]
	v_min_f64 v[1:2], v[40:41], v[1:2]
	v_frexp_exp_i32_f64_e32 v3, v[42:43]
	v_sub_u32_e32 v11, 0, v3
	v_ldexp_f64 v[37:38], |v[15:16]|, v11
	v_ldexp_f64 v[44:45], |v[13:14]|, v11
	v_mul_f64 v[37:38], v[37:38], v[37:38]
	v_fma_f64 v[37:38], v[44:45], v[44:45], v[37:38]
	v_rsq_f64_e32 v[44:45], v[37:38]
	v_cmp_eq_f64_e32 vcc, 0, v[37:38]
	v_mul_f64 v[46:47], v[37:38], v[44:45]
	v_mul_f64 v[44:45], v[44:45], 0.5
	v_fma_f64 v[48:49], -v[44:45], v[46:47], 0.5
	v_fma_f64 v[46:47], v[46:47], v[48:49], v[46:47]
	v_fma_f64 v[44:45], v[44:45], v[48:49], v[44:45]
	v_fma_f64 v[48:49], -v[46:47], v[46:47], v[37:38]
	v_fma_f64 v[44:45], v[48:49], v[44:45], v[46:47]
	v_cndmask_b32_e32 v38, v45, v38, vcc
	v_cndmask_b32_e32 v37, v44, v37, vcc
	v_ldexp_f64 v[37:38], v[37:38], v3
	s_or_b64 vcc, s[52:53], s[50:51]
	v_cndmask_b32_e32 v39, v38, v63, vcc
	v_cndmask_b32_e64 v38, v37, 0, vcc
	v_frexp_mant_f64_e32 v[44:45], v[38:39]
	v_cmp_gt_f64_e64 s[12:13], s[26:27], v[44:45]
	v_cndmask_b32_e64 v3, 0, 1, s[12:13]
	v_ldexp_f64 v[44:45], v[44:45], v3
	v_frexp_exp_i32_f64_e32 v3, v[38:39]
	v_add_f64 v[46:47], v[44:45], 1.0
	v_add_f64 v[52:53], v[44:45], -1.0
	v_rcp_f64_e32 v[48:49], v[46:47]
	v_add_f64 v[56:57], v[46:47], -1.0
	v_add_f64 v[44:45], v[44:45], -v[56:57]
	v_fma_f64 v[50:51], -v[46:47], v[48:49], 1.0
	v_fma_f64 v[40:41], v[50:51], v[48:49], v[48:49]
	v_div_scale_f64 v[48:49], s[14:15], v[42:43], v[42:43], v[1:2]
	s_mov_b32 s14, 0xaf56de9b
	s_mov_b32 s15, 0xbf67952d
	v_fma_f64 v[50:51], -v[46:47], v[40:41], 1.0
	v_fma_f64 v[40:41], v[50:51], v[40:41], v[40:41]
	v_rcp_f64_e32 v[50:51], v[48:49]
	v_mul_f64 v[54:55], v[52:53], v[40:41]
	v_mul_f64 v[58:59], v[46:47], v[54:55]
	v_fma_f64 v[60:61], -v[48:49], v[50:51], 1.0
	v_fma_f64 v[46:47], v[54:55], v[46:47], -v[58:59]
	v_fma_f64 v[50:51], v[50:51], v[60:61], v[50:51]
	v_fma_f64 v[44:45], v[54:55], v[44:45], v[46:47]
	v_div_scale_f64 v[46:47], vcc, v[1:2], v[42:43], v[1:2]
	v_fma_f64 v[56:57], -v[48:49], v[50:51], 1.0
	v_add_f64 v[60:61], v[58:59], v[44:45]
	v_fma_f64 v[50:51], v[50:51], v[56:57], v[50:51]
	v_add_f64 v[56:57], v[52:53], -v[60:61]
	v_add_f64 v[58:59], v[60:61], -v[58:59]
	v_mul_f64 v[70:71], v[46:47], v[50:51]
	v_add_f64 v[52:53], v[52:53], -v[56:57]
	v_add_f64 v[44:45], v[58:59], -v[44:45]
	v_fma_f64 v[46:47], -v[48:49], v[70:71], v[46:47]
	v_add_f64 v[48:49], v[52:53], -v[60:61]
	v_div_fmas_f64 v[46:47], v[46:47], v[50:51], v[70:71]
	v_subbrev_co_u32_e64 v3, vcc, 0, v3, s[12:13]
	v_cmp_eq_f64_e64 s[12:13], 0, v[15:16]
	v_cmp_gt_i32_e32 vcc, 0, v14
	v_add_f64 v[44:45], v[44:45], v[48:49]
	v_cndmask_b32_e32 v37, v68, v69, vcc
	v_cndmask_b32_e32 v11, v66, v67, vcc
	v_bfi_b32 v37, s64, v37, v16
	v_add_f64 v[44:45], v[56:57], v[44:45]
	v_div_fixup_f64 v[1:2], v[46:47], v[42:43], v[1:2]
	v_mul_f64 v[40:41], v[40:41], v[44:45]
	v_mul_f64 v[42:43], v[1:2], v[1:2]
	v_add_f64 v[44:45], v[54:55], v[40:41]
	v_fma_f64 v[46:47], v[42:43], s[58:59], v[21:22]
	v_mul_f64 v[48:49], v[44:45], v[44:45]
	v_fma_f64 v[46:47], v[42:43], v[46:47], s[56:57]
	v_fma_f64 v[50:51], v[48:49], s[34:35], v[19:20]
	v_mul_f64 v[52:53], v[44:45], v[48:49]
	v_fma_f64 v[46:47], v[42:43], v[46:47], s[14:15]
	s_mov_b32 s14, 0xa595c56f
	s_mov_b32 s15, 0x3f7d6d43
	v_fma_f64 v[50:51], v[48:49], v[50:51], s[36:37]
	v_fma_f64 v[46:47], v[42:43], v[46:47], s[14:15]
	s_mov_b32 s14, 0xa57d9582
	s_mov_b32 s15, 0xbf8c6ea4
	v_fma_f64 v[50:51], v[48:49], v[50:51], s[38:39]
	;; [unrolled: 4-line block ×5, first 2 shown]
	v_ldexp_f64 v[50:51], v[44:45], 1
	v_add_f64 v[44:45], v[44:45], -v[54:55]
	v_fma_f64 v[46:47], v[42:43], v[46:47], s[14:15]
	s_mov_b32 s14, 0xe82d3ff0
	s_mov_b32 s15, 0xbfa59976
	v_cvt_f64_i32_e32 v[54:55], v3
	v_ashrrev_i32_e32 v3, 31, v14
	v_mul_f64 v[48:49], v[52:53], v[48:49]
	v_and_b32_e32 v18, 0x54442d18, v3
	v_mul_f64 v[56:57], v[54:55], s[44:45]
	v_fma_f64 v[46:47], v[42:43], v[46:47], s[14:15]
	v_add_f64 v[40:41], v[40:41], -v[44:45]
	v_and_b32_e32 v3, 0x400921fb, v3
	v_cmp_class_f64_e64 s[14:15], v[38:39], s65
	v_add_f64 v[52:53], v[50:51], v[48:49]
	v_fma_f64 v[46:47], v[42:43], v[46:47], s[66:67]
	v_ldexp_f64 v[40:41], v[40:41], 1
	v_add_f64 v[44:45], v[52:53], -v[50:51]
	v_fma_f64 v[50:51], v[54:55], s[44:45], -v[56:57]
	v_fma_f64 v[46:47], v[42:43], v[46:47], s[68:69]
	v_add_f64 v[44:45], v[48:49], -v[44:45]
	v_fma_f64 v[48:49], v[54:55], s[46:47], v[50:51]
	v_fma_f64 v[46:47], v[42:43], v[46:47], s[70:71]
	v_add_f64 v[40:41], v[40:41], v[44:45]
	v_fma_f64 v[44:45], v[42:43], v[46:47], s[72:73]
	v_add_f64 v[46:47], v[56:57], v[48:49]
	v_add_f64 v[50:51], v[52:53], v[40:41]
	v_fma_f64 v[44:45], v[42:43], v[44:45], s[74:75]
	v_add_f64 v[56:57], v[46:47], -v[56:57]
	v_add_f64 v[54:55], v[46:47], v[50:51]
	v_add_f64 v[52:53], v[50:51], -v[52:53]
	v_fma_f64 v[44:45], v[42:43], v[44:45], s[76:77]
	v_add_f64 v[48:49], v[48:49], -v[56:57]
	v_add_f64 v[58:59], v[54:55], -v[46:47]
	;; [unrolled: 1-line block ×3, first 2 shown]
	v_fma_f64 v[44:45], v[42:43], v[44:45], s[78:79]
	v_add_f64 v[60:61], v[54:55], -v[58:59]
	v_add_f64 v[50:51], v[50:51], -v[58:59]
	v_add_f64 v[52:53], v[48:49], v[40:41]
	v_fma_f64 v[44:45], v[42:43], v[44:45], s[80:81]
	v_add_f64 v[46:47], v[46:47], -v[60:61]
	v_fma_f64 v[44:45], v[42:43], v[44:45], s[82:83]
	v_add_f64 v[46:47], v[50:51], v[46:47]
	v_add_f64 v[50:51], v[52:53], -v[48:49]
	v_fma_f64 v[44:45], v[42:43], v[44:45], s[84:85]
	v_add_f64 v[46:47], v[52:53], v[46:47]
	v_add_f64 v[40:41], v[40:41], -v[50:51]
	v_mul_f64 v[42:43], v[42:43], v[44:45]
	v_add_f64 v[44:45], v[52:53], -v[50:51]
	v_add_f64 v[52:53], v[54:55], v[46:47]
	v_fma_f64 v[1:2], v[1:2], v[42:43], v[1:2]
	v_add_f64 v[42:43], v[48:49], -v[44:45]
	v_add_f64 v[44:45], v[52:53], -v[54:55]
	v_add_f64 v[48:49], -v[1:2], s[18:19]
	v_add_f64 v[40:41], v[40:41], v[42:43]
	v_add_f64 v[42:43], v[46:47], -v[44:45]
	v_cndmask_b32_e64 v2, v2, v49, s[10:11]
	v_cndmask_b32_e64 v1, v1, v48, s[10:11]
	v_add_f64 v[44:45], -v[1:2], s[86:87]
	v_add_f64 v[40:41], v[40:41], v[42:43]
	v_cndmask_b32_e32 v1, v1, v44, vcc
	v_cndmask_b32_e32 v2, v2, v45, vcc
	v_cndmask_b32_e64 v1, v1, v18, s[12:13]
	v_add_f64 v[13:14], v[52:53], v[40:41]
	v_cndmask_b32_e64 v2, v2, v3, s[12:13]
	v_cmp_ngt_f64_e64 s[12:13], 0, v[38:39]
	s_and_b64 vcc, s[52:53], s[50:51]
	v_cndmask_b32_e32 v2, v2, v37, vcc
	v_cndmask_b32_e32 v1, v1, v11, vcc
	v_cndmask_b32_e64 v3, v13, v38, s[14:15]
	v_cndmask_b32_e64 v13, v14, v39, s[14:15]
	;; [unrolled: 1-line block ×3, first 2 shown]
	v_cmp_nge_f64_e64 s[12:13], 0, v[38:39]
	v_cndmask_b32_e64 v37, 0, v3, s[12:13]
	v_cmp_neq_f64_e64 s[12:13], 0, v[38:39]
	v_cndmask_b32_e64 v38, v65, v13, s[12:13]
.LBB197_97:                             ;   in Loop: Header=BB197_4 Depth=1
	s_or_b64 exec, exec, s[16:17]
                                        ; implicit-def: $vgpr41_vgpr42
.LBB197_98:                             ;   in Loop: Header=BB197_4 Depth=1
	s_andn2_saveexec_b64 s[16:17], s[48:49]
	s_cbranch_execz .LBB197_104
; %bb.99:                               ;   in Loop: Header=BB197_4 Depth=1
	s_mov_b32 s12, 0x6a3f9475
	s_mov_b32 s13, 0x20ca2fe7
	v_cmp_ngt_f64_e32 vcc, s[12:13], v[41:42]
                                        ; implicit-def: $vgpr37_vgpr38
                                        ; implicit-def: $vgpr1_vgpr2
	s_and_saveexec_b64 s[12:13], vcc
	s_xor_b64 s[48:49], exec, s[12:13]
	s_cbranch_execz .LBB197_101
; %bb.100:                              ;   in Loop: Header=BB197_4 Depth=1
	v_mul_f64 v[1:2], v[41:42], v[41:42]
	s_mov_b32 s31, s27
	s_mov_b32 s86, s18
	;; [unrolled: 1-line block ×3, first 2 shown]
	v_cmp_class_f64_e64 s[50:51], v[15:16], s65
	v_cmp_class_f64_e64 s[52:53], v[13:14], s65
	s_mov_b32 s15, 0x7ff00000
	v_add_f64 v[37:38], v[1:2], 1.0
	v_cmp_neq_f64_e64 s[14:15], s[14:15], v[1:2]
	v_frexp_mant_f64_e32 v[41:42], v[37:38]
	v_frexp_exp_i32_f64_e32 v3, v[37:38]
	v_add_f64 v[39:40], v[37:38], -1.0
	v_cmp_gt_f64_e32 vcc, s[26:27], v[41:42]
	v_add_f64 v[43:44], v[39:40], -v[37:38]
	v_add_f64 v[39:40], v[1:2], -v[39:40]
	v_subbrev_co_u32_e32 v3, vcc, 0, v3, vcc
	v_sub_u32_e32 v11, 0, v3
	v_ldexp_f64 v[37:38], v[37:38], v11
	v_add_f64 v[41:42], v[43:44], 1.0
	v_add_f64 v[43:44], v[37:38], 1.0
	v_add_f64 v[39:40], v[39:40], v[41:42]
	v_add_f64 v[49:50], v[37:38], -1.0
	v_add_f64 v[41:42], v[43:44], -1.0
	v_ldexp_f64 v[39:40], v[39:40], v11
	v_add_f64 v[51:52], v[49:50], 1.0
	v_add_f64 v[41:42], v[37:38], -v[41:42]
	v_add_f64 v[37:38], v[37:38], -v[51:52]
	v_add_f64 v[41:42], v[39:40], v[41:42]
	v_add_f64 v[37:38], v[39:40], v[37:38]
	;; [unrolled: 1-line block ×4, first 2 shown]
	v_rcp_f64_e32 v[47:48], v[45:46]
	v_add_f64 v[43:44], v[43:44], -v[45:46]
	v_add_f64 v[49:50], v[49:50], -v[51:52]
	v_add_f64 v[41:42], v[41:42], v[43:44]
	v_add_f64 v[37:38], v[37:38], v[49:50]
	v_fma_f64 v[53:54], -v[45:46], v[47:48], 1.0
	v_fma_f64 v[47:48], v[53:54], v[47:48], v[47:48]
	v_fma_f64 v[39:40], -v[45:46], v[47:48], 1.0
	v_fma_f64 v[39:40], v[39:40], v[47:48], v[47:48]
	v_mul_f64 v[47:48], v[51:52], v[39:40]
	v_mul_f64 v[53:54], v[45:46], v[47:48]
	v_fma_f64 v[43:44], v[47:48], v[45:46], -v[53:54]
	v_fma_f64 v[43:44], v[47:48], v[41:42], v[43:44]
	v_add_f64 v[55:56], v[53:54], v[43:44]
	v_add_f64 v[57:58], v[51:52], -v[55:56]
	v_add_f64 v[49:50], v[55:56], -v[53:54]
	v_add_f64 v[51:52], v[51:52], -v[57:58]
	v_add_f64 v[43:44], v[49:50], -v[43:44]
	v_max_f64 v[49:50], |v[13:14]|, |v[13:14]|
	v_add_f64 v[51:52], v[51:52], -v[55:56]
	v_add_f64 v[37:38], v[37:38], v[51:52]
	v_add_f64 v[37:38], v[43:44], v[37:38]
	v_max_f64 v[43:44], |v[15:16]|, |v[15:16]|
	v_add_f64 v[51:52], v[57:58], v[37:38]
	v_max_f64 v[53:54], v[49:50], v[43:44]
	v_min_f64 v[43:44], v[49:50], v[43:44]
	v_mul_f64 v[49:50], v[39:40], v[51:52]
	v_add_f64 v[57:58], v[57:58], -v[51:52]
	v_div_scale_f64 v[55:56], s[12:13], v[53:54], v[53:54], v[43:44]
	s_mov_b32 s12, 0xaf56de9b
	s_mov_b32 s13, 0xbf67952d
	v_mul_f64 v[59:60], v[45:46], v[49:50]
	v_add_f64 v[37:38], v[37:38], v[57:58]
	v_fma_f64 v[45:46], v[49:50], v[45:46], -v[59:60]
	v_rcp_f64_e32 v[61:62], v[55:56]
	v_fma_f64 v[41:42], v[49:50], v[41:42], v[45:46]
	v_add_f64 v[45:46], v[59:60], v[41:42]
	v_fma_f64 v[70:71], -v[55:56], v[61:62], 1.0
	v_add_f64 v[72:73], v[51:52], -v[45:46]
	v_add_f64 v[57:58], v[45:46], -v[59:60]
	v_fma_f64 v[61:62], v[61:62], v[70:71], v[61:62]
	v_div_scale_f64 v[70:71], vcc, v[43:44], v[53:54], v[43:44]
	v_add_f64 v[51:52], v[51:52], -v[72:73]
	v_add_f64 v[41:42], v[57:58], -v[41:42]
	v_fma_f64 v[74:75], -v[55:56], v[61:62], 1.0
	v_add_f64 v[57:58], v[47:48], v[49:50]
	v_add_f64 v[45:46], v[51:52], -v[45:46]
	v_fma_f64 v[51:52], v[61:62], v[74:75], v[61:62]
	v_add_f64 v[47:48], v[57:58], -v[47:48]
	v_add_f64 v[37:38], v[37:38], v[45:46]
	v_mul_f64 v[45:46], v[70:71], v[51:52]
	v_add_f64 v[37:38], v[41:42], v[37:38]
	v_fma_f64 v[41:42], -v[55:56], v[45:46], v[70:71]
	v_add_f64 v[37:38], v[72:73], v[37:38]
	v_div_fmas_f64 v[41:42], v[41:42], v[51:52], v[45:46]
	v_add_f64 v[45:46], v[49:50], -v[47:48]
	v_cmp_gt_i32_e32 vcc, 0, v14
	v_cndmask_b32_e32 v11, v66, v67, vcc
	v_mul_f64 v[37:38], v[39:40], v[37:38]
	v_add_f64 v[37:38], v[45:46], v[37:38]
	v_div_fixup_f64 v[39:40], v[41:42], v[53:54], v[43:44]
	v_cvt_f64_i32_e32 v[53:54], v3
	v_ashrrev_i32_e32 v3, 31, v14
	v_and_b32_e32 v18, 0x54442d18, v3
	v_and_b32_e32 v3, 0x400921fb, v3
	v_mul_f64 v[55:56], v[53:54], s[44:45]
	v_add_f64 v[41:42], v[57:58], v[37:38]
	v_mul_f64 v[43:44], v[39:40], v[39:40]
	v_mul_f64 v[45:46], v[41:42], v[41:42]
	v_fma_f64 v[47:48], v[43:44], s[58:59], v[21:22]
	v_fma_f64 v[49:50], v[45:46], s[34:35], v[19:20]
	v_mul_f64 v[51:52], v[41:42], v[45:46]
	v_fma_f64 v[47:48], v[43:44], v[47:48], s[56:57]
	v_fma_f64 v[49:50], v[45:46], v[49:50], s[36:37]
	;; [unrolled: 1-line block ×3, first 2 shown]
	s_mov_b32 s12, 0xa595c56f
	s_mov_b32 s13, 0x3f7d6d43
	v_fma_f64 v[49:50], v[45:46], v[49:50], s[38:39]
	v_fma_f64 v[47:48], v[43:44], v[47:48], s[12:13]
	s_mov_b32 s12, 0xa57d9582
	s_mov_b32 s13, 0xbf8c6ea4
	v_fma_f64 v[49:50], v[45:46], v[49:50], s[40:41]
	v_fma_f64 v[47:48], v[43:44], v[47:48], s[12:13]
	;; [unrolled: 4-line block ×3, first 2 shown]
	s_mov_b32 s12, 0xfc27006a
	s_mov_b32 s13, 0xbf9e9ae6
	v_fma_f64 v[45:46], v[45:46], v[49:50], s[30:31]
	v_ldexp_f64 v[49:50], v[41:42], 1
	v_fma_f64 v[47:48], v[43:44], v[47:48], s[12:13]
	s_mov_b32 s12, 0x5711927a
	s_mov_b32 s13, 0x3fa2c15b
	v_add_f64 v[41:42], v[41:42], -v[57:58]
	v_mul_f64 v[45:46], v[51:52], v[45:46]
	v_fma_f64 v[47:48], v[43:44], v[47:48], s[12:13]
	s_mov_b32 s12, 0xe82d3ff0
	s_mov_b32 s13, 0xbfa59976
	v_add_f64 v[37:38], v[37:38], -v[41:42]
	v_add_f64 v[51:52], v[49:50], v[45:46]
	v_fma_f64 v[47:48], v[43:44], v[47:48], s[12:13]
	v_cmp_eq_f64_e64 s[12:13], 0, v[15:16]
	v_ldexp_f64 v[37:38], v[37:38], 1
	v_add_f64 v[41:42], v[51:52], -v[49:50]
	v_fma_f64 v[49:50], v[53:54], s[44:45], -v[55:56]
	v_fma_f64 v[47:48], v[43:44], v[47:48], s[66:67]
	v_add_f64 v[41:42], v[45:46], -v[41:42]
	v_fma_f64 v[45:46], v[43:44], v[47:48], s[68:69]
	v_fma_f64 v[47:48], v[53:54], s[46:47], v[49:50]
	v_add_f64 v[37:38], v[37:38], v[41:42]
	v_fma_f64 v[41:42], v[43:44], v[45:46], s[70:71]
	v_add_f64 v[45:46], v[55:56], v[47:48]
	v_add_f64 v[49:50], v[51:52], v[37:38]
	v_fma_f64 v[41:42], v[43:44], v[41:42], s[72:73]
	v_add_f64 v[55:56], v[45:46], -v[55:56]
	v_add_f64 v[53:54], v[45:46], v[49:50]
	v_add_f64 v[51:52], v[49:50], -v[51:52]
	v_fma_f64 v[41:42], v[43:44], v[41:42], s[74:75]
	v_add_f64 v[47:48], v[47:48], -v[55:56]
	v_add_f64 v[57:58], v[53:54], -v[45:46]
	;; [unrolled: 1-line block ×3, first 2 shown]
	v_fma_f64 v[41:42], v[43:44], v[41:42], s[76:77]
	v_add_f64 v[59:60], v[53:54], -v[57:58]
	v_add_f64 v[49:50], v[49:50], -v[57:58]
	v_fma_f64 v[41:42], v[43:44], v[41:42], s[78:79]
	v_add_f64 v[51:52], v[47:48], v[37:38]
	v_add_f64 v[45:46], v[45:46], -v[59:60]
	v_fma_f64 v[41:42], v[43:44], v[41:42], s[80:81]
	v_add_f64 v[45:46], v[49:50], v[45:46]
	;; [unrolled: 3-line block ×3, first 2 shown]
	v_add_f64 v[51:52], v[51:52], -v[49:50]
	v_fma_f64 v[41:42], v[43:44], v[41:42], s[84:85]
	v_add_f64 v[37:38], v[37:38], -v[49:50]
	v_add_f64 v[55:56], v[53:54], v[45:46]
	v_mul_f64 v[41:42], v[43:44], v[41:42]
	v_add_f64 v[43:44], v[47:48], -v[51:52]
	v_add_f64 v[47:48], v[55:56], -v[53:54]
	v_fma_f64 v[39:40], v[39:40], v[41:42], v[39:40]
	v_add_f64 v[37:38], v[37:38], v[43:44]
	v_add_f64 v[41:42], v[45:46], -v[47:48]
	v_add_f64 v[43:44], -v[39:40], s[18:19]
	v_add_f64 v[37:38], v[37:38], v[41:42]
	v_cndmask_b32_e64 v40, v40, v44, s[10:11]
	v_cndmask_b32_e64 v39, v39, v43, s[10:11]
	v_add_f64 v[41:42], -v[39:40], s[86:87]
	v_add_f64 v[37:38], v[55:56], v[37:38]
	v_cndmask_b32_e32 v39, v39, v41, vcc
	v_cndmask_b32_e32 v41, v68, v69, vcc
	;; [unrolled: 1-line block ×3, first 2 shown]
	v_bfi_b32 v1, s64, v41, v16
	v_mul_f64 v[13:14], v[37:38], 0.5
	v_cndmask_b32_e64 v18, v39, v18, s[12:13]
	v_cndmask_b32_e64 v2, v2, v3, s[12:13]
	s_and_b64 vcc, s[50:51], s[52:53]
	v_cndmask_b32_e32 v2, v2, v1, vcc
	v_cndmask_b32_e32 v1, v18, v11, vcc
                                        ; implicit-def: $vgpr41_vgpr42
	v_cndmask_b32_e64 v38, v63, v14, s[14:15]
	v_cndmask_b32_e64 v37, 0, v13, s[14:15]
.LBB197_101:                            ;   in Loop: Header=BB197_4 Depth=1
	s_andn2_saveexec_b64 s[14:15], s[48:49]
	s_cbranch_execz .LBB197_103
; %bb.102:                              ;   in Loop: Header=BB197_4 Depth=1
	v_max_f64 v[1:2], |v[15:16]|, |v[15:16]|
	v_max_f64 v[37:38], |v[13:14]|, |v[13:14]|
	s_mov_b32 s86, s18
	v_cmp_class_f64_e64 s[48:49], v[15:16], s65
	v_cmp_class_f64_e64 s[50:51], v[13:14], s65
	v_ashrrev_i32_e32 v3, 31, v14
	v_and_b32_e32 v18, 0x54442d18, v3
	v_and_b32_e32 v3, 0x400921fb, v3
	v_max_f64 v[39:40], v[37:38], v[1:2]
	v_min_f64 v[1:2], v[37:38], v[1:2]
	v_div_scale_f64 v[37:38], s[12:13], v[39:40], v[39:40], v[1:2]
	s_mov_b32 s12, 0xaf56de9b
	s_mov_b32 s13, 0xbf67952d
	v_rcp_f64_e32 v[43:44], v[37:38]
	v_fma_f64 v[45:46], -v[37:38], v[43:44], 1.0
	v_fma_f64 v[43:44], v[43:44], v[45:46], v[43:44]
	v_div_scale_f64 v[45:46], vcc, v[1:2], v[39:40], v[1:2]
	v_fma_f64 v[47:48], -v[37:38], v[43:44], 1.0
	v_fma_f64 v[43:44], v[43:44], v[47:48], v[43:44]
	v_mul_f64 v[47:48], v[45:46], v[43:44]
	v_fma_f64 v[37:38], -v[37:38], v[47:48], v[45:46]
	v_div_fmas_f64 v[37:38], v[37:38], v[43:44], v[47:48]
	v_mul_f64 v[43:44], v[41:42], 0.5
	v_cmp_gt_i32_e32 vcc, 0, v14
	v_cndmask_b32_e32 v13, v68, v69, vcc
	v_cndmask_b32_e32 v11, v66, v67, vcc
	v_bfi_b32 v13, s64, v13, v16
	v_div_fixup_f64 v[1:2], v[37:38], v[39:40], v[1:2]
	v_mul_f64 v[37:38], v[1:2], v[1:2]
	v_fma_f64 v[39:40], v[37:38], s[58:59], v[21:22]
	v_fma_f64 v[39:40], v[37:38], v[39:40], s[56:57]
	;; [unrolled: 1-line block ×3, first 2 shown]
	s_mov_b32 s12, 0xa595c56f
	s_mov_b32 s13, 0x3f7d6d43
	v_fma_f64 v[39:40], v[37:38], v[39:40], s[12:13]
	s_mov_b32 s12, 0xa57d9582
	s_mov_b32 s13, 0xbf8c6ea4
	v_fma_f64 v[39:40], v[37:38], v[39:40], s[12:13]
	s_mov_b32 s12, 0x5f08b19f
	s_mov_b32 s13, 0x3f967e29
	v_fma_f64 v[39:40], v[37:38], v[39:40], s[12:13]
	s_mov_b32 s12, 0xfc27006a
	s_mov_b32 s13, 0xbf9e9ae6
	v_fma_f64 v[39:40], v[37:38], v[39:40], s[12:13]
	s_mov_b32 s12, 0x5711927a
	s_mov_b32 s13, 0x3fa2c15b
	v_fma_f64 v[39:40], v[37:38], v[39:40], s[12:13]
	s_mov_b32 s12, 0xe82d3ff0
	s_mov_b32 s13, 0xbfa59976
	v_fma_f64 v[39:40], v[37:38], v[39:40], s[12:13]
	v_cmp_eq_f64_e64 s[12:13], 0, v[15:16]
	v_fma_f64 v[39:40], v[37:38], v[39:40], s[66:67]
	v_fma_f64 v[39:40], v[37:38], v[39:40], s[68:69]
	;; [unrolled: 1-line block ×10, first 2 shown]
	v_mul_f64 v[37:38], v[37:38], v[39:40]
	v_fma_f64 v[1:2], v[1:2], v[37:38], v[1:2]
	v_add_f64 v[37:38], -v[1:2], s[18:19]
	v_cndmask_b32_e64 v2, v2, v38, s[10:11]
	v_cndmask_b32_e64 v1, v1, v37, s[10:11]
	v_add_f64 v[38:39], -v[1:2], s[86:87]
	v_cndmask_b32_e32 v1, v1, v38, vcc
	v_mul_f64 v[37:38], v[41:42], v[43:44]
	v_cndmask_b32_e32 v2, v2, v39, vcc
	v_cndmask_b32_e64 v1, v1, v18, s[12:13]
	v_cndmask_b32_e64 v2, v2, v3, s[12:13]
	s_and_b64 vcc, s[48:49], s[50:51]
	v_cndmask_b32_e32 v2, v2, v13, vcc
	v_cndmask_b32_e32 v1, v1, v11, vcc
.LBB197_103:                            ;   in Loop: Header=BB197_4 Depth=1
	s_or_b64 exec, exec, s[14:15]
.LBB197_104:                            ;   in Loop: Header=BB197_4 Depth=1
	s_or_b64 exec, exec, s[16:17]
.LBB197_105:                            ;   in Loop: Header=BB197_4 Depth=1
	s_andn2_saveexec_b64 s[14:15], s[24:25]
	s_cbranch_execz .LBB197_107
; %bb.106:                              ;   in Loop: Header=BB197_4 Depth=1
	v_div_scale_f64 v[1:2], s[12:13], s[92:93], s[92:93], v[13:14]
	v_div_scale_f64 v[37:38], s[12:13], s[92:93], s[92:93], v[15:16]
	;; [unrolled: 1-line block ×3, first 2 shown]
	s_mov_b32 s31, s27
	s_mov_b32 s86, s18
	v_cmp_class_f64_e64 s[24:25], v[13:14], s65
	v_rcp_f64_e32 v[39:40], v[1:2]
	v_rcp_f64_e32 v[41:42], v[37:38]
	v_fma_f64 v[43:44], -v[1:2], v[39:40], 1.0
	v_fma_f64 v[45:46], -v[37:38], v[41:42], 1.0
	v_fma_f64 v[39:40], v[39:40], v[43:44], v[39:40]
	v_div_scale_f64 v[43:44], vcc, v[13:14], s[92:93], v[13:14]
	v_fma_f64 v[41:42], v[41:42], v[45:46], v[41:42]
	v_fma_f64 v[45:46], -v[1:2], v[39:40], 1.0
	v_fma_f64 v[49:50], -v[37:38], v[41:42], 1.0
	v_fma_f64 v[39:40], v[39:40], v[45:46], v[39:40]
	v_fma_f64 v[41:42], v[41:42], v[49:50], v[41:42]
	v_mul_f64 v[45:46], v[43:44], v[39:40]
	v_mul_f64 v[49:50], v[47:48], v[41:42]
	v_fma_f64 v[1:2], -v[1:2], v[45:46], v[43:44]
	v_fma_f64 v[37:38], -v[37:38], v[49:50], v[47:48]
	v_div_fmas_f64 v[1:2], v[1:2], v[39:40], v[45:46]
	s_mov_b64 vcc, s[12:13]
	v_div_fmas_f64 v[37:38], v[37:38], v[41:42], v[49:50]
	v_max_f64 v[48:49], |v[13:14]|, |v[13:14]|
	v_div_fixup_f64 v[1:2], v[1:2], s[92:93], v[13:14]
	v_div_fixup_f64 v[37:38], v[37:38], s[92:93], v[15:16]
	v_cmp_class_f64_e64 s[12:13], v[1:2], s65
	v_max_f64 v[39:40], |v[1:2]|, |v[37:38]|
	v_cmp_class_f64_e64 s[16:17], v[37:38], s65
	v_frexp_exp_i32_f64_e32 v3, v[39:40]
	v_sub_u32_e32 v11, 0, v3
	v_ldexp_f64 v[39:40], |v[37:38]|, v11
	v_ldexp_f64 v[41:42], |v[1:2]|, v11
	v_mul_f64 v[39:40], v[39:40], v[39:40]
	v_fma_f64 v[39:40], v[41:42], v[41:42], v[39:40]
	v_rsq_f64_e32 v[41:42], v[39:40]
	v_cmp_eq_f64_e32 vcc, 0, v[39:40]
	v_mul_f64 v[43:44], v[39:40], v[41:42]
	v_mul_f64 v[41:42], v[41:42], 0.5
	v_fma_f64 v[45:46], -v[41:42], v[43:44], 0.5
	v_fma_f64 v[43:44], v[43:44], v[45:46], v[43:44]
	v_fma_f64 v[41:42], v[41:42], v[45:46], v[41:42]
	v_fma_f64 v[45:46], -v[43:44], v[43:44], v[39:40]
	v_fma_f64 v[41:42], v[45:46], v[41:42], v[43:44]
	v_max_f64 v[46:47], |v[15:16]|, |v[15:16]|
	v_cndmask_b32_e32 v40, v42, v40, vcc
	v_cndmask_b32_e32 v39, v41, v39, vcc
	v_ldexp_f64 v[39:40], v[39:40], v3
	v_cmp_o_f64_e32 vcc, v[1:2], v[37:38]
	v_cndmask_b32_e32 v1, 0, v39, vcc
	v_cndmask_b32_e32 v2, v64, v40, vcc
	s_or_b64 vcc, s[16:17], s[12:13]
	v_cndmask_b32_e32 v39, v2, v63, vcc
	v_cndmask_b32_e64 v38, v1, 0, vcc
	v_frexp_mant_f64_e32 v[1:2], v[38:39]
	v_cmp_gt_f64_e64 s[12:13], s[26:27], v[1:2]
	v_cndmask_b32_e64 v3, 0, 1, s[12:13]
	v_ldexp_f64 v[1:2], v[1:2], v3
	v_frexp_exp_i32_f64_e32 v3, v[38:39]
	v_add_f64 v[40:41], v[1:2], 1.0
	v_add_f64 v[52:53], v[1:2], -1.0
	v_rcp_f64_e32 v[42:43], v[40:41]
	v_add_f64 v[56:57], v[40:41], -1.0
	v_add_f64 v[1:2], v[1:2], -v[56:57]
	v_fma_f64 v[44:45], -v[40:41], v[42:43], 1.0
	v_fma_f64 v[42:43], v[44:45], v[42:43], v[42:43]
	v_max_f64 v[44:45], v[48:49], v[46:47]
	v_min_f64 v[46:47], v[48:49], v[46:47]
	v_fma_f64 v[48:49], -v[40:41], v[42:43], 1.0
	v_div_scale_f64 v[50:51], s[16:17], v[44:45], v[44:45], v[46:47]
	s_mov_b32 s16, 0xaf56de9b
	s_mov_b32 s17, 0xbf67952d
	v_fma_f64 v[42:43], v[48:49], v[42:43], v[42:43]
	v_mul_f64 v[48:49], v[52:53], v[42:43]
	v_rcp_f64_e32 v[54:55], v[50:51]
	v_mul_f64 v[58:59], v[40:41], v[48:49]
	v_fma_f64 v[40:41], v[48:49], v[40:41], -v[58:59]
	v_fma_f64 v[56:57], -v[50:51], v[54:55], 1.0
	v_fma_f64 v[1:2], v[48:49], v[1:2], v[40:41]
	v_fma_f64 v[40:41], v[54:55], v[56:57], v[54:55]
	v_div_scale_f64 v[56:57], vcc, v[46:47], v[44:45], v[46:47]
	v_add_f64 v[54:55], v[58:59], v[1:2]
	v_fma_f64 v[60:61], -v[50:51], v[40:41], 1.0
	v_add_f64 v[70:71], v[52:53], -v[54:55]
	v_add_f64 v[58:59], v[54:55], -v[58:59]
	v_fma_f64 v[40:41], v[40:41], v[60:61], v[40:41]
	v_add_f64 v[52:53], v[52:53], -v[70:71]
	v_add_f64 v[1:2], v[58:59], -v[1:2]
	v_mul_f64 v[60:61], v[56:57], v[40:41]
	v_add_f64 v[52:53], v[52:53], -v[54:55]
	v_fma_f64 v[50:51], -v[50:51], v[60:61], v[56:57]
	v_add_f64 v[1:2], v[1:2], v[52:53]
	v_div_fmas_f64 v[40:41], v[50:51], v[40:41], v[60:61]
	v_subbrev_co_u32_e64 v3, vcc, 0, v3, s[12:13]
	s_mov_b32 s12, 0xe82d3ff0
	s_mov_b32 s13, 0xbfa59976
	v_cmp_class_f64_e64 vcc, v[38:39], s65
	v_add_f64 v[1:2], v[70:71], v[1:2]
	v_mul_f64 v[1:2], v[42:43], v[1:2]
	v_div_fixup_f64 v[40:41], v[40:41], v[44:45], v[46:47]
	v_add_f64 v[42:43], v[48:49], v[1:2]
	v_mul_f64 v[44:45], v[40:41], v[40:41]
	v_mul_f64 v[46:47], v[42:43], v[42:43]
	v_fma_f64 v[50:51], v[44:45], s[58:59], v[21:22]
	v_fma_f64 v[52:53], v[46:47], s[34:35], v[19:20]
	v_mul_f64 v[54:55], v[42:43], v[46:47]
	v_fma_f64 v[50:51], v[44:45], v[50:51], s[56:57]
	v_fma_f64 v[52:53], v[46:47], v[52:53], s[36:37]
	v_fma_f64 v[50:51], v[44:45], v[50:51], s[16:17]
	s_mov_b32 s16, 0xa595c56f
	s_mov_b32 s17, 0x3f7d6d43
	v_fma_f64 v[52:53], v[46:47], v[52:53], s[38:39]
	v_fma_f64 v[50:51], v[44:45], v[50:51], s[16:17]
	s_mov_b32 s16, 0xa57d9582
	s_mov_b32 s17, 0xbf8c6ea4
	v_fma_f64 v[52:53], v[46:47], v[52:53], s[40:41]
	v_fma_f64 v[50:51], v[44:45], v[50:51], s[16:17]
	;; [unrolled: 4-line block ×3, first 2 shown]
	s_mov_b32 s16, 0xfc27006a
	s_mov_b32 s17, 0xbf9e9ae6
	v_fma_f64 v[46:47], v[46:47], v[52:53], s[30:31]
	v_ldexp_f64 v[52:53], v[42:43], 1
	v_fma_f64 v[50:51], v[44:45], v[50:51], s[16:17]
	s_mov_b32 s16, 0x5711927a
	s_mov_b32 s17, 0x3fa2c15b
	v_add_f64 v[42:43], v[42:43], -v[48:49]
	v_mul_f64 v[46:47], v[54:55], v[46:47]
	v_cvt_f64_i32_e32 v[54:55], v3
	v_fma_f64 v[50:51], v[44:45], v[50:51], s[16:17]
	v_cmp_class_f64_e64 s[16:17], v[15:16], s65
	v_ashrrev_i32_e32 v3, 31, v14
	v_mul_f64 v[56:57], v[54:55], s[44:45]
	v_add_f64 v[1:2], v[1:2], -v[42:43]
	v_and_b32_e32 v37, 0x54442d18, v3
	v_add_f64 v[48:49], v[52:53], v[46:47]
	v_and_b32_e32 v3, 0x400921fb, v3
	v_fma_f64 v[50:51], v[44:45], v[50:51], s[12:13]
	v_cmp_eq_f64_e64 s[12:13], 0, v[15:16]
	v_ldexp_f64 v[1:2], v[1:2], 1
	v_add_f64 v[42:43], v[48:49], -v[52:53]
	v_fma_f64 v[52:53], v[54:55], s[44:45], -v[56:57]
	v_fma_f64 v[50:51], v[44:45], v[50:51], s[66:67]
	v_add_f64 v[42:43], v[46:47], -v[42:43]
	v_fma_f64 v[46:47], v[44:45], v[50:51], s[68:69]
	v_fma_f64 v[50:51], v[54:55], s[46:47], v[52:53]
	v_add_f64 v[1:2], v[1:2], v[42:43]
	v_fma_f64 v[42:43], v[44:45], v[46:47], s[70:71]
	v_add_f64 v[46:47], v[56:57], v[50:51]
	v_add_f64 v[52:53], v[48:49], v[1:2]
	v_fma_f64 v[42:43], v[44:45], v[42:43], s[72:73]
	v_add_f64 v[56:57], v[46:47], -v[56:57]
	v_add_f64 v[54:55], v[46:47], v[52:53]
	v_add_f64 v[48:49], v[52:53], -v[48:49]
	v_fma_f64 v[42:43], v[44:45], v[42:43], s[74:75]
	v_add_f64 v[50:51], v[50:51], -v[56:57]
	v_add_f64 v[58:59], v[54:55], -v[46:47]
	;; [unrolled: 1-line block ×3, first 2 shown]
	v_fma_f64 v[42:43], v[44:45], v[42:43], s[76:77]
	v_add_f64 v[60:61], v[54:55], -v[58:59]
	v_add_f64 v[48:49], v[52:53], -v[58:59]
	v_fma_f64 v[42:43], v[44:45], v[42:43], s[78:79]
	v_add_f64 v[52:53], v[50:51], v[1:2]
	v_add_f64 v[46:47], v[46:47], -v[60:61]
	v_fma_f64 v[42:43], v[44:45], v[42:43], s[80:81]
	v_add_f64 v[46:47], v[48:49], v[46:47]
	;; [unrolled: 3-line block ×3, first 2 shown]
	v_add_f64 v[52:53], v[52:53], -v[48:49]
	v_fma_f64 v[42:43], v[44:45], v[42:43], s[84:85]
	v_add_f64 v[1:2], v[1:2], -v[48:49]
	v_add_f64 v[56:57], v[54:55], v[46:47]
	v_mul_f64 v[42:43], v[44:45], v[42:43]
	v_add_f64 v[44:45], v[50:51], -v[52:53]
	v_add_f64 v[48:49], v[56:57], -v[54:55]
	v_fma_f64 v[40:41], v[40:41], v[42:43], v[40:41]
	v_add_f64 v[1:2], v[1:2], v[44:45]
	v_add_f64 v[42:43], v[46:47], -v[48:49]
	v_add_f64 v[44:45], -v[40:41], s[18:19]
	v_add_f64 v[1:2], v[1:2], v[42:43]
	v_cndmask_b32_e64 v41, v41, v45, s[10:11]
	v_cndmask_b32_e64 v40, v40, v44, s[10:11]
	v_add_f64 v[42:43], -v[40:41], s[86:87]
	v_cmp_gt_i32_e64 s[10:11], 0, v14
	v_cndmask_b32_e64 v11, v66, v67, s[10:11]
	v_cndmask_b32_e64 v18, v68, v69, s[10:11]
	v_add_f64 v[1:2], v[56:57], v[1:2]
	v_cndmask_b32_e64 v40, v40, v42, s[10:11]
	v_cndmask_b32_e32 v2, v2, v39, vcc
	v_cndmask_b32_e32 v1, v1, v38, vcc
	v_add_f64 v[13:14], v[1:2], 1.0
	v_cndmask_b32_e64 v2, v41, v43, s[10:11]
	v_cmp_ngt_f64_e64 s[10:11], 0, v[38:39]
	v_bfi_b32 v1, s64, v18, v16
	v_cndmask_b32_e64 v2, v2, v3, s[12:13]
	s_and_b64 vcc, s[16:17], s[24:25]
	v_cndmask_b32_e32 v2, v2, v1, vcc
	v_cndmask_b32_e64 v18, v40, v37, s[12:13]
	v_cndmask_b32_e64 v1, v64, v14, s[10:11]
	v_cmp_nge_f64_e64 s[10:11], 0, v[38:39]
	v_cndmask_b32_e64 v37, 0, v13, s[10:11]
	v_cmp_neq_f64_e64 s[10:11], 0, v[38:39]
	v_cndmask_b32_e64 v38, v65, v1, s[10:11]
	v_cndmask_b32_e32 v1, v18, v11, vcc
.LBB197_107:                            ;   in Loop: Header=BB197_4 Depth=1
	s_or_b64 exec, exec, s[14:15]
.LBB197_108:                            ;   in Loop: Header=BB197_4 Depth=1
	s_andn2_saveexec_b64 s[4:5], s[4:5]
	s_cbranch_execz .LBB197_114
; %bb.109:                              ;   in Loop: Header=BB197_4 Depth=1
	v_cmp_nlt_f64_e64 s[10:11], |v[13:14]|, s[28:29]
	v_cmp_nlt_f64_e64 s[12:13], |v[15:16]|, s[28:29]
                                        ; implicit-def: $vgpr38_vgpr39
	s_or_b64 s[10:11], s[12:13], s[10:11]
	s_and_saveexec_b64 s[12:13], s[10:11]
	s_xor_b64 s[10:11], exec, s[12:13]
	s_cbranch_execz .LBB197_111
; %bb.110:                              ;   in Loop: Header=BB197_4 Depth=1
	v_mul_f64 v[1:2], v[13:14], v[13:14]
	v_fma_f64 v[38:39], v[15:16], v[15:16], v[1:2]
.LBB197_111:                            ;   in Loop: Header=BB197_4 Depth=1
	s_andn2_saveexec_b64 s[10:11], s[10:11]
	s_cbranch_execz .LBB197_113
; %bb.112:                              ;   in Loop: Header=BB197_4 Depth=1
	v_mul_f64 v[1:2], v[13:14], 4.0
	v_mul_f64 v[13:14], v[15:16], 4.0
	v_mul_f64 v[1:2], v[1:2], v[1:2]
	v_fma_f64 v[1:2], v[13:14], v[13:14], v[1:2]
	v_ldexp_f64 v[38:39], v[1:2], -4
.LBB197_113:                            ;   in Loop: Header=BB197_4 Depth=1
	s_or_b64 exec, exec, s[10:11]
	v_frexp_mant_f64_e32 v[1:2], v[38:39]
	s_mov_b32 s31, s27
	v_cmp_gt_f64_e32 vcc, s[26:27], v[1:2]
	v_cndmask_b32_e64 v3, 0, 1, vcc
	v_ldexp_f64 v[1:2], v[1:2], v3
	v_frexp_exp_i32_f64_e32 v3, v[38:39]
	v_add_f64 v[13:14], v[1:2], 1.0
	v_add_f64 v[44:45], v[1:2], -1.0
	v_subbrev_co_u32_e32 v3, vcc, 0, v3, vcc
	v_cmp_class_f64_e64 vcc, v[38:39], s65
	v_rcp_f64_e32 v[40:41], v[13:14]
	v_add_f64 v[46:47], v[13:14], -1.0
	v_add_f64 v[1:2], v[1:2], -v[46:47]
	v_fma_f64 v[42:43], -v[13:14], v[40:41], 1.0
	v_fma_f64 v[40:41], v[42:43], v[40:41], v[40:41]
	v_fma_f64 v[42:43], -v[13:14], v[40:41], 1.0
	v_fma_f64 v[40:41], v[42:43], v[40:41], v[40:41]
	v_mul_f64 v[42:43], v[44:45], v[40:41]
	v_mul_f64 v[48:49], v[13:14], v[42:43]
	v_fma_f64 v[13:14], v[42:43], v[13:14], -v[48:49]
	v_fma_f64 v[1:2], v[42:43], v[1:2], v[13:14]
	v_add_f64 v[13:14], v[48:49], v[1:2]
	v_add_f64 v[46:47], v[44:45], -v[13:14]
	v_add_f64 v[48:49], v[13:14], -v[48:49]
	;; [unrolled: 1-line block ×5, first 2 shown]
	v_add_f64 v[1:2], v[1:2], v[13:14]
	v_add_f64 v[1:2], v[46:47], v[1:2]
	v_mul_f64 v[1:2], v[40:41], v[1:2]
	v_add_f64 v[13:14], v[42:43], v[1:2]
	v_mul_f64 v[40:41], v[13:14], v[13:14]
	v_fma_f64 v[44:45], v[40:41], s[34:35], v[19:20]
	v_mul_f64 v[46:47], v[13:14], v[40:41]
	v_fma_f64 v[44:45], v[40:41], v[44:45], s[36:37]
	v_fma_f64 v[44:45], v[40:41], v[44:45], s[38:39]
	v_fma_f64 v[44:45], v[40:41], v[44:45], s[40:41]
	v_fma_f64 v[44:45], v[40:41], v[44:45], s[42:43]
	v_fma_f64 v[40:41], v[40:41], v[44:45], s[30:31]
	v_ldexp_f64 v[44:45], v[13:14], 1
	v_add_f64 v[13:14], v[13:14], -v[42:43]
	v_mul_f64 v[40:41], v[46:47], v[40:41]
	v_cvt_f64_i32_e32 v[46:47], v3
	v_add_f64 v[1:2], v[1:2], -v[13:14]
	v_mul_f64 v[48:49], v[46:47], s[44:45]
	v_add_f64 v[42:43], v[44:45], v[40:41]
	v_ldexp_f64 v[1:2], v[1:2], 1
	v_add_f64 v[13:14], v[42:43], -v[44:45]
	v_fma_f64 v[44:45], v[46:47], s[44:45], -v[48:49]
	v_add_f64 v[13:14], v[40:41], -v[13:14]
	v_fma_f64 v[40:41], v[46:47], s[46:47], v[44:45]
	v_add_f64 v[1:2], v[1:2], v[13:14]
	v_add_f64 v[13:14], v[48:49], v[40:41]
	;; [unrolled: 1-line block ×3, first 2 shown]
	v_add_f64 v[48:49], v[13:14], -v[48:49]
	v_add_f64 v[46:47], v[13:14], v[44:45]
	v_add_f64 v[42:43], v[44:45], -v[42:43]
	v_add_f64 v[40:41], v[40:41], -v[48:49]
	v_add_f64 v[50:51], v[46:47], -v[13:14]
	v_add_f64 v[1:2], v[1:2], -v[42:43]
	v_add_f64 v[52:53], v[46:47], -v[50:51]
	v_add_f64 v[42:43], v[44:45], -v[50:51]
	v_add_f64 v[44:45], v[40:41], v[1:2]
	v_add_f64 v[13:14], v[13:14], -v[52:53]
	v_add_f64 v[13:14], v[42:43], v[13:14]
	v_add_f64 v[42:43], v[44:45], -v[40:41]
	v_add_f64 v[13:14], v[44:45], v[13:14]
	v_add_f64 v[44:45], v[44:45], -v[42:43]
	v_add_f64 v[1:2], v[1:2], -v[42:43]
	v_add_f64 v[48:49], v[46:47], v[13:14]
	v_add_f64 v[40:41], v[40:41], -v[44:45]
	v_add_f64 v[42:43], v[48:49], -v[46:47]
	v_add_f64 v[1:2], v[1:2], v[40:41]
	v_add_f64 v[13:14], v[13:14], -v[42:43]
	v_add_f64 v[1:2], v[1:2], v[13:14]
	v_add_f64 v[13:14], v[48:49], v[1:2]
	v_mov_b32_e32 v1, 0
	v_mov_b32_e32 v2, 0x7ff80000
	v_cndmask_b32_e32 v3, v13, v38, vcc
	v_cndmask_b32_e32 v11, v14, v39, vcc
	v_cmp_ngt_f64_e32 vcc, 0, v[38:39]
	v_cndmask_b32_e32 v11, v64, v11, vcc
	v_cmp_nge_f64_e32 vcc, 0, v[38:39]
	v_cndmask_b32_e32 v37, 0, v3, vcc
	v_cmp_neq_f64_e32 vcc, 0, v[38:39]
	v_cndmask_b32_e32 v38, v65, v11, vcc
.LBB197_114:                            ;   in Loop: Header=BB197_4 Depth=1
	s_or_b64 exec, exec, s[4:5]
	v_cmp_o_f64_e32 vcc, v[5:6], v[7:8]
                                        ; implicit-def: $vgpr41_vgpr42
                                        ; implicit-def: $vgpr39_vgpr40
	s_and_saveexec_b64 s[4:5], vcc
	s_xor_b64 s[4:5], exec, s[4:5]
	s_cbranch_execnz .LBB197_120
; %bb.115:                              ;   in Loop: Header=BB197_4 Depth=1
	s_andn2_saveexec_b64 s[4:5], s[4:5]
	s_cbranch_execnz .LBB197_147
.LBB197_116:                            ;   in Loop: Header=BB197_4 Depth=1
	s_or_b64 exec, exec, s[4:5]
	s_and_saveexec_b64 s[4:5], s[0:1]
	s_xor_b64 s[0:1], exec, s[4:5]
	s_cbranch_execnz .LBB197_152
.LBB197_117:                            ;   in Loop: Header=BB197_4 Depth=1
	s_or_b64 exec, exec, s[0:1]
	s_and_saveexec_b64 s[0:1], s[2:3]
	s_cbranch_execnz .LBB197_153
.LBB197_118:                            ;   in Loop: Header=BB197_4 Depth=1
	s_or_b64 exec, exec, s[0:1]
	s_and_saveexec_b64 s[0:1], s[6:7]
	s_cbranch_execnz .LBB197_154
.LBB197_119:                            ;   in Loop: Header=BB197_4 Depth=1
	s_or_b64 exec, exec, s[0:1]
	s_and_saveexec_b64 s[0:1], s[8:9]
	s_cbranch_execz .LBB197_3
	s_branch .LBB197_155
.LBB197_120:                            ;   in Loop: Header=BB197_4 Depth=1
	v_cmp_lt_f64_e64 s[10:11], |v[5:6]|, |v[7:8]|
	v_and_b32_e32 v3, 0x7fffffff, v6
	v_and_b32_e32 v11, 0x7fffffff, v8
	s_mov_b32 s12, 0x85ebc8a0
	s_mov_b32 s13, 0x7fd1ccf3
	v_mov_b32_e32 v13, v7
                                        ; implicit-def: $vgpr41_vgpr42
                                        ; implicit-def: $vgpr39_vgpr40
	v_cndmask_b32_e64 v44, v11, v3, s[10:11]
	v_cndmask_b32_e64 v43, v7, v5, s[10:11]
	v_cmp_nlt_f64_e32 vcc, s[12:13], v[43:44]
	s_and_saveexec_b64 s[12:13], vcc
	s_xor_b64 s[24:25], exec, s[12:13]
	s_cbranch_execz .LBB197_144
; %bb.121:                              ;   in Loop: Header=BB197_4 Depth=1
	v_cndmask_b32_e64 v46, v3, v11, s[10:11]
	v_cndmask_b32_e64 v45, v5, v13, s[10:11]
	v_cmp_neq_f64_e32 vcc, 1.0, v[45:46]
                                        ; implicit-def: $vgpr41_vgpr42
                                        ; implicit-def: $vgpr39_vgpr40
	s_and_saveexec_b64 s[12:13], vcc
	s_xor_b64 s[48:49], exec, s[12:13]
	s_cbranch_execz .LBB197_137
; %bb.122:                              ;   in Loop: Header=BB197_4 Depth=1
	v_max_f64 v[13:14], v[43:44], v[43:44]
	v_max_f64 v[39:40], v[45:46], v[45:46]
	s_mov_b32 s12, 0x4ad4b81f
	s_mov_b32 s13, 0x358dee7a
	v_min_f64 v[41:42], v[39:40], v[13:14]
	v_max_f64 v[13:14], v[39:40], v[13:14]
                                        ; implicit-def: $vgpr39_vgpr40
	v_cmp_ngt_f64_e32 vcc, s[12:13], v[41:42]
	s_mov_b32 s12, 0xc57e649a
	s_mov_b32 s13, 0x4a511b0e
	v_cmp_nlt_f64_e64 s[12:13], s[12:13], v[13:14]
                                        ; implicit-def: $vgpr41_vgpr42
	s_and_b64 s[12:13], s[12:13], vcc
	s_and_saveexec_b64 s[14:15], s[12:13]
	s_xor_b64 s[50:51], exec, s[14:15]
	s_cbranch_execz .LBB197_134
; %bb.123:                              ;   in Loop: Header=BB197_4 Depth=1
	v_cmp_le_f64_e32 vcc, 1.0, v[45:46]
                                        ; implicit-def: $vgpr41_vgpr42
                                        ; implicit-def: $vgpr39_vgpr40
	s_and_saveexec_b64 s[12:13], vcc
	s_xor_b64 s[52:53], exec, s[12:13]
	s_cbranch_execz .LBB197_125
; %bb.124:                              ;   in Loop: Header=BB197_4 Depth=1
	v_add_f64 v[13:14], v[45:46], -1.0
	v_add_f64 v[39:40], v[45:46], 1.0
	s_mov_b32 s31, s27
	s_mov_b32 s86, s18
	;; [unrolled: 1-line block ×4, first 2 shown]
	v_cmp_class_f64_e64 s[54:55], v[7:8], s65
	v_mul_f64 v[13:14], v[13:14], v[39:40]
	v_fma_f64 v[13:14], v[43:44], v[43:44], v[13:14]
	v_add_f64 v[39:40], v[13:14], 1.0
	v_cmp_nge_f64_e64 s[14:15], -1.0, v[13:14]
	v_cmp_neq_f64_e64 s[16:17], s[16:17], v[13:14]
	v_frexp_mant_f64_e32 v[43:44], v[39:40]
	v_frexp_exp_i32_f64_e32 v3, v[39:40]
	v_add_f64 v[41:42], v[39:40], -1.0
	v_cmp_gt_f64_e32 vcc, s[26:27], v[43:44]
	v_add_f64 v[45:46], v[41:42], -v[39:40]
	v_add_f64 v[41:42], v[13:14], -v[41:42]
	v_subbrev_co_u32_e32 v3, vcc, 0, v3, vcc
	v_sub_u32_e32 v11, 0, v3
	v_ldexp_f64 v[39:40], v[39:40], v11
	v_add_f64 v[43:44], v[45:46], 1.0
	v_add_f64 v[45:46], v[39:40], 1.0
	v_add_f64 v[41:42], v[41:42], v[43:44]
	v_add_f64 v[51:52], v[39:40], -1.0
	v_add_f64 v[43:44], v[45:46], -1.0
	v_ldexp_f64 v[41:42], v[41:42], v11
	v_add_f64 v[53:54], v[51:52], 1.0
	v_add_f64 v[43:44], v[39:40], -v[43:44]
	v_add_f64 v[39:40], v[39:40], -v[53:54]
	v_add_f64 v[43:44], v[41:42], v[43:44]
	v_add_f64 v[39:40], v[41:42], v[39:40]
	v_add_f64 v[47:48], v[45:46], v[43:44]
	v_add_f64 v[53:54], v[51:52], v[39:40]
	v_rcp_f64_e32 v[49:50], v[47:48]
	v_add_f64 v[45:46], v[47:48], -v[45:46]
	v_add_f64 v[51:52], v[53:54], -v[51:52]
	;; [unrolled: 1-line block ×4, first 2 shown]
	v_fma_f64 v[55:56], -v[47:48], v[49:50], 1.0
	v_fma_f64 v[49:50], v[55:56], v[49:50], v[49:50]
	v_fma_f64 v[41:42], -v[47:48], v[49:50], 1.0
	v_fma_f64 v[41:42], v[41:42], v[49:50], v[49:50]
	v_mul_f64 v[49:50], v[53:54], v[41:42]
	v_mul_f64 v[55:56], v[47:48], v[49:50]
	v_fma_f64 v[45:46], v[49:50], v[47:48], -v[55:56]
	v_fma_f64 v[45:46], v[49:50], v[43:44], v[45:46]
	v_add_f64 v[57:58], v[55:56], v[45:46]
	v_add_f64 v[59:60], v[53:54], -v[57:58]
	v_add_f64 v[51:52], v[57:58], -v[55:56]
	;; [unrolled: 1-line block ×4, first 2 shown]
	v_max_f64 v[51:52], |v[5:6]|, |v[5:6]|
	v_add_f64 v[53:54], v[53:54], -v[57:58]
	v_add_f64 v[39:40], v[39:40], v[53:54]
	v_add_f64 v[39:40], v[45:46], v[39:40]
	v_max_f64 v[45:46], |v[7:8]|, |v[7:8]|
	v_add_f64 v[53:54], v[59:60], v[39:40]
	v_max_f64 v[55:56], v[51:52], v[45:46]
	v_min_f64 v[45:46], v[51:52], v[45:46]
	v_mul_f64 v[51:52], v[41:42], v[53:54]
	v_add_f64 v[59:60], v[59:60], -v[53:54]
	v_div_scale_f64 v[57:58], s[12:13], v[55:56], v[55:56], v[45:46]
	s_mov_b32 s12, 0xaf56de9b
	s_mov_b32 s13, 0xbf67952d
	v_mul_f64 v[61:62], v[47:48], v[51:52]
	v_add_f64 v[39:40], v[39:40], v[59:60]
	v_fma_f64 v[47:48], v[51:52], v[47:48], -v[61:62]
	v_rcp_f64_e32 v[70:71], v[57:58]
	v_fma_f64 v[43:44], v[51:52], v[43:44], v[47:48]
	v_add_f64 v[47:48], v[61:62], v[43:44]
	v_fma_f64 v[72:73], -v[57:58], v[70:71], 1.0
	v_add_f64 v[74:75], v[53:54], -v[47:48]
	v_add_f64 v[59:60], v[47:48], -v[61:62]
	v_fma_f64 v[70:71], v[70:71], v[72:73], v[70:71]
	v_div_scale_f64 v[72:73], vcc, v[45:46], v[55:56], v[45:46]
	v_add_f64 v[53:54], v[53:54], -v[74:75]
	v_add_f64 v[43:44], v[59:60], -v[43:44]
	v_fma_f64 v[76:77], -v[57:58], v[70:71], 1.0
	v_add_f64 v[59:60], v[49:50], v[51:52]
	v_add_f64 v[47:48], v[53:54], -v[47:48]
	v_fma_f64 v[53:54], v[70:71], v[76:77], v[70:71]
	v_add_f64 v[49:50], v[59:60], -v[49:50]
	v_add_f64 v[39:40], v[39:40], v[47:48]
	v_mul_f64 v[47:48], v[72:73], v[53:54]
	v_add_f64 v[39:40], v[43:44], v[39:40]
	v_fma_f64 v[43:44], -v[57:58], v[47:48], v[72:73]
	v_add_f64 v[39:40], v[74:75], v[39:40]
	v_div_fmas_f64 v[43:44], v[43:44], v[53:54], v[47:48]
	v_add_f64 v[47:48], v[51:52], -v[49:50]
	v_cmp_gt_i32_e32 vcc, 0, v6
	v_cndmask_b32_e32 v15, v68, v69, vcc
	v_cndmask_b32_e32 v11, v66, v67, vcc
	v_bfi_b32 v15, s64, v15, v8
	v_mul_f64 v[39:40], v[41:42], v[39:40]
	v_add_f64 v[39:40], v[47:48], v[39:40]
	v_div_fixup_f64 v[41:42], v[43:44], v[55:56], v[45:46]
	v_cvt_f64_i32_e32 v[55:56], v3
	v_ashrrev_i32_e32 v3, 31, v6
	v_and_b32_e32 v18, 0x54442d18, v3
	v_and_b32_e32 v3, 0x400921fb, v3
	v_mul_f64 v[57:58], v[55:56], s[44:45]
	v_add_f64 v[43:44], v[59:60], v[39:40]
	v_mul_f64 v[45:46], v[41:42], v[41:42]
	v_mul_f64 v[47:48], v[43:44], v[43:44]
	v_fma_f64 v[49:50], v[45:46], s[58:59], v[21:22]
	v_fma_f64 v[51:52], v[47:48], s[34:35], v[19:20]
	v_mul_f64 v[53:54], v[43:44], v[47:48]
	v_fma_f64 v[49:50], v[45:46], v[49:50], s[56:57]
	v_cmp_class_f64_e64 s[56:57], v[5:6], s65
	v_fma_f64 v[51:52], v[47:48], v[51:52], s[36:37]
	v_fma_f64 v[49:50], v[45:46], v[49:50], s[12:13]
	s_mov_b32 s12, 0xa595c56f
	s_mov_b32 s13, 0x3f7d6d43
	v_fma_f64 v[51:52], v[47:48], v[51:52], s[38:39]
	v_fma_f64 v[49:50], v[45:46], v[49:50], s[12:13]
	s_mov_b32 s12, 0xa57d9582
	s_mov_b32 s13, 0xbf8c6ea4
	;; [unrolled: 4-line block ×4, first 2 shown]
	v_fma_f64 v[47:48], v[47:48], v[51:52], s[30:31]
	v_ldexp_f64 v[51:52], v[43:44], 1
	v_fma_f64 v[49:50], v[45:46], v[49:50], s[12:13]
	s_mov_b32 s12, 0x5711927a
	s_mov_b32 s13, 0x3fa2c15b
	v_add_f64 v[43:44], v[43:44], -v[59:60]
	v_mul_f64 v[47:48], v[53:54], v[47:48]
	v_fma_f64 v[49:50], v[45:46], v[49:50], s[12:13]
	s_mov_b32 s12, 0xe82d3ff0
	s_mov_b32 s13, 0xbfa59976
	v_add_f64 v[39:40], v[39:40], -v[43:44]
	v_add_f64 v[53:54], v[51:52], v[47:48]
	v_fma_f64 v[49:50], v[45:46], v[49:50], s[12:13]
	v_cmp_eq_f64_e64 s[12:13], 0, v[7:8]
	v_ldexp_f64 v[39:40], v[39:40], 1
	v_add_f64 v[43:44], v[53:54], -v[51:52]
	v_fma_f64 v[51:52], v[55:56], s[44:45], -v[57:58]
	v_fma_f64 v[49:50], v[45:46], v[49:50], s[66:67]
	v_add_f64 v[43:44], v[47:48], -v[43:44]
	v_fma_f64 v[47:48], v[45:46], v[49:50], s[68:69]
	v_fma_f64 v[49:50], v[55:56], s[46:47], v[51:52]
	v_add_f64 v[39:40], v[39:40], v[43:44]
	v_fma_f64 v[43:44], v[45:46], v[47:48], s[70:71]
	v_add_f64 v[47:48], v[57:58], v[49:50]
	v_add_f64 v[51:52], v[53:54], v[39:40]
	v_fma_f64 v[43:44], v[45:46], v[43:44], s[72:73]
	v_add_f64 v[57:58], v[47:48], -v[57:58]
	v_add_f64 v[55:56], v[47:48], v[51:52]
	v_add_f64 v[53:54], v[51:52], -v[53:54]
	v_fma_f64 v[43:44], v[45:46], v[43:44], s[74:75]
	v_add_f64 v[49:50], v[49:50], -v[57:58]
	v_add_f64 v[59:60], v[55:56], -v[47:48]
	;; [unrolled: 1-line block ×3, first 2 shown]
	v_fma_f64 v[43:44], v[45:46], v[43:44], s[76:77]
	v_add_f64 v[61:62], v[55:56], -v[59:60]
	v_add_f64 v[51:52], v[51:52], -v[59:60]
	v_fma_f64 v[43:44], v[45:46], v[43:44], s[78:79]
	v_add_f64 v[53:54], v[49:50], v[39:40]
	v_add_f64 v[47:48], v[47:48], -v[61:62]
	v_fma_f64 v[43:44], v[45:46], v[43:44], s[80:81]
	v_add_f64 v[47:48], v[51:52], v[47:48]
	;; [unrolled: 3-line block ×3, first 2 shown]
	v_add_f64 v[53:54], v[53:54], -v[51:52]
	v_fma_f64 v[43:44], v[45:46], v[43:44], s[84:85]
	v_add_f64 v[39:40], v[39:40], -v[51:52]
	v_add_f64 v[57:58], v[55:56], v[47:48]
	v_mul_f64 v[43:44], v[45:46], v[43:44]
	v_add_f64 v[45:46], v[49:50], -v[53:54]
	v_add_f64 v[49:50], v[57:58], -v[55:56]
	v_fma_f64 v[41:42], v[41:42], v[43:44], v[41:42]
	v_add_f64 v[39:40], v[39:40], v[45:46]
	v_add_f64 v[43:44], v[47:48], -v[49:50]
	v_add_f64 v[45:46], -v[41:42], s[18:19]
	v_add_f64 v[39:40], v[39:40], v[43:44]
	v_cndmask_b32_e64 v42, v42, v46, s[10:11]
	v_cndmask_b32_e64 v41, v41, v45, s[10:11]
	v_add_f64 v[43:44], -v[41:42], s[86:87]
                                        ; implicit-def: $vgpr45_vgpr46
	v_add_f64 v[39:40], v[57:58], v[39:40]
	v_cndmask_b32_e32 v41, v41, v43, vcc
	v_cndmask_b32_e64 v18, v41, v18, s[12:13]
	v_mul_f64 v[5:6], v[39:40], 0.5
	v_cndmask_b32_e32 v39, v42, v44, vcc
	v_cndmask_b32_e64 v3, v39, v3, s[12:13]
	s_and_b64 s[12:13], s[14:15], s[16:17]
	s_and_b64 vcc, s[54:55], s[56:57]
	v_cndmask_b32_e32 v40, v3, v15, vcc
	s_mov_b32 s56, 0x69efb384
	s_mov_b32 s57, 0x3f4b2bb0
	v_cndmask_b32_e64 v41, 0, v5, s[12:13]
	v_cmp_ngt_f64_e64 s[12:13], -1.0, v[13:14]
	v_cndmask_b32_e64 v3, v63, v6, s[16:17]
	v_cndmask_b32_e32 v39, v18, v11, vcc
                                        ; implicit-def: $vgpr43_vgpr44
	v_cndmask_b32_e64 v3, v64, v3, s[12:13]
	v_cmp_neq_f64_e64 s[12:13], -1.0, v[13:14]
	v_cndmask_b32_e64 v42, v65, v3, s[12:13]
.LBB197_125:                            ;   in Loop: Header=BB197_4 Depth=1
	s_andn2_saveexec_b64 s[52:53], s[52:53]
	s_cbranch_execz .LBB197_133
; %bb.126:                              ;   in Loop: Header=BB197_4 Depth=1
	v_mul_f64 v[13:14], v[43:44], v[43:44]
	s_mov_b32 s12, 0x66666666
	s_mov_b32 s13, 0x3fe66666
                                        ; implicit-def: $vgpr41_vgpr42
                                        ; implicit-def: $vgpr39_vgpr40
	v_fma_f64 v[13:14], v[45:46], v[45:46], v[13:14]
	v_cmp_ge_f64_e32 vcc, s[12:13], v[13:14]
	s_and_saveexec_b64 s[12:13], vcc
	s_xor_b64 s[16:17], exec, s[12:13]
	s_cbranch_execz .LBB197_128
; %bb.127:                              ;   in Loop: Header=BB197_4 Depth=1
	v_frexp_mant_f64_e32 v[39:40], v[13:14]
	v_max_f64 v[47:48], |v[7:8]|, |v[7:8]|
	v_max_f64 v[49:50], |v[5:6]|, |v[5:6]|
	s_mov_b32 s31, s27
	s_mov_b32 s86, s18
	v_cmp_class_f64_e64 s[54:55], v[7:8], s65
	v_cmp_gt_f64_e64 s[12:13], s[26:27], v[39:40]
	v_cndmask_b32_e64 v3, 0, 1, s[12:13]
	v_ldexp_f64 v[39:40], v[39:40], v3
	v_frexp_exp_i32_f64_e32 v3, v[13:14]
	v_add_f64 v[41:42], v[39:40], 1.0
	v_add_f64 v[53:54], v[39:40], -1.0
	v_rcp_f64_e32 v[43:44], v[41:42]
	v_add_f64 v[57:58], v[41:42], -1.0
	v_add_f64 v[39:40], v[39:40], -v[57:58]
	v_fma_f64 v[45:46], -v[41:42], v[43:44], 1.0
	v_fma_f64 v[43:44], v[45:46], v[43:44], v[43:44]
	v_max_f64 v[45:46], v[49:50], v[47:48]
	v_min_f64 v[47:48], v[49:50], v[47:48]
	v_fma_f64 v[49:50], -v[41:42], v[43:44], 1.0
	v_div_scale_f64 v[51:52], s[14:15], v[45:46], v[45:46], v[47:48]
	s_mov_b32 s14, 0xaf56de9b
	s_mov_b32 s15, 0xbf67952d
	v_fma_f64 v[43:44], v[49:50], v[43:44], v[43:44]
	v_mul_f64 v[49:50], v[53:54], v[43:44]
	v_rcp_f64_e32 v[55:56], v[51:52]
	v_mul_f64 v[59:60], v[41:42], v[49:50]
	v_fma_f64 v[41:42], v[49:50], v[41:42], -v[59:60]
	v_fma_f64 v[57:58], -v[51:52], v[55:56], 1.0
	v_fma_f64 v[39:40], v[49:50], v[39:40], v[41:42]
	v_fma_f64 v[41:42], v[55:56], v[57:58], v[55:56]
	v_div_scale_f64 v[57:58], vcc, v[47:48], v[45:46], v[47:48]
	v_add_f64 v[55:56], v[59:60], v[39:40]
	v_fma_f64 v[61:62], -v[51:52], v[41:42], 1.0
	v_add_f64 v[70:71], v[53:54], -v[55:56]
	v_add_f64 v[59:60], v[55:56], -v[59:60]
	v_fma_f64 v[41:42], v[41:42], v[61:62], v[41:42]
	v_add_f64 v[53:54], v[53:54], -v[70:71]
	v_add_f64 v[39:40], v[59:60], -v[39:40]
	v_mul_f64 v[61:62], v[57:58], v[41:42]
	v_add_f64 v[53:54], v[53:54], -v[55:56]
	v_fma_f64 v[51:52], -v[51:52], v[61:62], v[57:58]
	v_add_f64 v[39:40], v[39:40], v[53:54]
	v_div_fmas_f64 v[41:42], v[51:52], v[41:42], v[61:62]
	v_subbrev_co_u32_e64 v3, vcc, 0, v3, s[12:13]
	s_mov_b32 s12, 0xe82d3ff0
	s_mov_b32 s13, 0xbfa59976
	v_cmp_gt_i32_e32 vcc, 0, v6
	v_add_f64 v[39:40], v[70:71], v[39:40]
	v_cndmask_b32_e32 v11, v66, v67, vcc
	v_mul_f64 v[39:40], v[43:44], v[39:40]
	v_div_fixup_f64 v[41:42], v[41:42], v[45:46], v[47:48]
	v_add_f64 v[43:44], v[49:50], v[39:40]
	v_mul_f64 v[45:46], v[41:42], v[41:42]
	v_mul_f64 v[47:48], v[43:44], v[43:44]
	v_fma_f64 v[51:52], v[45:46], s[58:59], v[21:22]
	v_fma_f64 v[53:54], v[47:48], s[34:35], v[19:20]
	v_mul_f64 v[55:56], v[43:44], v[47:48]
	v_fma_f64 v[51:52], v[45:46], v[51:52], s[56:57]
	v_cmp_class_f64_e64 s[56:57], v[5:6], s65
	v_fma_f64 v[53:54], v[47:48], v[53:54], s[36:37]
	v_fma_f64 v[51:52], v[45:46], v[51:52], s[14:15]
	s_mov_b32 s14, 0xa595c56f
	s_mov_b32 s15, 0x3f7d6d43
	v_fma_f64 v[53:54], v[47:48], v[53:54], s[38:39]
	v_fma_f64 v[51:52], v[45:46], v[51:52], s[14:15]
	s_mov_b32 s14, 0xa57d9582
	s_mov_b32 s15, 0xbf8c6ea4
	v_fma_f64 v[53:54], v[47:48], v[53:54], s[40:41]
	v_fma_f64 v[51:52], v[45:46], v[51:52], s[14:15]
	s_mov_b32 s14, 0x5f08b19f
	s_mov_b32 s15, 0x3f967e29
	v_fma_f64 v[53:54], v[47:48], v[53:54], s[42:43]
	v_fma_f64 v[51:52], v[45:46], v[51:52], s[14:15]
	s_mov_b32 s14, 0xfc27006a
	s_mov_b32 s15, 0xbf9e9ae6
	v_fma_f64 v[47:48], v[47:48], v[53:54], s[30:31]
	v_ldexp_f64 v[53:54], v[43:44], 1
	v_fma_f64 v[51:52], v[45:46], v[51:52], s[14:15]
	s_mov_b32 s14, 0x5711927a
	s_mov_b32 s15, 0x3fa2c15b
	v_add_f64 v[43:44], v[43:44], -v[49:50]
	v_mul_f64 v[47:48], v[55:56], v[47:48]
	v_cvt_f64_i32_e32 v[55:56], v3
	v_fma_f64 v[51:52], v[45:46], v[51:52], s[14:15]
	v_ashrrev_i32_e32 v3, 31, v6
	v_cmp_neq_f64_e64 s[14:15], 0, v[13:14]
	v_mul_f64 v[57:58], v[55:56], s[44:45]
	v_add_f64 v[39:40], v[39:40], -v[43:44]
	v_and_b32_e32 v15, 0x54442d18, v3
	v_add_f64 v[49:50], v[53:54], v[47:48]
	v_and_b32_e32 v3, 0x400921fb, v3
	v_fma_f64 v[51:52], v[45:46], v[51:52], s[12:13]
	v_cmp_eq_f64_e64 s[12:13], 0, v[7:8]
	v_ldexp_f64 v[39:40], v[39:40], 1
	v_add_f64 v[43:44], v[49:50], -v[53:54]
	v_fma_f64 v[53:54], v[55:56], s[44:45], -v[57:58]
	v_fma_f64 v[51:52], v[45:46], v[51:52], s[66:67]
	v_add_f64 v[43:44], v[47:48], -v[43:44]
	v_fma_f64 v[47:48], v[45:46], v[51:52], s[68:69]
	v_fma_f64 v[51:52], v[55:56], s[46:47], v[53:54]
	v_add_f64 v[39:40], v[39:40], v[43:44]
	v_fma_f64 v[43:44], v[45:46], v[47:48], s[70:71]
	v_add_f64 v[47:48], v[57:58], v[51:52]
	v_add_f64 v[53:54], v[49:50], v[39:40]
	v_fma_f64 v[43:44], v[45:46], v[43:44], s[72:73]
	v_add_f64 v[57:58], v[47:48], -v[57:58]
	v_add_f64 v[55:56], v[47:48], v[53:54]
	v_add_f64 v[49:50], v[53:54], -v[49:50]
	v_fma_f64 v[43:44], v[45:46], v[43:44], s[74:75]
	v_add_f64 v[51:52], v[51:52], -v[57:58]
	v_add_f64 v[59:60], v[55:56], -v[47:48]
	;; [unrolled: 1-line block ×3, first 2 shown]
	v_fma_f64 v[43:44], v[45:46], v[43:44], s[76:77]
	v_add_f64 v[61:62], v[55:56], -v[59:60]
	v_add_f64 v[49:50], v[53:54], -v[59:60]
	v_fma_f64 v[43:44], v[45:46], v[43:44], s[78:79]
	v_add_f64 v[53:54], v[51:52], v[39:40]
	v_add_f64 v[47:48], v[47:48], -v[61:62]
	v_fma_f64 v[43:44], v[45:46], v[43:44], s[80:81]
	v_add_f64 v[47:48], v[49:50], v[47:48]
	;; [unrolled: 3-line block ×3, first 2 shown]
	v_add_f64 v[53:54], v[53:54], -v[49:50]
	v_fma_f64 v[43:44], v[45:46], v[43:44], s[84:85]
	v_add_f64 v[39:40], v[39:40], -v[49:50]
	v_add_f64 v[57:58], v[55:56], v[47:48]
	v_mul_f64 v[43:44], v[45:46], v[43:44]
	v_add_f64 v[45:46], v[51:52], -v[53:54]
	v_add_f64 v[49:50], v[57:58], -v[55:56]
	v_fma_f64 v[41:42], v[41:42], v[43:44], v[41:42]
	v_add_f64 v[39:40], v[39:40], v[45:46]
	v_add_f64 v[43:44], v[47:48], -v[49:50]
	v_add_f64 v[45:46], -v[41:42], s[18:19]
	v_add_f64 v[39:40], v[39:40], v[43:44]
	v_cndmask_b32_e64 v42, v42, v46, s[10:11]
	v_cndmask_b32_e64 v41, v41, v45, s[10:11]
	v_add_f64 v[43:44], -v[41:42], s[86:87]
                                        ; implicit-def: $vgpr45_vgpr46
	v_add_f64 v[39:40], v[57:58], v[39:40]
	v_cndmask_b32_e32 v18, v41, v43, vcc
	v_cndmask_b32_e32 v41, v68, v69, vcc
	v_cndmask_b32_e32 v14, v42, v44, vcc
	v_bfi_b32 v13, s64, v41, v8
	v_mul_f64 v[5:6], v[39:40], 0.5
	v_cndmask_b32_e64 v15, v18, v15, s[12:13]
	v_cndmask_b32_e64 v3, v14, v3, s[12:13]
	s_and_b64 vcc, s[54:55], s[56:57]
	s_mov_b32 s56, 0x69efb384
	s_mov_b32 s57, 0x3f4b2bb0
	v_cndmask_b32_e32 v40, v3, v13, vcc
	v_cndmask_b32_e32 v39, v15, v11, vcc
	v_cndmask_b32_e64 v42, v65, v6, s[14:15]
	v_cndmask_b32_e64 v41, 0, v5, s[14:15]
                                        ; implicit-def: $vgpr43_vgpr44
.LBB197_128:                            ;   in Loop: Header=BB197_4 Depth=1
	s_andn2_saveexec_b64 s[54:55], s[16:17]
	s_cbranch_execz .LBB197_132
; %bb.129:                              ;   in Loop: Header=BB197_4 Depth=1
	v_and_b32_e32 v18, 0x7ffffff8, v46
	v_and_b32_e32 v40, 0x7ffffff8, v44
	v_mov_b32_e32 v39, v17
	v_add_f64 v[13:14], v[45:46], -v[17:18]
	v_add_f64 v[41:42], v[43:44], -v[39:40]
	v_mov_b32_e32 v45, v17
	v_mov_b32_e32 v53, v17
	v_add_f64 v[49:50], v[17:18], v[17:18]
	v_add_f64 v[51:52], v[39:40], v[39:40]
	v_mul_f64 v[39:40], v[39:40], v[39:40]
	s_mov_b64 s[56:57], 0
	v_and_b32_e32 v46, -8, v14
	v_and_b32_e32 v54, -8, v42
	v_add_f64 v[59:60], v[13:14], -v[45:46]
	v_add_f64 v[61:62], v[41:42], -v[53:54]
	v_add_f64 v[70:71], v[45:46], v[45:46]
	v_add_f64 v[72:73], v[53:54], v[53:54]
	v_mul_f64 v[13:14], v[17:18], v[17:18]
	v_mul_f64 v[43:44], v[49:50], v[45:46]
	;; [unrolled: 1-line block ×11, first 2 shown]
.LBB197_130:                            ;   Parent Loop BB197_4 Depth=1
                                        ; =>  This Inner Loop Header: Depth=2
	v_cmp_nlt_f64_e32 vcc, v[13:14], v[39:40]
	v_cndmask_b32_e32 v62, v14, v40, vcc
	v_cndmask_b32_e32 v61, v13, v39, vcc
	v_cmp_nlt_f64_e64 s[12:13], v[61:62], v[43:44]
	v_cndmask_b32_e32 v14, v40, v14, vcc
	v_cndmask_b32_e32 v13, v39, v13, vcc
	v_cndmask_b32_e64 v71, v62, v44, s[12:13]
	v_cndmask_b32_e64 v70, v61, v43, s[12:13]
	v_cmp_nlt_f64_e64 s[14:15], v[70:71], v[41:42]
	v_cndmask_b32_e64 v40, v44, v62, s[12:13]
	v_cndmask_b32_e64 v39, v43, v61, s[12:13]
	s_and_b64 s[58:59], vcc, s[12:13]
	v_cndmask_b32_e64 v73, v71, v42, s[14:15]
	v_cndmask_b32_e64 v72, v70, v41, s[14:15]
	v_cmp_nlt_f64_e64 s[16:17], v[72:73], v[47:48]
	v_cndmask_b32_e64 v44, v42, v71, s[14:15]
	v_cndmask_b32_e64 v43, v41, v70, s[14:15]
	;; [unrolled: 1-line block ×4, first 2 shown]
	v_cmp_nlt_f64_e32 vcc, v[61:62], v[53:54]
	v_cndmask_b32_e64 v42, v48, v73, s[16:17]
	v_cndmask_b32_e64 v41, v47, v72, s[16:17]
	s_and_b64 s[16:17], s[14:15], s[16:17]
	v_cndmask_b32_e32 v71, v62, v54, vcc
	v_cndmask_b32_e32 v70, v61, v53, vcc
	v_cmp_nlt_f64_e64 s[12:13], v[70:71], v[57:58]
	v_cndmask_b32_e32 v48, v54, v62, vcc
	v_cndmask_b32_e32 v47, v53, v61, vcc
	v_cndmask_b32_e64 v62, v71, v58, s[12:13]
	v_cndmask_b32_e64 v61, v70, v57, s[12:13]
	v_cmp_nlt_f64_e64 s[14:15], v[61:62], v[55:56]
	v_cndmask_b32_e64 v54, v58, v71, s[12:13]
	v_cndmask_b32_e64 v53, v57, v70, s[12:13]
	s_and_b64 s[12:13], vcc, s[12:13]
	v_cndmask_b32_e64 v71, v62, v56, s[14:15]
	v_cndmask_b32_e64 v70, v61, v55, s[14:15]
	v_cmp_nlt_f64_e32 vcc, v[70:71], v[51:52]
	v_cndmask_b32_e64 v58, v56, v62, s[14:15]
	v_cndmask_b32_e64 v57, v55, v61, s[14:15]
	s_and_b64 s[14:15], s[12:13], s[14:15]
	v_cndmask_b32_e32 v62, v71, v52, vcc
	v_cndmask_b32_e32 v61, v70, v51, vcc
	v_cmp_nlt_f64_e64 s[12:13], v[61:62], v[49:50]
	v_cndmask_b32_e32 v56, v52, v71, vcc
	v_cndmask_b32_e32 v55, v51, v70, vcc
	s_and_b64 s[14:15], s[14:15], vcc
	v_cndmask_b32_e64 v71, v62, v50, s[12:13]
	v_cndmask_b32_e64 v70, v61, v49, s[12:13]
	v_cmp_nlt_f64_e32 vcc, v[70:71], v[45:46]
	v_cndmask_b32_e64 v52, v50, v62, s[12:13]
	v_cndmask_b32_e64 v51, v49, v61, s[12:13]
	s_and_b64 s[14:15], s[14:15], s[12:13]
	v_cndmask_b32_e32 v73, v71, v46, vcc
	v_cndmask_b32_e32 v72, v70, v45, vcc
	v_cmp_nlt_f64_e64 s[12:13], v[72:73], v[59:60]
	s_and_b64 s[14:15], s[14:15], vcc
	v_cndmask_b32_e32 v50, v46, v71, vcc
	v_cndmask_b32_e32 v49, v45, v70, vcc
	v_cndmask_b32_e64 v62, v73, v60, s[12:13]
	v_cndmask_b32_e64 v61, v72, v59, s[12:13]
	;; [unrolled: 1-line block ×4, first 2 shown]
	s_and_b64 s[12:13], s[14:15], s[12:13]
	s_and_b64 s[12:13], s[12:13], s[16:17]
	;; [unrolled: 1-line block ×3, first 2 shown]
	s_and_b64 s[12:13], exec, s[12:13]
	v_mov_b32_e32 v59, v61
	s_or_b64 s[56:57], s[12:13], s[56:57]
	v_mov_b32_e32 v60, v62
	s_andn2_b64 exec, exec, s[56:57]
	s_cbranch_execnz .LBB197_130
; %bb.131:                              ;   in Loop: Header=BB197_4 Depth=1
	s_or_b64 exec, exec, s[56:57]
	v_add_f64 v[13:14], v[13:14], -1.0
	s_mov_b32 s31, s27
	s_mov_b32 s86, s18
	;; [unrolled: 1-line block ×4, first 2 shown]
	v_cmp_class_f64_e64 s[58:59], v[5:6], s65
	v_cmp_class_f64_e64 s[56:57], v[7:8], s65
	v_add_f64 v[13:14], v[13:14], v[39:40]
	v_add_f64 v[13:14], v[13:14], v[43:44]
	;; [unrolled: 1-line block ×11, first 2 shown]
	v_add_f64 v[39:40], v[13:14], 1.0
	v_cmp_nge_f64_e64 s[14:15], -1.0, v[13:14]
	v_cmp_neq_f64_e64 s[16:17], s[16:17], v[13:14]
	v_frexp_mant_f64_e32 v[43:44], v[39:40]
	v_frexp_exp_i32_f64_e32 v3, v[39:40]
	v_add_f64 v[41:42], v[39:40], -1.0
	v_cmp_gt_f64_e32 vcc, s[26:27], v[43:44]
	v_add_f64 v[45:46], v[41:42], -v[39:40]
	v_add_f64 v[41:42], v[13:14], -v[41:42]
	v_subbrev_co_u32_e32 v3, vcc, 0, v3, vcc
	v_sub_u32_e32 v11, 0, v3
	v_ldexp_f64 v[39:40], v[39:40], v11
	v_add_f64 v[43:44], v[45:46], 1.0
	v_add_f64 v[45:46], v[39:40], 1.0
	v_add_f64 v[41:42], v[41:42], v[43:44]
	v_add_f64 v[51:52], v[39:40], -1.0
	v_add_f64 v[43:44], v[45:46], -1.0
	v_ldexp_f64 v[41:42], v[41:42], v11
	v_add_f64 v[53:54], v[51:52], 1.0
	v_add_f64 v[43:44], v[39:40], -v[43:44]
	v_add_f64 v[39:40], v[39:40], -v[53:54]
	v_add_f64 v[43:44], v[41:42], v[43:44]
	v_add_f64 v[39:40], v[41:42], v[39:40]
	;; [unrolled: 1-line block ×4, first 2 shown]
	v_rcp_f64_e32 v[49:50], v[47:48]
	v_add_f64 v[45:46], v[47:48], -v[45:46]
	v_add_f64 v[51:52], v[53:54], -v[51:52]
	;; [unrolled: 1-line block ×4, first 2 shown]
	v_fma_f64 v[55:56], -v[47:48], v[49:50], 1.0
	v_fma_f64 v[49:50], v[55:56], v[49:50], v[49:50]
	v_fma_f64 v[41:42], -v[47:48], v[49:50], 1.0
	v_fma_f64 v[41:42], v[41:42], v[49:50], v[49:50]
	v_mul_f64 v[49:50], v[53:54], v[41:42]
	v_mul_f64 v[55:56], v[47:48], v[49:50]
	v_fma_f64 v[45:46], v[49:50], v[47:48], -v[55:56]
	v_fma_f64 v[45:46], v[49:50], v[43:44], v[45:46]
	v_add_f64 v[57:58], v[55:56], v[45:46]
	v_add_f64 v[59:60], v[53:54], -v[57:58]
	v_add_f64 v[51:52], v[57:58], -v[55:56]
	;; [unrolled: 1-line block ×4, first 2 shown]
	v_max_f64 v[51:52], |v[5:6]|, |v[5:6]|
	v_add_f64 v[53:54], v[53:54], -v[57:58]
	v_add_f64 v[39:40], v[39:40], v[53:54]
	v_add_f64 v[39:40], v[45:46], v[39:40]
	v_max_f64 v[45:46], |v[7:8]|, |v[7:8]|
	v_add_f64 v[53:54], v[59:60], v[39:40]
	v_max_f64 v[55:56], v[51:52], v[45:46]
	v_min_f64 v[45:46], v[51:52], v[45:46]
	v_mul_f64 v[51:52], v[41:42], v[53:54]
	v_add_f64 v[59:60], v[59:60], -v[53:54]
	v_div_scale_f64 v[57:58], s[12:13], v[55:56], v[55:56], v[45:46]
	s_mov_b32 s12, 0xb5e68a13
	s_mov_b32 s13, 0x3eeba404
	v_mul_f64 v[61:62], v[47:48], v[51:52]
	v_add_f64 v[39:40], v[39:40], v[59:60]
	v_fma_f64 v[47:48], v[51:52], v[47:48], -v[61:62]
	v_rcp_f64_e32 v[70:71], v[57:58]
	v_fma_f64 v[43:44], v[51:52], v[43:44], v[47:48]
	v_add_f64 v[47:48], v[61:62], v[43:44]
	v_fma_f64 v[72:73], -v[57:58], v[70:71], 1.0
	v_add_f64 v[74:75], v[53:54], -v[47:48]
	v_add_f64 v[59:60], v[47:48], -v[61:62]
	v_fma_f64 v[70:71], v[70:71], v[72:73], v[70:71]
	v_div_scale_f64 v[72:73], vcc, v[45:46], v[55:56], v[45:46]
	v_add_f64 v[53:54], v[53:54], -v[74:75]
	v_add_f64 v[43:44], v[59:60], -v[43:44]
	v_fma_f64 v[76:77], -v[57:58], v[70:71], 1.0
	v_add_f64 v[59:60], v[49:50], v[51:52]
	v_add_f64 v[47:48], v[53:54], -v[47:48]
	v_fma_f64 v[53:54], v[70:71], v[76:77], v[70:71]
	v_add_f64 v[49:50], v[59:60], -v[49:50]
	v_add_f64 v[39:40], v[39:40], v[47:48]
	v_mul_f64 v[47:48], v[72:73], v[53:54]
	v_add_f64 v[39:40], v[43:44], v[39:40]
	v_fma_f64 v[43:44], -v[57:58], v[47:48], v[72:73]
	v_add_f64 v[39:40], v[74:75], v[39:40]
	v_div_fmas_f64 v[43:44], v[43:44], v[53:54], v[47:48]
	v_add_f64 v[47:48], v[51:52], -v[49:50]
	v_cmp_gt_i32_e32 vcc, 0, v6
	v_cndmask_b32_e32 v15, v68, v69, vcc
	v_cndmask_b32_e32 v11, v66, v67, vcc
	v_bfi_b32 v15, s64, v15, v8
	v_mul_f64 v[39:40], v[41:42], v[39:40]
	v_add_f64 v[39:40], v[47:48], v[39:40]
	v_div_fixup_f64 v[41:42], v[43:44], v[55:56], v[45:46]
	v_cvt_f64_i32_e32 v[55:56], v3
	v_ashrrev_i32_e32 v3, 31, v6
	v_and_b32_e32 v18, 0x54442d18, v3
	v_and_b32_e32 v3, 0x400921fb, v3
	v_mul_f64 v[57:58], v[55:56], s[44:45]
	v_add_f64 v[43:44], v[59:60], v[39:40]
	v_mul_f64 v[45:46], v[41:42], v[41:42]
	v_mul_f64 v[47:48], v[43:44], v[43:44]
	v_fma_f64 v[49:50], v[45:46], s[12:13], v[21:22]
	s_mov_b32 s12, 0x69efb384
	s_mov_b32 s13, 0x3f4b2bb0
	v_fma_f64 v[51:52], v[47:48], s[34:35], v[19:20]
	v_mul_f64 v[53:54], v[43:44], v[47:48]
	v_fma_f64 v[49:50], v[45:46], v[49:50], s[12:13]
	s_mov_b32 s12, 0xaf56de9b
	s_mov_b32 s13, 0xbf67952d
	v_fma_f64 v[51:52], v[47:48], v[51:52], s[36:37]
	v_fma_f64 v[49:50], v[45:46], v[49:50], s[12:13]
	s_mov_b32 s12, 0xa595c56f
	s_mov_b32 s13, 0x3f7d6d43
	v_fma_f64 v[51:52], v[47:48], v[51:52], s[38:39]
	;; [unrolled: 4-line block ×5, first 2 shown]
	v_ldexp_f64 v[51:52], v[43:44], 1
	v_fma_f64 v[49:50], v[45:46], v[49:50], s[12:13]
	s_mov_b32 s12, 0x5711927a
	s_mov_b32 s13, 0x3fa2c15b
	v_add_f64 v[43:44], v[43:44], -v[59:60]
	v_mul_f64 v[47:48], v[53:54], v[47:48]
	v_fma_f64 v[49:50], v[45:46], v[49:50], s[12:13]
	s_mov_b32 s12, 0xe82d3ff0
	s_mov_b32 s13, 0xbfa59976
	v_add_f64 v[39:40], v[39:40], -v[43:44]
	v_add_f64 v[53:54], v[51:52], v[47:48]
	v_fma_f64 v[49:50], v[45:46], v[49:50], s[12:13]
	v_cmp_eq_f64_e64 s[12:13], 0, v[7:8]
	v_ldexp_f64 v[39:40], v[39:40], 1
	v_add_f64 v[43:44], v[53:54], -v[51:52]
	v_fma_f64 v[51:52], v[55:56], s[44:45], -v[57:58]
	v_fma_f64 v[49:50], v[45:46], v[49:50], s[66:67]
	v_add_f64 v[43:44], v[47:48], -v[43:44]
	v_fma_f64 v[47:48], v[45:46], v[49:50], s[68:69]
	v_fma_f64 v[49:50], v[55:56], s[46:47], v[51:52]
	v_add_f64 v[39:40], v[39:40], v[43:44]
	v_fma_f64 v[43:44], v[45:46], v[47:48], s[70:71]
	v_add_f64 v[47:48], v[57:58], v[49:50]
	v_add_f64 v[51:52], v[53:54], v[39:40]
	v_fma_f64 v[43:44], v[45:46], v[43:44], s[72:73]
	v_add_f64 v[57:58], v[47:48], -v[57:58]
	v_add_f64 v[55:56], v[47:48], v[51:52]
	v_add_f64 v[53:54], v[51:52], -v[53:54]
	v_fma_f64 v[43:44], v[45:46], v[43:44], s[74:75]
	v_add_f64 v[49:50], v[49:50], -v[57:58]
	v_add_f64 v[59:60], v[55:56], -v[47:48]
	;; [unrolled: 1-line block ×3, first 2 shown]
	v_fma_f64 v[43:44], v[45:46], v[43:44], s[76:77]
	v_add_f64 v[61:62], v[55:56], -v[59:60]
	v_add_f64 v[51:52], v[51:52], -v[59:60]
	v_fma_f64 v[43:44], v[45:46], v[43:44], s[78:79]
	v_add_f64 v[53:54], v[49:50], v[39:40]
	v_add_f64 v[47:48], v[47:48], -v[61:62]
	v_fma_f64 v[43:44], v[45:46], v[43:44], s[80:81]
	v_add_f64 v[47:48], v[51:52], v[47:48]
	;; [unrolled: 3-line block ×3, first 2 shown]
	v_add_f64 v[53:54], v[53:54], -v[51:52]
	v_fma_f64 v[43:44], v[45:46], v[43:44], s[84:85]
	v_add_f64 v[39:40], v[39:40], -v[51:52]
	v_add_f64 v[57:58], v[55:56], v[47:48]
	v_mul_f64 v[43:44], v[45:46], v[43:44]
	v_add_f64 v[45:46], v[49:50], -v[53:54]
	v_add_f64 v[49:50], v[57:58], -v[55:56]
	v_fma_f64 v[41:42], v[41:42], v[43:44], v[41:42]
	v_add_f64 v[39:40], v[39:40], v[45:46]
	v_add_f64 v[43:44], v[47:48], -v[49:50]
	v_add_f64 v[45:46], -v[41:42], s[18:19]
	v_add_f64 v[39:40], v[39:40], v[43:44]
	v_cndmask_b32_e64 v42, v42, v46, s[10:11]
	v_cndmask_b32_e64 v41, v41, v45, s[10:11]
	v_add_f64 v[43:44], -v[41:42], s[86:87]
	v_add_f64 v[39:40], v[57:58], v[39:40]
	v_cndmask_b32_e32 v41, v41, v43, vcc
	v_cndmask_b32_e64 v18, v41, v18, s[12:13]
	v_mul_f64 v[5:6], v[39:40], 0.5
	v_cndmask_b32_e32 v39, v42, v44, vcc
	v_cndmask_b32_e64 v3, v39, v3, s[12:13]
	s_and_b64 s[12:13], s[14:15], s[16:17]
	s_and_b64 vcc, s[56:57], s[58:59]
	v_cndmask_b32_e32 v40, v3, v15, vcc
	s_mov_b32 s56, 0x69efb384
	s_mov_b32 s58, 0xb5e68a13
	v_cndmask_b32_e64 v41, 0, v5, s[12:13]
	v_cmp_ngt_f64_e64 s[12:13], -1.0, v[13:14]
	v_cndmask_b32_e64 v3, v63, v6, s[16:17]
	s_mov_b32 s57, 0x3f4b2bb0
	s_mov_b32 s59, 0x3eeba404
	v_cndmask_b32_e32 v39, v18, v11, vcc
	v_cndmask_b32_e64 v3, v64, v3, s[12:13]
	v_cmp_neq_f64_e64 s[12:13], -1.0, v[13:14]
	v_cndmask_b32_e64 v42, v65, v3, s[12:13]
.LBB197_132:                            ;   in Loop: Header=BB197_4 Depth=1
	s_or_b64 exec, exec, s[54:55]
.LBB197_133:                            ;   in Loop: Header=BB197_4 Depth=1
	s_or_b64 exec, exec, s[52:53]
.LBB197_134:                            ;   in Loop: Header=BB197_4 Depth=1
	s_andn2_saveexec_b64 s[16:17], s[50:51]
	s_cbranch_execz .LBB197_136
; %bb.135:                              ;   in Loop: Header=BB197_4 Depth=1
	v_max_f64 v[39:40], |v[7:8]|, |v[7:8]|
	v_max_f64 v[41:42], |v[5:6]|, |v[5:6]|
	v_cmp_class_f64_e64 s[50:51], v[5:6], s65
	v_cmp_class_f64_e64 s[52:53], v[7:8], s65
	s_mov_b32 s31, s27
	s_mov_b32 s86, s18
	v_max_f64 v[43:44], v[41:42], v[39:40]
	v_min_f64 v[39:40], v[41:42], v[39:40]
	v_frexp_exp_i32_f64_e32 v3, v[43:44]
	v_sub_u32_e32 v11, 0, v3
	v_ldexp_f64 v[13:14], |v[7:8]|, v11
	v_ldexp_f64 v[45:46], |v[5:6]|, v11
	v_mul_f64 v[13:14], v[13:14], v[13:14]
	v_fma_f64 v[13:14], v[45:46], v[45:46], v[13:14]
	v_rsq_f64_e32 v[45:46], v[13:14]
	v_cmp_eq_f64_e32 vcc, 0, v[13:14]
	v_mul_f64 v[47:48], v[13:14], v[45:46]
	v_mul_f64 v[45:46], v[45:46], 0.5
	v_fma_f64 v[49:50], -v[45:46], v[47:48], 0.5
	v_fma_f64 v[47:48], v[47:48], v[49:50], v[47:48]
	v_fma_f64 v[45:46], v[45:46], v[49:50], v[45:46]
	v_fma_f64 v[49:50], -v[47:48], v[47:48], v[13:14]
	v_fma_f64 v[45:46], v[49:50], v[45:46], v[47:48]
	v_cndmask_b32_e32 v14, v46, v14, vcc
	v_cndmask_b32_e32 v13, v45, v13, vcc
	v_ldexp_f64 v[13:14], v[13:14], v3
	s_or_b64 vcc, s[52:53], s[50:51]
	v_cndmask_b32_e32 v14, v14, v63, vcc
	v_cndmask_b32_e64 v13, v13, 0, vcc
	v_frexp_mant_f64_e32 v[45:46], v[13:14]
	v_cmp_gt_f64_e64 s[12:13], s[26:27], v[45:46]
	v_cndmask_b32_e64 v3, 0, 1, s[12:13]
	v_ldexp_f64 v[45:46], v[45:46], v3
	v_frexp_exp_i32_f64_e32 v3, v[13:14]
	v_add_f64 v[47:48], v[45:46], 1.0
	v_add_f64 v[53:54], v[45:46], -1.0
	v_rcp_f64_e32 v[49:50], v[47:48]
	v_add_f64 v[57:58], v[47:48], -1.0
	v_add_f64 v[45:46], v[45:46], -v[57:58]
	v_fma_f64 v[51:52], -v[47:48], v[49:50], 1.0
	v_fma_f64 v[41:42], v[51:52], v[49:50], v[49:50]
	v_div_scale_f64 v[49:50], s[14:15], v[43:44], v[43:44], v[39:40]
	s_mov_b32 s14, 0xaf56de9b
	s_mov_b32 s15, 0xbf67952d
	v_fma_f64 v[51:52], -v[47:48], v[41:42], 1.0
	v_fma_f64 v[41:42], v[51:52], v[41:42], v[41:42]
	v_rcp_f64_e32 v[51:52], v[49:50]
	v_mul_f64 v[55:56], v[53:54], v[41:42]
	v_mul_f64 v[59:60], v[47:48], v[55:56]
	v_fma_f64 v[61:62], -v[49:50], v[51:52], 1.0
	v_fma_f64 v[47:48], v[55:56], v[47:48], -v[59:60]
	v_fma_f64 v[51:52], v[51:52], v[61:62], v[51:52]
	v_fma_f64 v[45:46], v[55:56], v[45:46], v[47:48]
	v_div_scale_f64 v[47:48], vcc, v[39:40], v[43:44], v[39:40]
	v_fma_f64 v[57:58], -v[49:50], v[51:52], 1.0
	v_add_f64 v[61:62], v[59:60], v[45:46]
	v_fma_f64 v[51:52], v[51:52], v[57:58], v[51:52]
	v_add_f64 v[57:58], v[53:54], -v[61:62]
	v_add_f64 v[59:60], v[61:62], -v[59:60]
	v_mul_f64 v[70:71], v[47:48], v[51:52]
	v_add_f64 v[53:54], v[53:54], -v[57:58]
	v_add_f64 v[45:46], v[59:60], -v[45:46]
	v_fma_f64 v[47:48], -v[49:50], v[70:71], v[47:48]
	v_add_f64 v[49:50], v[53:54], -v[61:62]
	v_div_fmas_f64 v[47:48], v[47:48], v[51:52], v[70:71]
	v_subbrev_co_u32_e64 v3, vcc, 0, v3, s[12:13]
	v_cmp_eq_f64_e64 s[12:13], 0, v[7:8]
	v_cmp_gt_i32_e32 vcc, 0, v6
	v_add_f64 v[45:46], v[45:46], v[49:50]
	v_cndmask_b32_e32 v11, v66, v67, vcc
	v_add_f64 v[45:46], v[57:58], v[45:46]
	v_div_fixup_f64 v[39:40], v[47:48], v[43:44], v[39:40]
	v_mul_f64 v[41:42], v[41:42], v[45:46]
	v_mul_f64 v[43:44], v[39:40], v[39:40]
	v_add_f64 v[45:46], v[55:56], v[41:42]
	v_fma_f64 v[47:48], v[43:44], s[58:59], v[21:22]
	v_mul_f64 v[49:50], v[45:46], v[45:46]
	v_fma_f64 v[47:48], v[43:44], v[47:48], s[56:57]
	v_fma_f64 v[51:52], v[49:50], s[34:35], v[19:20]
	v_mul_f64 v[53:54], v[45:46], v[49:50]
	v_fma_f64 v[47:48], v[43:44], v[47:48], s[14:15]
	s_mov_b32 s14, 0xa595c56f
	s_mov_b32 s15, 0x3f7d6d43
	v_fma_f64 v[51:52], v[49:50], v[51:52], s[36:37]
	v_fma_f64 v[47:48], v[43:44], v[47:48], s[14:15]
	s_mov_b32 s14, 0xa57d9582
	s_mov_b32 s15, 0xbf8c6ea4
	v_fma_f64 v[51:52], v[49:50], v[51:52], s[38:39]
	;; [unrolled: 4-line block ×5, first 2 shown]
	v_ldexp_f64 v[51:52], v[45:46], 1
	v_add_f64 v[45:46], v[45:46], -v[55:56]
	v_fma_f64 v[47:48], v[43:44], v[47:48], s[14:15]
	s_mov_b32 s14, 0xe82d3ff0
	s_mov_b32 s15, 0xbfa59976
	v_cvt_f64_i32_e32 v[55:56], v3
	v_ashrrev_i32_e32 v3, 31, v6
	v_mul_f64 v[49:50], v[53:54], v[49:50]
	v_and_b32_e32 v15, 0x54442d18, v3
	v_mul_f64 v[57:58], v[55:56], s[44:45]
	v_fma_f64 v[47:48], v[43:44], v[47:48], s[14:15]
	v_add_f64 v[41:42], v[41:42], -v[45:46]
	v_and_b32_e32 v3, 0x400921fb, v3
	v_cmp_class_f64_e64 s[14:15], v[13:14], s65
	v_add_f64 v[53:54], v[51:52], v[49:50]
	v_fma_f64 v[47:48], v[43:44], v[47:48], s[66:67]
	v_ldexp_f64 v[41:42], v[41:42], 1
	v_add_f64 v[45:46], v[53:54], -v[51:52]
	v_fma_f64 v[51:52], v[55:56], s[44:45], -v[57:58]
	v_fma_f64 v[47:48], v[43:44], v[47:48], s[68:69]
	v_add_f64 v[45:46], v[49:50], -v[45:46]
	v_fma_f64 v[49:50], v[55:56], s[46:47], v[51:52]
	v_fma_f64 v[47:48], v[43:44], v[47:48], s[70:71]
	v_add_f64 v[41:42], v[41:42], v[45:46]
	v_fma_f64 v[45:46], v[43:44], v[47:48], s[72:73]
	v_add_f64 v[47:48], v[57:58], v[49:50]
	v_add_f64 v[51:52], v[53:54], v[41:42]
	v_fma_f64 v[45:46], v[43:44], v[45:46], s[74:75]
	v_add_f64 v[57:58], v[47:48], -v[57:58]
	v_add_f64 v[55:56], v[47:48], v[51:52]
	v_add_f64 v[53:54], v[51:52], -v[53:54]
	v_fma_f64 v[45:46], v[43:44], v[45:46], s[76:77]
	v_add_f64 v[49:50], v[49:50], -v[57:58]
	v_add_f64 v[59:60], v[55:56], -v[47:48]
	;; [unrolled: 1-line block ×3, first 2 shown]
	v_fma_f64 v[45:46], v[43:44], v[45:46], s[78:79]
	v_add_f64 v[61:62], v[55:56], -v[59:60]
	v_add_f64 v[51:52], v[51:52], -v[59:60]
	v_add_f64 v[53:54], v[49:50], v[41:42]
	v_fma_f64 v[45:46], v[43:44], v[45:46], s[80:81]
	v_add_f64 v[47:48], v[47:48], -v[61:62]
	v_fma_f64 v[45:46], v[43:44], v[45:46], s[82:83]
	v_add_f64 v[47:48], v[51:52], v[47:48]
	v_add_f64 v[51:52], v[53:54], -v[49:50]
	v_fma_f64 v[45:46], v[43:44], v[45:46], s[84:85]
	v_add_f64 v[47:48], v[53:54], v[47:48]
	v_add_f64 v[41:42], v[41:42], -v[51:52]
	v_mul_f64 v[43:44], v[43:44], v[45:46]
	v_add_f64 v[45:46], v[53:54], -v[51:52]
	v_add_f64 v[53:54], v[55:56], v[47:48]
	v_fma_f64 v[39:40], v[39:40], v[43:44], v[39:40]
	v_add_f64 v[43:44], v[49:50], -v[45:46]
	v_add_f64 v[45:46], v[53:54], -v[55:56]
	v_add_f64 v[49:50], -v[39:40], s[18:19]
	v_add_f64 v[41:42], v[41:42], v[43:44]
	v_add_f64 v[43:44], v[47:48], -v[45:46]
	v_cndmask_b32_e64 v40, v40, v50, s[10:11]
	v_cndmask_b32_e64 v39, v39, v49, s[10:11]
	v_add_f64 v[45:46], -v[39:40], s[86:87]
	v_add_f64 v[41:42], v[41:42], v[43:44]
	v_cndmask_b32_e32 v18, v39, v45, vcc
	v_cndmask_b32_e32 v40, v40, v46, vcc
	v_cndmask_b32_e64 v15, v18, v15, s[12:13]
	v_add_f64 v[5:6], v[53:54], v[41:42]
	v_cndmask_b32_e64 v3, v40, v3, s[12:13]
	v_cmp_ngt_f64_e64 s[12:13], 0, v[13:14]
	v_cndmask_b32_e32 v39, v68, v69, vcc
	v_bfi_b32 v39, s64, v39, v8
	s_and_b64 vcc, s[52:53], s[50:51]
	v_cndmask_b32_e32 v40, v3, v39, vcc
	v_cndmask_b32_e32 v39, v15, v11, vcc
	v_cndmask_b32_e64 v3, v5, v13, s[14:15]
	v_cndmask_b32_e64 v5, v6, v14, s[14:15]
	;; [unrolled: 1-line block ×3, first 2 shown]
	v_cmp_nge_f64_e64 s[12:13], 0, v[13:14]
	v_cndmask_b32_e64 v41, 0, v3, s[12:13]
	v_cmp_neq_f64_e64 s[12:13], 0, v[13:14]
	v_cndmask_b32_e64 v42, v65, v5, s[12:13]
.LBB197_136:                            ;   in Loop: Header=BB197_4 Depth=1
	s_or_b64 exec, exec, s[16:17]
                                        ; implicit-def: $vgpr43_vgpr44
.LBB197_137:                            ;   in Loop: Header=BB197_4 Depth=1
	s_andn2_saveexec_b64 s[16:17], s[48:49]
	s_cbranch_execz .LBB197_143
; %bb.138:                              ;   in Loop: Header=BB197_4 Depth=1
	s_mov_b32 s12, 0x6a3f9475
	s_mov_b32 s13, 0x20ca2fe7
	v_cmp_ngt_f64_e32 vcc, s[12:13], v[43:44]
                                        ; implicit-def: $vgpr41_vgpr42
                                        ; implicit-def: $vgpr39_vgpr40
	s_and_saveexec_b64 s[12:13], vcc
	s_xor_b64 s[48:49], exec, s[12:13]
	s_cbranch_execz .LBB197_140
; %bb.139:                              ;   in Loop: Header=BB197_4 Depth=1
	v_mul_f64 v[13:14], v[43:44], v[43:44]
	s_mov_b32 s31, s27
	s_mov_b32 s86, s18
	;; [unrolled: 1-line block ×3, first 2 shown]
	v_cmp_class_f64_e64 s[50:51], v[7:8], s65
	v_cmp_class_f64_e64 s[52:53], v[5:6], s65
	s_mov_b32 s15, 0x7ff00000
	v_add_f64 v[39:40], v[13:14], 1.0
	v_cmp_neq_f64_e64 s[14:15], s[14:15], v[13:14]
	v_frexp_mant_f64_e32 v[43:44], v[39:40]
	v_frexp_exp_i32_f64_e32 v3, v[39:40]
	v_add_f64 v[41:42], v[39:40], -1.0
	v_cmp_gt_f64_e32 vcc, s[26:27], v[43:44]
	v_add_f64 v[45:46], v[41:42], -v[39:40]
	v_add_f64 v[41:42], v[13:14], -v[41:42]
	v_subbrev_co_u32_e32 v3, vcc, 0, v3, vcc
	v_sub_u32_e32 v11, 0, v3
	v_ldexp_f64 v[39:40], v[39:40], v11
	v_add_f64 v[43:44], v[45:46], 1.0
	v_add_f64 v[45:46], v[39:40], 1.0
	v_add_f64 v[41:42], v[41:42], v[43:44]
	v_add_f64 v[51:52], v[39:40], -1.0
	v_add_f64 v[43:44], v[45:46], -1.0
	v_ldexp_f64 v[41:42], v[41:42], v11
	v_add_f64 v[53:54], v[51:52], 1.0
	v_add_f64 v[43:44], v[39:40], -v[43:44]
	v_add_f64 v[39:40], v[39:40], -v[53:54]
	v_add_f64 v[43:44], v[41:42], v[43:44]
	v_add_f64 v[39:40], v[41:42], v[39:40]
	;; [unrolled: 1-line block ×4, first 2 shown]
	v_rcp_f64_e32 v[49:50], v[47:48]
	v_add_f64 v[45:46], v[45:46], -v[47:48]
	v_add_f64 v[51:52], v[51:52], -v[53:54]
	v_add_f64 v[43:44], v[43:44], v[45:46]
	v_add_f64 v[39:40], v[39:40], v[51:52]
	v_fma_f64 v[55:56], -v[47:48], v[49:50], 1.0
	v_fma_f64 v[49:50], v[55:56], v[49:50], v[49:50]
	v_fma_f64 v[41:42], -v[47:48], v[49:50], 1.0
	v_fma_f64 v[41:42], v[41:42], v[49:50], v[49:50]
	v_mul_f64 v[49:50], v[53:54], v[41:42]
	v_mul_f64 v[55:56], v[47:48], v[49:50]
	v_fma_f64 v[45:46], v[49:50], v[47:48], -v[55:56]
	v_fma_f64 v[45:46], v[49:50], v[43:44], v[45:46]
	v_add_f64 v[57:58], v[55:56], v[45:46]
	v_add_f64 v[59:60], v[53:54], -v[57:58]
	v_add_f64 v[51:52], v[57:58], -v[55:56]
	;; [unrolled: 1-line block ×4, first 2 shown]
	v_max_f64 v[51:52], |v[5:6]|, |v[5:6]|
	v_add_f64 v[53:54], v[53:54], -v[57:58]
	v_add_f64 v[39:40], v[39:40], v[53:54]
	v_add_f64 v[39:40], v[45:46], v[39:40]
	v_max_f64 v[45:46], |v[7:8]|, |v[7:8]|
	v_add_f64 v[53:54], v[59:60], v[39:40]
	v_max_f64 v[55:56], v[51:52], v[45:46]
	v_min_f64 v[45:46], v[51:52], v[45:46]
	v_mul_f64 v[51:52], v[41:42], v[53:54]
	v_add_f64 v[59:60], v[59:60], -v[53:54]
	v_div_scale_f64 v[57:58], s[12:13], v[55:56], v[55:56], v[45:46]
	s_mov_b32 s12, 0xaf56de9b
	s_mov_b32 s13, 0xbf67952d
	v_mul_f64 v[61:62], v[47:48], v[51:52]
	v_add_f64 v[39:40], v[39:40], v[59:60]
	v_fma_f64 v[47:48], v[51:52], v[47:48], -v[61:62]
	v_rcp_f64_e32 v[70:71], v[57:58]
	v_fma_f64 v[43:44], v[51:52], v[43:44], v[47:48]
	v_add_f64 v[47:48], v[61:62], v[43:44]
	v_fma_f64 v[72:73], -v[57:58], v[70:71], 1.0
	v_add_f64 v[74:75], v[53:54], -v[47:48]
	v_add_f64 v[59:60], v[47:48], -v[61:62]
	v_fma_f64 v[70:71], v[70:71], v[72:73], v[70:71]
	v_div_scale_f64 v[72:73], vcc, v[45:46], v[55:56], v[45:46]
	v_add_f64 v[53:54], v[53:54], -v[74:75]
	v_add_f64 v[43:44], v[59:60], -v[43:44]
	v_fma_f64 v[76:77], -v[57:58], v[70:71], 1.0
	v_add_f64 v[59:60], v[49:50], v[51:52]
	v_add_f64 v[47:48], v[53:54], -v[47:48]
	v_fma_f64 v[53:54], v[70:71], v[76:77], v[70:71]
	v_add_f64 v[49:50], v[59:60], -v[49:50]
	v_add_f64 v[39:40], v[39:40], v[47:48]
	v_mul_f64 v[47:48], v[72:73], v[53:54]
	v_add_f64 v[39:40], v[43:44], v[39:40]
	v_fma_f64 v[43:44], -v[57:58], v[47:48], v[72:73]
	v_add_f64 v[39:40], v[74:75], v[39:40]
	v_div_fmas_f64 v[43:44], v[43:44], v[53:54], v[47:48]
	v_add_f64 v[47:48], v[51:52], -v[49:50]
	v_cmp_gt_i32_e32 vcc, 0, v6
	v_cndmask_b32_e32 v11, v66, v67, vcc
	v_mul_f64 v[39:40], v[41:42], v[39:40]
	v_add_f64 v[39:40], v[47:48], v[39:40]
	v_div_fixup_f64 v[41:42], v[43:44], v[55:56], v[45:46]
	v_cvt_f64_i32_e32 v[55:56], v3
	v_ashrrev_i32_e32 v3, 31, v6
	v_and_b32_e32 v15, 0x54442d18, v3
	v_and_b32_e32 v3, 0x400921fb, v3
	v_mul_f64 v[57:58], v[55:56], s[44:45]
	v_add_f64 v[43:44], v[59:60], v[39:40]
	v_mul_f64 v[45:46], v[41:42], v[41:42]
	v_mul_f64 v[47:48], v[43:44], v[43:44]
	v_fma_f64 v[49:50], v[45:46], s[58:59], v[21:22]
	v_fma_f64 v[51:52], v[47:48], s[34:35], v[19:20]
	v_mul_f64 v[53:54], v[43:44], v[47:48]
	v_fma_f64 v[49:50], v[45:46], v[49:50], s[56:57]
	v_fma_f64 v[51:52], v[47:48], v[51:52], s[36:37]
	;; [unrolled: 1-line block ×3, first 2 shown]
	s_mov_b32 s12, 0xa595c56f
	s_mov_b32 s13, 0x3f7d6d43
	v_fma_f64 v[51:52], v[47:48], v[51:52], s[38:39]
	v_fma_f64 v[49:50], v[45:46], v[49:50], s[12:13]
	s_mov_b32 s12, 0xa57d9582
	s_mov_b32 s13, 0xbf8c6ea4
	v_fma_f64 v[51:52], v[47:48], v[51:52], s[40:41]
	v_fma_f64 v[49:50], v[45:46], v[49:50], s[12:13]
	;; [unrolled: 4-line block ×3, first 2 shown]
	s_mov_b32 s12, 0xfc27006a
	s_mov_b32 s13, 0xbf9e9ae6
	v_fma_f64 v[47:48], v[47:48], v[51:52], s[30:31]
	v_ldexp_f64 v[51:52], v[43:44], 1
	v_fma_f64 v[49:50], v[45:46], v[49:50], s[12:13]
	s_mov_b32 s12, 0x5711927a
	s_mov_b32 s13, 0x3fa2c15b
	v_add_f64 v[43:44], v[43:44], -v[59:60]
	v_mul_f64 v[47:48], v[53:54], v[47:48]
	v_fma_f64 v[49:50], v[45:46], v[49:50], s[12:13]
	s_mov_b32 s12, 0xe82d3ff0
	s_mov_b32 s13, 0xbfa59976
	v_add_f64 v[39:40], v[39:40], -v[43:44]
	v_add_f64 v[53:54], v[51:52], v[47:48]
	v_fma_f64 v[49:50], v[45:46], v[49:50], s[12:13]
	v_cmp_eq_f64_e64 s[12:13], 0, v[7:8]
	v_ldexp_f64 v[39:40], v[39:40], 1
	v_add_f64 v[43:44], v[53:54], -v[51:52]
	v_fma_f64 v[51:52], v[55:56], s[44:45], -v[57:58]
	v_fma_f64 v[49:50], v[45:46], v[49:50], s[66:67]
	v_add_f64 v[43:44], v[47:48], -v[43:44]
	v_fma_f64 v[47:48], v[45:46], v[49:50], s[68:69]
	v_fma_f64 v[49:50], v[55:56], s[46:47], v[51:52]
	v_add_f64 v[39:40], v[39:40], v[43:44]
	v_fma_f64 v[43:44], v[45:46], v[47:48], s[70:71]
	v_add_f64 v[47:48], v[57:58], v[49:50]
	v_add_f64 v[51:52], v[53:54], v[39:40]
	v_fma_f64 v[43:44], v[45:46], v[43:44], s[72:73]
	v_add_f64 v[57:58], v[47:48], -v[57:58]
	v_add_f64 v[55:56], v[47:48], v[51:52]
	v_add_f64 v[53:54], v[51:52], -v[53:54]
	v_fma_f64 v[43:44], v[45:46], v[43:44], s[74:75]
	v_add_f64 v[49:50], v[49:50], -v[57:58]
	v_add_f64 v[59:60], v[55:56], -v[47:48]
	;; [unrolled: 1-line block ×3, first 2 shown]
	v_fma_f64 v[43:44], v[45:46], v[43:44], s[76:77]
	v_add_f64 v[61:62], v[55:56], -v[59:60]
	v_add_f64 v[51:52], v[51:52], -v[59:60]
	v_fma_f64 v[43:44], v[45:46], v[43:44], s[78:79]
	v_add_f64 v[53:54], v[49:50], v[39:40]
	v_add_f64 v[47:48], v[47:48], -v[61:62]
	v_fma_f64 v[43:44], v[45:46], v[43:44], s[80:81]
	v_add_f64 v[47:48], v[51:52], v[47:48]
	;; [unrolled: 3-line block ×3, first 2 shown]
	v_add_f64 v[53:54], v[53:54], -v[51:52]
	v_fma_f64 v[43:44], v[45:46], v[43:44], s[84:85]
	v_add_f64 v[39:40], v[39:40], -v[51:52]
	v_add_f64 v[57:58], v[55:56], v[47:48]
	v_mul_f64 v[43:44], v[45:46], v[43:44]
	v_add_f64 v[45:46], v[49:50], -v[53:54]
	v_add_f64 v[49:50], v[57:58], -v[55:56]
	v_fma_f64 v[41:42], v[41:42], v[43:44], v[41:42]
	v_add_f64 v[39:40], v[39:40], v[45:46]
	v_add_f64 v[43:44], v[47:48], -v[49:50]
	v_add_f64 v[45:46], -v[41:42], s[18:19]
	v_add_f64 v[39:40], v[39:40], v[43:44]
	v_cndmask_b32_e64 v42, v42, v46, s[10:11]
	v_cndmask_b32_e64 v41, v41, v45, s[10:11]
	v_add_f64 v[43:44], -v[41:42], s[86:87]
	v_add_f64 v[39:40], v[57:58], v[39:40]
	v_cndmask_b32_e32 v18, v41, v43, vcc
	v_cndmask_b32_e32 v41, v68, v69, vcc
	v_cndmask_b32_e32 v14, v42, v44, vcc
	v_bfi_b32 v13, s64, v41, v8
	v_mul_f64 v[5:6], v[39:40], 0.5
	v_cndmask_b32_e64 v15, v18, v15, s[12:13]
	v_cndmask_b32_e64 v3, v14, v3, s[12:13]
	s_and_b64 vcc, s[50:51], s[52:53]
	v_cndmask_b32_e32 v40, v3, v13, vcc
	v_cndmask_b32_e32 v39, v15, v11, vcc
                                        ; implicit-def: $vgpr43_vgpr44
	v_cndmask_b32_e64 v42, v63, v6, s[14:15]
	v_cndmask_b32_e64 v41, 0, v5, s[14:15]
.LBB197_140:                            ;   in Loop: Header=BB197_4 Depth=1
	s_andn2_saveexec_b64 s[14:15], s[48:49]
	s_cbranch_execz .LBB197_142
; %bb.141:                              ;   in Loop: Header=BB197_4 Depth=1
	v_max_f64 v[13:14], |v[7:8]|, |v[7:8]|
	v_max_f64 v[39:40], |v[5:6]|, |v[5:6]|
	s_mov_b32 s86, s18
	v_cmp_class_f64_e64 s[48:49], v[7:8], s65
	v_cmp_class_f64_e64 s[50:51], v[5:6], s65
	v_ashrrev_i32_e32 v3, 31, v6
	v_and_b32_e32 v15, 0x54442d18, v3
	v_and_b32_e32 v3, 0x400921fb, v3
	v_max_f64 v[41:42], v[39:40], v[13:14]
	v_min_f64 v[13:14], v[39:40], v[13:14]
	v_div_scale_f64 v[39:40], s[12:13], v[41:42], v[41:42], v[13:14]
	s_mov_b32 s12, 0xaf56de9b
	s_mov_b32 s13, 0xbf67952d
	v_rcp_f64_e32 v[45:46], v[39:40]
	v_fma_f64 v[47:48], -v[39:40], v[45:46], 1.0
	v_fma_f64 v[45:46], v[45:46], v[47:48], v[45:46]
	v_div_scale_f64 v[47:48], vcc, v[13:14], v[41:42], v[13:14]
	v_fma_f64 v[49:50], -v[39:40], v[45:46], 1.0
	v_fma_f64 v[45:46], v[45:46], v[49:50], v[45:46]
	v_mul_f64 v[49:50], v[47:48], v[45:46]
	v_fma_f64 v[39:40], -v[39:40], v[49:50], v[47:48]
	v_div_fmas_f64 v[39:40], v[39:40], v[45:46], v[49:50]
	v_cmp_gt_i32_e32 vcc, 0, v6
	v_cndmask_b32_e32 v5, v68, v69, vcc
	v_cndmask_b32_e32 v11, v66, v67, vcc
	v_bfi_b32 v5, s64, v5, v8
	v_div_fixup_f64 v[13:14], v[39:40], v[41:42], v[13:14]
	v_mul_f64 v[39:40], v[13:14], v[13:14]
	v_fma_f64 v[41:42], v[39:40], s[58:59], v[21:22]
	v_fma_f64 v[41:42], v[39:40], v[41:42], s[56:57]
	;; [unrolled: 1-line block ×3, first 2 shown]
	s_mov_b32 s12, 0xa595c56f
	s_mov_b32 s13, 0x3f7d6d43
	v_fma_f64 v[41:42], v[39:40], v[41:42], s[12:13]
	s_mov_b32 s12, 0xa57d9582
	s_mov_b32 s13, 0xbf8c6ea4
	v_fma_f64 v[41:42], v[39:40], v[41:42], s[12:13]
	;; [unrolled: 3-line block ×6, first 2 shown]
	v_cmp_eq_f64_e64 s[12:13], 0, v[7:8]
	v_fma_f64 v[41:42], v[39:40], v[41:42], s[66:67]
	v_fma_f64 v[41:42], v[39:40], v[41:42], s[68:69]
	;; [unrolled: 1-line block ×10, first 2 shown]
	v_mul_f64 v[39:40], v[39:40], v[41:42]
	v_mul_f64 v[41:42], v[43:44], 0.5
	v_fma_f64 v[13:14], v[13:14], v[39:40], v[13:14]
	v_mul_f64 v[41:42], v[43:44], v[41:42]
	v_add_f64 v[39:40], -v[13:14], s[18:19]
	v_cndmask_b32_e64 v14, v14, v40, s[10:11]
	v_cndmask_b32_e64 v13, v13, v39, s[10:11]
	v_add_f64 v[39:40], -v[13:14], s[86:87]
	v_cndmask_b32_e32 v13, v13, v39, vcc
	v_cndmask_b32_e32 v6, v14, v40, vcc
	v_cndmask_b32_e64 v13, v13, v15, s[12:13]
	v_cndmask_b32_e64 v3, v6, v3, s[12:13]
	s_and_b64 vcc, s[48:49], s[50:51]
	v_cndmask_b32_e32 v40, v3, v5, vcc
	v_cndmask_b32_e32 v39, v13, v11, vcc
.LBB197_142:                            ;   in Loop: Header=BB197_4 Depth=1
	s_or_b64 exec, exec, s[14:15]
.LBB197_143:                            ;   in Loop: Header=BB197_4 Depth=1
	s_or_b64 exec, exec, s[16:17]
.LBB197_144:                            ;   in Loop: Header=BB197_4 Depth=1
	s_andn2_saveexec_b64 s[14:15], s[24:25]
	s_cbranch_execz .LBB197_146
; %bb.145:                              ;   in Loop: Header=BB197_4 Depth=1
	v_div_scale_f64 v[13:14], s[12:13], s[92:93], s[92:93], v[5:6]
	v_div_scale_f64 v[39:40], s[12:13], s[92:93], s[92:93], v[7:8]
	;; [unrolled: 1-line block ×3, first 2 shown]
	s_mov_b32 s31, s27
	s_mov_b32 s86, s18
	v_cmp_class_f64_e64 s[24:25], v[5:6], s65
	v_rcp_f64_e32 v[41:42], v[13:14]
	v_rcp_f64_e32 v[43:44], v[39:40]
	v_fma_f64 v[45:46], -v[13:14], v[41:42], 1.0
	v_fma_f64 v[47:48], -v[39:40], v[43:44], 1.0
	v_fma_f64 v[41:42], v[41:42], v[45:46], v[41:42]
	v_div_scale_f64 v[45:46], vcc, v[5:6], s[92:93], v[5:6]
	v_fma_f64 v[43:44], v[43:44], v[47:48], v[43:44]
	v_fma_f64 v[47:48], -v[13:14], v[41:42], 1.0
	v_fma_f64 v[51:52], -v[39:40], v[43:44], 1.0
	v_fma_f64 v[41:42], v[41:42], v[47:48], v[41:42]
	v_fma_f64 v[43:44], v[43:44], v[51:52], v[43:44]
	v_mul_f64 v[47:48], v[45:46], v[41:42]
	v_mul_f64 v[51:52], v[49:50], v[43:44]
	v_fma_f64 v[13:14], -v[13:14], v[47:48], v[45:46]
	v_fma_f64 v[39:40], -v[39:40], v[51:52], v[49:50]
	v_max_f64 v[49:50], |v[5:6]|, |v[5:6]|
	v_div_fmas_f64 v[13:14], v[13:14], v[41:42], v[47:48]
	s_mov_b64 vcc, s[12:13]
	v_div_fmas_f64 v[39:40], v[39:40], v[43:44], v[51:52]
	v_div_fixup_f64 v[13:14], v[13:14], s[92:93], v[5:6]
	v_div_fixup_f64 v[39:40], v[39:40], s[92:93], v[7:8]
	v_cmp_class_f64_e64 s[12:13], v[13:14], s65
	v_max_f64 v[41:42], |v[13:14]|, |v[39:40]|
	v_cmp_class_f64_e64 s[16:17], v[39:40], s65
	v_frexp_exp_i32_f64_e32 v3, v[41:42]
	v_sub_u32_e32 v11, 0, v3
	v_ldexp_f64 v[41:42], |v[39:40]|, v11
	v_ldexp_f64 v[43:44], |v[13:14]|, v11
	v_mul_f64 v[41:42], v[41:42], v[41:42]
	v_fma_f64 v[41:42], v[43:44], v[43:44], v[41:42]
	v_rsq_f64_e32 v[43:44], v[41:42]
	v_cmp_eq_f64_e32 vcc, 0, v[41:42]
	v_mul_f64 v[45:46], v[41:42], v[43:44]
	v_mul_f64 v[43:44], v[43:44], 0.5
	v_fma_f64 v[47:48], -v[43:44], v[45:46], 0.5
	v_fma_f64 v[45:46], v[45:46], v[47:48], v[45:46]
	v_fma_f64 v[43:44], v[43:44], v[47:48], v[43:44]
	v_fma_f64 v[47:48], -v[45:46], v[45:46], v[41:42]
	v_fma_f64 v[43:44], v[47:48], v[43:44], v[45:46]
	v_max_f64 v[47:48], |v[7:8]|, |v[7:8]|
	v_cndmask_b32_e32 v42, v44, v42, vcc
	v_cndmask_b32_e32 v41, v43, v41, vcc
	v_ldexp_f64 v[41:42], v[41:42], v3
	v_cmp_o_f64_e32 vcc, v[13:14], v[39:40]
	v_cndmask_b32_e32 v3, 0, v41, vcc
	v_cndmask_b32_e32 v11, v64, v42, vcc
	s_or_b64 vcc, s[16:17], s[12:13]
	v_cndmask_b32_e32 v14, v11, v63, vcc
	v_cndmask_b32_e64 v13, v3, 0, vcc
	v_frexp_mant_f64_e32 v[39:40], v[13:14]
	v_cmp_gt_f64_e64 s[12:13], s[26:27], v[39:40]
	v_cndmask_b32_e64 v3, 0, 1, s[12:13]
	v_ldexp_f64 v[39:40], v[39:40], v3
	v_frexp_exp_i32_f64_e32 v3, v[13:14]
	v_add_f64 v[41:42], v[39:40], 1.0
	v_add_f64 v[53:54], v[39:40], -1.0
	v_rcp_f64_e32 v[43:44], v[41:42]
	v_add_f64 v[57:58], v[41:42], -1.0
	v_add_f64 v[39:40], v[39:40], -v[57:58]
	v_fma_f64 v[45:46], -v[41:42], v[43:44], 1.0
	v_fma_f64 v[43:44], v[45:46], v[43:44], v[43:44]
	v_max_f64 v[45:46], v[49:50], v[47:48]
	v_min_f64 v[47:48], v[49:50], v[47:48]
	v_fma_f64 v[49:50], -v[41:42], v[43:44], 1.0
	v_div_scale_f64 v[51:52], s[16:17], v[45:46], v[45:46], v[47:48]
	s_mov_b32 s16, 0xaf56de9b
	s_mov_b32 s17, 0xbf67952d
	v_fma_f64 v[43:44], v[49:50], v[43:44], v[43:44]
	v_mul_f64 v[49:50], v[53:54], v[43:44]
	v_rcp_f64_e32 v[55:56], v[51:52]
	v_mul_f64 v[59:60], v[41:42], v[49:50]
	v_fma_f64 v[41:42], v[49:50], v[41:42], -v[59:60]
	v_fma_f64 v[57:58], -v[51:52], v[55:56], 1.0
	v_fma_f64 v[39:40], v[49:50], v[39:40], v[41:42]
	v_fma_f64 v[41:42], v[55:56], v[57:58], v[55:56]
	v_div_scale_f64 v[57:58], vcc, v[47:48], v[45:46], v[47:48]
	v_add_f64 v[55:56], v[59:60], v[39:40]
	v_fma_f64 v[61:62], -v[51:52], v[41:42], 1.0
	v_add_f64 v[70:71], v[53:54], -v[55:56]
	v_add_f64 v[59:60], v[55:56], -v[59:60]
	v_fma_f64 v[41:42], v[41:42], v[61:62], v[41:42]
	v_add_f64 v[53:54], v[53:54], -v[70:71]
	v_add_f64 v[39:40], v[59:60], -v[39:40]
	v_mul_f64 v[61:62], v[57:58], v[41:42]
	v_add_f64 v[53:54], v[53:54], -v[55:56]
	v_fma_f64 v[51:52], -v[51:52], v[61:62], v[57:58]
	v_add_f64 v[39:40], v[39:40], v[53:54]
	v_div_fmas_f64 v[41:42], v[51:52], v[41:42], v[61:62]
	v_subbrev_co_u32_e64 v3, vcc, 0, v3, s[12:13]
	s_mov_b32 s12, 0xe82d3ff0
	s_mov_b32 s13, 0xbfa59976
	v_cmp_class_f64_e64 vcc, v[13:14], s65
	v_add_f64 v[39:40], v[70:71], v[39:40]
	v_mul_f64 v[39:40], v[43:44], v[39:40]
	v_div_fixup_f64 v[41:42], v[41:42], v[45:46], v[47:48]
	v_add_f64 v[43:44], v[49:50], v[39:40]
	v_mul_f64 v[45:46], v[41:42], v[41:42]
	v_mul_f64 v[47:48], v[43:44], v[43:44]
	v_fma_f64 v[51:52], v[45:46], s[58:59], v[21:22]
	v_fma_f64 v[53:54], v[47:48], s[34:35], v[19:20]
	v_mul_f64 v[55:56], v[43:44], v[47:48]
	v_fma_f64 v[51:52], v[45:46], v[51:52], s[56:57]
	v_fma_f64 v[53:54], v[47:48], v[53:54], s[36:37]
	;; [unrolled: 1-line block ×3, first 2 shown]
	s_mov_b32 s16, 0xa595c56f
	s_mov_b32 s17, 0x3f7d6d43
	v_fma_f64 v[53:54], v[47:48], v[53:54], s[38:39]
	v_fma_f64 v[51:52], v[45:46], v[51:52], s[16:17]
	s_mov_b32 s16, 0xa57d9582
	s_mov_b32 s17, 0xbf8c6ea4
	v_fma_f64 v[53:54], v[47:48], v[53:54], s[40:41]
	v_fma_f64 v[51:52], v[45:46], v[51:52], s[16:17]
	;; [unrolled: 4-line block ×3, first 2 shown]
	s_mov_b32 s16, 0xfc27006a
	s_mov_b32 s17, 0xbf9e9ae6
	v_fma_f64 v[47:48], v[47:48], v[53:54], s[30:31]
	v_ldexp_f64 v[53:54], v[43:44], 1
	v_fma_f64 v[51:52], v[45:46], v[51:52], s[16:17]
	s_mov_b32 s16, 0x5711927a
	s_mov_b32 s17, 0x3fa2c15b
	v_add_f64 v[43:44], v[43:44], -v[49:50]
	v_mul_f64 v[47:48], v[55:56], v[47:48]
	v_cvt_f64_i32_e32 v[55:56], v3
	v_fma_f64 v[51:52], v[45:46], v[51:52], s[16:17]
	v_cmp_class_f64_e64 s[16:17], v[7:8], s65
	v_ashrrev_i32_e32 v3, 31, v6
	v_mul_f64 v[57:58], v[55:56], s[44:45]
	v_add_f64 v[39:40], v[39:40], -v[43:44]
	v_and_b32_e32 v18, 0x54442d18, v3
	v_add_f64 v[49:50], v[53:54], v[47:48]
	v_and_b32_e32 v3, 0x400921fb, v3
	v_fma_f64 v[51:52], v[45:46], v[51:52], s[12:13]
	v_cmp_eq_f64_e64 s[12:13], 0, v[7:8]
	v_ldexp_f64 v[39:40], v[39:40], 1
	v_add_f64 v[43:44], v[49:50], -v[53:54]
	v_fma_f64 v[53:54], v[55:56], s[44:45], -v[57:58]
	v_fma_f64 v[51:52], v[45:46], v[51:52], s[66:67]
	v_add_f64 v[43:44], v[47:48], -v[43:44]
	v_fma_f64 v[47:48], v[45:46], v[51:52], s[68:69]
	v_fma_f64 v[51:52], v[55:56], s[46:47], v[53:54]
	v_add_f64 v[39:40], v[39:40], v[43:44]
	v_fma_f64 v[43:44], v[45:46], v[47:48], s[70:71]
	v_add_f64 v[47:48], v[57:58], v[51:52]
	v_add_f64 v[53:54], v[49:50], v[39:40]
	v_fma_f64 v[43:44], v[45:46], v[43:44], s[72:73]
	v_add_f64 v[57:58], v[47:48], -v[57:58]
	v_add_f64 v[55:56], v[47:48], v[53:54]
	v_add_f64 v[49:50], v[53:54], -v[49:50]
	v_fma_f64 v[43:44], v[45:46], v[43:44], s[74:75]
	v_add_f64 v[51:52], v[51:52], -v[57:58]
	v_add_f64 v[59:60], v[55:56], -v[47:48]
	v_add_f64 v[39:40], v[39:40], -v[49:50]
	v_fma_f64 v[43:44], v[45:46], v[43:44], s[76:77]
	v_add_f64 v[61:62], v[55:56], -v[59:60]
	v_add_f64 v[49:50], v[53:54], -v[59:60]
	v_fma_f64 v[43:44], v[45:46], v[43:44], s[78:79]
	v_add_f64 v[53:54], v[51:52], v[39:40]
	v_add_f64 v[47:48], v[47:48], -v[61:62]
	v_fma_f64 v[43:44], v[45:46], v[43:44], s[80:81]
	v_add_f64 v[47:48], v[49:50], v[47:48]
	;; [unrolled: 3-line block ×3, first 2 shown]
	v_add_f64 v[53:54], v[53:54], -v[49:50]
	v_fma_f64 v[43:44], v[45:46], v[43:44], s[84:85]
	v_add_f64 v[39:40], v[39:40], -v[49:50]
	v_add_f64 v[57:58], v[55:56], v[47:48]
	v_mul_f64 v[43:44], v[45:46], v[43:44]
	v_add_f64 v[45:46], v[51:52], -v[53:54]
	v_add_f64 v[49:50], v[57:58], -v[55:56]
	v_fma_f64 v[41:42], v[41:42], v[43:44], v[41:42]
	v_add_f64 v[39:40], v[39:40], v[45:46]
	v_add_f64 v[43:44], v[47:48], -v[49:50]
	v_add_f64 v[45:46], -v[41:42], s[18:19]
	v_add_f64 v[39:40], v[39:40], v[43:44]
	v_cndmask_b32_e64 v42, v42, v46, s[10:11]
	v_cndmask_b32_e64 v41, v41, v45, s[10:11]
	v_add_f64 v[43:44], -v[41:42], s[86:87]
	v_cmp_gt_i32_e64 s[10:11], 0, v6
	v_cndmask_b32_e64 v11, v66, v67, s[10:11]
	v_cndmask_b32_e64 v15, v68, v69, s[10:11]
	v_add_f64 v[39:40], v[57:58], v[39:40]
	v_bfi_b32 v15, s64, v15, v8
	v_cndmask_b32_e64 v41, v41, v43, s[10:11]
	v_cndmask_b32_e64 v18, v41, v18, s[12:13]
	v_cndmask_b32_e32 v6, v40, v14, vcc
	v_cndmask_b32_e32 v5, v39, v13, vcc
	v_add_f64 v[5:6], v[5:6], 1.0
	v_cndmask_b32_e64 v39, v42, v44, s[10:11]
	v_cmp_ngt_f64_e64 s[10:11], 0, v[13:14]
	v_cndmask_b32_e64 v3, v39, v3, s[12:13]
	s_and_b64 vcc, s[16:17], s[24:25]
	v_cndmask_b32_e32 v40, v3, v15, vcc
	v_cndmask_b32_e32 v39, v18, v11, vcc
	v_cndmask_b32_e64 v3, v64, v6, s[10:11]
	v_cmp_nge_f64_e64 s[10:11], 0, v[13:14]
	v_cndmask_b32_e64 v41, 0, v5, s[10:11]
	v_cmp_neq_f64_e64 s[10:11], 0, v[13:14]
	v_cndmask_b32_e64 v42, v65, v3, s[10:11]
.LBB197_146:                            ;   in Loop: Header=BB197_4 Depth=1
	s_or_b64 exec, exec, s[14:15]
	s_andn2_saveexec_b64 s[4:5], s[4:5]
	s_cbranch_execz .LBB197_116
.LBB197_147:                            ;   in Loop: Header=BB197_4 Depth=1
	v_cmp_nlt_f64_e64 s[10:11], |v[5:6]|, s[28:29]
	v_cmp_nlt_f64_e64 s[12:13], |v[7:8]|, s[28:29]
                                        ; implicit-def: $vgpr13_vgpr14
	s_or_b64 s[10:11], s[12:13], s[10:11]
	s_and_saveexec_b64 s[12:13], s[10:11]
	s_xor_b64 s[10:11], exec, s[12:13]
	s_cbranch_execz .LBB197_149
; %bb.148:                              ;   in Loop: Header=BB197_4 Depth=1
	v_mul_f64 v[5:6], v[5:6], v[5:6]
	v_fma_f64 v[13:14], v[7:8], v[7:8], v[5:6]
.LBB197_149:                            ;   in Loop: Header=BB197_4 Depth=1
	s_andn2_saveexec_b64 s[10:11], s[10:11]
	s_cbranch_execz .LBB197_151
; %bb.150:                              ;   in Loop: Header=BB197_4 Depth=1
	v_mul_f64 v[5:6], v[5:6], 4.0
	v_mul_f64 v[13:14], v[7:8], 4.0
	v_mul_f64 v[5:6], v[5:6], v[5:6]
	v_fma_f64 v[5:6], v[13:14], v[13:14], v[5:6]
	v_ldexp_f64 v[13:14], v[5:6], -4
.LBB197_151:                            ;   in Loop: Header=BB197_4 Depth=1
	s_or_b64 exec, exec, s[10:11]
	v_frexp_mant_f64_e32 v[5:6], v[13:14]
	s_mov_b32 s31, s27
	v_cmp_gt_f64_e32 vcc, s[26:27], v[5:6]
	v_cndmask_b32_e64 v3, 0, 1, vcc
	v_ldexp_f64 v[5:6], v[5:6], v3
	v_frexp_exp_i32_f64_e32 v3, v[13:14]
	v_add_f64 v[39:40], v[5:6], 1.0
	v_add_f64 v[45:46], v[5:6], -1.0
	v_subbrev_co_u32_e32 v3, vcc, 0, v3, vcc
	v_cmp_class_f64_e64 vcc, v[13:14], s65
	v_rcp_f64_e32 v[41:42], v[39:40]
	v_add_f64 v[47:48], v[39:40], -1.0
	v_add_f64 v[5:6], v[5:6], -v[47:48]
	v_fma_f64 v[43:44], -v[39:40], v[41:42], 1.0
	v_fma_f64 v[41:42], v[43:44], v[41:42], v[41:42]
	v_fma_f64 v[43:44], -v[39:40], v[41:42], 1.0
	v_fma_f64 v[41:42], v[43:44], v[41:42], v[41:42]
	v_mul_f64 v[43:44], v[45:46], v[41:42]
	v_mul_f64 v[49:50], v[39:40], v[43:44]
	v_fma_f64 v[39:40], v[43:44], v[39:40], -v[49:50]
	v_fma_f64 v[5:6], v[43:44], v[5:6], v[39:40]
	v_add_f64 v[39:40], v[49:50], v[5:6]
	v_add_f64 v[47:48], v[45:46], -v[39:40]
	v_add_f64 v[49:50], v[39:40], -v[49:50]
	;; [unrolled: 1-line block ×5, first 2 shown]
	v_add_f64 v[5:6], v[5:6], v[39:40]
	v_add_f64 v[5:6], v[47:48], v[5:6]
	v_mul_f64 v[5:6], v[41:42], v[5:6]
	v_add_f64 v[39:40], v[43:44], v[5:6]
	v_mul_f64 v[41:42], v[39:40], v[39:40]
	v_fma_f64 v[45:46], v[41:42], s[34:35], v[19:20]
	v_mul_f64 v[47:48], v[39:40], v[41:42]
	v_fma_f64 v[45:46], v[41:42], v[45:46], s[36:37]
	v_fma_f64 v[45:46], v[41:42], v[45:46], s[38:39]
	;; [unrolled: 1-line block ×5, first 2 shown]
	v_ldexp_f64 v[45:46], v[39:40], 1
	v_add_f64 v[39:40], v[39:40], -v[43:44]
	v_mul_f64 v[41:42], v[47:48], v[41:42]
	v_cvt_f64_i32_e32 v[47:48], v3
	v_add_f64 v[5:6], v[5:6], -v[39:40]
	v_mul_f64 v[49:50], v[47:48], s[44:45]
	v_add_f64 v[43:44], v[45:46], v[41:42]
	v_ldexp_f64 v[5:6], v[5:6], 1
	v_add_f64 v[39:40], v[43:44], -v[45:46]
	v_fma_f64 v[45:46], v[47:48], s[44:45], -v[49:50]
	v_add_f64 v[39:40], v[41:42], -v[39:40]
	v_fma_f64 v[41:42], v[47:48], s[46:47], v[45:46]
	v_add_f64 v[5:6], v[5:6], v[39:40]
	v_add_f64 v[39:40], v[49:50], v[41:42]
	;; [unrolled: 1-line block ×3, first 2 shown]
	v_add_f64 v[49:50], v[39:40], -v[49:50]
	v_add_f64 v[47:48], v[39:40], v[45:46]
	v_add_f64 v[43:44], v[45:46], -v[43:44]
	v_add_f64 v[41:42], v[41:42], -v[49:50]
	;; [unrolled: 1-line block ×6, first 2 shown]
	v_add_f64 v[45:46], v[41:42], v[5:6]
	v_add_f64 v[39:40], v[39:40], -v[53:54]
	v_add_f64 v[39:40], v[43:44], v[39:40]
	v_add_f64 v[43:44], v[45:46], -v[41:42]
	;; [unrolled: 2-line block ×3, first 2 shown]
	v_add_f64 v[5:6], v[5:6], -v[43:44]
	v_add_f64 v[49:50], v[47:48], v[39:40]
	v_add_f64 v[41:42], v[41:42], -v[45:46]
	v_add_f64 v[43:44], v[49:50], -v[47:48]
	v_add_f64 v[5:6], v[5:6], v[41:42]
	v_add_f64 v[39:40], v[39:40], -v[43:44]
	v_add_f64 v[5:6], v[5:6], v[39:40]
	v_mov_b32_e32 v39, 0
	v_mov_b32_e32 v40, 0x7ff80000
	v_add_f64 v[5:6], v[49:50], v[5:6]
	v_cndmask_b32_e32 v3, v5, v13, vcc
	v_cndmask_b32_e32 v5, v6, v14, vcc
	v_cmp_ngt_f64_e32 vcc, 0, v[13:14]
	v_cndmask_b32_e32 v5, v64, v5, vcc
	v_cmp_nge_f64_e32 vcc, 0, v[13:14]
	v_cndmask_b32_e32 v41, 0, v3, vcc
	v_cmp_neq_f64_e32 vcc, 0, v[13:14]
	v_cndmask_b32_e32 v42, v65, v5, vcc
	s_or_b64 exec, exec, s[4:5]
	s_and_saveexec_b64 s[4:5], s[0:1]
	s_xor_b64 s[0:1], exec, s[4:5]
	s_cbranch_execz .LBB197_117
.LBB197_152:                            ;   in Loop: Header=BB197_4 Depth=1
	v_bfi_b32 v32, s64, v32, v12
	v_fma_f64 v[5:6], v[31:32], 0, v[33:34]
	v_fma_f64 v[13:14], v[33:34], s[90:91], v[31:32]
	v_mov_b32_e32 v3, s60
	v_mul_f64 v[11:12], v[5:6], s[94:95]
	v_mul_f64 v[13:14], v[13:14], s[94:95]
	v_add_co_u32_e32 v5, vcc, s33, v23
	v_addc_co_u32_e32 v6, vcc, v3, v24, vcc
	global_store_dwordx4 v[5:6], v[11:14], off
	s_or_b64 exec, exec, s[0:1]
	s_and_saveexec_b64 s[0:1], s[2:3]
	s_cbranch_execz .LBB197_118
.LBB197_153:                            ;   in Loop: Header=BB197_4 Depth=1
	v_bfi_b32 v10, s64, v10, v4
	v_fma_f64 v[3:4], v[9:10], 0, v[35:36]
	v_fma_f64 v[5:6], v[35:36], s[90:91], v[9:10]
	v_mov_b32_e32 v7, s60
	v_add_co_u32_e32 v9, vcc, s33, v25
	v_addc_co_u32_e32 v10, vcc, v7, v26, vcc
	v_mul_f64 v[3:4], v[3:4], s[94:95]
	v_mul_f64 v[5:6], v[5:6], s[94:95]
	global_store_dwordx4 v[9:10], v[3:6], off
	s_or_b64 exec, exec, s[0:1]
	s_and_saveexec_b64 s[0:1], s[6:7]
	s_cbranch_execz .LBB197_119
.LBB197_154:                            ;   in Loop: Header=BB197_4 Depth=1
	v_bfi_b32 v2, s64, v2, v16
	v_fma_f64 v[3:4], v[1:2], 0, v[37:38]
	v_fma_f64 v[5:6], v[37:38], s[90:91], v[1:2]
	v_mul_f64 v[1:2], v[3:4], s[94:95]
	v_mul_f64 v[3:4], v[5:6], s[94:95]
	v_mov_b32_e32 v6, s60
	v_add_co_u32_e32 v5, vcc, s33, v27
	v_addc_co_u32_e32 v6, vcc, v6, v28, vcc
	global_store_dwordx4 v[5:6], v[1:4], off
	s_or_b64 exec, exec, s[0:1]
	s_and_saveexec_b64 s[0:1], s[8:9]
	s_cbranch_execz .LBB197_3
.LBB197_155:                            ;   in Loop: Header=BB197_4 Depth=1
	v_bfi_b32 v40, s64, v40, v8
	v_fma_f64 v[1:2], v[39:40], 0, v[41:42]
	v_fma_f64 v[3:4], v[41:42], s[90:91], v[39:40]
	v_mov_b32_e32 v6, s60
	v_add_co_u32_e32 v5, vcc, s33, v29
	v_addc_co_u32_e32 v6, vcc, v6, v30, vcc
	v_mul_f64 v[1:2], v[1:2], s[94:95]
	v_mul_f64 v[3:4], v[3:4], s[94:95]
	global_store_dwordx4 v[5:6], v[1:4], off
	s_branch .LBB197_3
.LBB197_156:
	v_readlane_b32 s2, v78, 2
	v_readlane_b32 s3, v78, 3
	s_cbranch_execz .LBB197_158
	s_branch .LBB197_297
.LBB197_157:
.LBB197_158:
	v_mov_b32_e32 v1, 0x10000
	v_mov_b32_e32 v2, 0
	v_cmp_lt_i64_e32 vcc, s[2:3], v[1:2]
	v_mov_b32_e32 v18, 0
	s_and_b64 s[0:1], vcc, exec
	s_cselect_b32 s9, s3, 0
	s_cselect_b32 s8, s2, 0x10000
	v_lshlrev_b32_e32 v1, 2, v0
	v_mov_b32_e32 v2, v18
	v_cmp_gt_i64_e32 vcc, s[8:9], v[1:2]
	s_and_saveexec_b64 s[0:1], vcc
	s_cbranch_execz .LBB197_297
; %bb.159:
	v_readlane_b32 s0, v78, 0
	v_readlane_b32 s1, v78, 1
	s_load_dword s0, s[0:1], 0xd3c
	v_mov_b32_e32 v58, s60
	s_mov_b32 s18, 0x55555555
	s_mov_b32 s20, 0xbf559e2b
	;; [unrolled: 1-line block ×30, first 2 shown]
	v_mov_b32_e32 v1, v18
	s_mov_b64 s[10:11], 0
	s_brev_b32 s40, -2
	s_waitcnt lgkmcnt(0)
	s_and_b32 s41, s0, 0xffff
	s_mov_b32 s19, 0x3fe55555
	s_mov_b32 s21, 0x3fc3ab76
	;; [unrolled: 1-line block ×29, first 2 shown]
	v_mov_b32_e32 v20, 0x6b47b09a
	v_mov_b32_e32 v21, 0x3fc38538
	;; [unrolled: 1-line block ×11, first 2 shown]
	s_movk_i32 s42, 0x204
	s_brev_b32 s89, 4
	s_brev_b32 s91, 1
	s_mov_b32 s93, 0x400921fb
	s_branch .LBB197_162
.LBB197_160:                            ;   in Loop: Header=BB197_162 Depth=1
	s_or_b64 exec, exec, s[2:3]
	v_frexp_mant_f64_e32 v[2:3], v[10:11]
	s_mov_b32 s31, s19
	v_cmp_gt_f64_e32 vcc, s[18:19], v[2:3]
	v_cndmask_b32_e64 v4, 0, 1, vcc
	v_ldexp_f64 v[2:3], v[2:3], v4
	v_frexp_exp_i32_f64_e32 v4, v[10:11]
	v_add_f64 v[34:35], v[2:3], 1.0
	v_add_f64 v[40:41], v[2:3], -1.0
	v_subbrev_co_u32_e32 v4, vcc, 0, v4, vcc
	v_cmp_class_f64_e64 vcc, v[10:11], s42
	v_rcp_f64_e32 v[36:37], v[34:35]
	v_add_f64 v[42:43], v[34:35], -1.0
	v_add_f64 v[2:3], v[2:3], -v[42:43]
	v_fma_f64 v[38:39], -v[34:35], v[36:37], 1.0
	v_fma_f64 v[36:37], v[38:39], v[36:37], v[36:37]
	v_fma_f64 v[38:39], -v[34:35], v[36:37], 1.0
	v_fma_f64 v[36:37], v[38:39], v[36:37], v[36:37]
	v_mul_f64 v[38:39], v[40:41], v[36:37]
	v_mul_f64 v[44:45], v[34:35], v[38:39]
	v_fma_f64 v[34:35], v[38:39], v[34:35], -v[44:45]
	v_fma_f64 v[2:3], v[38:39], v[2:3], v[34:35]
	v_add_f64 v[34:35], v[44:45], v[2:3]
	v_add_f64 v[42:43], v[40:41], -v[34:35]
	v_add_f64 v[44:45], v[34:35], -v[44:45]
	;; [unrolled: 1-line block ×5, first 2 shown]
	v_add_f64 v[2:3], v[2:3], v[34:35]
	v_add_f64 v[2:3], v[42:43], v[2:3]
	v_mul_f64 v[2:3], v[36:37], v[2:3]
	v_add_f64 v[34:35], v[38:39], v[2:3]
	v_mul_f64 v[36:37], v[34:35], v[34:35]
	v_fma_f64 v[40:41], v[36:37], s[20:21], v[20:21]
	v_mul_f64 v[42:43], v[34:35], v[36:37]
	v_fma_f64 v[40:41], v[36:37], v[40:41], s[22:23]
	v_fma_f64 v[40:41], v[36:37], v[40:41], s[24:25]
	;; [unrolled: 1-line block ×5, first 2 shown]
	v_ldexp_f64 v[40:41], v[34:35], 1
	v_add_f64 v[34:35], v[34:35], -v[38:39]
	v_mul_f64 v[36:37], v[42:43], v[36:37]
	v_cvt_f64_i32_e32 v[42:43], v4
	v_add_f64 v[2:3], v[2:3], -v[34:35]
	v_mul_f64 v[44:45], v[42:43], s[34:35]
	v_add_f64 v[38:39], v[40:41], v[36:37]
	v_ldexp_f64 v[2:3], v[2:3], 1
	v_add_f64 v[34:35], v[38:39], -v[40:41]
	v_fma_f64 v[40:41], v[42:43], s[34:35], -v[44:45]
	v_add_f64 v[34:35], v[36:37], -v[34:35]
	v_fma_f64 v[36:37], v[42:43], s[36:37], v[40:41]
	v_add_f64 v[2:3], v[2:3], v[34:35]
	v_add_f64 v[34:35], v[44:45], v[36:37]
	;; [unrolled: 1-line block ×3, first 2 shown]
	v_add_f64 v[44:45], v[34:35], -v[44:45]
	v_add_f64 v[42:43], v[34:35], v[40:41]
	v_add_f64 v[38:39], v[40:41], -v[38:39]
	v_add_f64 v[36:37], v[36:37], -v[44:45]
	;; [unrolled: 1-line block ×6, first 2 shown]
	v_add_f64 v[40:41], v[36:37], v[2:3]
	v_add_f64 v[34:35], v[34:35], -v[48:49]
	v_add_f64 v[34:35], v[38:39], v[34:35]
	v_add_f64 v[38:39], v[40:41], -v[36:37]
	;; [unrolled: 2-line block ×3, first 2 shown]
	v_add_f64 v[2:3], v[2:3], -v[38:39]
	v_add_f64 v[44:45], v[42:43], v[34:35]
	v_add_f64 v[36:37], v[36:37], -v[40:41]
	v_add_f64 v[38:39], v[44:45], -v[42:43]
	v_add_f64 v[2:3], v[2:3], v[36:37]
	v_mov_b32_e32 v36, 0
	v_mov_b32_e32 v37, 0x7ff80000
	v_add_f64 v[34:35], v[34:35], -v[38:39]
	v_add_f64 v[2:3], v[2:3], v[34:35]
	v_add_f64 v[2:3], v[44:45], v[2:3]
	v_cndmask_b32_e32 v2, v2, v10, vcc
	v_cndmask_b32_e32 v3, v3, v11, vcc
	v_cmp_ngt_f64_e32 vcc, 0, v[10:11]
	v_cndmask_b32_e32 v3, v60, v3, vcc
	v_cmp_nge_f64_e32 vcc, 0, v[10:11]
	v_cndmask_b32_e32 v34, 0, v2, vcc
	v_cmp_neq_f64_e32 vcc, 0, v[10:11]
	v_cndmask_b32_e32 v35, v61, v3, vcc
.LBB197_161:                            ;   in Loop: Header=BB197_162 Depth=1
	s_or_b64 exec, exec, s[0:1]
	v_bfi_b32 v27, s40, v27, v17
	v_fma_f64 v[2:3], v[26:27], 0, v[28:29]
	v_fma_f64 v[10:11], v[28:29], s[90:91], v[26:27]
	v_bfi_b32 v33, s40, v33, v13
	v_bfi_b32 v15, s40, v15, v9
	;; [unrolled: 1-line block ×3, first 2 shown]
	v_fma_f64 v[8:9], v[32:33], 0, v[6:7]
	v_fma_f64 v[12:13], v[6:7], s[90:91], v[32:33]
	v_fma_f64 v[16:17], v[14:15], 0, v[30:31]
	v_fma_f64 v[14:15], v[30:31], s[90:91], v[14:15]
	v_fma_f64 v[26:27], v[36:37], 0, v[34:35]
	v_fma_f64 v[28:29], v[34:35], s[90:91], v[36:37]
	v_mul_f64 v[2:3], v[2:3], s[84:85]
	v_mul_f64 v[4:5], v[10:11], s[84:85]
	;; [unrolled: 1-line block ×8, first 2 shown]
	v_add_co_u32_e32 v0, vcc, s41, v0
	v_addc_co_u32_e32 v1, vcc, 0, v1, vcc
	global_store_dwordx4 v[24:25], v[2:5], off
	global_store_dwordx4 v[24:25], v[10:13], off offset:16
	v_lshlrev_b64 v[2:3], 2, v[0:1]
	global_store_dwordx4 v[24:25], v[6:9], off offset:32
	v_cmp_le_i64_e32 vcc, s[8:9], v[2:3]
	global_store_dwordx4 v[24:25], v[14:17], off offset:48
	s_or_b64 s[10:11], vcc, s[10:11]
	s_andn2_b64 exec, exec, s[10:11]
	s_cbranch_execz .LBB197_297
.LBB197_162:                            ; =>This Loop Header: Depth=1
                                        ;     Child Loop BB197_173 Depth 2
                                        ;     Child Loop BB197_207 Depth 2
	;; [unrolled: 1-line block ×4, first 2 shown]
	v_lshlrev_b64 v[2:3], 6, v[0:1]
                                        ; implicit-def: $vgpr28_vgpr29
                                        ; implicit-def: $vgpr26_vgpr27
	v_add_co_u32_e32 v24, vcc, s33, v2
	v_addc_co_u32_e32 v25, vcc, v58, v3, vcc
	global_load_dwordx4 v[14:17], v[24:25], off
	global_load_dwordx4 v[6:9], v[24:25], off offset:16
	global_load_dwordx4 v[2:5], v[24:25], off offset:48
	;; [unrolled: 1-line block ×3, first 2 shown]
	s_waitcnt vmcnt(3)
	v_cmp_o_f64_e32 vcc, v[14:15], v[16:17]
	s_and_saveexec_b64 s[0:1], vcc
	s_xor_b64 s[78:79], exec, s[0:1]
	s_cbranch_execz .LBB197_190
; %bb.163:                              ;   in Loop: Header=BB197_162 Depth=1
	v_cmp_lt_f64_e64 s[0:1], |v[14:15]|, |v[16:17]|
	v_and_b32_e32 v19, 0x7fffffff, v15
	v_and_b32_e32 v30, 0x7fffffff, v17
	s_mov_b32 s2, 0x85ebc8a0
	s_mov_b32 s3, 0x7fd1ccf3
	v_mov_b32_e32 v31, v16
                                        ; implicit-def: $vgpr28_vgpr29
                                        ; implicit-def: $vgpr26_vgpr27
	v_cndmask_b32_e64 v33, v30, v19, s[0:1]
	v_cndmask_b32_e64 v32, v16, v14, s[0:1]
	v_cmp_nlt_f64_e32 vcc, s[2:3], v[32:33]
	s_and_saveexec_b64 s[2:3], vcc
	s_xor_b64 s[94:95], exec, s[2:3]
	s_cbranch_execz .LBB197_187
; %bb.164:                              ;   in Loop: Header=BB197_162 Depth=1
	v_cndmask_b32_e64 v35, v19, v30, s[0:1]
	v_cndmask_b32_e64 v34, v14, v31, s[0:1]
	v_cmp_neq_f64_e32 vcc, 1.0, v[34:35]
                                        ; implicit-def: $vgpr28_vgpr29
                                        ; implicit-def: $vgpr26_vgpr27
	s_and_saveexec_b64 s[2:3], vcc
	s_xor_b64 s[86:87], exec, s[2:3]
	s_cbranch_execz .LBB197_180
; %bb.165:                              ;   in Loop: Header=BB197_162 Depth=1
	v_max_f64 v[26:27], v[32:33], v[32:33]
	v_max_f64 v[28:29], v[34:35], v[34:35]
	s_mov_b32 s2, 0x4ad4b81f
	s_mov_b32 s3, 0x358dee7a
	v_min_f64 v[30:31], v[28:29], v[26:27]
	v_max_f64 v[26:27], v[28:29], v[26:27]
                                        ; implicit-def: $vgpr28_vgpr29
	v_cmp_ngt_f64_e32 vcc, s[2:3], v[30:31]
	s_mov_b32 s2, 0xc57e649a
	s_mov_b32 s3, 0x4a511b0e
	v_cmp_nlt_f64_e64 s[2:3], s[2:3], v[26:27]
                                        ; implicit-def: $vgpr26_vgpr27
	s_and_b64 s[2:3], s[2:3], vcc
	s_and_saveexec_b64 s[4:5], s[2:3]
	s_xor_b64 s[14:15], exec, s[4:5]
	s_cbranch_execz .LBB197_177
; %bb.166:                              ;   in Loop: Header=BB197_162 Depth=1
	v_cmp_le_f64_e32 vcc, 1.0, v[34:35]
                                        ; implicit-def: $vgpr28_vgpr29
                                        ; implicit-def: $vgpr26_vgpr27
	s_and_saveexec_b64 s[2:3], vcc
	s_xor_b64 s[16:17], exec, s[2:3]
	s_cbranch_execz .LBB197_168
; %bb.167:                              ;   in Loop: Header=BB197_162 Depth=1
	v_add_f64 v[26:27], v[34:35], -1.0
	v_add_f64 v[28:29], v[34:35], 1.0
	s_mov_b32 s31, s19
	s_mov_b32 s92, s76
	;; [unrolled: 1-line block ×4, first 2 shown]
	v_cmp_class_f64_e64 s[12:13], v[16:17], s42
	v_mul_f64 v[26:27], v[26:27], v[28:29]
	v_fma_f64 v[29:30], v[32:33], v[32:33], v[26:27]
	v_add_f64 v[26:27], v[29:30], 1.0
	v_cmp_nge_f64_e64 s[4:5], -1.0, v[29:30]
	v_cmp_neq_f64_e64 s[6:7], s[6:7], v[29:30]
	v_frexp_mant_f64_e32 v[33:34], v[26:27]
	v_frexp_exp_i32_f64_e32 v19, v[26:27]
	v_add_f64 v[31:32], v[26:27], -1.0
	v_cmp_gt_f64_e32 vcc, s[18:19], v[33:34]
	v_add_f64 v[35:36], v[31:32], -v[26:27]
	v_add_f64 v[31:32], v[29:30], -v[31:32]
	v_subbrev_co_u32_e32 v19, vcc, 0, v19, vcc
	v_sub_u32_e32 v28, 0, v19
	v_ldexp_f64 v[26:27], v[26:27], v28
	v_add_f64 v[33:34], v[35:36], 1.0
	v_add_f64 v[35:36], v[26:27], 1.0
	v_add_f64 v[31:32], v[31:32], v[33:34]
	v_add_f64 v[41:42], v[26:27], -1.0
	v_add_f64 v[33:34], v[35:36], -1.0
	v_ldexp_f64 v[31:32], v[31:32], v28
	v_add_f64 v[43:44], v[41:42], 1.0
	v_add_f64 v[33:34], v[26:27], -v[33:34]
	v_add_f64 v[26:27], v[26:27], -v[43:44]
	v_add_f64 v[37:38], v[31:32], v[33:34]
	v_add_f64 v[43:44], v[31:32], v[26:27]
	;; [unrolled: 1-line block ×3, first 2 shown]
	v_rcp_f64_e32 v[39:40], v[33:34]
	v_add_f64 v[35:36], v[33:34], -v[35:36]
	v_add_f64 v[37:38], v[37:38], -v[35:36]
	v_fma_f64 v[45:46], -v[33:34], v[39:40], 1.0
	v_fma_f64 v[39:40], v[45:46], v[39:40], v[39:40]
	v_add_f64 v[45:46], v[41:42], v[43:44]
	v_fma_f64 v[26:27], -v[33:34], v[39:40], 1.0
	v_add_f64 v[41:42], v[45:46], -v[41:42]
	v_fma_f64 v[26:27], v[26:27], v[39:40], v[39:40]
	v_add_f64 v[41:42], v[43:44], -v[41:42]
	v_mul_f64 v[31:32], v[45:46], v[26:27]
	v_mul_f64 v[39:40], v[33:34], v[31:32]
	v_fma_f64 v[35:36], v[31:32], v[33:34], -v[39:40]
	v_fma_f64 v[47:48], v[31:32], v[37:38], v[35:36]
	v_add_f64 v[49:50], v[39:40], v[47:48]
	v_add_f64 v[35:36], v[45:46], -v[49:50]
	v_add_f64 v[39:40], v[49:50], -v[39:40]
	;; [unrolled: 1-line block ×5, first 2 shown]
	v_add_f64 v[41:42], v[41:42], v[43:44]
	v_max_f64 v[43:44], |v[14:15]|, |v[14:15]|
	v_add_f64 v[39:40], v[39:40], v[41:42]
	v_max_f64 v[41:42], |v[16:17]|, |v[16:17]|
	v_add_f64 v[45:46], v[35:36], v[39:40]
	v_max_f64 v[47:48], v[43:44], v[41:42]
	v_min_f64 v[41:42], v[43:44], v[41:42]
	v_mul_f64 v[43:44], v[26:27], v[45:46]
	v_add_f64 v[35:36], v[35:36], -v[45:46]
	v_div_scale_f64 v[49:50], s[2:3], v[47:48], v[47:48], v[41:42]
	s_mov_b32 s2, 0x69efb384
	s_mov_b32 s3, 0x3f4b2bb0
	v_mul_f64 v[51:52], v[33:34], v[43:44]
	v_add_f64 v[35:36], v[39:40], v[35:36]
	v_fma_f64 v[33:34], v[43:44], v[33:34], -v[51:52]
	v_rcp_f64_e32 v[53:54], v[49:50]
	v_fma_f64 v[33:34], v[43:44], v[37:38], v[33:34]
	v_add_f64 v[37:38], v[51:52], v[33:34]
	v_fma_f64 v[55:56], -v[49:50], v[53:54], 1.0
	v_add_f64 v[66:67], v[45:46], -v[37:38]
	v_add_f64 v[39:40], v[37:38], -v[51:52]
	v_fma_f64 v[53:54], v[53:54], v[55:56], v[53:54]
	v_div_scale_f64 v[55:56], vcc, v[41:42], v[47:48], v[41:42]
	v_add_f64 v[45:46], v[45:46], -v[66:67]
	v_add_f64 v[33:34], v[39:40], -v[33:34]
	v_fma_f64 v[68:69], -v[49:50], v[53:54], 1.0
	v_add_f64 v[39:40], v[31:32], v[43:44]
	v_add_f64 v[37:38], v[45:46], -v[37:38]
	v_fma_f64 v[45:46], v[53:54], v[68:69], v[53:54]
	v_add_f64 v[31:32], v[39:40], -v[31:32]
	v_add_f64 v[35:36], v[35:36], v[37:38]
	v_mul_f64 v[37:38], v[55:56], v[45:46]
	v_add_f64 v[31:32], v[43:44], -v[31:32]
	v_add_f64 v[33:34], v[33:34], v[35:36]
	v_fma_f64 v[35:36], -v[49:50], v[37:38], v[55:56]
	v_add_f64 v[33:34], v[66:67], v[33:34]
	v_div_fmas_f64 v[35:36], v[35:36], v[45:46], v[37:38]
	v_cmp_gt_i32_e32 vcc, 0, v15
	v_cndmask_b32_e32 v28, v64, v65, vcc
	v_mul_f64 v[26:27], v[26:27], v[33:34]
	v_add_f64 v[26:27], v[31:32], v[26:27]
	v_div_fixup_f64 v[31:32], v[35:36], v[47:48], v[41:42]
	v_add_f64 v[33:34], v[39:40], v[26:27]
	v_mul_f64 v[35:36], v[31:32], v[31:32]
	v_mul_f64 v[37:38], v[33:34], v[33:34]
	v_fma_f64 v[41:42], v[35:36], s[38:39], v[22:23]
	v_cmp_class_f64_e64 s[38:39], v[14:15], s42
	v_ashrrev_i32_e32 v14, 31, v15
	v_fma_f64 v[43:44], v[37:38], s[20:21], v[20:21]
	v_mul_f64 v[45:46], v[33:34], v[37:38]
	v_fma_f64 v[41:42], v[35:36], v[41:42], s[2:3]
	s_mov_b32 s2, 0xaf56de9b
	s_mov_b32 s3, 0xbf67952d
	v_fma_f64 v[43:44], v[37:38], v[43:44], s[22:23]
	v_fma_f64 v[41:42], v[35:36], v[41:42], s[2:3]
	v_cmp_eq_f64_e64 s[2:3], 0, v[16:17]
	v_fma_f64 v[43:44], v[37:38], v[43:44], s[24:25]
	v_fma_f64 v[41:42], v[35:36], v[41:42], s[44:45]
	;; [unrolled: 1-line block ×7, first 2 shown]
	v_ldexp_f64 v[43:44], v[33:34], 1
	v_fma_f64 v[41:42], v[35:36], v[41:42], s[50:51]
	v_add_f64 v[33:34], v[33:34], -v[39:40]
	v_mul_f64 v[37:38], v[45:46], v[37:38]
	v_cvt_f64_i32_e32 v[45:46], v19
	v_fma_f64 v[41:42], v[35:36], v[41:42], s[52:53]
	v_add_f64 v[26:27], v[26:27], -v[33:34]
	v_cndmask_b32_e32 v19, v62, v63, vcc
	v_mul_f64 v[47:48], v[45:46], s[34:35]
	v_add_f64 v[39:40], v[43:44], v[37:38]
	v_fma_f64 v[41:42], v[35:36], v[41:42], s[54:55]
	v_ldexp_f64 v[26:27], v[26:27], 1
	v_add_f64 v[33:34], v[39:40], -v[43:44]
	v_fma_f64 v[43:44], v[45:46], s[34:35], -v[47:48]
	v_fma_f64 v[41:42], v[35:36], v[41:42], s[56:57]
	v_add_f64 v[33:34], v[37:38], -v[33:34]
	v_fma_f64 v[37:38], v[35:36], v[41:42], s[58:59]
	v_fma_f64 v[41:42], v[45:46], s[36:37], v[43:44]
	v_add_f64 v[26:27], v[26:27], v[33:34]
	v_fma_f64 v[33:34], v[35:36], v[37:38], s[60:61]
	v_add_f64 v[37:38], v[47:48], v[41:42]
	v_add_f64 v[43:44], v[39:40], v[26:27]
	v_fma_f64 v[33:34], v[35:36], v[33:34], s[62:63]
	v_add_f64 v[47:48], v[37:38], -v[47:48]
	v_add_f64 v[45:46], v[37:38], v[43:44]
	v_add_f64 v[39:40], v[43:44], -v[39:40]
	v_fma_f64 v[33:34], v[35:36], v[33:34], s[64:65]
	v_add_f64 v[41:42], v[41:42], -v[47:48]
	v_add_f64 v[49:50], v[45:46], -v[37:38]
	;; [unrolled: 1-line block ×3, first 2 shown]
	v_fma_f64 v[33:34], v[35:36], v[33:34], s[66:67]
	v_add_f64 v[51:52], v[45:46], -v[49:50]
	v_add_f64 v[39:40], v[43:44], -v[49:50]
	v_fma_f64 v[33:34], v[35:36], v[33:34], s[68:69]
	v_add_f64 v[43:44], v[41:42], v[26:27]
	v_add_f64 v[37:38], v[37:38], -v[51:52]
	v_fma_f64 v[33:34], v[35:36], v[33:34], s[70:71]
	v_add_f64 v[37:38], v[39:40], v[37:38]
	;; [unrolled: 3-line block ×3, first 2 shown]
	v_add_f64 v[43:44], v[43:44], -v[39:40]
	v_fma_f64 v[33:34], v[35:36], v[33:34], s[74:75]
	v_add_f64 v[26:27], v[26:27], -v[39:40]
	v_add_f64 v[47:48], v[45:46], v[37:38]
	v_mul_f64 v[33:34], v[35:36], v[33:34]
	v_add_f64 v[35:36], v[41:42], -v[43:44]
	v_add_f64 v[39:40], v[47:48], -v[45:46]
	v_fma_f64 v[31:32], v[31:32], v[33:34], v[31:32]
	v_add_f64 v[26:27], v[26:27], v[35:36]
	v_add_f64 v[33:34], v[37:38], -v[39:40]
	v_add_f64 v[35:36], -v[31:32], s[76:77]
	v_add_f64 v[26:27], v[26:27], v[33:34]
	v_cndmask_b32_e64 v32, v32, v36, s[0:1]
	v_cndmask_b32_e64 v31, v31, v35, s[0:1]
	v_add_f64 v[33:34], -v[31:32], s[92:93]
	v_and_b32_e32 v35, 0x54442d18, v14
	v_add_f64 v[26:27], v[47:48], v[26:27]
	v_cndmask_b32_e32 v31, v31, v33, vcc
	v_and_b32_e32 v33, 0x400921fb, v14
	v_cndmask_b32_e64 v31, v31, v35, s[2:3]
	v_mul_f64 v[14:15], v[26:27], 0.5
	v_cndmask_b32_e32 v27, v32, v34, vcc
	v_cndmask_b32_e64 v27, v27, v33, s[2:3]
	s_and_b64 s[2:3], s[4:5], s[6:7]
	v_bfi_b32 v26, s40, v28, v17
	s_and_b64 vcc, s[38:39], s[12:13]
	s_mov_b32 s38, 0xb5e68a13
	s_mov_b32 s39, 0x3eeba404
	v_cndmask_b32_e64 v28, 0, v14, s[2:3]
	v_cmp_ngt_f64_e64 s[2:3], -1.0, v[29:30]
	v_cndmask_b32_e64 v15, v59, v15, s[6:7]
	v_cndmask_b32_e32 v27, v27, v26, vcc
	v_cndmask_b32_e32 v26, v31, v19, vcc
                                        ; implicit-def: $vgpr32_vgpr33
                                        ; implicit-def: $vgpr34_vgpr35
	v_cndmask_b32_e64 v14, v60, v15, s[2:3]
	v_cmp_neq_f64_e64 s[2:3], -1.0, v[29:30]
	v_cndmask_b32_e64 v29, v61, v14, s[2:3]
.LBB197_168:                            ;   in Loop: Header=BB197_162 Depth=1
	s_andn2_saveexec_b64 s[16:17], s[16:17]
	s_cbranch_execz .LBB197_176
; %bb.169:                              ;   in Loop: Header=BB197_162 Depth=1
	v_mul_f64 v[26:27], v[32:33], v[32:33]
	s_mov_b32 s2, 0x66666666
	s_mov_b32 s3, 0x3fe66666
                                        ; implicit-def: $vgpr28_vgpr29
	v_fma_f64 v[30:31], v[34:35], v[34:35], v[26:27]
                                        ; implicit-def: $vgpr26_vgpr27
	v_cmp_ge_f64_e32 vcc, s[2:3], v[30:31]
	s_and_saveexec_b64 s[2:3], vcc
	s_xor_b64 s[6:7], exec, s[2:3]
	s_cbranch_execz .LBB197_171
; %bb.170:                              ;   in Loop: Header=BB197_162 Depth=1
	v_frexp_mant_f64_e32 v[26:27], v[30:31]
	v_max_f64 v[36:37], |v[16:17]|, |v[16:17]|
	v_max_f64 v[38:39], |v[14:15]|, |v[14:15]|
	s_mov_b32 s31, s19
	s_mov_b32 s92, s76
	v_cmp_class_f64_e64 s[12:13], v[16:17], s42
	v_cmp_gt_f64_e64 s[2:3], s[18:19], v[26:27]
	v_cndmask_b32_e64 v19, 0, 1, s[2:3]
	v_ldexp_f64 v[26:27], v[26:27], v19
	v_frexp_exp_i32_f64_e32 v19, v[30:31]
	v_add_f64 v[28:29], v[26:27], 1.0
	v_add_f64 v[42:43], v[26:27], -1.0
	v_rcp_f64_e32 v[32:33], v[28:29]
	v_add_f64 v[46:47], v[28:29], -1.0
	v_add_f64 v[26:27], v[26:27], -v[46:47]
	v_fma_f64 v[34:35], -v[28:29], v[32:33], 1.0
	v_fma_f64 v[32:33], v[34:35], v[32:33], v[32:33]
	v_max_f64 v[34:35], v[38:39], v[36:37]
	v_min_f64 v[36:37], v[38:39], v[36:37]
	v_fma_f64 v[38:39], -v[28:29], v[32:33], 1.0
	v_div_scale_f64 v[40:41], s[4:5], v[34:35], v[34:35], v[36:37]
	s_mov_b32 s4, 0x69efb384
	s_mov_b32 s5, 0x3f4b2bb0
	v_fma_f64 v[32:33], v[38:39], v[32:33], v[32:33]
	v_mul_f64 v[38:39], v[42:43], v[32:33]
	v_rcp_f64_e32 v[44:45], v[40:41]
	v_mul_f64 v[48:49], v[28:29], v[38:39]
	v_fma_f64 v[28:29], v[38:39], v[28:29], -v[48:49]
	v_fma_f64 v[46:47], -v[40:41], v[44:45], 1.0
	v_fma_f64 v[26:27], v[38:39], v[26:27], v[28:29]
	v_fma_f64 v[28:29], v[44:45], v[46:47], v[44:45]
	v_div_scale_f64 v[46:47], vcc, v[36:37], v[34:35], v[36:37]
	v_add_f64 v[44:45], v[48:49], v[26:27]
	v_fma_f64 v[50:51], -v[40:41], v[28:29], 1.0
	v_add_f64 v[52:53], v[42:43], -v[44:45]
	v_add_f64 v[48:49], v[44:45], -v[48:49]
	v_fma_f64 v[28:29], v[28:29], v[50:51], v[28:29]
	v_add_f64 v[42:43], v[42:43], -v[52:53]
	v_add_f64 v[26:27], v[48:49], -v[26:27]
	v_mul_f64 v[50:51], v[46:47], v[28:29]
	v_add_f64 v[42:43], v[42:43], -v[44:45]
	v_fma_f64 v[40:41], -v[40:41], v[50:51], v[46:47]
	v_add_f64 v[26:27], v[26:27], v[42:43]
	v_div_fmas_f64 v[28:29], v[40:41], v[28:29], v[50:51]
	v_subbrev_co_u32_e64 v19, vcc, 0, v19, s[2:3]
	v_cmp_eq_f64_e64 s[2:3], 0, v[16:17]
	v_cmp_gt_i32_e32 vcc, 0, v15
	v_add_f64 v[26:27], v[52:53], v[26:27]
	v_mul_f64 v[26:27], v[32:33], v[26:27]
	v_div_fixup_f64 v[28:29], v[28:29], v[34:35], v[36:37]
	v_add_f64 v[32:33], v[38:39], v[26:27]
	v_mul_f64 v[34:35], v[28:29], v[28:29]
	v_mul_f64 v[36:37], v[32:33], v[32:33]
	v_fma_f64 v[40:41], v[34:35], s[38:39], v[22:23]
	v_cmp_class_f64_e64 s[38:39], v[14:15], s42
	v_ashrrev_i32_e32 v14, 31, v15
	v_fma_f64 v[42:43], v[36:37], s[20:21], v[20:21]
	v_mul_f64 v[44:45], v[32:33], v[36:37]
	v_fma_f64 v[40:41], v[34:35], v[40:41], s[4:5]
	s_mov_b32 s4, 0xaf56de9b
	s_mov_b32 s5, 0xbf67952d
	v_fma_f64 v[42:43], v[36:37], v[42:43], s[22:23]
	v_fma_f64 v[40:41], v[34:35], v[40:41], s[4:5]
	v_cmp_neq_f64_e64 s[4:5], 0, v[30:31]
	v_fma_f64 v[42:43], v[36:37], v[42:43], s[24:25]
	v_fma_f64 v[40:41], v[34:35], v[40:41], s[44:45]
	;; [unrolled: 1-line block ×7, first 2 shown]
	v_ldexp_f64 v[42:43], v[32:33], 1
	v_fma_f64 v[40:41], v[34:35], v[40:41], s[50:51]
	v_add_f64 v[32:33], v[32:33], -v[38:39]
	v_mul_f64 v[36:37], v[44:45], v[36:37]
	v_cvt_f64_i32_e32 v[44:45], v19
	v_fma_f64 v[40:41], v[34:35], v[40:41], s[52:53]
	v_add_f64 v[26:27], v[26:27], -v[32:33]
	v_cndmask_b32_e32 v19, v62, v63, vcc
	v_mul_f64 v[46:47], v[44:45], s[34:35]
	v_add_f64 v[38:39], v[42:43], v[36:37]
	v_fma_f64 v[40:41], v[34:35], v[40:41], s[54:55]
	v_ldexp_f64 v[26:27], v[26:27], 1
	v_add_f64 v[32:33], v[38:39], -v[42:43]
	v_fma_f64 v[42:43], v[44:45], s[34:35], -v[46:47]
	v_fma_f64 v[40:41], v[34:35], v[40:41], s[56:57]
	v_add_f64 v[32:33], v[36:37], -v[32:33]
	v_fma_f64 v[36:37], v[34:35], v[40:41], s[58:59]
	v_fma_f64 v[40:41], v[44:45], s[36:37], v[42:43]
	v_add_f64 v[26:27], v[26:27], v[32:33]
	v_fma_f64 v[32:33], v[34:35], v[36:37], s[60:61]
	v_add_f64 v[36:37], v[46:47], v[40:41]
	v_add_f64 v[42:43], v[38:39], v[26:27]
	v_fma_f64 v[32:33], v[34:35], v[32:33], s[62:63]
	v_add_f64 v[46:47], v[36:37], -v[46:47]
	v_add_f64 v[44:45], v[36:37], v[42:43]
	v_add_f64 v[38:39], v[42:43], -v[38:39]
	v_fma_f64 v[32:33], v[34:35], v[32:33], s[64:65]
	v_add_f64 v[40:41], v[40:41], -v[46:47]
	v_add_f64 v[48:49], v[44:45], -v[36:37]
	;; [unrolled: 1-line block ×3, first 2 shown]
	v_fma_f64 v[32:33], v[34:35], v[32:33], s[66:67]
	v_add_f64 v[50:51], v[44:45], -v[48:49]
	v_add_f64 v[38:39], v[42:43], -v[48:49]
	v_fma_f64 v[32:33], v[34:35], v[32:33], s[68:69]
	v_add_f64 v[42:43], v[40:41], v[26:27]
	v_add_f64 v[36:37], v[36:37], -v[50:51]
	v_fma_f64 v[32:33], v[34:35], v[32:33], s[70:71]
	v_add_f64 v[36:37], v[38:39], v[36:37]
	;; [unrolled: 3-line block ×3, first 2 shown]
	v_add_f64 v[42:43], v[42:43], -v[38:39]
	v_fma_f64 v[32:33], v[34:35], v[32:33], s[74:75]
	v_add_f64 v[26:27], v[26:27], -v[38:39]
	v_add_f64 v[46:47], v[44:45], v[36:37]
	v_mul_f64 v[32:33], v[34:35], v[32:33]
	v_add_f64 v[34:35], v[40:41], -v[42:43]
	v_add_f64 v[38:39], v[46:47], -v[44:45]
	v_fma_f64 v[28:29], v[28:29], v[32:33], v[28:29]
	v_add_f64 v[26:27], v[26:27], v[34:35]
	v_add_f64 v[32:33], v[36:37], -v[38:39]
	v_add_f64 v[34:35], -v[28:29], s[76:77]
	v_add_f64 v[26:27], v[26:27], v[32:33]
	v_cndmask_b32_e64 v29, v29, v35, s[0:1]
	v_cndmask_b32_e64 v28, v28, v34, s[0:1]
	v_add_f64 v[32:33], -v[28:29], s[92:93]
	v_and_b32_e32 v34, 0x54442d18, v14
	v_and_b32_e32 v35, 0x400921fb, v14
	v_add_f64 v[26:27], v[46:47], v[26:27]
	v_cndmask_b32_e32 v28, v28, v32, vcc
	v_cndmask_b32_e32 v32, v64, v65, vcc
	v_cndmask_b32_e64 v30, v28, v34, s[2:3]
	v_mul_f64 v[14:15], v[26:27], 0.5
	v_cndmask_b32_e32 v27, v29, v33, vcc
	v_bfi_b32 v26, s40, v32, v17
	v_cndmask_b32_e64 v27, v27, v35, s[2:3]
	s_and_b64 vcc, s[38:39], s[12:13]
	s_mov_b32 s38, 0xb5e68a13
	s_mov_b32 s39, 0x3eeba404
	v_cndmask_b32_e32 v27, v27, v26, vcc
	v_cndmask_b32_e64 v29, v61, v15, s[4:5]
	v_cndmask_b32_e64 v28, 0, v14, s[4:5]
	v_cndmask_b32_e32 v26, v30, v19, vcc
                                        ; implicit-def: $vgpr34_vgpr35
                                        ; implicit-def: $vgpr32_vgpr33
.LBB197_171:                            ;   in Loop: Header=BB197_162 Depth=1
	s_andn2_saveexec_b64 s[80:81], s[6:7]
	s_cbranch_execz .LBB197_175
; %bb.172:                              ;   in Loop: Header=BB197_162 Depth=1
	v_and_b32_e32 v19, 0x7ffffff8, v35
	v_and_b32_e32 v29, 0x7ffffff8, v33
	v_mov_b32_e32 v28, v18
	v_add_f64 v[26:27], v[34:35], -v[18:19]
	v_add_f64 v[30:31], v[32:33], -v[28:29]
	v_mov_b32_e32 v34, v18
	v_mov_b32_e32 v42, v18
	v_add_f64 v[38:39], v[18:19], v[18:19]
	v_add_f64 v[40:41], v[28:29], v[28:29]
	v_mul_f64 v[28:29], v[28:29], v[28:29]
	s_mov_b64 s[12:13], 0
	v_and_b32_e32 v35, -8, v27
	v_and_b32_e32 v43, -8, v31
	v_add_f64 v[48:49], v[26:27], -v[34:35]
	v_add_f64 v[50:51], v[30:31], -v[42:43]
	v_add_f64 v[52:53], v[34:35], v[34:35]
	v_add_f64 v[54:55], v[42:43], v[42:43]
	v_mul_f64 v[26:27], v[18:19], v[18:19]
	v_mul_f64 v[32:33], v[38:39], v[34:35]
	;; [unrolled: 1-line block ×11, first 2 shown]
.LBB197_173:                            ;   Parent Loop BB197_162 Depth=1
                                        ; =>  This Inner Loop Header: Depth=2
	v_cmp_nlt_f64_e32 vcc, v[26:27], v[28:29]
	v_cndmask_b32_e32 v51, v27, v29, vcc
	v_cndmask_b32_e32 v50, v26, v28, vcc
	v_cmp_nlt_f64_e64 s[2:3], v[50:51], v[32:33]
	v_cndmask_b32_e32 v27, v29, v27, vcc
	v_cndmask_b32_e32 v26, v28, v26, vcc
	v_cndmask_b32_e64 v53, v51, v33, s[2:3]
	v_cndmask_b32_e64 v52, v50, v32, s[2:3]
	v_cmp_nlt_f64_e64 s[4:5], v[52:53], v[30:31]
	v_cndmask_b32_e64 v29, v33, v51, s[2:3]
	v_cndmask_b32_e64 v28, v32, v50, s[2:3]
	s_and_b64 s[38:39], vcc, s[2:3]
	v_cndmask_b32_e64 v55, v53, v31, s[4:5]
	v_cndmask_b32_e64 v54, v52, v30, s[4:5]
	v_cmp_nlt_f64_e64 s[6:7], v[54:55], v[36:37]
	v_cndmask_b32_e64 v33, v31, v53, s[4:5]
	v_cndmask_b32_e64 v32, v30, v52, s[4:5]
	;; [unrolled: 1-line block ×4, first 2 shown]
	v_cmp_nlt_f64_e32 vcc, v[50:51], v[42:43]
	v_cndmask_b32_e64 v31, v37, v55, s[6:7]
	v_cndmask_b32_e64 v30, v36, v54, s[6:7]
	s_and_b64 s[6:7], s[4:5], s[6:7]
	v_cndmask_b32_e32 v53, v51, v43, vcc
	v_cndmask_b32_e32 v52, v50, v42, vcc
	v_cmp_nlt_f64_e64 s[2:3], v[52:53], v[46:47]
	v_cndmask_b32_e32 v37, v43, v51, vcc
	v_cndmask_b32_e32 v36, v42, v50, vcc
	v_cndmask_b32_e64 v51, v53, v47, s[2:3]
	v_cndmask_b32_e64 v50, v52, v46, s[2:3]
	v_cmp_nlt_f64_e64 s[4:5], v[50:51], v[44:45]
	v_cndmask_b32_e64 v43, v47, v53, s[2:3]
	v_cndmask_b32_e64 v42, v46, v52, s[2:3]
	s_and_b64 s[2:3], vcc, s[2:3]
	v_cndmask_b32_e64 v53, v51, v45, s[4:5]
	v_cndmask_b32_e64 v52, v50, v44, s[4:5]
	v_cmp_nlt_f64_e32 vcc, v[52:53], v[40:41]
	v_cndmask_b32_e64 v47, v45, v51, s[4:5]
	v_cndmask_b32_e64 v46, v44, v50, s[4:5]
	s_and_b64 s[4:5], s[2:3], s[4:5]
	v_cndmask_b32_e32 v51, v53, v41, vcc
	v_cndmask_b32_e32 v50, v52, v40, vcc
	v_cmp_nlt_f64_e64 s[2:3], v[50:51], v[38:39]
	v_cndmask_b32_e32 v45, v41, v53, vcc
	v_cndmask_b32_e32 v44, v40, v52, vcc
	s_and_b64 s[4:5], s[4:5], vcc
	v_cndmask_b32_e64 v53, v51, v39, s[2:3]
	v_cndmask_b32_e64 v52, v50, v38, s[2:3]
	v_cmp_nlt_f64_e32 vcc, v[52:53], v[34:35]
	v_cndmask_b32_e64 v41, v39, v51, s[2:3]
	v_cndmask_b32_e64 v40, v38, v50, s[2:3]
	s_and_b64 s[4:5], s[4:5], s[2:3]
	v_cndmask_b32_e32 v55, v53, v35, vcc
	v_cndmask_b32_e32 v54, v52, v34, vcc
	v_cmp_nlt_f64_e64 s[2:3], v[54:55], v[48:49]
	s_and_b64 s[4:5], s[4:5], vcc
	v_cndmask_b32_e32 v39, v35, v53, vcc
	v_cndmask_b32_e32 v38, v34, v52, vcc
	v_cndmask_b32_e64 v51, v55, v49, s[2:3]
	v_cndmask_b32_e64 v50, v54, v48, s[2:3]
	;; [unrolled: 1-line block ×4, first 2 shown]
	s_and_b64 s[2:3], s[4:5], s[2:3]
	s_and_b64 s[2:3], s[2:3], s[6:7]
	;; [unrolled: 1-line block ×3, first 2 shown]
	s_and_b64 s[2:3], exec, s[2:3]
	v_mov_b32_e32 v48, v50
	s_or_b64 s[12:13], s[2:3], s[12:13]
	v_mov_b32_e32 v49, v51
	s_andn2_b64 exec, exec, s[12:13]
	s_cbranch_execnz .LBB197_173
; %bb.174:                              ;   in Loop: Header=BB197_162 Depth=1
	s_or_b64 exec, exec, s[12:13]
	v_add_f64 v[26:27], v[26:27], -1.0
	s_mov_b32 s31, s19
	s_mov_b32 s92, s76
	;; [unrolled: 1-line block ×4, first 2 shown]
	v_cmp_class_f64_e64 s[38:39], v[14:15], s42
	v_cmp_class_f64_e64 s[12:13], v[16:17], s42
	v_add_f64 v[26:27], v[26:27], v[28:29]
	v_add_f64 v[26:27], v[26:27], v[32:33]
	;; [unrolled: 1-line block ×11, first 2 shown]
	v_add_f64 v[26:27], v[29:30], 1.0
	v_cmp_nge_f64_e64 s[4:5], -1.0, v[29:30]
	v_cmp_neq_f64_e64 s[6:7], s[6:7], v[29:30]
	v_frexp_mant_f64_e32 v[33:34], v[26:27]
	v_frexp_exp_i32_f64_e32 v19, v[26:27]
	v_add_f64 v[31:32], v[26:27], -1.0
	v_cmp_gt_f64_e32 vcc, s[18:19], v[33:34]
	v_add_f64 v[35:36], v[31:32], -v[26:27]
	v_add_f64 v[31:32], v[29:30], -v[31:32]
	v_subbrev_co_u32_e32 v19, vcc, 0, v19, vcc
	v_sub_u32_e32 v28, 0, v19
	v_ldexp_f64 v[26:27], v[26:27], v28
	v_add_f64 v[33:34], v[35:36], 1.0
	v_add_f64 v[35:36], v[26:27], 1.0
	v_add_f64 v[31:32], v[31:32], v[33:34]
	v_add_f64 v[41:42], v[26:27], -1.0
	v_add_f64 v[33:34], v[35:36], -1.0
	v_ldexp_f64 v[31:32], v[31:32], v28
	v_add_f64 v[43:44], v[41:42], 1.0
	v_add_f64 v[33:34], v[26:27], -v[33:34]
	v_add_f64 v[26:27], v[26:27], -v[43:44]
	v_add_f64 v[37:38], v[31:32], v[33:34]
	v_add_f64 v[43:44], v[31:32], v[26:27]
	;; [unrolled: 1-line block ×3, first 2 shown]
	v_rcp_f64_e32 v[39:40], v[33:34]
	v_add_f64 v[35:36], v[33:34], -v[35:36]
	v_add_f64 v[37:38], v[37:38], -v[35:36]
	v_fma_f64 v[45:46], -v[33:34], v[39:40], 1.0
	v_fma_f64 v[39:40], v[45:46], v[39:40], v[39:40]
	v_add_f64 v[45:46], v[41:42], v[43:44]
	v_fma_f64 v[26:27], -v[33:34], v[39:40], 1.0
	v_add_f64 v[41:42], v[45:46], -v[41:42]
	v_fma_f64 v[26:27], v[26:27], v[39:40], v[39:40]
	v_add_f64 v[41:42], v[43:44], -v[41:42]
	v_mul_f64 v[31:32], v[45:46], v[26:27]
	v_mul_f64 v[39:40], v[33:34], v[31:32]
	v_fma_f64 v[35:36], v[31:32], v[33:34], -v[39:40]
	v_fma_f64 v[47:48], v[31:32], v[37:38], v[35:36]
	v_add_f64 v[49:50], v[39:40], v[47:48]
	v_add_f64 v[35:36], v[45:46], -v[49:50]
	v_add_f64 v[39:40], v[49:50], -v[39:40]
	;; [unrolled: 1-line block ×5, first 2 shown]
	v_add_f64 v[41:42], v[41:42], v[43:44]
	v_max_f64 v[43:44], |v[14:15]|, |v[14:15]|
	v_ashrrev_i32_e32 v14, 31, v15
	v_add_f64 v[39:40], v[39:40], v[41:42]
	v_max_f64 v[41:42], |v[16:17]|, |v[16:17]|
	v_add_f64 v[45:46], v[35:36], v[39:40]
	v_max_f64 v[47:48], v[43:44], v[41:42]
	v_min_f64 v[41:42], v[43:44], v[41:42]
	v_mul_f64 v[43:44], v[26:27], v[45:46]
	v_add_f64 v[35:36], v[35:36], -v[45:46]
	v_div_scale_f64 v[49:50], s[2:3], v[47:48], v[47:48], v[41:42]
	s_mov_b32 s2, 0xb5e68a13
	s_mov_b32 s3, 0x3eeba404
	v_mul_f64 v[51:52], v[33:34], v[43:44]
	v_add_f64 v[35:36], v[39:40], v[35:36]
	v_fma_f64 v[33:34], v[43:44], v[33:34], -v[51:52]
	v_rcp_f64_e32 v[53:54], v[49:50]
	v_fma_f64 v[33:34], v[43:44], v[37:38], v[33:34]
	v_add_f64 v[37:38], v[51:52], v[33:34]
	v_fma_f64 v[55:56], -v[49:50], v[53:54], 1.0
	v_add_f64 v[66:67], v[45:46], -v[37:38]
	v_add_f64 v[39:40], v[37:38], -v[51:52]
	v_fma_f64 v[53:54], v[53:54], v[55:56], v[53:54]
	v_div_scale_f64 v[55:56], vcc, v[41:42], v[47:48], v[41:42]
	v_add_f64 v[45:46], v[45:46], -v[66:67]
	v_add_f64 v[33:34], v[39:40], -v[33:34]
	v_fma_f64 v[68:69], -v[49:50], v[53:54], 1.0
	v_add_f64 v[39:40], v[31:32], v[43:44]
	v_add_f64 v[37:38], v[45:46], -v[37:38]
	v_fma_f64 v[45:46], v[53:54], v[68:69], v[53:54]
	v_add_f64 v[31:32], v[39:40], -v[31:32]
	v_add_f64 v[35:36], v[35:36], v[37:38]
	v_mul_f64 v[37:38], v[55:56], v[45:46]
	v_add_f64 v[31:32], v[43:44], -v[31:32]
	v_add_f64 v[33:34], v[33:34], v[35:36]
	v_fma_f64 v[35:36], -v[49:50], v[37:38], v[55:56]
	v_add_f64 v[33:34], v[66:67], v[33:34]
	v_div_fmas_f64 v[35:36], v[35:36], v[45:46], v[37:38]
	v_cmp_gt_i32_e32 vcc, 0, v15
	v_cndmask_b32_e32 v28, v64, v65, vcc
	v_mul_f64 v[26:27], v[26:27], v[33:34]
	v_add_f64 v[26:27], v[31:32], v[26:27]
	v_div_fixup_f64 v[31:32], v[35:36], v[47:48], v[41:42]
	v_add_f64 v[33:34], v[39:40], v[26:27]
	v_mul_f64 v[35:36], v[31:32], v[31:32]
	v_mul_f64 v[37:38], v[33:34], v[33:34]
	v_fma_f64 v[41:42], v[35:36], s[2:3], v[22:23]
	s_mov_b32 s2, 0x69efb384
	s_mov_b32 s3, 0x3f4b2bb0
	v_fma_f64 v[43:44], v[37:38], s[20:21], v[20:21]
	v_mul_f64 v[45:46], v[33:34], v[37:38]
	v_fma_f64 v[41:42], v[35:36], v[41:42], s[2:3]
	s_mov_b32 s2, 0xaf56de9b
	s_mov_b32 s3, 0xbf67952d
	v_fma_f64 v[43:44], v[37:38], v[43:44], s[22:23]
	v_fma_f64 v[41:42], v[35:36], v[41:42], s[2:3]
	v_cmp_eq_f64_e64 s[2:3], 0, v[16:17]
	v_fma_f64 v[43:44], v[37:38], v[43:44], s[24:25]
	v_fma_f64 v[41:42], v[35:36], v[41:42], s[44:45]
	v_fma_f64 v[43:44], v[37:38], v[43:44], s[26:27]
	v_fma_f64 v[41:42], v[35:36], v[41:42], s[46:47]
	v_fma_f64 v[43:44], v[37:38], v[43:44], s[28:29]
	v_fma_f64 v[41:42], v[35:36], v[41:42], s[48:49]
	v_fma_f64 v[37:38], v[37:38], v[43:44], s[30:31]
	v_ldexp_f64 v[43:44], v[33:34], 1
	v_fma_f64 v[41:42], v[35:36], v[41:42], s[50:51]
	v_add_f64 v[33:34], v[33:34], -v[39:40]
	v_mul_f64 v[37:38], v[45:46], v[37:38]
	v_cvt_f64_i32_e32 v[45:46], v19
	v_fma_f64 v[41:42], v[35:36], v[41:42], s[52:53]
	v_add_f64 v[26:27], v[26:27], -v[33:34]
	v_cndmask_b32_e32 v19, v62, v63, vcc
	v_mul_f64 v[47:48], v[45:46], s[34:35]
	v_add_f64 v[39:40], v[43:44], v[37:38]
	v_fma_f64 v[41:42], v[35:36], v[41:42], s[54:55]
	v_ldexp_f64 v[26:27], v[26:27], 1
	v_add_f64 v[33:34], v[39:40], -v[43:44]
	v_fma_f64 v[43:44], v[45:46], s[34:35], -v[47:48]
	v_fma_f64 v[41:42], v[35:36], v[41:42], s[56:57]
	v_add_f64 v[33:34], v[37:38], -v[33:34]
	v_fma_f64 v[37:38], v[35:36], v[41:42], s[58:59]
	v_fma_f64 v[41:42], v[45:46], s[36:37], v[43:44]
	v_add_f64 v[26:27], v[26:27], v[33:34]
	v_fma_f64 v[33:34], v[35:36], v[37:38], s[60:61]
	v_add_f64 v[37:38], v[47:48], v[41:42]
	v_add_f64 v[43:44], v[39:40], v[26:27]
	v_fma_f64 v[33:34], v[35:36], v[33:34], s[62:63]
	v_add_f64 v[47:48], v[37:38], -v[47:48]
	v_add_f64 v[45:46], v[37:38], v[43:44]
	v_add_f64 v[39:40], v[43:44], -v[39:40]
	v_fma_f64 v[33:34], v[35:36], v[33:34], s[64:65]
	v_add_f64 v[41:42], v[41:42], -v[47:48]
	v_add_f64 v[49:50], v[45:46], -v[37:38]
	;; [unrolled: 1-line block ×3, first 2 shown]
	v_fma_f64 v[33:34], v[35:36], v[33:34], s[66:67]
	v_add_f64 v[51:52], v[45:46], -v[49:50]
	v_add_f64 v[39:40], v[43:44], -v[49:50]
	v_fma_f64 v[33:34], v[35:36], v[33:34], s[68:69]
	v_add_f64 v[43:44], v[41:42], v[26:27]
	v_add_f64 v[37:38], v[37:38], -v[51:52]
	v_fma_f64 v[33:34], v[35:36], v[33:34], s[70:71]
	v_add_f64 v[37:38], v[39:40], v[37:38]
	;; [unrolled: 3-line block ×3, first 2 shown]
	v_add_f64 v[43:44], v[43:44], -v[39:40]
	v_fma_f64 v[33:34], v[35:36], v[33:34], s[74:75]
	v_add_f64 v[26:27], v[26:27], -v[39:40]
	v_add_f64 v[47:48], v[45:46], v[37:38]
	v_mul_f64 v[33:34], v[35:36], v[33:34]
	v_add_f64 v[35:36], v[41:42], -v[43:44]
	v_add_f64 v[39:40], v[47:48], -v[45:46]
	v_fma_f64 v[31:32], v[31:32], v[33:34], v[31:32]
	v_add_f64 v[26:27], v[26:27], v[35:36]
	v_add_f64 v[33:34], v[37:38], -v[39:40]
	v_add_f64 v[35:36], -v[31:32], s[76:77]
	v_add_f64 v[26:27], v[26:27], v[33:34]
	v_cndmask_b32_e64 v32, v32, v36, s[0:1]
	v_cndmask_b32_e64 v31, v31, v35, s[0:1]
	v_add_f64 v[33:34], -v[31:32], s[92:93]
	v_and_b32_e32 v35, 0x54442d18, v14
	v_add_f64 v[26:27], v[47:48], v[26:27]
	v_cndmask_b32_e32 v31, v31, v33, vcc
	v_and_b32_e32 v33, 0x400921fb, v14
	v_cndmask_b32_e64 v31, v31, v35, s[2:3]
	v_mul_f64 v[14:15], v[26:27], 0.5
	v_cndmask_b32_e32 v27, v32, v34, vcc
	v_cndmask_b32_e64 v27, v27, v33, s[2:3]
	s_and_b64 s[2:3], s[4:5], s[6:7]
	v_bfi_b32 v26, s40, v28, v17
	s_and_b64 vcc, s[38:39], s[12:13]
	s_mov_b32 s38, 0xb5e68a13
	s_mov_b32 s39, 0x3eeba404
	v_cndmask_b32_e64 v28, 0, v14, s[2:3]
	v_cmp_ngt_f64_e64 s[2:3], -1.0, v[29:30]
	v_cndmask_b32_e64 v15, v59, v15, s[6:7]
	v_cndmask_b32_e32 v27, v27, v26, vcc
	v_cndmask_b32_e32 v26, v31, v19, vcc
	v_cndmask_b32_e64 v14, v60, v15, s[2:3]
	v_cmp_neq_f64_e64 s[2:3], -1.0, v[29:30]
	v_cndmask_b32_e64 v29, v61, v14, s[2:3]
.LBB197_175:                            ;   in Loop: Header=BB197_162 Depth=1
	s_or_b64 exec, exec, s[80:81]
.LBB197_176:                            ;   in Loop: Header=BB197_162 Depth=1
	s_or_b64 exec, exec, s[16:17]
.LBB197_177:                            ;   in Loop: Header=BB197_162 Depth=1
	s_andn2_saveexec_b64 s[6:7], s[14:15]
	s_cbranch_execz .LBB197_179
; %bb.178:                              ;   in Loop: Header=BB197_162 Depth=1
	v_max_f64 v[26:27], |v[16:17]|, |v[16:17]|
	v_max_f64 v[31:32], |v[14:15]|, |v[14:15]|
	v_cmp_class_f64_e64 s[14:15], v[14:15], s42
	v_cmp_class_f64_e64 s[16:17], v[16:17], s42
	s_mov_b32 s31, s19
	s_mov_b32 s92, s76
	v_max_f64 v[33:34], v[31:32], v[26:27]
	v_min_f64 v[26:27], v[31:32], v[26:27]
	v_frexp_exp_i32_f64_e32 v19, v[33:34]
	v_sub_u32_e32 v30, 0, v19
	v_ldexp_f64 v[28:29], |v[16:17]|, v30
	v_ldexp_f64 v[35:36], |v[14:15]|, v30
	v_mul_f64 v[28:29], v[28:29], v[28:29]
	v_fma_f64 v[28:29], v[35:36], v[35:36], v[28:29]
	v_rsq_f64_e32 v[35:36], v[28:29]
	v_cmp_eq_f64_e32 vcc, 0, v[28:29]
	v_mul_f64 v[37:38], v[28:29], v[35:36]
	v_mul_f64 v[35:36], v[35:36], 0.5
	v_fma_f64 v[39:40], -v[35:36], v[37:38], 0.5
	v_fma_f64 v[37:38], v[37:38], v[39:40], v[37:38]
	v_fma_f64 v[35:36], v[35:36], v[39:40], v[35:36]
	v_fma_f64 v[39:40], -v[37:38], v[37:38], v[28:29]
	v_fma_f64 v[35:36], v[39:40], v[35:36], v[37:38]
	v_cndmask_b32_e32 v29, v36, v29, vcc
	v_cndmask_b32_e32 v28, v35, v28, vcc
	v_ldexp_f64 v[28:29], v[28:29], v19
	s_or_b64 vcc, s[14:15], s[16:17]
	v_cndmask_b32_e32 v30, v29, v59, vcc
	v_cndmask_b32_e64 v29, v28, 0, vcc
	v_frexp_mant_f64_e32 v[35:36], v[29:30]
	v_cmp_gt_f64_e64 s[2:3], s[18:19], v[35:36]
	v_cndmask_b32_e64 v14, 0, 1, s[2:3]
	v_ldexp_f64 v[35:36], v[35:36], v14
	v_frexp_exp_i32_f64_e32 v14, v[29:30]
	v_add_f64 v[37:38], v[35:36], 1.0
	v_add_f64 v[43:44], v[35:36], -1.0
	v_rcp_f64_e32 v[39:40], v[37:38]
	v_add_f64 v[47:48], v[37:38], -1.0
	v_add_f64 v[35:36], v[35:36], -v[47:48]
	v_fma_f64 v[41:42], -v[37:38], v[39:40], 1.0
	v_fma_f64 v[31:32], v[41:42], v[39:40], v[39:40]
	v_div_scale_f64 v[39:40], s[4:5], v[33:34], v[33:34], v[26:27]
	s_mov_b32 s4, 0x69efb384
	s_mov_b32 s5, 0x3f4b2bb0
	v_fma_f64 v[41:42], -v[37:38], v[31:32], 1.0
	v_fma_f64 v[31:32], v[41:42], v[31:32], v[31:32]
	v_rcp_f64_e32 v[41:42], v[39:40]
	v_mul_f64 v[45:46], v[43:44], v[31:32]
	v_mul_f64 v[49:50], v[37:38], v[45:46]
	v_fma_f64 v[51:52], -v[39:40], v[41:42], 1.0
	v_fma_f64 v[37:38], v[45:46], v[37:38], -v[49:50]
	v_fma_f64 v[41:42], v[41:42], v[51:52], v[41:42]
	v_fma_f64 v[35:36], v[45:46], v[35:36], v[37:38]
	v_div_scale_f64 v[37:38], vcc, v[26:27], v[33:34], v[26:27]
	v_fma_f64 v[47:48], -v[39:40], v[41:42], 1.0
	v_add_f64 v[51:52], v[49:50], v[35:36]
	v_fma_f64 v[41:42], v[41:42], v[47:48], v[41:42]
	v_add_f64 v[47:48], v[43:44], -v[51:52]
	v_add_f64 v[49:50], v[51:52], -v[49:50]
	v_mul_f64 v[53:54], v[37:38], v[41:42]
	v_add_f64 v[43:44], v[43:44], -v[47:48]
	v_add_f64 v[35:36], v[49:50], -v[35:36]
	v_fma_f64 v[37:38], -v[39:40], v[53:54], v[37:38]
	v_add_f64 v[39:40], v[43:44], -v[51:52]
	v_div_fmas_f64 v[37:38], v[37:38], v[41:42], v[53:54]
	v_subbrev_co_u32_e64 v14, vcc, 0, v14, s[2:3]
	v_cmp_eq_f64_e64 s[2:3], 0, v[16:17]
	v_cmp_gt_i32_e32 vcc, 0, v15
	v_add_f64 v[35:36], v[35:36], v[39:40]
	v_cndmask_b32_e32 v19, v62, v63, vcc
	v_add_f64 v[35:36], v[47:48], v[35:36]
	v_div_fixup_f64 v[26:27], v[37:38], v[33:34], v[26:27]
	v_mul_f64 v[31:32], v[31:32], v[35:36]
	v_mul_f64 v[33:34], v[26:27], v[26:27]
	v_add_f64 v[35:36], v[45:46], v[31:32]
	v_fma_f64 v[37:38], v[33:34], s[38:39], v[22:23]
	v_mul_f64 v[39:40], v[35:36], v[35:36]
	v_fma_f64 v[37:38], v[33:34], v[37:38], s[4:5]
	s_mov_b32 s4, 0xaf56de9b
	s_mov_b32 s5, 0xbf67952d
	v_fma_f64 v[41:42], v[39:40], s[20:21], v[20:21]
	v_mul_f64 v[43:44], v[35:36], v[39:40]
	v_fma_f64 v[37:38], v[33:34], v[37:38], s[4:5]
	v_cmp_class_f64_e64 s[4:5], v[29:30], s42
	v_fma_f64 v[41:42], v[39:40], v[41:42], s[22:23]
	v_fma_f64 v[37:38], v[33:34], v[37:38], s[44:45]
	;; [unrolled: 1-line block ×9, first 2 shown]
	v_ldexp_f64 v[41:42], v[35:36], 1
	v_add_f64 v[35:36], v[35:36], -v[45:46]
	v_fma_f64 v[37:38], v[33:34], v[37:38], s[52:53]
	v_cvt_f64_i32_e32 v[45:46], v14
	v_ashrrev_i32_e32 v14, 31, v15
	v_and_b32_e32 v28, 0x54442d18, v14
	v_mul_f64 v[39:40], v[43:44], v[39:40]
	v_mul_f64 v[47:48], v[45:46], s[34:35]
	v_add_f64 v[31:32], v[31:32], -v[35:36]
	v_fma_f64 v[37:38], v[33:34], v[37:38], s[54:55]
	v_add_f64 v[43:44], v[41:42], v[39:40]
	v_ldexp_f64 v[31:32], v[31:32], 1
	v_fma_f64 v[37:38], v[33:34], v[37:38], s[56:57]
	v_add_f64 v[35:36], v[43:44], -v[41:42]
	v_fma_f64 v[41:42], v[45:46], s[34:35], -v[47:48]
	v_fma_f64 v[37:38], v[33:34], v[37:38], s[58:59]
	v_add_f64 v[35:36], v[39:40], -v[35:36]
	v_fma_f64 v[39:40], v[45:46], s[36:37], v[41:42]
	v_fma_f64 v[37:38], v[33:34], v[37:38], s[60:61]
	v_add_f64 v[31:32], v[31:32], v[35:36]
	v_fma_f64 v[35:36], v[33:34], v[37:38], s[62:63]
	v_add_f64 v[37:38], v[47:48], v[39:40]
	v_add_f64 v[41:42], v[43:44], v[31:32]
	v_fma_f64 v[35:36], v[33:34], v[35:36], s[64:65]
	v_add_f64 v[47:48], v[37:38], -v[47:48]
	v_add_f64 v[45:46], v[37:38], v[41:42]
	v_add_f64 v[43:44], v[41:42], -v[43:44]
	v_fma_f64 v[35:36], v[33:34], v[35:36], s[66:67]
	v_add_f64 v[39:40], v[39:40], -v[47:48]
	v_add_f64 v[49:50], v[45:46], -v[37:38]
	;; [unrolled: 1-line block ×3, first 2 shown]
	v_fma_f64 v[35:36], v[33:34], v[35:36], s[68:69]
	v_add_f64 v[51:52], v[45:46], -v[49:50]
	v_add_f64 v[41:42], v[41:42], -v[49:50]
	v_add_f64 v[43:44], v[39:40], v[31:32]
	v_fma_f64 v[35:36], v[33:34], v[35:36], s[70:71]
	v_add_f64 v[37:38], v[37:38], -v[51:52]
	v_fma_f64 v[35:36], v[33:34], v[35:36], s[72:73]
	v_add_f64 v[37:38], v[41:42], v[37:38]
	v_add_f64 v[41:42], v[43:44], -v[39:40]
	v_fma_f64 v[35:36], v[33:34], v[35:36], s[74:75]
	v_add_f64 v[37:38], v[43:44], v[37:38]
	v_add_f64 v[31:32], v[31:32], -v[41:42]
	v_mul_f64 v[33:34], v[33:34], v[35:36]
	v_add_f64 v[35:36], v[43:44], -v[41:42]
	v_add_f64 v[43:44], v[45:46], v[37:38]
	v_fma_f64 v[26:27], v[26:27], v[33:34], v[26:27]
	v_add_f64 v[33:34], v[39:40], -v[35:36]
	v_add_f64 v[35:36], v[43:44], -v[45:46]
	v_add_f64 v[39:40], -v[26:27], s[76:77]
	v_add_f64 v[31:32], v[31:32], v[33:34]
	v_add_f64 v[33:34], v[37:38], -v[35:36]
	v_cndmask_b32_e64 v27, v27, v40, s[0:1]
	v_cndmask_b32_e64 v26, v26, v39, s[0:1]
	v_add_f64 v[35:36], -v[26:27], s[92:93]
	v_add_f64 v[31:32], v[31:32], v[33:34]
	v_and_b32_e32 v34, 0x400921fb, v14
	v_cndmask_b32_e32 v33, v64, v65, vcc
	v_cndmask_b32_e32 v26, v26, v35, vcc
	;; [unrolled: 1-line block ×3, first 2 shown]
	v_cndmask_b32_e64 v26, v26, v28, s[2:3]
	v_add_f64 v[14:15], v[43:44], v[31:32]
	v_cndmask_b32_e64 v27, v27, v34, s[2:3]
	v_cmp_ngt_f64_e64 s[2:3], 0, v[29:30]
	v_bfi_b32 v31, s40, v33, v17
	s_and_b64 vcc, s[14:15], s[16:17]
	v_cndmask_b32_e32 v27, v27, v31, vcc
	v_cndmask_b32_e32 v26, v26, v19, vcc
	v_cndmask_b32_e64 v15, v15, v30, s[4:5]
	v_cndmask_b32_e64 v14, v14, v29, s[4:5]
	;; [unrolled: 1-line block ×3, first 2 shown]
	v_cmp_nge_f64_e64 s[2:3], 0, v[29:30]
	v_cndmask_b32_e64 v28, 0, v14, s[2:3]
	v_cmp_neq_f64_e64 s[2:3], 0, v[29:30]
	v_cndmask_b32_e64 v29, v61, v15, s[2:3]
.LBB197_179:                            ;   in Loop: Header=BB197_162 Depth=1
	s_or_b64 exec, exec, s[6:7]
                                        ; implicit-def: $vgpr32_vgpr33
.LBB197_180:                            ;   in Loop: Header=BB197_162 Depth=1
	s_andn2_saveexec_b64 s[6:7], s[86:87]
	s_cbranch_execz .LBB197_186
; %bb.181:                              ;   in Loop: Header=BB197_162 Depth=1
	s_mov_b32 s2, 0x6a3f9475
	s_mov_b32 s3, 0x20ca2fe7
	v_cmp_ngt_f64_e32 vcc, s[2:3], v[32:33]
                                        ; implicit-def: $vgpr28_vgpr29
                                        ; implicit-def: $vgpr26_vgpr27
	s_and_saveexec_b64 s[2:3], vcc
	s_xor_b64 s[14:15], exec, s[2:3]
	s_cbranch_execz .LBB197_183
; %bb.182:                              ;   in Loop: Header=BB197_162 Depth=1
	v_mul_f64 v[26:27], v[32:33], v[32:33]
	s_mov_b32 s31, s19
	s_mov_b32 s92, s76
	;; [unrolled: 1-line block ×3, first 2 shown]
	v_cmp_class_f64_e64 s[12:13], v[16:17], s42
	v_cmp_class_f64_e64 s[16:17], v[14:15], s42
	s_mov_b32 s5, 0x7ff00000
	v_add_f64 v[28:29], v[26:27], 1.0
	v_cmp_neq_f64_e64 s[4:5], s[4:5], v[26:27]
	v_frexp_mant_f64_e32 v[32:33], v[28:29]
	v_frexp_exp_i32_f64_e32 v19, v[28:29]
	v_add_f64 v[30:31], v[28:29], -1.0
	v_cmp_gt_f64_e32 vcc, s[18:19], v[32:33]
	v_add_f64 v[34:35], v[30:31], -v[28:29]
	v_add_f64 v[30:31], v[26:27], -v[30:31]
	v_subbrev_co_u32_e32 v19, vcc, 0, v19, vcc
	v_sub_u32_e32 v36, 0, v19
	v_ldexp_f64 v[28:29], v[28:29], v36
	v_add_f64 v[32:33], v[34:35], 1.0
	v_add_f64 v[34:35], v[28:29], 1.0
	v_add_f64 v[30:31], v[30:31], v[32:33]
	v_add_f64 v[40:41], v[28:29], -1.0
	v_add_f64 v[32:33], v[34:35], -1.0
	v_ldexp_f64 v[30:31], v[30:31], v36
	v_add_f64 v[42:43], v[40:41], 1.0
	v_add_f64 v[32:33], v[28:29], -v[32:33]
	v_add_f64 v[28:29], v[28:29], -v[42:43]
	v_add_f64 v[36:37], v[30:31], v[32:33]
	v_add_f64 v[42:43], v[30:31], v[28:29]
	;; [unrolled: 1-line block ×3, first 2 shown]
	v_rcp_f64_e32 v[38:39], v[32:33]
	v_add_f64 v[34:35], v[34:35], -v[32:33]
	v_add_f64 v[36:37], v[36:37], v[34:35]
	v_fma_f64 v[44:45], -v[32:33], v[38:39], 1.0
	v_fma_f64 v[38:39], v[44:45], v[38:39], v[38:39]
	v_add_f64 v[44:45], v[40:41], v[42:43]
	v_fma_f64 v[28:29], -v[32:33], v[38:39], 1.0
	v_add_f64 v[40:41], v[40:41], -v[44:45]
	v_fma_f64 v[28:29], v[28:29], v[38:39], v[38:39]
	v_add_f64 v[40:41], v[42:43], v[40:41]
	v_mul_f64 v[30:31], v[44:45], v[28:29]
	v_mul_f64 v[38:39], v[32:33], v[30:31]
	v_fma_f64 v[34:35], v[30:31], v[32:33], -v[38:39]
	v_fma_f64 v[46:47], v[30:31], v[36:37], v[34:35]
	v_add_f64 v[48:49], v[38:39], v[46:47]
	v_add_f64 v[34:35], v[44:45], -v[48:49]
	v_add_f64 v[38:39], v[48:49], -v[38:39]
	;; [unrolled: 1-line block ×5, first 2 shown]
	v_add_f64 v[40:41], v[40:41], v[42:43]
	v_max_f64 v[42:43], |v[14:15]|, |v[14:15]|
	v_ashrrev_i32_e32 v14, 31, v15
	v_add_f64 v[38:39], v[38:39], v[40:41]
	v_max_f64 v[40:41], |v[16:17]|, |v[16:17]|
	v_add_f64 v[44:45], v[34:35], v[38:39]
	v_max_f64 v[46:47], v[42:43], v[40:41]
	v_min_f64 v[40:41], v[42:43], v[40:41]
	v_mul_f64 v[42:43], v[28:29], v[44:45]
	v_add_f64 v[34:35], v[34:35], -v[44:45]
	v_div_scale_f64 v[48:49], s[2:3], v[46:47], v[46:47], v[40:41]
	s_mov_b32 s2, 0x69efb384
	s_mov_b32 s3, 0x3f4b2bb0
	v_mul_f64 v[50:51], v[32:33], v[42:43]
	v_add_f64 v[34:35], v[38:39], v[34:35]
	v_fma_f64 v[32:33], v[42:43], v[32:33], -v[50:51]
	v_rcp_f64_e32 v[52:53], v[48:49]
	v_fma_f64 v[32:33], v[42:43], v[36:37], v[32:33]
	v_add_f64 v[36:37], v[50:51], v[32:33]
	v_fma_f64 v[54:55], -v[48:49], v[52:53], 1.0
	v_add_f64 v[56:57], v[44:45], -v[36:37]
	v_add_f64 v[38:39], v[36:37], -v[50:51]
	v_fma_f64 v[52:53], v[52:53], v[54:55], v[52:53]
	v_div_scale_f64 v[54:55], vcc, v[40:41], v[46:47], v[40:41]
	v_add_f64 v[44:45], v[44:45], -v[56:57]
	v_add_f64 v[32:33], v[38:39], -v[32:33]
	v_fma_f64 v[66:67], -v[48:49], v[52:53], 1.0
	v_add_f64 v[38:39], v[30:31], v[42:43]
	v_add_f64 v[36:37], v[44:45], -v[36:37]
	v_fma_f64 v[44:45], v[52:53], v[66:67], v[52:53]
	v_add_f64 v[30:31], v[38:39], -v[30:31]
	v_add_f64 v[34:35], v[34:35], v[36:37]
	v_mul_f64 v[36:37], v[54:55], v[44:45]
	v_add_f64 v[30:31], v[42:43], -v[30:31]
	v_add_f64 v[32:33], v[32:33], v[34:35]
	v_fma_f64 v[34:35], -v[48:49], v[36:37], v[54:55]
	v_add_f64 v[32:33], v[56:57], v[32:33]
	v_div_fmas_f64 v[34:35], v[34:35], v[44:45], v[36:37]
	v_cmp_gt_i32_e32 vcc, 0, v15
	v_mul_f64 v[28:29], v[28:29], v[32:33]
	v_add_f64 v[28:29], v[30:31], v[28:29]
	v_div_fixup_f64 v[30:31], v[34:35], v[46:47], v[40:41]
	v_add_f64 v[32:33], v[38:39], v[28:29]
	v_mul_f64 v[34:35], v[30:31], v[30:31]
	v_mul_f64 v[36:37], v[32:33], v[32:33]
	v_fma_f64 v[40:41], v[34:35], s[38:39], v[22:23]
	v_fma_f64 v[42:43], v[36:37], s[20:21], v[20:21]
	v_mul_f64 v[44:45], v[32:33], v[36:37]
	v_fma_f64 v[40:41], v[34:35], v[40:41], s[2:3]
	s_mov_b32 s2, 0xaf56de9b
	s_mov_b32 s3, 0xbf67952d
	v_fma_f64 v[42:43], v[36:37], v[42:43], s[22:23]
	v_fma_f64 v[40:41], v[34:35], v[40:41], s[2:3]
	v_cmp_eq_f64_e64 s[2:3], 0, v[16:17]
	v_fma_f64 v[42:43], v[36:37], v[42:43], s[24:25]
	v_fma_f64 v[40:41], v[34:35], v[40:41], s[44:45]
	;; [unrolled: 1-line block ×7, first 2 shown]
	v_ldexp_f64 v[42:43], v[32:33], 1
	v_fma_f64 v[40:41], v[34:35], v[40:41], s[50:51]
	v_add_f64 v[32:33], v[32:33], -v[38:39]
	v_mul_f64 v[36:37], v[44:45], v[36:37]
	v_cvt_f64_i32_e32 v[44:45], v19
	v_fma_f64 v[40:41], v[34:35], v[40:41], s[52:53]
	v_add_f64 v[28:29], v[28:29], -v[32:33]
	v_cndmask_b32_e32 v19, v62, v63, vcc
	v_mul_f64 v[46:47], v[44:45], s[34:35]
	v_add_f64 v[38:39], v[42:43], v[36:37]
	v_fma_f64 v[40:41], v[34:35], v[40:41], s[54:55]
	v_ldexp_f64 v[28:29], v[28:29], 1
	v_add_f64 v[32:33], v[38:39], -v[42:43]
	v_fma_f64 v[42:43], v[44:45], s[34:35], -v[46:47]
	v_fma_f64 v[40:41], v[34:35], v[40:41], s[56:57]
	v_add_f64 v[32:33], v[36:37], -v[32:33]
	v_fma_f64 v[36:37], v[34:35], v[40:41], s[58:59]
	v_fma_f64 v[40:41], v[44:45], s[36:37], v[42:43]
	v_add_f64 v[28:29], v[28:29], v[32:33]
	v_fma_f64 v[32:33], v[34:35], v[36:37], s[60:61]
	v_add_f64 v[36:37], v[46:47], v[40:41]
	v_add_f64 v[42:43], v[38:39], v[28:29]
	v_fma_f64 v[32:33], v[34:35], v[32:33], s[62:63]
	v_add_f64 v[46:47], v[36:37], -v[46:47]
	v_add_f64 v[44:45], v[36:37], v[42:43]
	v_add_f64 v[38:39], v[42:43], -v[38:39]
	v_fma_f64 v[32:33], v[34:35], v[32:33], s[64:65]
	v_add_f64 v[40:41], v[40:41], -v[46:47]
	v_add_f64 v[48:49], v[44:45], -v[36:37]
	;; [unrolled: 1-line block ×3, first 2 shown]
	v_fma_f64 v[32:33], v[34:35], v[32:33], s[66:67]
	v_add_f64 v[50:51], v[44:45], -v[48:49]
	v_add_f64 v[38:39], v[42:43], -v[48:49]
	v_fma_f64 v[32:33], v[34:35], v[32:33], s[68:69]
	v_add_f64 v[42:43], v[40:41], v[28:29]
	v_add_f64 v[36:37], v[36:37], -v[50:51]
	v_fma_f64 v[32:33], v[34:35], v[32:33], s[70:71]
	v_add_f64 v[36:37], v[38:39], v[36:37]
	;; [unrolled: 3-line block ×3, first 2 shown]
	v_add_f64 v[42:43], v[42:43], -v[38:39]
	v_fma_f64 v[32:33], v[34:35], v[32:33], s[74:75]
	v_add_f64 v[28:29], v[28:29], -v[38:39]
	v_add_f64 v[46:47], v[44:45], v[36:37]
	v_mul_f64 v[32:33], v[34:35], v[32:33]
	v_add_f64 v[34:35], v[40:41], -v[42:43]
	v_add_f64 v[38:39], v[46:47], -v[44:45]
	v_fma_f64 v[30:31], v[30:31], v[32:33], v[30:31]
	v_add_f64 v[28:29], v[28:29], v[34:35]
	v_add_f64 v[32:33], v[36:37], -v[38:39]
	v_add_f64 v[34:35], -v[30:31], s[76:77]
	v_add_f64 v[28:29], v[28:29], v[32:33]
	v_cndmask_b32_e64 v31, v31, v35, s[0:1]
	v_cndmask_b32_e64 v30, v30, v34, s[0:1]
	v_add_f64 v[32:33], -v[30:31], s[92:93]
	v_and_b32_e32 v34, 0x54442d18, v14
	v_and_b32_e32 v35, 0x400921fb, v14
	v_add_f64 v[28:29], v[46:47], v[28:29]
	v_cndmask_b32_e32 v30, v30, v32, vcc
	v_cndmask_b32_e32 v32, v64, v65, vcc
	;; [unrolled: 1-line block ×3, first 2 shown]
	v_bfi_b32 v26, s40, v32, v17
	v_mul_f64 v[14:15], v[28:29], 0.5
	v_cndmask_b32_e64 v30, v30, v34, s[2:3]
	v_cndmask_b32_e64 v27, v27, v35, s[2:3]
	s_and_b64 vcc, s[16:17], s[12:13]
	v_cndmask_b32_e32 v27, v27, v26, vcc
	v_cndmask_b32_e32 v26, v30, v19, vcc
                                        ; implicit-def: $vgpr32_vgpr33
	v_cndmask_b32_e64 v29, v59, v15, s[4:5]
	v_cndmask_b32_e64 v28, 0, v14, s[4:5]
.LBB197_183:                            ;   in Loop: Header=BB197_162 Depth=1
	s_andn2_saveexec_b64 s[4:5], s[14:15]
	s_cbranch_execz .LBB197_185
; %bb.184:                              ;   in Loop: Header=BB197_162 Depth=1
	v_max_f64 v[26:27], |v[16:17]|, |v[16:17]|
	v_max_f64 v[28:29], |v[14:15]|, |v[14:15]|
	s_mov_b32 s92, s76
	v_cmp_class_f64_e64 s[12:13], v[16:17], s42
	v_cmp_class_f64_e64 s[14:15], v[14:15], s42
	v_ashrrev_i32_e32 v19, 31, v15
	v_max_f64 v[30:31], v[28:29], v[26:27]
	v_min_f64 v[26:27], v[28:29], v[26:27]
	v_div_scale_f64 v[28:29], s[2:3], v[30:31], v[30:31], v[26:27]
	s_mov_b32 s2, 0x69efb384
	s_mov_b32 s3, 0x3f4b2bb0
	v_rcp_f64_e32 v[34:35], v[28:29]
	v_fma_f64 v[36:37], -v[28:29], v[34:35], 1.0
	v_fma_f64 v[34:35], v[34:35], v[36:37], v[34:35]
	v_div_scale_f64 v[36:37], vcc, v[26:27], v[30:31], v[26:27]
	v_fma_f64 v[38:39], -v[28:29], v[34:35], 1.0
	v_fma_f64 v[34:35], v[34:35], v[38:39], v[34:35]
	v_mul_f64 v[38:39], v[36:37], v[34:35]
	v_fma_f64 v[28:29], -v[28:29], v[38:39], v[36:37]
	v_and_b32_e32 v36, 0x54442d18, v19
	v_div_fmas_f64 v[28:29], v[28:29], v[34:35], v[38:39]
	v_mul_f64 v[34:35], v[32:33], 0.5
	v_cmp_gt_i32_e32 vcc, 0, v15
	v_cndmask_b32_e32 v14, v64, v65, vcc
	v_and_b32_e32 v15, 0x400921fb, v19
	v_bfi_b32 v14, s40, v14, v17
	v_div_fixup_f64 v[26:27], v[28:29], v[30:31], v[26:27]
	v_mul_f64 v[28:29], v[26:27], v[26:27]
	v_fma_f64 v[30:31], v[28:29], s[38:39], v[22:23]
	v_fma_f64 v[30:31], v[28:29], v[30:31], s[2:3]
	s_mov_b32 s2, 0xaf56de9b
	s_mov_b32 s3, 0xbf67952d
	v_fma_f64 v[30:31], v[28:29], v[30:31], s[2:3]
	v_cmp_eq_f64_e64 s[2:3], 0, v[16:17]
	v_fma_f64 v[30:31], v[28:29], v[30:31], s[44:45]
	v_fma_f64 v[30:31], v[28:29], v[30:31], s[46:47]
	;; [unrolled: 1-line block ×16, first 2 shown]
	v_mul_f64 v[28:29], v[28:29], v[30:31]
	v_cndmask_b32_e32 v31, v62, v63, vcc
	v_fma_f64 v[26:27], v[26:27], v[28:29], v[26:27]
	v_add_f64 v[28:29], -v[26:27], s[76:77]
	v_cndmask_b32_e64 v27, v27, v29, s[0:1]
	v_cndmask_b32_e64 v26, v26, v28, s[0:1]
	v_add_f64 v[29:30], -v[26:27], s[92:93]
	v_cndmask_b32_e32 v26, v26, v29, vcc
	v_mul_f64 v[28:29], v[32:33], v[34:35]
	v_cndmask_b32_e32 v19, v27, v30, vcc
	v_cndmask_b32_e64 v26, v26, v36, s[2:3]
	v_cndmask_b32_e64 v15, v19, v15, s[2:3]
	s_and_b64 vcc, s[14:15], s[12:13]
	v_cndmask_b32_e32 v27, v15, v14, vcc
	v_cndmask_b32_e32 v26, v26, v31, vcc
.LBB197_185:                            ;   in Loop: Header=BB197_162 Depth=1
	s_or_b64 exec, exec, s[4:5]
.LBB197_186:                            ;   in Loop: Header=BB197_162 Depth=1
	s_or_b64 exec, exec, s[6:7]
.LBB197_187:                            ;   in Loop: Header=BB197_162 Depth=1
	s_andn2_saveexec_b64 s[4:5], s[94:95]
	s_cbranch_execz .LBB197_189
; %bb.188:                              ;   in Loop: Header=BB197_162 Depth=1
	v_div_scale_f64 v[26:27], s[2:3], s[82:83], s[82:83], v[14:15]
	v_div_scale_f64 v[28:29], s[2:3], s[82:83], s[82:83], v[16:17]
	;; [unrolled: 1-line block ×3, first 2 shown]
	s_mov_b32 s31, s19
	s_mov_b32 s92, s76
	v_cmp_class_f64_e64 s[12:13], v[14:15], s42
	v_rcp_f64_e32 v[30:31], v[26:27]
	v_rcp_f64_e32 v[32:33], v[28:29]
	v_fma_f64 v[34:35], -v[26:27], v[30:31], 1.0
	v_fma_f64 v[36:37], -v[28:29], v[32:33], 1.0
	v_fma_f64 v[30:31], v[30:31], v[34:35], v[30:31]
	v_div_scale_f64 v[34:35], vcc, v[14:15], s[82:83], v[14:15]
	v_fma_f64 v[32:33], v[32:33], v[36:37], v[32:33]
	v_fma_f64 v[36:37], -v[26:27], v[30:31], 1.0
	v_fma_f64 v[40:41], -v[28:29], v[32:33], 1.0
	v_fma_f64 v[30:31], v[30:31], v[36:37], v[30:31]
	v_fma_f64 v[32:33], v[32:33], v[40:41], v[32:33]
	v_mul_f64 v[36:37], v[34:35], v[30:31]
	v_mul_f64 v[40:41], v[38:39], v[32:33]
	v_fma_f64 v[26:27], -v[26:27], v[36:37], v[34:35]
	v_fma_f64 v[28:29], -v[28:29], v[40:41], v[38:39]
	v_div_fmas_f64 v[26:27], v[26:27], v[30:31], v[36:37]
	s_mov_b64 vcc, s[2:3]
	v_div_fmas_f64 v[28:29], v[28:29], v[32:33], v[40:41]
	v_max_f64 v[39:40], |v[14:15]|, |v[14:15]|
	v_div_fixup_f64 v[26:27], v[26:27], s[82:83], v[14:15]
	v_ashrrev_i32_e32 v14, 31, v15
	v_div_fixup_f64 v[28:29], v[28:29], s[82:83], v[16:17]
	v_cmp_class_f64_e64 s[2:3], v[26:27], s42
	v_max_f64 v[30:31], |v[26:27]|, |v[28:29]|
	v_cmp_class_f64_e64 s[6:7], v[28:29], s42
	v_frexp_exp_i32_f64_e32 v19, v[30:31]
	v_sub_u32_e32 v32, 0, v19
	v_ldexp_f64 v[30:31], |v[28:29]|, v32
	v_ldexp_f64 v[32:33], |v[26:27]|, v32
	v_mul_f64 v[30:31], v[30:31], v[30:31]
	v_fma_f64 v[30:31], v[32:33], v[32:33], v[30:31]
	v_rsq_f64_e32 v[32:33], v[30:31]
	v_cmp_eq_f64_e32 vcc, 0, v[30:31]
	v_mul_f64 v[34:35], v[30:31], v[32:33]
	v_mul_f64 v[32:33], v[32:33], 0.5
	v_fma_f64 v[36:37], -v[32:33], v[34:35], 0.5
	v_fma_f64 v[34:35], v[34:35], v[36:37], v[34:35]
	v_fma_f64 v[32:33], v[32:33], v[36:37], v[32:33]
	v_fma_f64 v[36:37], -v[34:35], v[34:35], v[30:31]
	v_fma_f64 v[32:33], v[36:37], v[32:33], v[34:35]
	v_max_f64 v[37:38], |v[16:17]|, |v[16:17]|
	v_cndmask_b32_e32 v31, v33, v31, vcc
	v_cndmask_b32_e32 v30, v32, v30, vcc
	v_ldexp_f64 v[30:31], v[30:31], v19
	v_cmp_o_f64_e32 vcc, v[26:27], v[28:29]
	v_cndmask_b32_e32 v19, 0, v30, vcc
	v_cndmask_b32_e32 v26, v60, v31, vcc
	s_or_b64 vcc, s[2:3], s[6:7]
	v_cndmask_b32_e32 v30, v26, v59, vcc
	v_cndmask_b32_e64 v29, v19, 0, vcc
	v_frexp_mant_f64_e32 v[26:27], v[29:30]
	v_cmp_gt_f64_e64 s[2:3], s[18:19], v[26:27]
	v_cndmask_b32_e64 v19, 0, 1, s[2:3]
	v_ldexp_f64 v[26:27], v[26:27], v19
	v_frexp_exp_i32_f64_e32 v19, v[29:30]
	v_add_f64 v[31:32], v[26:27], 1.0
	v_add_f64 v[43:44], v[26:27], -1.0
	v_rcp_f64_e32 v[33:34], v[31:32]
	v_add_f64 v[47:48], v[31:32], -1.0
	v_add_f64 v[26:27], v[26:27], -v[47:48]
	v_fma_f64 v[35:36], -v[31:32], v[33:34], 1.0
	v_fma_f64 v[33:34], v[35:36], v[33:34], v[33:34]
	v_max_f64 v[35:36], v[39:40], v[37:38]
	v_min_f64 v[37:38], v[39:40], v[37:38]
	v_fma_f64 v[39:40], -v[31:32], v[33:34], 1.0
	v_div_scale_f64 v[41:42], s[6:7], v[35:36], v[35:36], v[37:38]
	s_mov_b32 s6, 0x69efb384
	s_mov_b32 s7, 0x3f4b2bb0
	v_fma_f64 v[33:34], v[39:40], v[33:34], v[33:34]
	v_mul_f64 v[39:40], v[43:44], v[33:34]
	v_rcp_f64_e32 v[45:46], v[41:42]
	v_mul_f64 v[49:50], v[31:32], v[39:40]
	v_fma_f64 v[31:32], v[39:40], v[31:32], -v[49:50]
	v_fma_f64 v[47:48], -v[41:42], v[45:46], 1.0
	v_fma_f64 v[26:27], v[39:40], v[26:27], v[31:32]
	v_fma_f64 v[31:32], v[45:46], v[47:48], v[45:46]
	v_div_scale_f64 v[47:48], vcc, v[37:38], v[35:36], v[37:38]
	v_add_f64 v[45:46], v[49:50], v[26:27]
	v_fma_f64 v[51:52], -v[41:42], v[31:32], 1.0
	v_add_f64 v[53:54], v[43:44], -v[45:46]
	v_add_f64 v[49:50], v[45:46], -v[49:50]
	v_fma_f64 v[31:32], v[31:32], v[51:52], v[31:32]
	v_add_f64 v[43:44], v[43:44], -v[53:54]
	v_add_f64 v[26:27], v[49:50], -v[26:27]
	v_mul_f64 v[51:52], v[47:48], v[31:32]
	v_add_f64 v[43:44], v[43:44], -v[45:46]
	v_fma_f64 v[41:42], -v[41:42], v[51:52], v[47:48]
	v_add_f64 v[26:27], v[26:27], v[43:44]
	v_div_fmas_f64 v[31:32], v[41:42], v[31:32], v[51:52]
	v_subbrev_co_u32_e64 v19, vcc, 0, v19, s[2:3]
	v_cmp_gt_i32_e32 vcc, 0, v15
	v_cndmask_b32_e32 v28, v64, v65, vcc
	v_cmp_eq_f64_e64 s[2:3], 0, v[16:17]
	v_add_f64 v[26:27], v[53:54], v[26:27]
	v_mul_f64 v[26:27], v[33:34], v[26:27]
	v_div_fixup_f64 v[31:32], v[31:32], v[35:36], v[37:38]
	v_add_f64 v[33:34], v[39:40], v[26:27]
	v_mul_f64 v[35:36], v[31:32], v[31:32]
	v_mul_f64 v[37:38], v[33:34], v[33:34]
	v_fma_f64 v[41:42], v[35:36], s[38:39], v[22:23]
	v_fma_f64 v[43:44], v[37:38], s[20:21], v[20:21]
	v_mul_f64 v[45:46], v[33:34], v[37:38]
	v_fma_f64 v[41:42], v[35:36], v[41:42], s[6:7]
	s_mov_b32 s6, 0xaf56de9b
	s_mov_b32 s7, 0xbf67952d
	v_fma_f64 v[43:44], v[37:38], v[43:44], s[22:23]
	v_fma_f64 v[41:42], v[35:36], v[41:42], s[6:7]
	v_cmp_class_f64_e64 s[6:7], v[16:17], s42
	v_fma_f64 v[43:44], v[37:38], v[43:44], s[24:25]
	v_fma_f64 v[41:42], v[35:36], v[41:42], s[44:45]
	;; [unrolled: 1-line block ×7, first 2 shown]
	v_ldexp_f64 v[43:44], v[33:34], 1
	v_fma_f64 v[41:42], v[35:36], v[41:42], s[50:51]
	v_add_f64 v[33:34], v[33:34], -v[39:40]
	v_mul_f64 v[37:38], v[45:46], v[37:38]
	v_cvt_f64_i32_e32 v[45:46], v19
	v_fma_f64 v[41:42], v[35:36], v[41:42], s[52:53]
	v_add_f64 v[26:27], v[26:27], -v[33:34]
	v_cndmask_b32_e32 v19, v62, v63, vcc
	v_mul_f64 v[47:48], v[45:46], s[34:35]
	v_add_f64 v[39:40], v[43:44], v[37:38]
	v_fma_f64 v[41:42], v[35:36], v[41:42], s[54:55]
	v_ldexp_f64 v[26:27], v[26:27], 1
	v_add_f64 v[33:34], v[39:40], -v[43:44]
	v_fma_f64 v[43:44], v[45:46], s[34:35], -v[47:48]
	v_fma_f64 v[41:42], v[35:36], v[41:42], s[56:57]
	v_add_f64 v[33:34], v[37:38], -v[33:34]
	v_fma_f64 v[37:38], v[35:36], v[41:42], s[58:59]
	v_fma_f64 v[41:42], v[45:46], s[36:37], v[43:44]
	v_add_f64 v[26:27], v[26:27], v[33:34]
	v_fma_f64 v[33:34], v[35:36], v[37:38], s[60:61]
	v_add_f64 v[37:38], v[47:48], v[41:42]
	v_add_f64 v[43:44], v[39:40], v[26:27]
	v_fma_f64 v[33:34], v[35:36], v[33:34], s[62:63]
	v_add_f64 v[47:48], v[37:38], -v[47:48]
	v_add_f64 v[45:46], v[37:38], v[43:44]
	v_add_f64 v[39:40], v[43:44], -v[39:40]
	v_fma_f64 v[33:34], v[35:36], v[33:34], s[64:65]
	v_add_f64 v[41:42], v[41:42], -v[47:48]
	v_add_f64 v[49:50], v[45:46], -v[37:38]
	;; [unrolled: 1-line block ×3, first 2 shown]
	v_fma_f64 v[33:34], v[35:36], v[33:34], s[66:67]
	v_add_f64 v[51:52], v[45:46], -v[49:50]
	v_add_f64 v[39:40], v[43:44], -v[49:50]
	v_fma_f64 v[33:34], v[35:36], v[33:34], s[68:69]
	v_add_f64 v[43:44], v[41:42], v[26:27]
	v_add_f64 v[37:38], v[37:38], -v[51:52]
	v_fma_f64 v[33:34], v[35:36], v[33:34], s[70:71]
	v_add_f64 v[37:38], v[39:40], v[37:38]
	;; [unrolled: 3-line block ×3, first 2 shown]
	v_add_f64 v[43:44], v[43:44], -v[39:40]
	v_fma_f64 v[33:34], v[35:36], v[33:34], s[74:75]
	v_add_f64 v[26:27], v[26:27], -v[39:40]
	v_add_f64 v[47:48], v[45:46], v[37:38]
	v_mul_f64 v[33:34], v[35:36], v[33:34]
	v_add_f64 v[35:36], v[41:42], -v[43:44]
	v_add_f64 v[39:40], v[47:48], -v[45:46]
	v_fma_f64 v[31:32], v[31:32], v[33:34], v[31:32]
	v_add_f64 v[26:27], v[26:27], v[35:36]
	v_add_f64 v[33:34], v[37:38], -v[39:40]
	v_add_f64 v[35:36], -v[31:32], s[76:77]
	v_add_f64 v[26:27], v[26:27], v[33:34]
	v_cndmask_b32_e64 v32, v32, v36, s[0:1]
	v_cndmask_b32_e64 v31, v31, v35, s[0:1]
	v_add_f64 v[33:34], -v[31:32], s[92:93]
	v_cmp_class_f64_e64 s[0:1], v[29:30], s42
	v_and_b32_e32 v35, 0x54442d18, v14
	v_add_f64 v[26:27], v[47:48], v[26:27]
	v_cndmask_b32_e32 v31, v31, v33, vcc
	v_and_b32_e32 v33, 0x400921fb, v14
	v_cndmask_b32_e64 v31, v31, v35, s[2:3]
	v_cndmask_b32_e64 v15, v27, v30, s[0:1]
	;; [unrolled: 1-line block ×3, first 2 shown]
	v_add_f64 v[14:15], v[14:15], 1.0
	v_cmp_ngt_f64_e64 s[0:1], 0, v[29:30]
	v_bfi_b32 v26, s40, v28, v17
	v_cndmask_b32_e32 v27, v32, v34, vcc
	v_cndmask_b32_e64 v27, v27, v33, s[2:3]
	s_and_b64 vcc, s[12:13], s[6:7]
	v_cndmask_b32_e32 v27, v27, v26, vcc
	v_cndmask_b32_e32 v26, v31, v19, vcc
	v_cndmask_b32_e64 v15, v60, v15, s[0:1]
	v_cmp_nge_f64_e64 s[0:1], 0, v[29:30]
	v_cndmask_b32_e64 v28, 0, v14, s[0:1]
	v_cmp_neq_f64_e64 s[0:1], 0, v[29:30]
	v_cndmask_b32_e64 v29, v61, v15, s[0:1]
.LBB197_189:                            ;   in Loop: Header=BB197_162 Depth=1
	s_or_b64 exec, exec, s[4:5]
.LBB197_190:                            ;   in Loop: Header=BB197_162 Depth=1
	s_andn2_saveexec_b64 s[0:1], s[78:79]
	s_cbranch_execz .LBB197_196
; %bb.191:                              ;   in Loop: Header=BB197_162 Depth=1
	v_cmp_nlt_f64_e64 s[2:3], |v[14:15]|, s[88:89]
	v_cmp_nlt_f64_e64 s[4:5], |v[16:17]|, s[88:89]
                                        ; implicit-def: $vgpr29_vgpr30
	s_or_b64 s[2:3], s[2:3], s[4:5]
	s_and_saveexec_b64 s[4:5], s[2:3]
	s_xor_b64 s[2:3], exec, s[4:5]
	s_cbranch_execz .LBB197_193
; %bb.192:                              ;   in Loop: Header=BB197_162 Depth=1
	v_mul_f64 v[26:27], v[16:17], v[16:17]
	v_fma_f64 v[29:30], v[14:15], v[14:15], v[26:27]
.LBB197_193:                            ;   in Loop: Header=BB197_162 Depth=1
	s_andn2_saveexec_b64 s[2:3], s[2:3]
	s_cbranch_execz .LBB197_195
; %bb.194:                              ;   in Loop: Header=BB197_162 Depth=1
	v_mul_f64 v[26:27], v[16:17], 4.0
	v_mul_f64 v[14:15], v[14:15], 4.0
	v_mul_f64 v[26:27], v[26:27], v[26:27]
	v_fma_f64 v[14:15], v[14:15], v[14:15], v[26:27]
	v_ldexp_f64 v[29:30], v[14:15], -4
.LBB197_195:                            ;   in Loop: Header=BB197_162 Depth=1
	s_or_b64 exec, exec, s[2:3]
	v_frexp_mant_f64_e32 v[14:15], v[29:30]
	s_mov_b32 s31, s19
	v_cmp_gt_f64_e32 vcc, s[18:19], v[14:15]
	v_cndmask_b32_e64 v16, 0, 1, vcc
	v_ldexp_f64 v[14:15], v[14:15], v16
	v_frexp_exp_i32_f64_e32 v16, v[29:30]
	v_add_f64 v[26:27], v[14:15], 1.0
	v_add_f64 v[35:36], v[14:15], -1.0
	v_subbrev_co_u32_e32 v16, vcc, 0, v16, vcc
	v_cmp_class_f64_e64 vcc, v[29:30], s42
	v_rcp_f64_e32 v[31:32], v[26:27]
	v_add_f64 v[37:38], v[26:27], -1.0
	v_add_f64 v[14:15], v[14:15], -v[37:38]
	v_fma_f64 v[33:34], -v[26:27], v[31:32], 1.0
	v_fma_f64 v[31:32], v[33:34], v[31:32], v[31:32]
	v_fma_f64 v[33:34], -v[26:27], v[31:32], 1.0
	v_fma_f64 v[31:32], v[33:34], v[31:32], v[31:32]
	v_mul_f64 v[33:34], v[35:36], v[31:32]
	v_mul_f64 v[39:40], v[26:27], v[33:34]
	v_fma_f64 v[26:27], v[33:34], v[26:27], -v[39:40]
	v_fma_f64 v[14:15], v[33:34], v[14:15], v[26:27]
	v_add_f64 v[26:27], v[39:40], v[14:15]
	v_add_f64 v[37:38], v[35:36], -v[26:27]
	v_add_f64 v[39:40], v[26:27], -v[39:40]
	;; [unrolled: 1-line block ×5, first 2 shown]
	v_add_f64 v[14:15], v[14:15], v[26:27]
	v_add_f64 v[14:15], v[37:38], v[14:15]
	v_mul_f64 v[14:15], v[31:32], v[14:15]
	v_add_f64 v[26:27], v[33:34], v[14:15]
	v_mul_f64 v[31:32], v[26:27], v[26:27]
	v_fma_f64 v[35:36], v[31:32], s[20:21], v[20:21]
	v_mul_f64 v[37:38], v[26:27], v[31:32]
	v_fma_f64 v[35:36], v[31:32], v[35:36], s[22:23]
	v_fma_f64 v[35:36], v[31:32], v[35:36], s[24:25]
	;; [unrolled: 1-line block ×5, first 2 shown]
	v_ldexp_f64 v[35:36], v[26:27], 1
	v_add_f64 v[26:27], v[26:27], -v[33:34]
	v_mul_f64 v[31:32], v[37:38], v[31:32]
	v_cvt_f64_i32_e32 v[37:38], v16
	v_add_f64 v[14:15], v[14:15], -v[26:27]
	v_mul_f64 v[39:40], v[37:38], s[34:35]
	v_add_f64 v[33:34], v[35:36], v[31:32]
	v_ldexp_f64 v[14:15], v[14:15], 1
	v_add_f64 v[26:27], v[33:34], -v[35:36]
	v_fma_f64 v[35:36], v[37:38], s[34:35], -v[39:40]
	v_add_f64 v[26:27], v[31:32], -v[26:27]
	v_fma_f64 v[31:32], v[37:38], s[36:37], v[35:36]
	v_add_f64 v[14:15], v[14:15], v[26:27]
	v_add_f64 v[26:27], v[39:40], v[31:32]
	;; [unrolled: 1-line block ×3, first 2 shown]
	v_add_f64 v[39:40], v[26:27], -v[39:40]
	v_add_f64 v[37:38], v[26:27], v[35:36]
	v_add_f64 v[33:34], v[35:36], -v[33:34]
	v_add_f64 v[31:32], v[31:32], -v[39:40]
	;; [unrolled: 1-line block ×6, first 2 shown]
	v_add_f64 v[35:36], v[31:32], v[14:15]
	v_add_f64 v[26:27], v[26:27], -v[43:44]
	v_add_f64 v[26:27], v[33:34], v[26:27]
	v_add_f64 v[33:34], v[35:36], -v[31:32]
	;; [unrolled: 2-line block ×3, first 2 shown]
	v_add_f64 v[14:15], v[14:15], -v[33:34]
	v_add_f64 v[39:40], v[37:38], v[26:27]
	v_add_f64 v[31:32], v[31:32], -v[35:36]
	v_add_f64 v[33:34], v[39:40], -v[37:38]
	v_add_f64 v[14:15], v[14:15], v[31:32]
	v_add_f64 v[26:27], v[26:27], -v[33:34]
	v_add_f64 v[14:15], v[14:15], v[26:27]
	v_mov_b32_e32 v26, 0
	v_mov_b32_e32 v27, 0x7ff80000
	v_add_f64 v[14:15], v[39:40], v[14:15]
	v_cndmask_b32_e32 v14, v14, v29, vcc
	v_cndmask_b32_e32 v15, v15, v30, vcc
	v_cmp_ngt_f64_e32 vcc, 0, v[29:30]
	v_cndmask_b32_e32 v15, v60, v15, vcc
	v_cmp_nge_f64_e32 vcc, 0, v[29:30]
	v_cndmask_b32_e32 v28, 0, v14, vcc
	v_cmp_neq_f64_e32 vcc, 0, v[29:30]
	v_cndmask_b32_e32 v29, v61, v15, vcc
.LBB197_196:                            ;   in Loop: Header=BB197_162 Depth=1
	s_or_b64 exec, exec, s[0:1]
	s_waitcnt vmcnt(2)
	v_cmp_o_f64_e32 vcc, v[6:7], v[8:9]
                                        ; implicit-def: $vgpr30_vgpr31
                                        ; implicit-def: $vgpr14_vgpr15
	s_and_saveexec_b64 s[0:1], vcc
	s_xor_b64 s[78:79], exec, s[0:1]
	s_cbranch_execz .LBB197_224
; %bb.197:                              ;   in Loop: Header=BB197_162 Depth=1
	v_cmp_lt_f64_e64 s[0:1], |v[6:7]|, |v[8:9]|
	v_and_b32_e32 v16, 0x7fffffff, v7
	v_and_b32_e32 v19, 0x7fffffff, v9
	s_mov_b32 s2, 0x85ebc8a0
	s_mov_b32 s3, 0x7fd1ccf3
	v_mov_b32_e32 v32, v8
                                        ; implicit-def: $vgpr30_vgpr31
                                        ; implicit-def: $vgpr14_vgpr15
	v_cndmask_b32_e64 v35, v19, v16, s[0:1]
	v_cndmask_b32_e64 v34, v8, v6, s[0:1]
	v_cmp_nlt_f64_e32 vcc, s[2:3], v[34:35]
	s_and_saveexec_b64 s[2:3], vcc
	s_xor_b64 s[94:95], exec, s[2:3]
	s_cbranch_execz .LBB197_221
; %bb.198:                              ;   in Loop: Header=BB197_162 Depth=1
	v_cndmask_b32_e64 v37, v16, v19, s[0:1]
	v_cndmask_b32_e64 v36, v6, v32, s[0:1]
	v_cmp_neq_f64_e32 vcc, 1.0, v[36:37]
                                        ; implicit-def: $vgpr30_vgpr31
                                        ; implicit-def: $vgpr14_vgpr15
	s_and_saveexec_b64 s[2:3], vcc
	s_xor_b64 s[86:87], exec, s[2:3]
	s_cbranch_execz .LBB197_214
; %bb.199:                              ;   in Loop: Header=BB197_162 Depth=1
	v_max_f64 v[14:15], v[34:35], v[34:35]
	v_max_f64 v[30:31], v[36:37], v[36:37]
	s_mov_b32 s2, 0x4ad4b81f
	s_mov_b32 s3, 0x358dee7a
	v_min_f64 v[32:33], v[30:31], v[14:15]
	v_max_f64 v[14:15], v[30:31], v[14:15]
                                        ; implicit-def: $vgpr30_vgpr31
	v_cmp_ngt_f64_e32 vcc, s[2:3], v[32:33]
	s_mov_b32 s2, 0xc57e649a
	s_mov_b32 s3, 0x4a511b0e
	v_cmp_nlt_f64_e64 s[2:3], s[2:3], v[14:15]
                                        ; implicit-def: $vgpr14_vgpr15
	s_and_b64 s[2:3], s[2:3], vcc
	s_and_saveexec_b64 s[4:5], s[2:3]
	s_xor_b64 s[14:15], exec, s[4:5]
	s_cbranch_execz .LBB197_211
; %bb.200:                              ;   in Loop: Header=BB197_162 Depth=1
	v_cmp_le_f64_e32 vcc, 1.0, v[36:37]
                                        ; implicit-def: $vgpr30_vgpr31
                                        ; implicit-def: $vgpr14_vgpr15
	s_and_saveexec_b64 s[2:3], vcc
	s_xor_b64 s[16:17], exec, s[2:3]
	s_cbranch_execz .LBB197_202
; %bb.201:                              ;   in Loop: Header=BB197_162 Depth=1
	v_add_f64 v[14:15], v[36:37], -1.0
	v_add_f64 v[30:31], v[36:37], 1.0
	s_mov_b32 s31, s19
	s_mov_b32 s92, s76
	;; [unrolled: 1-line block ×4, first 2 shown]
	v_cmp_class_f64_e64 s[12:13], v[8:9], s42
	v_mul_f64 v[14:15], v[14:15], v[30:31]
	v_fma_f64 v[31:32], v[34:35], v[34:35], v[14:15]
	v_add_f64 v[14:15], v[31:32], 1.0
	v_cmp_nge_f64_e64 s[4:5], -1.0, v[31:32]
	v_cmp_neq_f64_e64 s[6:7], s[6:7], v[31:32]
	v_frexp_mant_f64_e32 v[35:36], v[14:15]
	v_frexp_exp_i32_f64_e32 v16, v[14:15]
	v_add_f64 v[33:34], v[14:15], -1.0
	v_cmp_gt_f64_e32 vcc, s[18:19], v[35:36]
	v_add_f64 v[37:38], v[33:34], -v[14:15]
	v_add_f64 v[33:34], v[31:32], -v[33:34]
	v_subbrev_co_u32_e32 v16, vcc, 0, v16, vcc
	v_sub_u32_e32 v19, 0, v16
	v_ldexp_f64 v[14:15], v[14:15], v19
	v_add_f64 v[35:36], v[37:38], 1.0
	v_add_f64 v[37:38], v[14:15], 1.0
	v_add_f64 v[33:34], v[33:34], v[35:36]
	v_add_f64 v[43:44], v[14:15], -1.0
	v_add_f64 v[35:36], v[37:38], -1.0
	v_ldexp_f64 v[33:34], v[33:34], v19
	v_add_f64 v[45:46], v[43:44], 1.0
	v_add_f64 v[35:36], v[14:15], -v[35:36]
	v_add_f64 v[14:15], v[14:15], -v[45:46]
	v_add_f64 v[39:40], v[33:34], v[35:36]
	v_add_f64 v[45:46], v[33:34], v[14:15]
	;; [unrolled: 1-line block ×3, first 2 shown]
	v_rcp_f64_e32 v[41:42], v[35:36]
	v_add_f64 v[37:38], v[35:36], -v[37:38]
	v_add_f64 v[39:40], v[39:40], -v[37:38]
	v_fma_f64 v[47:48], -v[35:36], v[41:42], 1.0
	v_fma_f64 v[41:42], v[47:48], v[41:42], v[41:42]
	v_add_f64 v[47:48], v[43:44], v[45:46]
	v_fma_f64 v[14:15], -v[35:36], v[41:42], 1.0
	v_add_f64 v[43:44], v[47:48], -v[43:44]
	v_fma_f64 v[14:15], v[14:15], v[41:42], v[41:42]
	v_add_f64 v[43:44], v[45:46], -v[43:44]
	v_mul_f64 v[33:34], v[47:48], v[14:15]
	v_mul_f64 v[41:42], v[35:36], v[33:34]
	v_fma_f64 v[37:38], v[33:34], v[35:36], -v[41:42]
	v_fma_f64 v[49:50], v[33:34], v[39:40], v[37:38]
	v_add_f64 v[51:52], v[41:42], v[49:50]
	v_add_f64 v[37:38], v[47:48], -v[51:52]
	v_add_f64 v[41:42], v[51:52], -v[41:42]
	;; [unrolled: 1-line block ×5, first 2 shown]
	v_add_f64 v[43:44], v[43:44], v[45:46]
	v_max_f64 v[45:46], |v[6:7]|, |v[6:7]|
	v_add_f64 v[41:42], v[41:42], v[43:44]
	v_max_f64 v[43:44], |v[8:9]|, |v[8:9]|
	v_add_f64 v[47:48], v[37:38], v[41:42]
	v_max_f64 v[49:50], v[45:46], v[43:44]
	v_min_f64 v[43:44], v[45:46], v[43:44]
	v_mul_f64 v[45:46], v[14:15], v[47:48]
	v_add_f64 v[37:38], v[37:38], -v[47:48]
	v_div_scale_f64 v[51:52], s[2:3], v[49:50], v[49:50], v[43:44]
	s_mov_b32 s2, 0x69efb384
	s_mov_b32 s3, 0x3f4b2bb0
	v_mul_f64 v[53:54], v[35:36], v[45:46]
	v_add_f64 v[37:38], v[41:42], v[37:38]
	v_fma_f64 v[35:36], v[45:46], v[35:36], -v[53:54]
	v_rcp_f64_e32 v[55:56], v[51:52]
	v_fma_f64 v[35:36], v[45:46], v[39:40], v[35:36]
	v_add_f64 v[39:40], v[53:54], v[35:36]
	v_fma_f64 v[66:67], -v[51:52], v[55:56], 1.0
	v_add_f64 v[68:69], v[47:48], -v[39:40]
	v_add_f64 v[41:42], v[39:40], -v[53:54]
	v_fma_f64 v[55:56], v[55:56], v[66:67], v[55:56]
	v_div_scale_f64 v[66:67], vcc, v[43:44], v[49:50], v[43:44]
	v_add_f64 v[47:48], v[47:48], -v[68:69]
	v_add_f64 v[35:36], v[41:42], -v[35:36]
	v_fma_f64 v[70:71], -v[51:52], v[55:56], 1.0
	v_add_f64 v[41:42], v[33:34], v[45:46]
	v_add_f64 v[39:40], v[47:48], -v[39:40]
	v_fma_f64 v[47:48], v[55:56], v[70:71], v[55:56]
	v_add_f64 v[33:34], v[41:42], -v[33:34]
	v_add_f64 v[37:38], v[37:38], v[39:40]
	v_mul_f64 v[39:40], v[66:67], v[47:48]
	v_add_f64 v[33:34], v[45:46], -v[33:34]
	v_add_f64 v[35:36], v[35:36], v[37:38]
	v_fma_f64 v[37:38], -v[51:52], v[39:40], v[66:67]
	v_add_f64 v[35:36], v[68:69], v[35:36]
	v_div_fmas_f64 v[37:38], v[37:38], v[47:48], v[39:40]
	v_cmp_gt_i32_e32 vcc, 0, v7
	v_cndmask_b32_e32 v19, v64, v65, vcc
	v_mul_f64 v[14:15], v[14:15], v[35:36]
	v_add_f64 v[14:15], v[33:34], v[14:15]
	v_div_fixup_f64 v[33:34], v[37:38], v[49:50], v[43:44]
	v_add_f64 v[35:36], v[41:42], v[14:15]
	v_mul_f64 v[37:38], v[33:34], v[33:34]
	v_mul_f64 v[39:40], v[35:36], v[35:36]
	v_fma_f64 v[43:44], v[37:38], s[38:39], v[22:23]
	v_cmp_class_f64_e64 s[38:39], v[6:7], s42
	v_ashrrev_i32_e32 v6, 31, v7
	v_and_b32_e32 v30, 0x54442d18, v6
	v_fma_f64 v[45:46], v[39:40], s[20:21], v[20:21]
	v_mul_f64 v[47:48], v[35:36], v[39:40]
	v_fma_f64 v[43:44], v[37:38], v[43:44], s[2:3]
	s_mov_b32 s2, 0xaf56de9b
	s_mov_b32 s3, 0xbf67952d
	v_fma_f64 v[45:46], v[39:40], v[45:46], s[22:23]
	v_fma_f64 v[43:44], v[37:38], v[43:44], s[2:3]
	v_cmp_eq_f64_e64 s[2:3], 0, v[8:9]
	v_fma_f64 v[45:46], v[39:40], v[45:46], s[24:25]
	v_fma_f64 v[43:44], v[37:38], v[43:44], s[44:45]
	v_fma_f64 v[45:46], v[39:40], v[45:46], s[26:27]
	v_fma_f64 v[43:44], v[37:38], v[43:44], s[46:47]
	v_fma_f64 v[45:46], v[39:40], v[45:46], s[28:29]
	v_fma_f64 v[43:44], v[37:38], v[43:44], s[48:49]
	v_fma_f64 v[39:40], v[39:40], v[45:46], s[30:31]
	v_ldexp_f64 v[45:46], v[35:36], 1
	v_fma_f64 v[43:44], v[37:38], v[43:44], s[50:51]
	v_add_f64 v[35:36], v[35:36], -v[41:42]
	v_mul_f64 v[39:40], v[47:48], v[39:40]
	v_cvt_f64_i32_e32 v[47:48], v16
	v_fma_f64 v[43:44], v[37:38], v[43:44], s[52:53]
	v_add_f64 v[14:15], v[14:15], -v[35:36]
	v_cndmask_b32_e32 v16, v62, v63, vcc
	v_mul_f64 v[49:50], v[47:48], s[34:35]
	v_add_f64 v[41:42], v[45:46], v[39:40]
	v_fma_f64 v[43:44], v[37:38], v[43:44], s[54:55]
	v_ldexp_f64 v[14:15], v[14:15], 1
	v_add_f64 v[35:36], v[41:42], -v[45:46]
	v_fma_f64 v[45:46], v[47:48], s[34:35], -v[49:50]
	v_fma_f64 v[43:44], v[37:38], v[43:44], s[56:57]
	v_add_f64 v[35:36], v[39:40], -v[35:36]
	v_fma_f64 v[39:40], v[37:38], v[43:44], s[58:59]
	v_fma_f64 v[43:44], v[47:48], s[36:37], v[45:46]
	v_add_f64 v[14:15], v[14:15], v[35:36]
	v_fma_f64 v[35:36], v[37:38], v[39:40], s[60:61]
	v_add_f64 v[39:40], v[49:50], v[43:44]
	v_add_f64 v[45:46], v[41:42], v[14:15]
	v_fma_f64 v[35:36], v[37:38], v[35:36], s[62:63]
	v_add_f64 v[49:50], v[39:40], -v[49:50]
	v_add_f64 v[47:48], v[39:40], v[45:46]
	v_add_f64 v[41:42], v[45:46], -v[41:42]
	v_fma_f64 v[35:36], v[37:38], v[35:36], s[64:65]
	v_add_f64 v[43:44], v[43:44], -v[49:50]
	v_add_f64 v[51:52], v[47:48], -v[39:40]
	;; [unrolled: 1-line block ×3, first 2 shown]
	v_fma_f64 v[35:36], v[37:38], v[35:36], s[66:67]
	v_add_f64 v[53:54], v[47:48], -v[51:52]
	v_add_f64 v[41:42], v[45:46], -v[51:52]
	v_fma_f64 v[35:36], v[37:38], v[35:36], s[68:69]
	v_add_f64 v[45:46], v[43:44], v[14:15]
	v_add_f64 v[39:40], v[39:40], -v[53:54]
	v_fma_f64 v[35:36], v[37:38], v[35:36], s[70:71]
	v_add_f64 v[39:40], v[41:42], v[39:40]
	;; [unrolled: 3-line block ×3, first 2 shown]
	v_add_f64 v[45:46], v[45:46], -v[41:42]
	v_fma_f64 v[35:36], v[37:38], v[35:36], s[74:75]
	v_add_f64 v[14:15], v[14:15], -v[41:42]
	v_add_f64 v[49:50], v[47:48], v[39:40]
	v_mul_f64 v[35:36], v[37:38], v[35:36]
	v_add_f64 v[37:38], v[43:44], -v[45:46]
	v_add_f64 v[41:42], v[49:50], -v[47:48]
	v_fma_f64 v[33:34], v[33:34], v[35:36], v[33:34]
	v_add_f64 v[14:15], v[14:15], v[37:38]
	v_add_f64 v[35:36], v[39:40], -v[41:42]
	v_add_f64 v[37:38], -v[33:34], s[76:77]
	v_add_f64 v[14:15], v[14:15], v[35:36]
	v_cndmask_b32_e64 v34, v34, v38, s[0:1]
	v_cndmask_b32_e64 v33, v33, v37, s[0:1]
	v_add_f64 v[35:36], -v[33:34], s[92:93]
	v_add_f64 v[14:15], v[49:50], v[14:15]
	v_cndmask_b32_e32 v33, v33, v35, vcc
	v_and_b32_e32 v35, 0x400921fb, v6
	v_mul_f64 v[6:7], v[14:15], 0.5
	v_cndmask_b32_e32 v15, v34, v36, vcc
	v_bfi_b32 v14, s40, v19, v9
	v_cndmask_b32_e64 v19, v33, v30, s[2:3]
	v_cndmask_b32_e64 v15, v15, v35, s[2:3]
	s_and_b64 s[2:3], s[4:5], s[6:7]
	s_and_b64 vcc, s[38:39], s[12:13]
	s_mov_b32 s38, 0xb5e68a13
	v_cndmask_b32_e64 v30, 0, v6, s[2:3]
	v_cmp_ngt_f64_e64 s[2:3], -1.0, v[31:32]
	v_cndmask_b32_e64 v7, v59, v7, s[6:7]
	s_mov_b32 s39, 0x3eeba404
	v_cndmask_b32_e32 v15, v15, v14, vcc
	v_cndmask_b32_e32 v14, v19, v16, vcc
                                        ; implicit-def: $vgpr34_vgpr35
                                        ; implicit-def: $vgpr36_vgpr37
	v_cndmask_b32_e64 v6, v60, v7, s[2:3]
	v_cmp_neq_f64_e64 s[2:3], -1.0, v[31:32]
	v_cndmask_b32_e64 v31, v61, v6, s[2:3]
.LBB197_202:                            ;   in Loop: Header=BB197_162 Depth=1
	s_andn2_saveexec_b64 s[16:17], s[16:17]
	s_cbranch_execz .LBB197_210
; %bb.203:                              ;   in Loop: Header=BB197_162 Depth=1
	v_mul_f64 v[14:15], v[34:35], v[34:35]
	s_mov_b32 s2, 0x66666666
	s_mov_b32 s3, 0x3fe66666
                                        ; implicit-def: $vgpr30_vgpr31
	v_fma_f64 v[32:33], v[36:37], v[36:37], v[14:15]
                                        ; implicit-def: $vgpr14_vgpr15
	v_cmp_ge_f64_e32 vcc, s[2:3], v[32:33]
	s_and_saveexec_b64 s[2:3], vcc
	s_xor_b64 s[6:7], exec, s[2:3]
	s_cbranch_execz .LBB197_205
; %bb.204:                              ;   in Loop: Header=BB197_162 Depth=1
	v_frexp_mant_f64_e32 v[14:15], v[32:33]
	v_max_f64 v[38:39], |v[8:9]|, |v[8:9]|
	v_max_f64 v[40:41], |v[6:7]|, |v[6:7]|
	s_mov_b32 s31, s19
	s_mov_b32 s92, s76
	v_cmp_class_f64_e64 s[12:13], v[8:9], s42
	v_cmp_gt_f64_e64 s[2:3], s[18:19], v[14:15]
	v_cndmask_b32_e64 v16, 0, 1, s[2:3]
	v_ldexp_f64 v[14:15], v[14:15], v16
	v_frexp_exp_i32_f64_e32 v16, v[32:33]
	v_add_f64 v[30:31], v[14:15], 1.0
	v_add_f64 v[44:45], v[14:15], -1.0
	v_rcp_f64_e32 v[34:35], v[30:31]
	v_add_f64 v[48:49], v[30:31], -1.0
	v_add_f64 v[14:15], v[14:15], -v[48:49]
	v_fma_f64 v[36:37], -v[30:31], v[34:35], 1.0
	v_fma_f64 v[34:35], v[36:37], v[34:35], v[34:35]
	v_max_f64 v[36:37], v[40:41], v[38:39]
	v_min_f64 v[38:39], v[40:41], v[38:39]
	v_fma_f64 v[40:41], -v[30:31], v[34:35], 1.0
	v_div_scale_f64 v[42:43], s[4:5], v[36:37], v[36:37], v[38:39]
	s_mov_b32 s4, 0x69efb384
	s_mov_b32 s5, 0x3f4b2bb0
	v_fma_f64 v[34:35], v[40:41], v[34:35], v[34:35]
	v_mul_f64 v[40:41], v[44:45], v[34:35]
	v_rcp_f64_e32 v[46:47], v[42:43]
	v_mul_f64 v[50:51], v[30:31], v[40:41]
	v_fma_f64 v[30:31], v[40:41], v[30:31], -v[50:51]
	v_fma_f64 v[48:49], -v[42:43], v[46:47], 1.0
	v_fma_f64 v[14:15], v[40:41], v[14:15], v[30:31]
	v_fma_f64 v[30:31], v[46:47], v[48:49], v[46:47]
	v_div_scale_f64 v[48:49], vcc, v[38:39], v[36:37], v[38:39]
	v_add_f64 v[46:47], v[50:51], v[14:15]
	v_fma_f64 v[52:53], -v[42:43], v[30:31], 1.0
	v_add_f64 v[54:55], v[44:45], -v[46:47]
	v_add_f64 v[50:51], v[46:47], -v[50:51]
	v_fma_f64 v[30:31], v[30:31], v[52:53], v[30:31]
	v_add_f64 v[44:45], v[44:45], -v[54:55]
	v_add_f64 v[14:15], v[50:51], -v[14:15]
	v_mul_f64 v[52:53], v[48:49], v[30:31]
	v_add_f64 v[44:45], v[44:45], -v[46:47]
	v_fma_f64 v[42:43], -v[42:43], v[52:53], v[48:49]
	v_add_f64 v[14:15], v[14:15], v[44:45]
	v_div_fmas_f64 v[30:31], v[42:43], v[30:31], v[52:53]
	v_subbrev_co_u32_e64 v16, vcc, 0, v16, s[2:3]
	v_cmp_eq_f64_e64 s[2:3], 0, v[8:9]
	v_cmp_gt_i32_e32 vcc, 0, v7
	v_add_f64 v[14:15], v[54:55], v[14:15]
	v_mul_f64 v[14:15], v[34:35], v[14:15]
	v_div_fixup_f64 v[30:31], v[30:31], v[36:37], v[38:39]
	v_add_f64 v[34:35], v[40:41], v[14:15]
	v_mul_f64 v[36:37], v[30:31], v[30:31]
	v_mul_f64 v[38:39], v[34:35], v[34:35]
	v_fma_f64 v[42:43], v[36:37], s[38:39], v[22:23]
	v_cmp_class_f64_e64 s[38:39], v[6:7], s42
	v_ashrrev_i32_e32 v6, 31, v7
	v_and_b32_e32 v19, 0x54442d18, v6
	v_fma_f64 v[44:45], v[38:39], s[20:21], v[20:21]
	v_mul_f64 v[46:47], v[34:35], v[38:39]
	v_fma_f64 v[42:43], v[36:37], v[42:43], s[4:5]
	s_mov_b32 s4, 0xaf56de9b
	s_mov_b32 s5, 0xbf67952d
	v_fma_f64 v[44:45], v[38:39], v[44:45], s[22:23]
	v_fma_f64 v[42:43], v[36:37], v[42:43], s[4:5]
	v_cmp_neq_f64_e64 s[4:5], 0, v[32:33]
	v_fma_f64 v[44:45], v[38:39], v[44:45], s[24:25]
	v_fma_f64 v[42:43], v[36:37], v[42:43], s[44:45]
	;; [unrolled: 1-line block ×7, first 2 shown]
	v_ldexp_f64 v[44:45], v[34:35], 1
	v_fma_f64 v[42:43], v[36:37], v[42:43], s[50:51]
	v_add_f64 v[34:35], v[34:35], -v[40:41]
	v_mul_f64 v[38:39], v[46:47], v[38:39]
	v_cvt_f64_i32_e32 v[46:47], v16
	v_fma_f64 v[42:43], v[36:37], v[42:43], s[52:53]
	v_add_f64 v[14:15], v[14:15], -v[34:35]
	v_cndmask_b32_e32 v16, v62, v63, vcc
	v_mul_f64 v[48:49], v[46:47], s[34:35]
	v_add_f64 v[40:41], v[44:45], v[38:39]
	v_fma_f64 v[42:43], v[36:37], v[42:43], s[54:55]
	v_ldexp_f64 v[14:15], v[14:15], 1
	v_add_f64 v[34:35], v[40:41], -v[44:45]
	v_fma_f64 v[44:45], v[46:47], s[34:35], -v[48:49]
	v_fma_f64 v[42:43], v[36:37], v[42:43], s[56:57]
	v_add_f64 v[34:35], v[38:39], -v[34:35]
	v_fma_f64 v[38:39], v[36:37], v[42:43], s[58:59]
	v_fma_f64 v[42:43], v[46:47], s[36:37], v[44:45]
	v_add_f64 v[14:15], v[14:15], v[34:35]
	v_fma_f64 v[34:35], v[36:37], v[38:39], s[60:61]
	v_add_f64 v[38:39], v[48:49], v[42:43]
	v_add_f64 v[44:45], v[40:41], v[14:15]
	v_fma_f64 v[34:35], v[36:37], v[34:35], s[62:63]
	v_add_f64 v[48:49], v[38:39], -v[48:49]
	v_add_f64 v[46:47], v[38:39], v[44:45]
	v_add_f64 v[40:41], v[44:45], -v[40:41]
	v_fma_f64 v[34:35], v[36:37], v[34:35], s[64:65]
	v_add_f64 v[42:43], v[42:43], -v[48:49]
	v_add_f64 v[50:51], v[46:47], -v[38:39]
	;; [unrolled: 1-line block ×3, first 2 shown]
	v_fma_f64 v[34:35], v[36:37], v[34:35], s[66:67]
	v_add_f64 v[52:53], v[46:47], -v[50:51]
	v_add_f64 v[40:41], v[44:45], -v[50:51]
	v_fma_f64 v[34:35], v[36:37], v[34:35], s[68:69]
	v_add_f64 v[44:45], v[42:43], v[14:15]
	v_add_f64 v[38:39], v[38:39], -v[52:53]
	v_fma_f64 v[34:35], v[36:37], v[34:35], s[70:71]
	v_add_f64 v[38:39], v[40:41], v[38:39]
	;; [unrolled: 3-line block ×3, first 2 shown]
	v_add_f64 v[44:45], v[44:45], -v[40:41]
	v_fma_f64 v[34:35], v[36:37], v[34:35], s[74:75]
	v_add_f64 v[14:15], v[14:15], -v[40:41]
	v_add_f64 v[48:49], v[46:47], v[38:39]
	v_mul_f64 v[34:35], v[36:37], v[34:35]
	v_add_f64 v[36:37], v[42:43], -v[44:45]
	v_add_f64 v[40:41], v[48:49], -v[46:47]
	v_fma_f64 v[30:31], v[30:31], v[34:35], v[30:31]
	v_add_f64 v[14:15], v[14:15], v[36:37]
	v_add_f64 v[34:35], v[38:39], -v[40:41]
	v_add_f64 v[36:37], -v[30:31], s[76:77]
	v_add_f64 v[14:15], v[14:15], v[34:35]
	v_cndmask_b32_e64 v31, v31, v37, s[0:1]
	v_cndmask_b32_e64 v30, v30, v36, s[0:1]
	v_add_f64 v[34:35], -v[30:31], s[92:93]
	v_and_b32_e32 v36, 0x400921fb, v6
	v_add_f64 v[14:15], v[48:49], v[14:15]
	v_cndmask_b32_e32 v30, v30, v34, vcc
	v_cndmask_b32_e32 v34, v64, v65, vcc
	v_cndmask_b32_e64 v19, v30, v19, s[2:3]
	v_mul_f64 v[6:7], v[14:15], 0.5
	v_cndmask_b32_e32 v15, v31, v35, vcc
	v_bfi_b32 v14, s40, v34, v9
	v_cndmask_b32_e64 v15, v15, v36, s[2:3]
	s_and_b64 vcc, s[38:39], s[12:13]
	s_mov_b32 s38, 0xb5e68a13
	s_mov_b32 s39, 0x3eeba404
	v_cndmask_b32_e32 v15, v15, v14, vcc
	v_cndmask_b32_e64 v31, v61, v7, s[4:5]
	v_cndmask_b32_e64 v30, 0, v6, s[4:5]
	v_cndmask_b32_e32 v14, v19, v16, vcc
                                        ; implicit-def: $vgpr36_vgpr37
                                        ; implicit-def: $vgpr34_vgpr35
.LBB197_205:                            ;   in Loop: Header=BB197_162 Depth=1
	s_andn2_saveexec_b64 s[80:81], s[6:7]
	s_cbranch_execz .LBB197_209
; %bb.206:                              ;   in Loop: Header=BB197_162 Depth=1
	v_and_b32_e32 v19, 0x7ffffff8, v37
	v_and_b32_e32 v31, 0x7ffffff8, v35
	v_mov_b32_e32 v30, v18
	v_add_f64 v[14:15], v[36:37], -v[18:19]
	v_add_f64 v[32:33], v[34:35], -v[30:31]
	v_mov_b32_e32 v36, v18
	v_mov_b32_e32 v44, v18
	v_add_f64 v[40:41], v[18:19], v[18:19]
	v_add_f64 v[42:43], v[30:31], v[30:31]
	v_mul_f64 v[30:31], v[30:31], v[30:31]
	s_mov_b64 s[12:13], 0
	v_and_b32_e32 v37, -8, v15
	v_and_b32_e32 v45, -8, v33
	v_add_f64 v[50:51], v[14:15], -v[36:37]
	v_add_f64 v[52:53], v[32:33], -v[44:45]
	v_add_f64 v[54:55], v[36:37], v[36:37]
	v_add_f64 v[56:57], v[44:45], v[44:45]
	v_mul_f64 v[14:15], v[18:19], v[18:19]
	v_mul_f64 v[34:35], v[40:41], v[36:37]
	;; [unrolled: 1-line block ×11, first 2 shown]
.LBB197_207:                            ;   Parent Loop BB197_162 Depth=1
                                        ; =>  This Inner Loop Header: Depth=2
	v_cmp_nlt_f64_e32 vcc, v[14:15], v[30:31]
	v_cndmask_b32_e32 v53, v15, v31, vcc
	v_cndmask_b32_e32 v52, v14, v30, vcc
	v_cmp_nlt_f64_e64 s[2:3], v[52:53], v[34:35]
	v_cndmask_b32_e32 v15, v31, v15, vcc
	v_cndmask_b32_e32 v14, v30, v14, vcc
	v_cndmask_b32_e64 v55, v53, v35, s[2:3]
	v_cndmask_b32_e64 v54, v52, v34, s[2:3]
	v_cmp_nlt_f64_e64 s[4:5], v[54:55], v[32:33]
	v_cndmask_b32_e64 v31, v35, v53, s[2:3]
	v_cndmask_b32_e64 v30, v34, v52, s[2:3]
	s_and_b64 s[38:39], vcc, s[2:3]
	v_cndmask_b32_e64 v57, v55, v33, s[4:5]
	v_cndmask_b32_e64 v56, v54, v32, s[4:5]
	v_cmp_nlt_f64_e64 s[6:7], v[56:57], v[38:39]
	v_cndmask_b32_e64 v35, v33, v55, s[4:5]
	v_cndmask_b32_e64 v34, v32, v54, s[4:5]
	v_cndmask_b32_e64 v53, v57, v39, s[6:7]
	v_cndmask_b32_e64 v52, v56, v38, s[6:7]
	v_cmp_nlt_f64_e32 vcc, v[52:53], v[44:45]
	v_cndmask_b32_e64 v33, v39, v57, s[6:7]
	v_cndmask_b32_e64 v32, v38, v56, s[6:7]
	s_and_b64 s[6:7], s[4:5], s[6:7]
	v_cndmask_b32_e32 v55, v53, v45, vcc
	v_cndmask_b32_e32 v54, v52, v44, vcc
	v_cmp_nlt_f64_e64 s[2:3], v[54:55], v[48:49]
	v_cndmask_b32_e32 v39, v45, v53, vcc
	v_cndmask_b32_e32 v38, v44, v52, vcc
	v_cndmask_b32_e64 v53, v55, v49, s[2:3]
	v_cndmask_b32_e64 v52, v54, v48, s[2:3]
	v_cmp_nlt_f64_e64 s[4:5], v[52:53], v[46:47]
	v_cndmask_b32_e64 v45, v49, v55, s[2:3]
	v_cndmask_b32_e64 v44, v48, v54, s[2:3]
	s_and_b64 s[2:3], vcc, s[2:3]
	v_cndmask_b32_e64 v55, v53, v47, s[4:5]
	v_cndmask_b32_e64 v54, v52, v46, s[4:5]
	v_cmp_nlt_f64_e32 vcc, v[54:55], v[42:43]
	v_cndmask_b32_e64 v49, v47, v53, s[4:5]
	v_cndmask_b32_e64 v48, v46, v52, s[4:5]
	s_and_b64 s[4:5], s[2:3], s[4:5]
	v_cndmask_b32_e32 v53, v55, v43, vcc
	v_cndmask_b32_e32 v52, v54, v42, vcc
	v_cmp_nlt_f64_e64 s[2:3], v[52:53], v[40:41]
	v_cndmask_b32_e32 v47, v43, v55, vcc
	v_cndmask_b32_e32 v46, v42, v54, vcc
	s_and_b64 s[4:5], s[4:5], vcc
	v_cndmask_b32_e64 v55, v53, v41, s[2:3]
	v_cndmask_b32_e64 v54, v52, v40, s[2:3]
	v_cmp_nlt_f64_e32 vcc, v[54:55], v[36:37]
	v_cndmask_b32_e64 v43, v41, v53, s[2:3]
	v_cndmask_b32_e64 v42, v40, v52, s[2:3]
	s_and_b64 s[4:5], s[4:5], s[2:3]
	v_cndmask_b32_e32 v57, v55, v37, vcc
	v_cndmask_b32_e32 v56, v54, v36, vcc
	v_cmp_nlt_f64_e64 s[2:3], v[56:57], v[50:51]
	s_and_b64 s[4:5], s[4:5], vcc
	v_cndmask_b32_e32 v41, v37, v55, vcc
	v_cndmask_b32_e32 v40, v36, v54, vcc
	v_cndmask_b32_e64 v53, v57, v51, s[2:3]
	v_cndmask_b32_e64 v52, v56, v50, s[2:3]
	v_cndmask_b32_e64 v37, v51, v57, s[2:3]
	v_cndmask_b32_e64 v36, v50, v56, s[2:3]
	s_and_b64 s[2:3], s[4:5], s[2:3]
	s_and_b64 s[2:3], s[2:3], s[6:7]
	;; [unrolled: 1-line block ×3, first 2 shown]
	s_and_b64 s[2:3], exec, s[2:3]
	v_mov_b32_e32 v50, v52
	s_or_b64 s[12:13], s[2:3], s[12:13]
	v_mov_b32_e32 v51, v53
	s_andn2_b64 exec, exec, s[12:13]
	s_cbranch_execnz .LBB197_207
; %bb.208:                              ;   in Loop: Header=BB197_162 Depth=1
	s_or_b64 exec, exec, s[12:13]
	v_add_f64 v[14:15], v[14:15], -1.0
	s_mov_b32 s31, s19
	s_mov_b32 s92, s76
	;; [unrolled: 1-line block ×4, first 2 shown]
	v_cmp_class_f64_e64 s[38:39], v[6:7], s42
	v_cmp_class_f64_e64 s[12:13], v[8:9], s42
	v_add_f64 v[14:15], v[14:15], v[30:31]
	v_add_f64 v[14:15], v[14:15], v[34:35]
	;; [unrolled: 1-line block ×11, first 2 shown]
	v_add_f64 v[14:15], v[31:32], 1.0
	v_cmp_nge_f64_e64 s[4:5], -1.0, v[31:32]
	v_cmp_neq_f64_e64 s[6:7], s[6:7], v[31:32]
	v_frexp_mant_f64_e32 v[35:36], v[14:15]
	v_frexp_exp_i32_f64_e32 v16, v[14:15]
	v_add_f64 v[33:34], v[14:15], -1.0
	v_cmp_gt_f64_e32 vcc, s[18:19], v[35:36]
	v_add_f64 v[37:38], v[33:34], -v[14:15]
	v_add_f64 v[33:34], v[31:32], -v[33:34]
	v_subbrev_co_u32_e32 v16, vcc, 0, v16, vcc
	v_sub_u32_e32 v19, 0, v16
	v_ldexp_f64 v[14:15], v[14:15], v19
	v_add_f64 v[35:36], v[37:38], 1.0
	v_add_f64 v[37:38], v[14:15], 1.0
	v_add_f64 v[33:34], v[33:34], v[35:36]
	v_add_f64 v[43:44], v[14:15], -1.0
	v_add_f64 v[35:36], v[37:38], -1.0
	v_ldexp_f64 v[33:34], v[33:34], v19
	v_add_f64 v[45:46], v[43:44], 1.0
	v_add_f64 v[35:36], v[14:15], -v[35:36]
	v_add_f64 v[14:15], v[14:15], -v[45:46]
	v_add_f64 v[39:40], v[33:34], v[35:36]
	v_add_f64 v[45:46], v[33:34], v[14:15]
	;; [unrolled: 1-line block ×3, first 2 shown]
	v_rcp_f64_e32 v[41:42], v[35:36]
	v_add_f64 v[37:38], v[35:36], -v[37:38]
	v_add_f64 v[39:40], v[39:40], -v[37:38]
	v_fma_f64 v[47:48], -v[35:36], v[41:42], 1.0
	v_fma_f64 v[41:42], v[47:48], v[41:42], v[41:42]
	v_add_f64 v[47:48], v[43:44], v[45:46]
	v_fma_f64 v[14:15], -v[35:36], v[41:42], 1.0
	v_add_f64 v[43:44], v[47:48], -v[43:44]
	v_fma_f64 v[14:15], v[14:15], v[41:42], v[41:42]
	v_add_f64 v[43:44], v[45:46], -v[43:44]
	v_mul_f64 v[33:34], v[47:48], v[14:15]
	v_mul_f64 v[41:42], v[35:36], v[33:34]
	v_fma_f64 v[37:38], v[33:34], v[35:36], -v[41:42]
	v_fma_f64 v[49:50], v[33:34], v[39:40], v[37:38]
	v_add_f64 v[51:52], v[41:42], v[49:50]
	v_add_f64 v[37:38], v[47:48], -v[51:52]
	v_add_f64 v[41:42], v[51:52], -v[41:42]
	;; [unrolled: 1-line block ×5, first 2 shown]
	v_add_f64 v[43:44], v[43:44], v[45:46]
	v_max_f64 v[45:46], |v[6:7]|, |v[6:7]|
	v_ashrrev_i32_e32 v6, 31, v7
	v_and_b32_e32 v30, 0x54442d18, v6
	v_add_f64 v[41:42], v[41:42], v[43:44]
	v_max_f64 v[43:44], |v[8:9]|, |v[8:9]|
	v_add_f64 v[47:48], v[37:38], v[41:42]
	v_max_f64 v[49:50], v[45:46], v[43:44]
	v_min_f64 v[43:44], v[45:46], v[43:44]
	v_mul_f64 v[45:46], v[14:15], v[47:48]
	v_add_f64 v[37:38], v[37:38], -v[47:48]
	v_div_scale_f64 v[51:52], s[2:3], v[49:50], v[49:50], v[43:44]
	s_mov_b32 s2, 0xb5e68a13
	s_mov_b32 s3, 0x3eeba404
	v_mul_f64 v[53:54], v[35:36], v[45:46]
	v_add_f64 v[37:38], v[41:42], v[37:38]
	v_fma_f64 v[35:36], v[45:46], v[35:36], -v[53:54]
	v_rcp_f64_e32 v[55:56], v[51:52]
	v_fma_f64 v[35:36], v[45:46], v[39:40], v[35:36]
	v_add_f64 v[39:40], v[53:54], v[35:36]
	v_fma_f64 v[66:67], -v[51:52], v[55:56], 1.0
	v_add_f64 v[68:69], v[47:48], -v[39:40]
	v_add_f64 v[41:42], v[39:40], -v[53:54]
	v_fma_f64 v[55:56], v[55:56], v[66:67], v[55:56]
	v_div_scale_f64 v[66:67], vcc, v[43:44], v[49:50], v[43:44]
	v_add_f64 v[47:48], v[47:48], -v[68:69]
	v_add_f64 v[35:36], v[41:42], -v[35:36]
	v_fma_f64 v[70:71], -v[51:52], v[55:56], 1.0
	v_add_f64 v[41:42], v[33:34], v[45:46]
	v_add_f64 v[39:40], v[47:48], -v[39:40]
	v_fma_f64 v[47:48], v[55:56], v[70:71], v[55:56]
	v_add_f64 v[33:34], v[41:42], -v[33:34]
	v_add_f64 v[37:38], v[37:38], v[39:40]
	v_mul_f64 v[39:40], v[66:67], v[47:48]
	v_add_f64 v[33:34], v[45:46], -v[33:34]
	v_add_f64 v[35:36], v[35:36], v[37:38]
	v_fma_f64 v[37:38], -v[51:52], v[39:40], v[66:67]
	v_add_f64 v[35:36], v[68:69], v[35:36]
	v_div_fmas_f64 v[37:38], v[37:38], v[47:48], v[39:40]
	v_cmp_gt_i32_e32 vcc, 0, v7
	v_cndmask_b32_e32 v19, v64, v65, vcc
	v_mul_f64 v[14:15], v[14:15], v[35:36]
	v_add_f64 v[14:15], v[33:34], v[14:15]
	v_div_fixup_f64 v[33:34], v[37:38], v[49:50], v[43:44]
	v_add_f64 v[35:36], v[41:42], v[14:15]
	v_mul_f64 v[37:38], v[33:34], v[33:34]
	v_mul_f64 v[39:40], v[35:36], v[35:36]
	v_fma_f64 v[43:44], v[37:38], s[2:3], v[22:23]
	s_mov_b32 s2, 0x69efb384
	s_mov_b32 s3, 0x3f4b2bb0
	v_fma_f64 v[45:46], v[39:40], s[20:21], v[20:21]
	v_mul_f64 v[47:48], v[35:36], v[39:40]
	v_fma_f64 v[43:44], v[37:38], v[43:44], s[2:3]
	s_mov_b32 s2, 0xaf56de9b
	s_mov_b32 s3, 0xbf67952d
	v_fma_f64 v[45:46], v[39:40], v[45:46], s[22:23]
	v_fma_f64 v[43:44], v[37:38], v[43:44], s[2:3]
	v_cmp_eq_f64_e64 s[2:3], 0, v[8:9]
	v_fma_f64 v[45:46], v[39:40], v[45:46], s[24:25]
	v_fma_f64 v[43:44], v[37:38], v[43:44], s[44:45]
	;; [unrolled: 1-line block ×7, first 2 shown]
	v_ldexp_f64 v[45:46], v[35:36], 1
	v_fma_f64 v[43:44], v[37:38], v[43:44], s[50:51]
	v_add_f64 v[35:36], v[35:36], -v[41:42]
	v_mul_f64 v[39:40], v[47:48], v[39:40]
	v_cvt_f64_i32_e32 v[47:48], v16
	v_fma_f64 v[43:44], v[37:38], v[43:44], s[52:53]
	v_add_f64 v[14:15], v[14:15], -v[35:36]
	v_cndmask_b32_e32 v16, v62, v63, vcc
	v_mul_f64 v[49:50], v[47:48], s[34:35]
	v_add_f64 v[41:42], v[45:46], v[39:40]
	v_fma_f64 v[43:44], v[37:38], v[43:44], s[54:55]
	v_ldexp_f64 v[14:15], v[14:15], 1
	v_add_f64 v[35:36], v[41:42], -v[45:46]
	v_fma_f64 v[45:46], v[47:48], s[34:35], -v[49:50]
	v_fma_f64 v[43:44], v[37:38], v[43:44], s[56:57]
	v_add_f64 v[35:36], v[39:40], -v[35:36]
	v_fma_f64 v[39:40], v[37:38], v[43:44], s[58:59]
	v_fma_f64 v[43:44], v[47:48], s[36:37], v[45:46]
	v_add_f64 v[14:15], v[14:15], v[35:36]
	v_fma_f64 v[35:36], v[37:38], v[39:40], s[60:61]
	v_add_f64 v[39:40], v[49:50], v[43:44]
	v_add_f64 v[45:46], v[41:42], v[14:15]
	v_fma_f64 v[35:36], v[37:38], v[35:36], s[62:63]
	v_add_f64 v[49:50], v[39:40], -v[49:50]
	v_add_f64 v[47:48], v[39:40], v[45:46]
	v_add_f64 v[41:42], v[45:46], -v[41:42]
	v_fma_f64 v[35:36], v[37:38], v[35:36], s[64:65]
	v_add_f64 v[43:44], v[43:44], -v[49:50]
	v_add_f64 v[51:52], v[47:48], -v[39:40]
	;; [unrolled: 1-line block ×3, first 2 shown]
	v_fma_f64 v[35:36], v[37:38], v[35:36], s[66:67]
	v_add_f64 v[53:54], v[47:48], -v[51:52]
	v_add_f64 v[41:42], v[45:46], -v[51:52]
	v_fma_f64 v[35:36], v[37:38], v[35:36], s[68:69]
	v_add_f64 v[45:46], v[43:44], v[14:15]
	v_add_f64 v[39:40], v[39:40], -v[53:54]
	v_fma_f64 v[35:36], v[37:38], v[35:36], s[70:71]
	v_add_f64 v[39:40], v[41:42], v[39:40]
	;; [unrolled: 3-line block ×3, first 2 shown]
	v_add_f64 v[45:46], v[45:46], -v[41:42]
	v_fma_f64 v[35:36], v[37:38], v[35:36], s[74:75]
	v_add_f64 v[14:15], v[14:15], -v[41:42]
	v_add_f64 v[49:50], v[47:48], v[39:40]
	v_mul_f64 v[35:36], v[37:38], v[35:36]
	v_add_f64 v[37:38], v[43:44], -v[45:46]
	v_add_f64 v[41:42], v[49:50], -v[47:48]
	v_fma_f64 v[33:34], v[33:34], v[35:36], v[33:34]
	v_add_f64 v[14:15], v[14:15], v[37:38]
	v_add_f64 v[35:36], v[39:40], -v[41:42]
	v_add_f64 v[37:38], -v[33:34], s[76:77]
	v_add_f64 v[14:15], v[14:15], v[35:36]
	v_cndmask_b32_e64 v34, v34, v38, s[0:1]
	v_cndmask_b32_e64 v33, v33, v37, s[0:1]
	v_add_f64 v[35:36], -v[33:34], s[92:93]
	v_add_f64 v[14:15], v[49:50], v[14:15]
	v_cndmask_b32_e32 v33, v33, v35, vcc
	v_and_b32_e32 v35, 0x400921fb, v6
	v_mul_f64 v[6:7], v[14:15], 0.5
	v_cndmask_b32_e32 v15, v34, v36, vcc
	v_bfi_b32 v14, s40, v19, v9
	v_cndmask_b32_e64 v19, v33, v30, s[2:3]
	v_cndmask_b32_e64 v15, v15, v35, s[2:3]
	s_and_b64 s[2:3], s[4:5], s[6:7]
	s_and_b64 vcc, s[38:39], s[12:13]
	s_mov_b32 s38, 0xb5e68a13
	v_cndmask_b32_e64 v30, 0, v6, s[2:3]
	v_cmp_ngt_f64_e64 s[2:3], -1.0, v[31:32]
	v_cndmask_b32_e64 v7, v59, v7, s[6:7]
	s_mov_b32 s39, 0x3eeba404
	v_cndmask_b32_e32 v15, v15, v14, vcc
	v_cndmask_b32_e32 v14, v19, v16, vcc
	v_cndmask_b32_e64 v6, v60, v7, s[2:3]
	v_cmp_neq_f64_e64 s[2:3], -1.0, v[31:32]
	v_cndmask_b32_e64 v31, v61, v6, s[2:3]
.LBB197_209:                            ;   in Loop: Header=BB197_162 Depth=1
	s_or_b64 exec, exec, s[80:81]
.LBB197_210:                            ;   in Loop: Header=BB197_162 Depth=1
	s_or_b64 exec, exec, s[16:17]
.LBB197_211:                            ;   in Loop: Header=BB197_162 Depth=1
	s_andn2_saveexec_b64 s[6:7], s[14:15]
	s_cbranch_execz .LBB197_213
; %bb.212:                              ;   in Loop: Header=BB197_162 Depth=1
	v_max_f64 v[14:15], |v[8:9]|, |v[8:9]|
	v_max_f64 v[33:34], |v[6:7]|, |v[6:7]|
	v_cmp_class_f64_e64 s[14:15], v[6:7], s42
	v_cmp_class_f64_e64 s[16:17], v[8:9], s42
	s_mov_b32 s31, s19
	s_mov_b32 s92, s76
	v_max_f64 v[35:36], v[33:34], v[14:15]
	v_min_f64 v[14:15], v[33:34], v[14:15]
	v_frexp_exp_i32_f64_e32 v16, v[35:36]
	v_sub_u32_e32 v19, 0, v16
	v_ldexp_f64 v[30:31], |v[8:9]|, v19
	v_ldexp_f64 v[37:38], |v[6:7]|, v19
	v_mul_f64 v[30:31], v[30:31], v[30:31]
	v_fma_f64 v[30:31], v[37:38], v[37:38], v[30:31]
	v_rsq_f64_e32 v[37:38], v[30:31]
	v_cmp_eq_f64_e32 vcc, 0, v[30:31]
	v_mul_f64 v[39:40], v[30:31], v[37:38]
	v_mul_f64 v[37:38], v[37:38], 0.5
	v_fma_f64 v[41:42], -v[37:38], v[39:40], 0.5
	v_fma_f64 v[39:40], v[39:40], v[41:42], v[39:40]
	v_fma_f64 v[37:38], v[37:38], v[41:42], v[37:38]
	v_fma_f64 v[41:42], -v[39:40], v[39:40], v[30:31]
	v_fma_f64 v[37:38], v[41:42], v[37:38], v[39:40]
	v_cndmask_b32_e32 v31, v38, v31, vcc
	v_cndmask_b32_e32 v30, v37, v30, vcc
	v_ldexp_f64 v[30:31], v[30:31], v16
	s_or_b64 vcc, s[14:15], s[16:17]
	v_cndmask_b32_e32 v32, v31, v59, vcc
	v_cndmask_b32_e64 v31, v30, 0, vcc
	v_frexp_mant_f64_e32 v[37:38], v[31:32]
	v_cmp_gt_f64_e64 s[2:3], s[18:19], v[37:38]
	v_cndmask_b32_e64 v6, 0, 1, s[2:3]
	v_ldexp_f64 v[37:38], v[37:38], v6
	v_frexp_exp_i32_f64_e32 v6, v[31:32]
	v_add_f64 v[39:40], v[37:38], 1.0
	v_add_f64 v[45:46], v[37:38], -1.0
	v_rcp_f64_e32 v[41:42], v[39:40]
	v_add_f64 v[49:50], v[39:40], -1.0
	v_add_f64 v[37:38], v[37:38], -v[49:50]
	v_fma_f64 v[43:44], -v[39:40], v[41:42], 1.0
	v_fma_f64 v[33:34], v[43:44], v[41:42], v[41:42]
	v_div_scale_f64 v[41:42], s[4:5], v[35:36], v[35:36], v[14:15]
	s_mov_b32 s4, 0x69efb384
	s_mov_b32 s5, 0x3f4b2bb0
	v_fma_f64 v[43:44], -v[39:40], v[33:34], 1.0
	v_fma_f64 v[33:34], v[43:44], v[33:34], v[33:34]
	v_rcp_f64_e32 v[43:44], v[41:42]
	v_mul_f64 v[47:48], v[45:46], v[33:34]
	v_mul_f64 v[51:52], v[39:40], v[47:48]
	v_fma_f64 v[53:54], -v[41:42], v[43:44], 1.0
	v_fma_f64 v[39:40], v[47:48], v[39:40], -v[51:52]
	v_fma_f64 v[43:44], v[43:44], v[53:54], v[43:44]
	v_fma_f64 v[37:38], v[47:48], v[37:38], v[39:40]
	v_div_scale_f64 v[39:40], vcc, v[14:15], v[35:36], v[14:15]
	v_fma_f64 v[49:50], -v[41:42], v[43:44], 1.0
	v_add_f64 v[53:54], v[51:52], v[37:38]
	v_fma_f64 v[43:44], v[43:44], v[49:50], v[43:44]
	v_add_f64 v[49:50], v[45:46], -v[53:54]
	v_add_f64 v[51:52], v[53:54], -v[51:52]
	v_mul_f64 v[55:56], v[39:40], v[43:44]
	v_add_f64 v[45:46], v[45:46], -v[49:50]
	v_add_f64 v[37:38], v[51:52], -v[37:38]
	v_fma_f64 v[39:40], -v[41:42], v[55:56], v[39:40]
	v_add_f64 v[41:42], v[45:46], -v[53:54]
	v_div_fmas_f64 v[39:40], v[39:40], v[43:44], v[55:56]
	v_subbrev_co_u32_e64 v6, vcc, 0, v6, s[2:3]
	v_cmp_eq_f64_e64 s[2:3], 0, v[8:9]
	v_cmp_gt_i32_e32 vcc, 0, v7
	v_add_f64 v[37:38], v[37:38], v[41:42]
	v_cndmask_b32_e32 v30, v64, v65, vcc
	v_cndmask_b32_e32 v16, v62, v63, vcc
	v_bfi_b32 v30, s40, v30, v9
	v_add_f64 v[37:38], v[49:50], v[37:38]
	v_div_fixup_f64 v[14:15], v[39:40], v[35:36], v[14:15]
	v_mul_f64 v[33:34], v[33:34], v[37:38]
	v_mul_f64 v[35:36], v[14:15], v[14:15]
	v_add_f64 v[37:38], v[47:48], v[33:34]
	v_fma_f64 v[39:40], v[35:36], s[38:39], v[22:23]
	v_mul_f64 v[41:42], v[37:38], v[37:38]
	v_fma_f64 v[39:40], v[35:36], v[39:40], s[4:5]
	s_mov_b32 s4, 0xaf56de9b
	s_mov_b32 s5, 0xbf67952d
	v_fma_f64 v[43:44], v[41:42], s[20:21], v[20:21]
	v_mul_f64 v[45:46], v[37:38], v[41:42]
	v_fma_f64 v[39:40], v[35:36], v[39:40], s[4:5]
	v_cmp_class_f64_e64 s[4:5], v[31:32], s42
	v_fma_f64 v[43:44], v[41:42], v[43:44], s[22:23]
	v_fma_f64 v[39:40], v[35:36], v[39:40], s[44:45]
	;; [unrolled: 1-line block ×9, first 2 shown]
	v_ldexp_f64 v[43:44], v[37:38], 1
	v_add_f64 v[37:38], v[37:38], -v[47:48]
	v_fma_f64 v[39:40], v[35:36], v[39:40], s[52:53]
	v_cvt_f64_i32_e32 v[47:48], v6
	v_ashrrev_i32_e32 v6, 31, v7
	v_and_b32_e32 v19, 0x54442d18, v6
	v_mul_f64 v[41:42], v[45:46], v[41:42]
	v_mul_f64 v[49:50], v[47:48], s[34:35]
	v_add_f64 v[33:34], v[33:34], -v[37:38]
	v_fma_f64 v[39:40], v[35:36], v[39:40], s[54:55]
	v_add_f64 v[45:46], v[43:44], v[41:42]
	v_ldexp_f64 v[33:34], v[33:34], 1
	v_fma_f64 v[39:40], v[35:36], v[39:40], s[56:57]
	v_add_f64 v[37:38], v[45:46], -v[43:44]
	v_fma_f64 v[43:44], v[47:48], s[34:35], -v[49:50]
	v_fma_f64 v[39:40], v[35:36], v[39:40], s[58:59]
	v_add_f64 v[37:38], v[41:42], -v[37:38]
	v_fma_f64 v[41:42], v[47:48], s[36:37], v[43:44]
	v_fma_f64 v[39:40], v[35:36], v[39:40], s[60:61]
	v_add_f64 v[33:34], v[33:34], v[37:38]
	v_fma_f64 v[37:38], v[35:36], v[39:40], s[62:63]
	v_add_f64 v[39:40], v[49:50], v[41:42]
	v_add_f64 v[43:44], v[45:46], v[33:34]
	v_fma_f64 v[37:38], v[35:36], v[37:38], s[64:65]
	v_add_f64 v[49:50], v[39:40], -v[49:50]
	v_add_f64 v[47:48], v[39:40], v[43:44]
	v_add_f64 v[45:46], v[43:44], -v[45:46]
	v_fma_f64 v[37:38], v[35:36], v[37:38], s[66:67]
	v_add_f64 v[41:42], v[41:42], -v[49:50]
	v_add_f64 v[51:52], v[47:48], -v[39:40]
	;; [unrolled: 1-line block ×3, first 2 shown]
	v_fma_f64 v[37:38], v[35:36], v[37:38], s[68:69]
	v_add_f64 v[53:54], v[47:48], -v[51:52]
	v_add_f64 v[43:44], v[43:44], -v[51:52]
	v_add_f64 v[45:46], v[41:42], v[33:34]
	v_fma_f64 v[37:38], v[35:36], v[37:38], s[70:71]
	v_add_f64 v[39:40], v[39:40], -v[53:54]
	v_fma_f64 v[37:38], v[35:36], v[37:38], s[72:73]
	v_add_f64 v[39:40], v[43:44], v[39:40]
	v_add_f64 v[43:44], v[45:46], -v[41:42]
	v_fma_f64 v[37:38], v[35:36], v[37:38], s[74:75]
	v_add_f64 v[39:40], v[45:46], v[39:40]
	v_add_f64 v[33:34], v[33:34], -v[43:44]
	v_mul_f64 v[35:36], v[35:36], v[37:38]
	v_add_f64 v[37:38], v[45:46], -v[43:44]
	v_add_f64 v[45:46], v[47:48], v[39:40]
	v_fma_f64 v[14:15], v[14:15], v[35:36], v[14:15]
	v_add_f64 v[35:36], v[41:42], -v[37:38]
	v_add_f64 v[37:38], v[45:46], -v[47:48]
	v_add_f64 v[41:42], -v[14:15], s[76:77]
	v_add_f64 v[33:34], v[33:34], v[35:36]
	v_add_f64 v[35:36], v[39:40], -v[37:38]
	v_cndmask_b32_e64 v15, v15, v42, s[0:1]
	v_cndmask_b32_e64 v14, v14, v41, s[0:1]
	v_add_f64 v[37:38], -v[14:15], s[92:93]
	v_add_f64 v[33:34], v[33:34], v[35:36]
	v_and_b32_e32 v35, 0x400921fb, v6
	v_cndmask_b32_e32 v14, v14, v37, vcc
	v_cndmask_b32_e32 v15, v15, v38, vcc
	v_cndmask_b32_e64 v14, v14, v19, s[2:3]
	v_add_f64 v[6:7], v[45:46], v[33:34]
	v_cndmask_b32_e64 v15, v15, v35, s[2:3]
	v_cmp_ngt_f64_e64 s[2:3], 0, v[31:32]
	s_and_b64 vcc, s[14:15], s[16:17]
	v_cndmask_b32_e32 v15, v15, v30, vcc
	v_cndmask_b32_e32 v14, v14, v16, vcc
	v_cndmask_b32_e64 v7, v7, v32, s[4:5]
	v_cndmask_b32_e64 v6, v6, v31, s[4:5]
	;; [unrolled: 1-line block ×3, first 2 shown]
	v_cmp_nge_f64_e64 s[2:3], 0, v[31:32]
	v_cndmask_b32_e64 v30, 0, v6, s[2:3]
	v_cmp_neq_f64_e64 s[2:3], 0, v[31:32]
	v_cndmask_b32_e64 v31, v61, v7, s[2:3]
.LBB197_213:                            ;   in Loop: Header=BB197_162 Depth=1
	s_or_b64 exec, exec, s[6:7]
                                        ; implicit-def: $vgpr34_vgpr35
.LBB197_214:                            ;   in Loop: Header=BB197_162 Depth=1
	s_andn2_saveexec_b64 s[6:7], s[86:87]
	s_cbranch_execz .LBB197_220
; %bb.215:                              ;   in Loop: Header=BB197_162 Depth=1
	s_mov_b32 s2, 0x6a3f9475
	s_mov_b32 s3, 0x20ca2fe7
	v_cmp_ngt_f64_e32 vcc, s[2:3], v[34:35]
                                        ; implicit-def: $vgpr30_vgpr31
                                        ; implicit-def: $vgpr14_vgpr15
	s_and_saveexec_b64 s[2:3], vcc
	s_xor_b64 s[14:15], exec, s[2:3]
	s_cbranch_execz .LBB197_217
; %bb.216:                              ;   in Loop: Header=BB197_162 Depth=1
	v_mul_f64 v[14:15], v[34:35], v[34:35]
	s_mov_b32 s31, s19
	s_mov_b32 s92, s76
	;; [unrolled: 1-line block ×3, first 2 shown]
	v_cmp_class_f64_e64 s[12:13], v[8:9], s42
	v_cmp_class_f64_e64 s[16:17], v[6:7], s42
	s_mov_b32 s5, 0x7ff00000
	v_add_f64 v[30:31], v[14:15], 1.0
	v_cmp_neq_f64_e64 s[4:5], s[4:5], v[14:15]
	v_frexp_mant_f64_e32 v[34:35], v[30:31]
	v_frexp_exp_i32_f64_e32 v16, v[30:31]
	v_add_f64 v[32:33], v[30:31], -1.0
	v_cmp_gt_f64_e32 vcc, s[18:19], v[34:35]
	v_add_f64 v[36:37], v[32:33], -v[30:31]
	v_add_f64 v[32:33], v[14:15], -v[32:33]
	v_subbrev_co_u32_e32 v16, vcc, 0, v16, vcc
	v_sub_u32_e32 v19, 0, v16
	v_ldexp_f64 v[30:31], v[30:31], v19
	v_add_f64 v[34:35], v[36:37], 1.0
	v_add_f64 v[36:37], v[30:31], 1.0
	v_add_f64 v[32:33], v[32:33], v[34:35]
	v_add_f64 v[42:43], v[30:31], -1.0
	v_add_f64 v[34:35], v[36:37], -1.0
	v_ldexp_f64 v[32:33], v[32:33], v19
	v_add_f64 v[44:45], v[42:43], 1.0
	v_add_f64 v[34:35], v[30:31], -v[34:35]
	v_add_f64 v[30:31], v[30:31], -v[44:45]
	v_add_f64 v[38:39], v[32:33], v[34:35]
	v_add_f64 v[44:45], v[32:33], v[30:31]
	;; [unrolled: 1-line block ×3, first 2 shown]
	v_rcp_f64_e32 v[40:41], v[34:35]
	v_add_f64 v[36:37], v[36:37], -v[34:35]
	v_add_f64 v[38:39], v[38:39], v[36:37]
	v_fma_f64 v[46:47], -v[34:35], v[40:41], 1.0
	v_fma_f64 v[40:41], v[46:47], v[40:41], v[40:41]
	v_add_f64 v[46:47], v[42:43], v[44:45]
	v_fma_f64 v[30:31], -v[34:35], v[40:41], 1.0
	v_add_f64 v[42:43], v[42:43], -v[46:47]
	v_fma_f64 v[30:31], v[30:31], v[40:41], v[40:41]
	v_add_f64 v[42:43], v[44:45], v[42:43]
	v_mul_f64 v[32:33], v[46:47], v[30:31]
	v_mul_f64 v[40:41], v[34:35], v[32:33]
	v_fma_f64 v[36:37], v[32:33], v[34:35], -v[40:41]
	v_fma_f64 v[48:49], v[32:33], v[38:39], v[36:37]
	v_add_f64 v[50:51], v[40:41], v[48:49]
	v_add_f64 v[36:37], v[46:47], -v[50:51]
	v_add_f64 v[40:41], v[50:51], -v[40:41]
	;; [unrolled: 1-line block ×5, first 2 shown]
	v_add_f64 v[42:43], v[42:43], v[44:45]
	v_max_f64 v[44:45], |v[6:7]|, |v[6:7]|
	v_ashrrev_i32_e32 v6, 31, v7
	v_and_b32_e32 v19, 0x54442d18, v6
	v_add_f64 v[40:41], v[40:41], v[42:43]
	v_max_f64 v[42:43], |v[8:9]|, |v[8:9]|
	v_add_f64 v[46:47], v[36:37], v[40:41]
	v_max_f64 v[48:49], v[44:45], v[42:43]
	v_min_f64 v[42:43], v[44:45], v[42:43]
	v_mul_f64 v[44:45], v[30:31], v[46:47]
	v_add_f64 v[36:37], v[36:37], -v[46:47]
	v_div_scale_f64 v[50:51], s[2:3], v[48:49], v[48:49], v[42:43]
	s_mov_b32 s2, 0x69efb384
	s_mov_b32 s3, 0x3f4b2bb0
	v_mul_f64 v[52:53], v[34:35], v[44:45]
	v_add_f64 v[36:37], v[40:41], v[36:37]
	v_fma_f64 v[34:35], v[44:45], v[34:35], -v[52:53]
	v_rcp_f64_e32 v[54:55], v[50:51]
	v_fma_f64 v[34:35], v[44:45], v[38:39], v[34:35]
	v_add_f64 v[38:39], v[52:53], v[34:35]
	v_fma_f64 v[56:57], -v[50:51], v[54:55], 1.0
	v_add_f64 v[66:67], v[46:47], -v[38:39]
	v_add_f64 v[40:41], v[38:39], -v[52:53]
	v_fma_f64 v[54:55], v[54:55], v[56:57], v[54:55]
	v_div_scale_f64 v[56:57], vcc, v[42:43], v[48:49], v[42:43]
	v_add_f64 v[46:47], v[46:47], -v[66:67]
	v_add_f64 v[34:35], v[40:41], -v[34:35]
	v_fma_f64 v[68:69], -v[50:51], v[54:55], 1.0
	v_add_f64 v[40:41], v[32:33], v[44:45]
	v_add_f64 v[38:39], v[46:47], -v[38:39]
	v_fma_f64 v[46:47], v[54:55], v[68:69], v[54:55]
	v_add_f64 v[32:33], v[40:41], -v[32:33]
	v_add_f64 v[36:37], v[36:37], v[38:39]
	v_mul_f64 v[38:39], v[56:57], v[46:47]
	v_add_f64 v[32:33], v[44:45], -v[32:33]
	v_add_f64 v[34:35], v[34:35], v[36:37]
	v_fma_f64 v[36:37], -v[50:51], v[38:39], v[56:57]
	v_add_f64 v[34:35], v[66:67], v[34:35]
	v_div_fmas_f64 v[36:37], v[36:37], v[46:47], v[38:39]
	v_cmp_gt_i32_e32 vcc, 0, v7
	v_mul_f64 v[30:31], v[30:31], v[34:35]
	v_add_f64 v[30:31], v[32:33], v[30:31]
	v_div_fixup_f64 v[32:33], v[36:37], v[48:49], v[42:43]
	v_add_f64 v[34:35], v[40:41], v[30:31]
	v_mul_f64 v[36:37], v[32:33], v[32:33]
	v_mul_f64 v[38:39], v[34:35], v[34:35]
	v_fma_f64 v[42:43], v[36:37], s[38:39], v[22:23]
	v_fma_f64 v[44:45], v[38:39], s[20:21], v[20:21]
	v_mul_f64 v[46:47], v[34:35], v[38:39]
	v_fma_f64 v[42:43], v[36:37], v[42:43], s[2:3]
	s_mov_b32 s2, 0xaf56de9b
	s_mov_b32 s3, 0xbf67952d
	v_fma_f64 v[44:45], v[38:39], v[44:45], s[22:23]
	v_fma_f64 v[42:43], v[36:37], v[42:43], s[2:3]
	v_cmp_eq_f64_e64 s[2:3], 0, v[8:9]
	v_fma_f64 v[44:45], v[38:39], v[44:45], s[24:25]
	v_fma_f64 v[42:43], v[36:37], v[42:43], s[44:45]
	;; [unrolled: 1-line block ×7, first 2 shown]
	v_ldexp_f64 v[44:45], v[34:35], 1
	v_fma_f64 v[42:43], v[36:37], v[42:43], s[50:51]
	v_add_f64 v[34:35], v[34:35], -v[40:41]
	v_mul_f64 v[38:39], v[46:47], v[38:39]
	v_cvt_f64_i32_e32 v[46:47], v16
	v_fma_f64 v[42:43], v[36:37], v[42:43], s[52:53]
	v_add_f64 v[30:31], v[30:31], -v[34:35]
	v_cndmask_b32_e32 v16, v62, v63, vcc
	v_mul_f64 v[48:49], v[46:47], s[34:35]
	v_add_f64 v[40:41], v[44:45], v[38:39]
	v_fma_f64 v[42:43], v[36:37], v[42:43], s[54:55]
	v_ldexp_f64 v[30:31], v[30:31], 1
	v_add_f64 v[34:35], v[40:41], -v[44:45]
	v_fma_f64 v[44:45], v[46:47], s[34:35], -v[48:49]
	v_fma_f64 v[42:43], v[36:37], v[42:43], s[56:57]
	v_add_f64 v[34:35], v[38:39], -v[34:35]
	v_fma_f64 v[38:39], v[36:37], v[42:43], s[58:59]
	v_fma_f64 v[42:43], v[46:47], s[36:37], v[44:45]
	v_add_f64 v[30:31], v[30:31], v[34:35]
	v_fma_f64 v[34:35], v[36:37], v[38:39], s[60:61]
	v_add_f64 v[38:39], v[48:49], v[42:43]
	v_add_f64 v[44:45], v[40:41], v[30:31]
	v_fma_f64 v[34:35], v[36:37], v[34:35], s[62:63]
	v_add_f64 v[48:49], v[38:39], -v[48:49]
	v_add_f64 v[46:47], v[38:39], v[44:45]
	v_add_f64 v[40:41], v[44:45], -v[40:41]
	v_fma_f64 v[34:35], v[36:37], v[34:35], s[64:65]
	v_add_f64 v[42:43], v[42:43], -v[48:49]
	v_add_f64 v[50:51], v[46:47], -v[38:39]
	;; [unrolled: 1-line block ×3, first 2 shown]
	v_fma_f64 v[34:35], v[36:37], v[34:35], s[66:67]
	v_add_f64 v[52:53], v[46:47], -v[50:51]
	v_add_f64 v[40:41], v[44:45], -v[50:51]
	v_fma_f64 v[34:35], v[36:37], v[34:35], s[68:69]
	v_add_f64 v[44:45], v[42:43], v[30:31]
	v_add_f64 v[38:39], v[38:39], -v[52:53]
	v_fma_f64 v[34:35], v[36:37], v[34:35], s[70:71]
	v_add_f64 v[38:39], v[40:41], v[38:39]
	v_add_f64 v[40:41], v[44:45], -v[42:43]
	v_fma_f64 v[34:35], v[36:37], v[34:35], s[72:73]
	v_add_f64 v[38:39], v[44:45], v[38:39]
	v_add_f64 v[44:45], v[44:45], -v[40:41]
	v_fma_f64 v[34:35], v[36:37], v[34:35], s[74:75]
	v_add_f64 v[30:31], v[30:31], -v[40:41]
	v_add_f64 v[48:49], v[46:47], v[38:39]
	v_mul_f64 v[34:35], v[36:37], v[34:35]
	v_add_f64 v[36:37], v[42:43], -v[44:45]
	v_add_f64 v[40:41], v[48:49], -v[46:47]
	v_fma_f64 v[32:33], v[32:33], v[34:35], v[32:33]
	v_add_f64 v[30:31], v[30:31], v[36:37]
	v_add_f64 v[34:35], v[38:39], -v[40:41]
	v_add_f64 v[36:37], -v[32:33], s[76:77]
	v_add_f64 v[30:31], v[30:31], v[34:35]
	v_cndmask_b32_e64 v33, v33, v37, s[0:1]
	v_cndmask_b32_e64 v32, v32, v36, s[0:1]
	v_add_f64 v[34:35], -v[32:33], s[92:93]
	v_and_b32_e32 v36, 0x400921fb, v6
	v_add_f64 v[30:31], v[48:49], v[30:31]
	v_cndmask_b32_e32 v32, v32, v34, vcc
	v_cndmask_b32_e32 v34, v64, v65, vcc
	;; [unrolled: 1-line block ×3, first 2 shown]
	v_bfi_b32 v14, s40, v34, v9
	v_mul_f64 v[6:7], v[30:31], 0.5
	v_cndmask_b32_e64 v19, v32, v19, s[2:3]
	v_cndmask_b32_e64 v15, v15, v36, s[2:3]
	s_and_b64 vcc, s[16:17], s[12:13]
	v_cndmask_b32_e32 v15, v15, v14, vcc
	v_cndmask_b32_e32 v14, v19, v16, vcc
                                        ; implicit-def: $vgpr34_vgpr35
	v_cndmask_b32_e64 v31, v59, v7, s[4:5]
	v_cndmask_b32_e64 v30, 0, v6, s[4:5]
.LBB197_217:                            ;   in Loop: Header=BB197_162 Depth=1
	s_andn2_saveexec_b64 s[4:5], s[14:15]
	s_cbranch_execz .LBB197_219
; %bb.218:                              ;   in Loop: Header=BB197_162 Depth=1
	v_max_f64 v[14:15], |v[8:9]|, |v[8:9]|
	v_max_f64 v[30:31], |v[6:7]|, |v[6:7]|
	s_mov_b32 s92, s76
	v_cmp_class_f64_e64 s[12:13], v[8:9], s42
	v_cmp_class_f64_e64 s[14:15], v[6:7], s42
	v_ashrrev_i32_e32 v16, 31, v7
	v_max_f64 v[32:33], v[30:31], v[14:15]
	v_min_f64 v[14:15], v[30:31], v[14:15]
	v_div_scale_f64 v[30:31], s[2:3], v[32:33], v[32:33], v[14:15]
	s_mov_b32 s2, 0x69efb384
	s_mov_b32 s3, 0x3f4b2bb0
	v_rcp_f64_e32 v[36:37], v[30:31]
	v_fma_f64 v[38:39], -v[30:31], v[36:37], 1.0
	v_fma_f64 v[36:37], v[36:37], v[38:39], v[36:37]
	v_div_scale_f64 v[38:39], vcc, v[14:15], v[32:33], v[14:15]
	v_fma_f64 v[40:41], -v[30:31], v[36:37], 1.0
	v_fma_f64 v[36:37], v[36:37], v[40:41], v[36:37]
	v_mul_f64 v[40:41], v[38:39], v[36:37]
	v_fma_f64 v[30:31], -v[30:31], v[40:41], v[38:39]
	v_div_fmas_f64 v[30:31], v[30:31], v[36:37], v[40:41]
	v_mul_f64 v[36:37], v[34:35], 0.5
	v_cmp_gt_i32_e32 vcc, 0, v7
	v_cndmask_b32_e32 v6, v64, v65, vcc
	v_and_b32_e32 v7, 0x400921fb, v16
	v_cndmask_b32_e32 v19, v62, v63, vcc
	v_bfi_b32 v6, s40, v6, v9
	v_div_fixup_f64 v[14:15], v[30:31], v[32:33], v[14:15]
	v_mul_f64 v[30:31], v[14:15], v[14:15]
	v_fma_f64 v[32:33], v[30:31], s[38:39], v[22:23]
	v_fma_f64 v[32:33], v[30:31], v[32:33], s[2:3]
	s_mov_b32 s2, 0xaf56de9b
	s_mov_b32 s3, 0xbf67952d
	v_fma_f64 v[32:33], v[30:31], v[32:33], s[2:3]
	v_cmp_eq_f64_e64 s[2:3], 0, v[8:9]
	v_fma_f64 v[32:33], v[30:31], v[32:33], s[44:45]
	v_fma_f64 v[32:33], v[30:31], v[32:33], s[46:47]
	;; [unrolled: 1-line block ×16, first 2 shown]
	v_mul_f64 v[30:31], v[30:31], v[32:33]
	v_and_b32_e32 v33, 0x54442d18, v16
	v_fma_f64 v[14:15], v[14:15], v[30:31], v[14:15]
	v_add_f64 v[30:31], -v[14:15], s[76:77]
	v_cndmask_b32_e64 v15, v15, v31, s[0:1]
	v_cndmask_b32_e64 v14, v14, v30, s[0:1]
	v_add_f64 v[31:32], -v[14:15], s[92:93]
	v_cndmask_b32_e32 v14, v14, v31, vcc
	v_mul_f64 v[30:31], v[34:35], v[36:37]
	v_cndmask_b32_e32 v15, v15, v32, vcc
	v_cndmask_b32_e64 v14, v14, v33, s[2:3]
	v_cndmask_b32_e64 v7, v15, v7, s[2:3]
	s_and_b64 vcc, s[14:15], s[12:13]
	v_cndmask_b32_e32 v15, v7, v6, vcc
	v_cndmask_b32_e32 v14, v14, v19, vcc
.LBB197_219:                            ;   in Loop: Header=BB197_162 Depth=1
	s_or_b64 exec, exec, s[4:5]
.LBB197_220:                            ;   in Loop: Header=BB197_162 Depth=1
	s_or_b64 exec, exec, s[6:7]
.LBB197_221:                            ;   in Loop: Header=BB197_162 Depth=1
	s_andn2_saveexec_b64 s[4:5], s[94:95]
	s_cbranch_execz .LBB197_223
; %bb.222:                              ;   in Loop: Header=BB197_162 Depth=1
	v_div_scale_f64 v[14:15], s[2:3], s[82:83], s[82:83], v[6:7]
	v_div_scale_f64 v[30:31], s[2:3], s[82:83], s[82:83], v[8:9]
	;; [unrolled: 1-line block ×3, first 2 shown]
	s_mov_b32 s31, s19
	s_mov_b32 s92, s76
	v_cmp_class_f64_e64 s[12:13], v[6:7], s42
	v_rcp_f64_e32 v[32:33], v[14:15]
	v_rcp_f64_e32 v[34:35], v[30:31]
	v_fma_f64 v[36:37], -v[14:15], v[32:33], 1.0
	v_fma_f64 v[38:39], -v[30:31], v[34:35], 1.0
	v_fma_f64 v[32:33], v[32:33], v[36:37], v[32:33]
	v_div_scale_f64 v[36:37], vcc, v[6:7], s[82:83], v[6:7]
	v_fma_f64 v[34:35], v[34:35], v[38:39], v[34:35]
	v_fma_f64 v[38:39], -v[14:15], v[32:33], 1.0
	v_fma_f64 v[42:43], -v[30:31], v[34:35], 1.0
	v_fma_f64 v[32:33], v[32:33], v[38:39], v[32:33]
	v_fma_f64 v[34:35], v[34:35], v[42:43], v[34:35]
	v_mul_f64 v[38:39], v[36:37], v[32:33]
	v_mul_f64 v[42:43], v[40:41], v[34:35]
	v_fma_f64 v[14:15], -v[14:15], v[38:39], v[36:37]
	v_fma_f64 v[30:31], -v[30:31], v[42:43], v[40:41]
	v_div_fmas_f64 v[14:15], v[14:15], v[32:33], v[38:39]
	s_mov_b64 vcc, s[2:3]
	v_div_fmas_f64 v[30:31], v[30:31], v[34:35], v[42:43]
	v_max_f64 v[41:42], |v[6:7]|, |v[6:7]|
	v_div_fixup_f64 v[14:15], v[14:15], s[82:83], v[6:7]
	v_ashrrev_i32_e32 v6, 31, v7
	v_div_fixup_f64 v[30:31], v[30:31], s[82:83], v[8:9]
	v_cmp_class_f64_e64 s[2:3], v[14:15], s42
	v_max_f64 v[32:33], |v[14:15]|, |v[30:31]|
	v_cmp_class_f64_e64 s[6:7], v[30:31], s42
	v_frexp_exp_i32_f64_e32 v16, v[32:33]
	v_sub_u32_e32 v19, 0, v16
	v_ldexp_f64 v[32:33], |v[30:31]|, v19
	v_ldexp_f64 v[34:35], |v[14:15]|, v19
	v_mul_f64 v[32:33], v[32:33], v[32:33]
	v_fma_f64 v[32:33], v[34:35], v[34:35], v[32:33]
	v_rsq_f64_e32 v[34:35], v[32:33]
	v_cmp_eq_f64_e32 vcc, 0, v[32:33]
	v_mul_f64 v[36:37], v[32:33], v[34:35]
	v_mul_f64 v[34:35], v[34:35], 0.5
	v_fma_f64 v[38:39], -v[34:35], v[36:37], 0.5
	v_fma_f64 v[36:37], v[36:37], v[38:39], v[36:37]
	v_fma_f64 v[34:35], v[34:35], v[38:39], v[34:35]
	v_fma_f64 v[38:39], -v[36:37], v[36:37], v[32:33]
	v_fma_f64 v[34:35], v[38:39], v[34:35], v[36:37]
	v_max_f64 v[39:40], |v[8:9]|, |v[8:9]|
	v_cndmask_b32_e32 v33, v35, v33, vcc
	v_cndmask_b32_e32 v32, v34, v32, vcc
	v_ldexp_f64 v[32:33], v[32:33], v16
	v_cmp_o_f64_e32 vcc, v[14:15], v[30:31]
	v_and_b32_e32 v30, 0x54442d18, v6
	v_cndmask_b32_e32 v14, 0, v32, vcc
	v_cndmask_b32_e32 v15, v60, v33, vcc
	s_or_b64 vcc, s[2:3], s[6:7]
	v_cndmask_b32_e32 v32, v15, v59, vcc
	v_cndmask_b32_e64 v31, v14, 0, vcc
	v_frexp_mant_f64_e32 v[14:15], v[31:32]
	v_cmp_gt_f64_e64 s[2:3], s[18:19], v[14:15]
	v_cndmask_b32_e64 v16, 0, 1, s[2:3]
	v_ldexp_f64 v[14:15], v[14:15], v16
	v_frexp_exp_i32_f64_e32 v16, v[31:32]
	v_add_f64 v[33:34], v[14:15], 1.0
	v_add_f64 v[45:46], v[14:15], -1.0
	v_rcp_f64_e32 v[35:36], v[33:34]
	v_add_f64 v[49:50], v[33:34], -1.0
	v_add_f64 v[14:15], v[14:15], -v[49:50]
	v_fma_f64 v[37:38], -v[33:34], v[35:36], 1.0
	v_fma_f64 v[35:36], v[37:38], v[35:36], v[35:36]
	v_max_f64 v[37:38], v[41:42], v[39:40]
	v_min_f64 v[39:40], v[41:42], v[39:40]
	v_fma_f64 v[41:42], -v[33:34], v[35:36], 1.0
	v_div_scale_f64 v[43:44], s[6:7], v[37:38], v[37:38], v[39:40]
	s_mov_b32 s6, 0x69efb384
	s_mov_b32 s7, 0x3f4b2bb0
	v_fma_f64 v[35:36], v[41:42], v[35:36], v[35:36]
	v_mul_f64 v[41:42], v[45:46], v[35:36]
	v_rcp_f64_e32 v[47:48], v[43:44]
	v_mul_f64 v[51:52], v[33:34], v[41:42]
	v_fma_f64 v[33:34], v[41:42], v[33:34], -v[51:52]
	v_fma_f64 v[49:50], -v[43:44], v[47:48], 1.0
	v_fma_f64 v[14:15], v[41:42], v[14:15], v[33:34]
	v_fma_f64 v[33:34], v[47:48], v[49:50], v[47:48]
	v_div_scale_f64 v[49:50], vcc, v[39:40], v[37:38], v[39:40]
	v_add_f64 v[47:48], v[51:52], v[14:15]
	v_fma_f64 v[53:54], -v[43:44], v[33:34], 1.0
	v_add_f64 v[55:56], v[45:46], -v[47:48]
	v_add_f64 v[51:52], v[47:48], -v[51:52]
	v_fma_f64 v[33:34], v[33:34], v[53:54], v[33:34]
	v_add_f64 v[45:46], v[45:46], -v[55:56]
	v_add_f64 v[14:15], v[51:52], -v[14:15]
	v_mul_f64 v[53:54], v[49:50], v[33:34]
	v_add_f64 v[45:46], v[45:46], -v[47:48]
	v_fma_f64 v[43:44], -v[43:44], v[53:54], v[49:50]
	v_add_f64 v[14:15], v[14:15], v[45:46]
	v_div_fmas_f64 v[33:34], v[43:44], v[33:34], v[53:54]
	v_subbrev_co_u32_e64 v16, vcc, 0, v16, s[2:3]
	v_cmp_gt_i32_e32 vcc, 0, v7
	v_cmp_eq_f64_e64 s[2:3], 0, v[8:9]
	v_cndmask_b32_e32 v19, v64, v65, vcc
	v_add_f64 v[14:15], v[55:56], v[14:15]
	v_mul_f64 v[14:15], v[35:36], v[14:15]
	v_div_fixup_f64 v[33:34], v[33:34], v[37:38], v[39:40]
	v_add_f64 v[35:36], v[41:42], v[14:15]
	v_mul_f64 v[37:38], v[33:34], v[33:34]
	v_mul_f64 v[39:40], v[35:36], v[35:36]
	v_fma_f64 v[43:44], v[37:38], s[38:39], v[22:23]
	v_fma_f64 v[45:46], v[39:40], s[20:21], v[20:21]
	v_mul_f64 v[47:48], v[35:36], v[39:40]
	v_fma_f64 v[43:44], v[37:38], v[43:44], s[6:7]
	s_mov_b32 s6, 0xaf56de9b
	s_mov_b32 s7, 0xbf67952d
	v_fma_f64 v[45:46], v[39:40], v[45:46], s[22:23]
	v_fma_f64 v[43:44], v[37:38], v[43:44], s[6:7]
	v_cmp_class_f64_e64 s[6:7], v[8:9], s42
	v_fma_f64 v[45:46], v[39:40], v[45:46], s[24:25]
	v_fma_f64 v[43:44], v[37:38], v[43:44], s[44:45]
	;; [unrolled: 1-line block ×7, first 2 shown]
	v_ldexp_f64 v[45:46], v[35:36], 1
	v_fma_f64 v[43:44], v[37:38], v[43:44], s[50:51]
	v_add_f64 v[35:36], v[35:36], -v[41:42]
	v_mul_f64 v[39:40], v[47:48], v[39:40]
	v_cvt_f64_i32_e32 v[47:48], v16
	v_fma_f64 v[43:44], v[37:38], v[43:44], s[52:53]
	v_add_f64 v[14:15], v[14:15], -v[35:36]
	v_cndmask_b32_e32 v16, v62, v63, vcc
	v_mul_f64 v[49:50], v[47:48], s[34:35]
	v_add_f64 v[41:42], v[45:46], v[39:40]
	v_fma_f64 v[43:44], v[37:38], v[43:44], s[54:55]
	v_ldexp_f64 v[14:15], v[14:15], 1
	v_add_f64 v[35:36], v[41:42], -v[45:46]
	v_fma_f64 v[45:46], v[47:48], s[34:35], -v[49:50]
	v_fma_f64 v[43:44], v[37:38], v[43:44], s[56:57]
	v_add_f64 v[35:36], v[39:40], -v[35:36]
	v_fma_f64 v[39:40], v[37:38], v[43:44], s[58:59]
	v_fma_f64 v[43:44], v[47:48], s[36:37], v[45:46]
	v_add_f64 v[14:15], v[14:15], v[35:36]
	v_fma_f64 v[35:36], v[37:38], v[39:40], s[60:61]
	v_add_f64 v[39:40], v[49:50], v[43:44]
	v_add_f64 v[45:46], v[41:42], v[14:15]
	v_fma_f64 v[35:36], v[37:38], v[35:36], s[62:63]
	v_add_f64 v[49:50], v[39:40], -v[49:50]
	v_add_f64 v[47:48], v[39:40], v[45:46]
	v_add_f64 v[41:42], v[45:46], -v[41:42]
	v_fma_f64 v[35:36], v[37:38], v[35:36], s[64:65]
	v_add_f64 v[43:44], v[43:44], -v[49:50]
	v_add_f64 v[51:52], v[47:48], -v[39:40]
	;; [unrolled: 1-line block ×3, first 2 shown]
	v_fma_f64 v[35:36], v[37:38], v[35:36], s[66:67]
	v_add_f64 v[53:54], v[47:48], -v[51:52]
	v_add_f64 v[41:42], v[45:46], -v[51:52]
	v_fma_f64 v[35:36], v[37:38], v[35:36], s[68:69]
	v_add_f64 v[45:46], v[43:44], v[14:15]
	v_add_f64 v[39:40], v[39:40], -v[53:54]
	v_fma_f64 v[35:36], v[37:38], v[35:36], s[70:71]
	v_add_f64 v[39:40], v[41:42], v[39:40]
	;; [unrolled: 3-line block ×3, first 2 shown]
	v_add_f64 v[45:46], v[45:46], -v[41:42]
	v_fma_f64 v[35:36], v[37:38], v[35:36], s[74:75]
	v_add_f64 v[14:15], v[14:15], -v[41:42]
	v_add_f64 v[49:50], v[47:48], v[39:40]
	v_mul_f64 v[35:36], v[37:38], v[35:36]
	v_add_f64 v[37:38], v[43:44], -v[45:46]
	v_add_f64 v[41:42], v[49:50], -v[47:48]
	v_fma_f64 v[33:34], v[33:34], v[35:36], v[33:34]
	v_add_f64 v[14:15], v[14:15], v[37:38]
	v_add_f64 v[35:36], v[39:40], -v[41:42]
	v_add_f64 v[37:38], -v[33:34], s[76:77]
	v_add_f64 v[14:15], v[14:15], v[35:36]
	v_cndmask_b32_e64 v34, v34, v38, s[0:1]
	v_cndmask_b32_e64 v33, v33, v37, s[0:1]
	v_add_f64 v[35:36], -v[33:34], s[92:93]
	v_cmp_class_f64_e64 s[0:1], v[31:32], s42
	v_add_f64 v[14:15], v[49:50], v[14:15]
	v_cndmask_b32_e32 v33, v33, v35, vcc
	v_and_b32_e32 v35, 0x400921fb, v6
	v_cndmask_b32_e64 v7, v15, v32, s[0:1]
	v_cndmask_b32_e64 v6, v14, v31, s[0:1]
	v_add_f64 v[6:7], v[6:7], 1.0
	v_cmp_ngt_f64_e64 s[0:1], 0, v[31:32]
	v_bfi_b32 v14, s40, v19, v9
	v_cndmask_b32_e64 v19, v33, v30, s[2:3]
	v_cndmask_b32_e32 v15, v34, v36, vcc
	v_cndmask_b32_e64 v15, v15, v35, s[2:3]
	s_and_b64 vcc, s[12:13], s[6:7]
	v_cndmask_b32_e32 v15, v15, v14, vcc
	v_cndmask_b32_e32 v14, v19, v16, vcc
	v_cndmask_b32_e64 v7, v60, v7, s[0:1]
	v_cmp_nge_f64_e64 s[0:1], 0, v[31:32]
	v_cndmask_b32_e64 v30, 0, v6, s[0:1]
	v_cmp_neq_f64_e64 s[0:1], 0, v[31:32]
	v_cndmask_b32_e64 v31, v61, v7, s[0:1]
.LBB197_223:                            ;   in Loop: Header=BB197_162 Depth=1
	s_or_b64 exec, exec, s[4:5]
.LBB197_224:                            ;   in Loop: Header=BB197_162 Depth=1
	s_andn2_saveexec_b64 s[0:1], s[78:79]
	s_cbranch_execz .LBB197_230
; %bb.225:                              ;   in Loop: Header=BB197_162 Depth=1
	v_cmp_nlt_f64_e64 s[2:3], |v[6:7]|, s[88:89]
	v_cmp_nlt_f64_e64 s[4:5], |v[8:9]|, s[88:89]
                                        ; implicit-def: $vgpr31_vgpr32
	s_or_b64 s[2:3], s[2:3], s[4:5]
	s_and_saveexec_b64 s[4:5], s[2:3]
	s_xor_b64 s[2:3], exec, s[4:5]
	s_cbranch_execz .LBB197_227
; %bb.226:                              ;   in Loop: Header=BB197_162 Depth=1
	v_mul_f64 v[14:15], v[8:9], v[8:9]
	v_fma_f64 v[31:32], v[6:7], v[6:7], v[14:15]
.LBB197_227:                            ;   in Loop: Header=BB197_162 Depth=1
	s_andn2_saveexec_b64 s[2:3], s[2:3]
	s_cbranch_execz .LBB197_229
; %bb.228:                              ;   in Loop: Header=BB197_162 Depth=1
	v_mul_f64 v[14:15], v[8:9], 4.0
	v_mul_f64 v[6:7], v[6:7], 4.0
	v_mul_f64 v[14:15], v[14:15], v[14:15]
	v_fma_f64 v[6:7], v[6:7], v[6:7], v[14:15]
	v_ldexp_f64 v[31:32], v[6:7], -4
.LBB197_229:                            ;   in Loop: Header=BB197_162 Depth=1
	s_or_b64 exec, exec, s[2:3]
	v_frexp_mant_f64_e32 v[6:7], v[31:32]
	s_mov_b32 s31, s19
	v_cmp_gt_f64_e32 vcc, s[18:19], v[6:7]
	v_cndmask_b32_e64 v8, 0, 1, vcc
	v_ldexp_f64 v[6:7], v[6:7], v8
	v_frexp_exp_i32_f64_e32 v8, v[31:32]
	v_add_f64 v[14:15], v[6:7], 1.0
	v_add_f64 v[37:38], v[6:7], -1.0
	v_subbrev_co_u32_e32 v8, vcc, 0, v8, vcc
	v_cmp_class_f64_e64 vcc, v[31:32], s42
	v_rcp_f64_e32 v[33:34], v[14:15]
	v_add_f64 v[39:40], v[14:15], -1.0
	v_add_f64 v[6:7], v[6:7], -v[39:40]
	v_fma_f64 v[35:36], -v[14:15], v[33:34], 1.0
	v_fma_f64 v[33:34], v[35:36], v[33:34], v[33:34]
	v_fma_f64 v[35:36], -v[14:15], v[33:34], 1.0
	v_fma_f64 v[33:34], v[35:36], v[33:34], v[33:34]
	v_mul_f64 v[35:36], v[37:38], v[33:34]
	v_mul_f64 v[41:42], v[14:15], v[35:36]
	v_fma_f64 v[14:15], v[35:36], v[14:15], -v[41:42]
	v_fma_f64 v[6:7], v[35:36], v[6:7], v[14:15]
	v_add_f64 v[14:15], v[41:42], v[6:7]
	v_add_f64 v[39:40], v[37:38], -v[14:15]
	v_add_f64 v[41:42], v[14:15], -v[41:42]
	;; [unrolled: 1-line block ×5, first 2 shown]
	v_add_f64 v[6:7], v[6:7], v[14:15]
	v_add_f64 v[6:7], v[39:40], v[6:7]
	v_mul_f64 v[6:7], v[33:34], v[6:7]
	v_add_f64 v[14:15], v[35:36], v[6:7]
	v_mul_f64 v[33:34], v[14:15], v[14:15]
	v_fma_f64 v[37:38], v[33:34], s[20:21], v[20:21]
	v_mul_f64 v[39:40], v[14:15], v[33:34]
	v_fma_f64 v[37:38], v[33:34], v[37:38], s[22:23]
	v_fma_f64 v[37:38], v[33:34], v[37:38], s[24:25]
	;; [unrolled: 1-line block ×5, first 2 shown]
	v_ldexp_f64 v[37:38], v[14:15], 1
	v_add_f64 v[14:15], v[14:15], -v[35:36]
	v_mul_f64 v[33:34], v[39:40], v[33:34]
	v_cvt_f64_i32_e32 v[39:40], v8
	v_add_f64 v[6:7], v[6:7], -v[14:15]
	v_mul_f64 v[41:42], v[39:40], s[34:35]
	v_add_f64 v[35:36], v[37:38], v[33:34]
	v_ldexp_f64 v[6:7], v[6:7], 1
	v_add_f64 v[14:15], v[35:36], -v[37:38]
	v_fma_f64 v[37:38], v[39:40], s[34:35], -v[41:42]
	v_add_f64 v[14:15], v[33:34], -v[14:15]
	v_fma_f64 v[33:34], v[39:40], s[36:37], v[37:38]
	v_add_f64 v[6:7], v[6:7], v[14:15]
	v_add_f64 v[14:15], v[41:42], v[33:34]
	;; [unrolled: 1-line block ×3, first 2 shown]
	v_add_f64 v[41:42], v[14:15], -v[41:42]
	v_add_f64 v[39:40], v[14:15], v[37:38]
	v_add_f64 v[35:36], v[37:38], -v[35:36]
	v_add_f64 v[33:34], v[33:34], -v[41:42]
	;; [unrolled: 1-line block ×6, first 2 shown]
	v_add_f64 v[37:38], v[33:34], v[6:7]
	v_add_f64 v[14:15], v[14:15], -v[45:46]
	v_add_f64 v[14:15], v[35:36], v[14:15]
	v_add_f64 v[35:36], v[37:38], -v[33:34]
	v_add_f64 v[14:15], v[37:38], v[14:15]
	v_add_f64 v[37:38], v[37:38], -v[35:36]
	v_add_f64 v[6:7], v[6:7], -v[35:36]
	v_add_f64 v[41:42], v[39:40], v[14:15]
	v_add_f64 v[33:34], v[33:34], -v[37:38]
	v_add_f64 v[35:36], v[41:42], -v[39:40]
	v_add_f64 v[6:7], v[6:7], v[33:34]
	v_add_f64 v[14:15], v[14:15], -v[35:36]
	v_add_f64 v[6:7], v[6:7], v[14:15]
	v_mov_b32_e32 v14, 0
	v_mov_b32_e32 v15, 0x7ff80000
	v_add_f64 v[6:7], v[41:42], v[6:7]
	v_cndmask_b32_e32 v6, v6, v31, vcc
	v_cndmask_b32_e32 v7, v7, v32, vcc
	v_cmp_ngt_f64_e32 vcc, 0, v[31:32]
	v_cndmask_b32_e32 v7, v60, v7, vcc
	v_cmp_nge_f64_e32 vcc, 0, v[31:32]
	v_cndmask_b32_e32 v30, 0, v6, vcc
	v_cmp_neq_f64_e32 vcc, 0, v[31:32]
	v_cndmask_b32_e32 v31, v61, v7, vcc
.LBB197_230:                            ;   in Loop: Header=BB197_162 Depth=1
	s_or_b64 exec, exec, s[0:1]
	s_waitcnt vmcnt(0)
	v_cmp_o_f64_e32 vcc, v[10:11], v[12:13]
                                        ; implicit-def: $vgpr6_vgpr7
                                        ; implicit-def: $vgpr32_vgpr33
	s_and_saveexec_b64 s[0:1], vcc
	s_xor_b64 s[94:95], exec, s[0:1]
	s_cbranch_execz .LBB197_258
; %bb.231:                              ;   in Loop: Header=BB197_162 Depth=1
	v_cmp_lt_f64_e64 s[0:1], |v[10:11]|, |v[12:13]|
	v_and_b32_e32 v8, 0x7fffffff, v11
	v_and_b32_e32 v16, 0x7fffffff, v13
	s_mov_b32 s2, 0x85ebc8a0
	s_mov_b32 s3, 0x7fd1ccf3
	v_mov_b32_e32 v19, v12
                                        ; implicit-def: $vgpr6_vgpr7
                                        ; implicit-def: $vgpr32_vgpr33
	v_cndmask_b32_e64 v37, v16, v8, s[0:1]
	v_cndmask_b32_e64 v36, v12, v10, s[0:1]
	v_cmp_nlt_f64_e32 vcc, s[2:3], v[36:37]
	s_and_saveexec_b64 s[2:3], vcc
	s_xor_b64 s[78:79], exec, s[2:3]
	s_cbranch_execz .LBB197_255
; %bb.232:                              ;   in Loop: Header=BB197_162 Depth=1
	v_cndmask_b32_e64 v39, v8, v16, s[0:1]
	v_cndmask_b32_e64 v38, v10, v19, s[0:1]
	v_cmp_neq_f64_e32 vcc, 1.0, v[38:39]
                                        ; implicit-def: $vgpr6_vgpr7
                                        ; implicit-def: $vgpr32_vgpr33
	s_and_saveexec_b64 s[2:3], vcc
	s_xor_b64 s[86:87], exec, s[2:3]
	s_cbranch_execz .LBB197_248
; %bb.233:                              ;   in Loop: Header=BB197_162 Depth=1
	v_max_f64 v[6:7], v[36:37], v[36:37]
	v_max_f64 v[32:33], v[38:39], v[38:39]
	s_mov_b32 s2, 0x4ad4b81f
	s_mov_b32 s3, 0x358dee7a
	v_min_f64 v[34:35], v[32:33], v[6:7]
	v_max_f64 v[6:7], v[32:33], v[6:7]
                                        ; implicit-def: $vgpr32_vgpr33
	v_cmp_ngt_f64_e32 vcc, s[2:3], v[34:35]
	s_mov_b32 s2, 0xc57e649a
	s_mov_b32 s3, 0x4a511b0e
	v_cmp_nlt_f64_e64 s[2:3], s[2:3], v[6:7]
                                        ; implicit-def: $vgpr6_vgpr7
	s_and_b64 s[2:3], s[2:3], vcc
	s_and_saveexec_b64 s[4:5], s[2:3]
	s_xor_b64 s[14:15], exec, s[4:5]
	s_cbranch_execz .LBB197_245
; %bb.234:                              ;   in Loop: Header=BB197_162 Depth=1
	v_cmp_le_f64_e32 vcc, 1.0, v[38:39]
                                        ; implicit-def: $vgpr6_vgpr7
                                        ; implicit-def: $vgpr32_vgpr33
	s_and_saveexec_b64 s[2:3], vcc
	s_xor_b64 s[16:17], exec, s[2:3]
	s_cbranch_execz .LBB197_236
; %bb.235:                              ;   in Loop: Header=BB197_162 Depth=1
	v_add_f64 v[6:7], v[38:39], -1.0
	v_add_f64 v[32:33], v[38:39], 1.0
	s_mov_b32 s31, s19
	s_mov_b32 s92, s76
	;; [unrolled: 1-line block ×4, first 2 shown]
	v_cmp_class_f64_e64 s[12:13], v[12:13], s42
	v_mul_f64 v[6:7], v[6:7], v[32:33]
	v_fma_f64 v[7:8], v[36:37], v[36:37], v[6:7]
	v_add_f64 v[32:33], v[7:8], 1.0
	v_cmp_nge_f64_e64 s[4:5], -1.0, v[7:8]
	v_cmp_neq_f64_e64 s[6:7], s[6:7], v[7:8]
	v_frexp_mant_f64_e32 v[36:37], v[32:33]
	v_frexp_exp_i32_f64_e32 v6, v[32:33]
	v_add_f64 v[34:35], v[32:33], -1.0
	v_cmp_gt_f64_e32 vcc, s[18:19], v[36:37]
	v_add_f64 v[38:39], v[34:35], -v[32:33]
	v_add_f64 v[34:35], v[7:8], -v[34:35]
	v_subbrev_co_u32_e32 v6, vcc, 0, v6, vcc
	v_sub_u32_e32 v16, 0, v6
	v_ldexp_f64 v[32:33], v[32:33], v16
	v_add_f64 v[36:37], v[38:39], 1.0
	v_add_f64 v[38:39], v[32:33], 1.0
	v_add_f64 v[34:35], v[34:35], v[36:37]
	v_add_f64 v[44:45], v[32:33], -1.0
	v_add_f64 v[36:37], v[38:39], -1.0
	v_ldexp_f64 v[34:35], v[34:35], v16
	v_add_f64 v[46:47], v[44:45], 1.0
	v_add_f64 v[36:37], v[32:33], -v[36:37]
	v_add_f64 v[32:33], v[32:33], -v[46:47]
	v_add_f64 v[40:41], v[34:35], v[36:37]
	v_add_f64 v[46:47], v[34:35], v[32:33]
	;; [unrolled: 1-line block ×3, first 2 shown]
	v_rcp_f64_e32 v[42:43], v[36:37]
	v_add_f64 v[38:39], v[36:37], -v[38:39]
	v_add_f64 v[40:41], v[40:41], -v[38:39]
	v_fma_f64 v[48:49], -v[36:37], v[42:43], 1.0
	v_fma_f64 v[42:43], v[48:49], v[42:43], v[42:43]
	v_add_f64 v[48:49], v[44:45], v[46:47]
	v_fma_f64 v[32:33], -v[36:37], v[42:43], 1.0
	v_add_f64 v[44:45], v[48:49], -v[44:45]
	v_fma_f64 v[32:33], v[32:33], v[42:43], v[42:43]
	v_add_f64 v[44:45], v[46:47], -v[44:45]
	v_mul_f64 v[34:35], v[48:49], v[32:33]
	v_mul_f64 v[42:43], v[36:37], v[34:35]
	v_fma_f64 v[38:39], v[34:35], v[36:37], -v[42:43]
	v_fma_f64 v[50:51], v[34:35], v[40:41], v[38:39]
	v_add_f64 v[52:53], v[42:43], v[50:51]
	v_add_f64 v[38:39], v[48:49], -v[52:53]
	v_add_f64 v[42:43], v[52:53], -v[42:43]
	;; [unrolled: 1-line block ×5, first 2 shown]
	v_add_f64 v[44:45], v[44:45], v[46:47]
	v_max_f64 v[46:47], |v[10:11]|, |v[10:11]|
	v_add_f64 v[42:43], v[42:43], v[44:45]
	v_max_f64 v[44:45], |v[12:13]|, |v[12:13]|
	v_add_f64 v[48:49], v[38:39], v[42:43]
	v_max_f64 v[50:51], v[46:47], v[44:45]
	v_min_f64 v[44:45], v[46:47], v[44:45]
	v_mul_f64 v[46:47], v[32:33], v[48:49]
	v_add_f64 v[38:39], v[38:39], -v[48:49]
	v_div_scale_f64 v[52:53], s[2:3], v[50:51], v[50:51], v[44:45]
	s_mov_b32 s2, 0x69efb384
	s_mov_b32 s3, 0x3f4b2bb0
	v_mul_f64 v[54:55], v[36:37], v[46:47]
	v_add_f64 v[38:39], v[42:43], v[38:39]
	v_fma_f64 v[36:37], v[46:47], v[36:37], -v[54:55]
	v_rcp_f64_e32 v[56:57], v[52:53]
	v_fma_f64 v[36:37], v[46:47], v[40:41], v[36:37]
	v_add_f64 v[40:41], v[54:55], v[36:37]
	v_fma_f64 v[66:67], -v[52:53], v[56:57], 1.0
	v_add_f64 v[68:69], v[48:49], -v[40:41]
	v_add_f64 v[42:43], v[40:41], -v[54:55]
	v_fma_f64 v[56:57], v[56:57], v[66:67], v[56:57]
	v_div_scale_f64 v[66:67], vcc, v[44:45], v[50:51], v[44:45]
	v_add_f64 v[48:49], v[48:49], -v[68:69]
	v_add_f64 v[36:37], v[42:43], -v[36:37]
	v_fma_f64 v[70:71], -v[52:53], v[56:57], 1.0
	v_add_f64 v[42:43], v[34:35], v[46:47]
	v_add_f64 v[40:41], v[48:49], -v[40:41]
	v_fma_f64 v[48:49], v[56:57], v[70:71], v[56:57]
	v_add_f64 v[34:35], v[42:43], -v[34:35]
	v_add_f64 v[38:39], v[38:39], v[40:41]
	v_mul_f64 v[40:41], v[66:67], v[48:49]
	v_add_f64 v[34:35], v[46:47], -v[34:35]
	v_add_f64 v[36:37], v[36:37], v[38:39]
	v_fma_f64 v[38:39], -v[52:53], v[40:41], v[66:67]
	v_add_f64 v[36:37], v[68:69], v[36:37]
	v_div_fmas_f64 v[38:39], v[38:39], v[48:49], v[40:41]
	v_cmp_gt_i32_e32 vcc, 0, v11
	v_cndmask_b32_e32 v19, v64, v65, vcc
	v_cndmask_b32_e32 v16, v62, v63, vcc
	v_bfi_b32 v19, s40, v19, v13
	v_mul_f64 v[32:33], v[32:33], v[36:37]
	v_add_f64 v[32:33], v[34:35], v[32:33]
	v_div_fixup_f64 v[34:35], v[38:39], v[50:51], v[44:45]
	v_add_f64 v[36:37], v[42:43], v[32:33]
	v_mul_f64 v[38:39], v[34:35], v[34:35]
	v_mul_f64 v[40:41], v[36:37], v[36:37]
	v_fma_f64 v[44:45], v[38:39], s[38:39], v[22:23]
	v_cmp_class_f64_e64 s[38:39], v[10:11], s42
	v_fma_f64 v[46:47], v[40:41], s[20:21], v[20:21]
	v_mul_f64 v[48:49], v[36:37], v[40:41]
	v_fma_f64 v[44:45], v[38:39], v[44:45], s[2:3]
	s_mov_b32 s2, 0xaf56de9b
	s_mov_b32 s3, 0xbf67952d
	v_fma_f64 v[46:47], v[40:41], v[46:47], s[22:23]
	v_fma_f64 v[44:45], v[38:39], v[44:45], s[2:3]
	v_cmp_eq_f64_e64 s[2:3], 0, v[12:13]
	v_fma_f64 v[46:47], v[40:41], v[46:47], s[24:25]
	v_fma_f64 v[44:45], v[38:39], v[44:45], s[44:45]
	;; [unrolled: 1-line block ×7, first 2 shown]
	v_ldexp_f64 v[46:47], v[36:37], 1
	v_fma_f64 v[44:45], v[38:39], v[44:45], s[50:51]
	v_add_f64 v[36:37], v[36:37], -v[42:43]
	v_mul_f64 v[40:41], v[48:49], v[40:41]
	v_cvt_f64_i32_e32 v[48:49], v6
	v_fma_f64 v[44:45], v[38:39], v[44:45], s[52:53]
	v_add_f64 v[32:33], v[32:33], -v[36:37]
	v_ashrrev_i32_e32 v6, 31, v11
	v_mul_f64 v[50:51], v[48:49], s[34:35]
	v_add_f64 v[42:43], v[46:47], v[40:41]
	v_fma_f64 v[44:45], v[38:39], v[44:45], s[54:55]
	v_ldexp_f64 v[32:33], v[32:33], 1
	v_add_f64 v[36:37], v[42:43], -v[46:47]
	v_fma_f64 v[46:47], v[48:49], s[34:35], -v[50:51]
	v_fma_f64 v[44:45], v[38:39], v[44:45], s[56:57]
	v_add_f64 v[36:37], v[40:41], -v[36:37]
	v_fma_f64 v[40:41], v[38:39], v[44:45], s[58:59]
	v_fma_f64 v[44:45], v[48:49], s[36:37], v[46:47]
	v_add_f64 v[32:33], v[32:33], v[36:37]
	v_fma_f64 v[36:37], v[38:39], v[40:41], s[60:61]
	v_add_f64 v[40:41], v[50:51], v[44:45]
	v_add_f64 v[46:47], v[42:43], v[32:33]
	v_fma_f64 v[36:37], v[38:39], v[36:37], s[62:63]
	v_add_f64 v[50:51], v[40:41], -v[50:51]
	v_add_f64 v[48:49], v[40:41], v[46:47]
	v_add_f64 v[42:43], v[46:47], -v[42:43]
	v_fma_f64 v[36:37], v[38:39], v[36:37], s[64:65]
	v_add_f64 v[44:45], v[44:45], -v[50:51]
	v_add_f64 v[52:53], v[48:49], -v[40:41]
	;; [unrolled: 1-line block ×3, first 2 shown]
	v_fma_f64 v[36:37], v[38:39], v[36:37], s[66:67]
	v_add_f64 v[54:55], v[48:49], -v[52:53]
	v_add_f64 v[42:43], v[46:47], -v[52:53]
	v_fma_f64 v[36:37], v[38:39], v[36:37], s[68:69]
	v_add_f64 v[46:47], v[44:45], v[32:33]
	v_add_f64 v[40:41], v[40:41], -v[54:55]
	v_fma_f64 v[36:37], v[38:39], v[36:37], s[70:71]
	v_add_f64 v[40:41], v[42:43], v[40:41]
	;; [unrolled: 3-line block ×3, first 2 shown]
	v_add_f64 v[46:47], v[46:47], -v[42:43]
	v_fma_f64 v[36:37], v[38:39], v[36:37], s[74:75]
	v_add_f64 v[32:33], v[32:33], -v[42:43]
	v_add_f64 v[50:51], v[48:49], v[40:41]
	v_mul_f64 v[36:37], v[38:39], v[36:37]
	v_add_f64 v[38:39], v[44:45], -v[46:47]
	v_add_f64 v[42:43], v[50:51], -v[48:49]
	v_fma_f64 v[34:35], v[34:35], v[36:37], v[34:35]
	v_add_f64 v[32:33], v[32:33], v[38:39]
	v_add_f64 v[36:37], v[40:41], -v[42:43]
	v_add_f64 v[38:39], -v[34:35], s[76:77]
	v_add_f64 v[32:33], v[32:33], v[36:37]
	v_cndmask_b32_e64 v35, v35, v39, s[0:1]
	v_cndmask_b32_e64 v34, v34, v38, s[0:1]
	v_add_f64 v[36:37], -v[34:35], s[92:93]
	v_and_b32_e32 v38, 0x54442d18, v6
	v_and_b32_e32 v6, 0x400921fb, v6
	v_add_f64 v[32:33], v[50:51], v[32:33]
	v_cndmask_b32_e32 v34, v34, v36, vcc
	v_cndmask_b32_e64 v34, v34, v38, s[2:3]
                                        ; implicit-def: $vgpr38_vgpr39
	v_mul_f64 v[10:11], v[32:33], 0.5
	v_cndmask_b32_e32 v32, v35, v37, vcc
	v_cndmask_b32_e64 v6, v32, v6, s[2:3]
	s_and_b64 vcc, s[38:39], s[12:13]
	s_and_b64 s[2:3], s[4:5], s[6:7]
	v_cndmask_b32_e32 v33, v6, v19, vcc
	s_mov_b32 s38, 0xb5e68a13
	s_mov_b32 s39, 0x3eeba404
	v_cndmask_b32_e64 v6, 0, v10, s[2:3]
	v_cmp_ngt_f64_e64 s[2:3], -1.0, v[7:8]
	v_cndmask_b32_e64 v11, v59, v11, s[6:7]
	v_cndmask_b32_e32 v32, v34, v16, vcc
                                        ; implicit-def: $vgpr36_vgpr37
	v_cndmask_b32_e64 v10, v60, v11, s[2:3]
	v_cmp_neq_f64_e64 s[2:3], -1.0, v[7:8]
	v_cndmask_b32_e64 v7, v61, v10, s[2:3]
.LBB197_236:                            ;   in Loop: Header=BB197_162 Depth=1
	s_andn2_saveexec_b64 s[16:17], s[16:17]
	s_cbranch_execz .LBB197_244
; %bb.237:                              ;   in Loop: Header=BB197_162 Depth=1
	v_mul_f64 v[6:7], v[36:37], v[36:37]
	s_mov_b32 s2, 0x66666666
	s_mov_b32 s3, 0x3fe66666
                                        ; implicit-def: $vgpr32_vgpr33
	v_fma_f64 v[34:35], v[38:39], v[38:39], v[6:7]
                                        ; implicit-def: $vgpr6_vgpr7
	v_cmp_ge_f64_e32 vcc, s[2:3], v[34:35]
	s_and_saveexec_b64 s[2:3], vcc
	s_xor_b64 s[6:7], exec, s[2:3]
	s_cbranch_execz .LBB197_239
; %bb.238:                              ;   in Loop: Header=BB197_162 Depth=1
	v_frexp_mant_f64_e32 v[6:7], v[34:35]
	v_max_f64 v[40:41], |v[12:13]|, |v[12:13]|
	v_max_f64 v[42:43], |v[10:11]|, |v[10:11]|
	s_mov_b32 s31, s19
	s_mov_b32 s92, s76
	v_cmp_class_f64_e64 s[12:13], v[12:13], s42
	v_cmp_gt_f64_e64 s[2:3], s[18:19], v[6:7]
	v_cndmask_b32_e64 v8, 0, 1, s[2:3]
	v_ldexp_f64 v[6:7], v[6:7], v8
	v_frexp_exp_i32_f64_e32 v8, v[34:35]
	v_add_f64 v[32:33], v[6:7], 1.0
	v_add_f64 v[46:47], v[6:7], -1.0
	v_rcp_f64_e32 v[36:37], v[32:33]
	v_add_f64 v[50:51], v[32:33], -1.0
	v_add_f64 v[6:7], v[6:7], -v[50:51]
	v_fma_f64 v[38:39], -v[32:33], v[36:37], 1.0
	v_fma_f64 v[36:37], v[38:39], v[36:37], v[36:37]
	v_max_f64 v[38:39], v[42:43], v[40:41]
	v_min_f64 v[40:41], v[42:43], v[40:41]
	v_fma_f64 v[42:43], -v[32:33], v[36:37], 1.0
	v_div_scale_f64 v[44:45], s[4:5], v[38:39], v[38:39], v[40:41]
	s_mov_b32 s4, 0x69efb384
	s_mov_b32 s5, 0x3f4b2bb0
	v_fma_f64 v[36:37], v[42:43], v[36:37], v[36:37]
	v_mul_f64 v[42:43], v[46:47], v[36:37]
	v_rcp_f64_e32 v[48:49], v[44:45]
	v_mul_f64 v[52:53], v[32:33], v[42:43]
	v_fma_f64 v[32:33], v[42:43], v[32:33], -v[52:53]
	v_fma_f64 v[50:51], -v[44:45], v[48:49], 1.0
	v_fma_f64 v[6:7], v[42:43], v[6:7], v[32:33]
	v_fma_f64 v[32:33], v[48:49], v[50:51], v[48:49]
	v_div_scale_f64 v[50:51], vcc, v[40:41], v[38:39], v[40:41]
	v_add_f64 v[48:49], v[52:53], v[6:7]
	v_fma_f64 v[54:55], -v[44:45], v[32:33], 1.0
	v_add_f64 v[56:57], v[46:47], -v[48:49]
	v_add_f64 v[52:53], v[48:49], -v[52:53]
	v_fma_f64 v[32:33], v[32:33], v[54:55], v[32:33]
	v_add_f64 v[46:47], v[46:47], -v[56:57]
	v_add_f64 v[6:7], v[52:53], -v[6:7]
	v_mul_f64 v[54:55], v[50:51], v[32:33]
	v_add_f64 v[46:47], v[46:47], -v[48:49]
	v_fma_f64 v[44:45], -v[44:45], v[54:55], v[50:51]
	v_add_f64 v[6:7], v[6:7], v[46:47]
	v_div_fmas_f64 v[32:33], v[44:45], v[32:33], v[54:55]
	v_subbrev_co_u32_e64 v8, vcc, 0, v8, s[2:3]
	v_cmp_eq_f64_e64 s[2:3], 0, v[12:13]
	v_cmp_gt_i32_e32 vcc, 0, v11
	v_cndmask_b32_e32 v19, v64, v65, vcc
	v_add_f64 v[6:7], v[56:57], v[6:7]
	v_bfi_b32 v19, s40, v19, v13
	v_mul_f64 v[6:7], v[36:37], v[6:7]
	v_div_fixup_f64 v[32:33], v[32:33], v[38:39], v[40:41]
	v_add_f64 v[36:37], v[42:43], v[6:7]
	v_mul_f64 v[38:39], v[32:33], v[32:33]
	v_mul_f64 v[40:41], v[36:37], v[36:37]
	v_fma_f64 v[44:45], v[38:39], s[38:39], v[22:23]
	v_cmp_class_f64_e64 s[38:39], v[10:11], s42
	v_ashrrev_i32_e32 v10, 31, v11
	v_and_b32_e32 v11, 0x54442d18, v10
	v_and_b32_e32 v10, 0x400921fb, v10
	v_fma_f64 v[46:47], v[40:41], s[20:21], v[20:21]
	v_mul_f64 v[48:49], v[36:37], v[40:41]
	v_fma_f64 v[44:45], v[38:39], v[44:45], s[4:5]
	s_mov_b32 s4, 0xaf56de9b
	s_mov_b32 s5, 0xbf67952d
	v_fma_f64 v[46:47], v[40:41], v[46:47], s[22:23]
	v_fma_f64 v[44:45], v[38:39], v[44:45], s[4:5]
	v_cmp_neq_f64_e64 s[4:5], 0, v[34:35]
	v_fma_f64 v[46:47], v[40:41], v[46:47], s[24:25]
	v_fma_f64 v[44:45], v[38:39], v[44:45], s[44:45]
	;; [unrolled: 1-line block ×7, first 2 shown]
	v_ldexp_f64 v[46:47], v[36:37], 1
	v_fma_f64 v[44:45], v[38:39], v[44:45], s[50:51]
	v_add_f64 v[36:37], v[36:37], -v[42:43]
	v_mul_f64 v[40:41], v[48:49], v[40:41]
	v_cvt_f64_i32_e32 v[48:49], v8
	v_fma_f64 v[44:45], v[38:39], v[44:45], s[52:53]
	v_add_f64 v[6:7], v[6:7], -v[36:37]
	v_cndmask_b32_e32 v8, v62, v63, vcc
	v_mul_f64 v[50:51], v[48:49], s[34:35]
	v_add_f64 v[42:43], v[46:47], v[40:41]
	v_fma_f64 v[44:45], v[38:39], v[44:45], s[54:55]
	v_ldexp_f64 v[6:7], v[6:7], 1
	v_add_f64 v[36:37], v[42:43], -v[46:47]
	v_fma_f64 v[46:47], v[48:49], s[34:35], -v[50:51]
	v_fma_f64 v[44:45], v[38:39], v[44:45], s[56:57]
	v_add_f64 v[36:37], v[40:41], -v[36:37]
	v_fma_f64 v[40:41], v[38:39], v[44:45], s[58:59]
	v_fma_f64 v[44:45], v[48:49], s[36:37], v[46:47]
	v_add_f64 v[6:7], v[6:7], v[36:37]
	v_fma_f64 v[36:37], v[38:39], v[40:41], s[60:61]
	v_add_f64 v[40:41], v[50:51], v[44:45]
	v_add_f64 v[46:47], v[42:43], v[6:7]
	v_fma_f64 v[36:37], v[38:39], v[36:37], s[62:63]
	v_add_f64 v[50:51], v[40:41], -v[50:51]
	v_add_f64 v[48:49], v[40:41], v[46:47]
	v_add_f64 v[42:43], v[46:47], -v[42:43]
	v_fma_f64 v[36:37], v[38:39], v[36:37], s[64:65]
	v_add_f64 v[44:45], v[44:45], -v[50:51]
	v_add_f64 v[52:53], v[48:49], -v[40:41]
	;; [unrolled: 1-line block ×3, first 2 shown]
	v_fma_f64 v[36:37], v[38:39], v[36:37], s[66:67]
	v_add_f64 v[54:55], v[48:49], -v[52:53]
	v_add_f64 v[42:43], v[46:47], -v[52:53]
	v_fma_f64 v[36:37], v[38:39], v[36:37], s[68:69]
	v_add_f64 v[46:47], v[44:45], v[6:7]
	v_add_f64 v[40:41], v[40:41], -v[54:55]
	v_fma_f64 v[36:37], v[38:39], v[36:37], s[70:71]
	v_add_f64 v[40:41], v[42:43], v[40:41]
	;; [unrolled: 3-line block ×3, first 2 shown]
	v_add_f64 v[46:47], v[46:47], -v[42:43]
	v_fma_f64 v[36:37], v[38:39], v[36:37], s[74:75]
	v_add_f64 v[6:7], v[6:7], -v[42:43]
	v_add_f64 v[50:51], v[48:49], v[40:41]
	v_mul_f64 v[36:37], v[38:39], v[36:37]
	v_add_f64 v[38:39], v[44:45], -v[46:47]
	v_add_f64 v[42:43], v[50:51], -v[48:49]
	v_fma_f64 v[32:33], v[32:33], v[36:37], v[32:33]
	v_add_f64 v[6:7], v[6:7], v[38:39]
	v_add_f64 v[36:37], v[40:41], -v[42:43]
	v_add_f64 v[38:39], -v[32:33], s[76:77]
	v_add_f64 v[6:7], v[6:7], v[36:37]
	v_cndmask_b32_e64 v33, v33, v39, s[0:1]
	v_cndmask_b32_e64 v32, v32, v38, s[0:1]
	v_add_f64 v[36:37], -v[32:33], s[92:93]
                                        ; implicit-def: $vgpr38_vgpr39
	v_add_f64 v[6:7], v[50:51], v[6:7]
	v_cndmask_b32_e32 v16, v32, v36, vcc
	v_cndmask_b32_e32 v32, v33, v37, vcc
	v_cndmask_b32_e64 v11, v16, v11, s[2:3]
	v_cndmask_b32_e64 v10, v32, v10, s[2:3]
	v_mul_f64 v[6:7], v[6:7], 0.5
	s_and_b64 vcc, s[38:39], s[12:13]
	s_mov_b32 s38, 0xb5e68a13
	s_mov_b32 s39, 0x3eeba404
	v_cndmask_b32_e32 v33, v10, v19, vcc
	v_cndmask_b32_e32 v32, v11, v8, vcc
                                        ; implicit-def: $vgpr36_vgpr37
	v_cndmask_b32_e64 v7, v61, v7, s[4:5]
	v_cndmask_b32_e64 v6, 0, v6, s[4:5]
.LBB197_239:                            ;   in Loop: Header=BB197_162 Depth=1
	s_andn2_saveexec_b64 s[80:81], s[6:7]
	s_cbranch_execz .LBB197_243
; %bb.240:                              ;   in Loop: Header=BB197_162 Depth=1
	v_and_b32_e32 v19, 0x7ffffff8, v39
	v_and_b32_e32 v33, 0x7ffffff8, v37
	v_mov_b32_e32 v32, v18
	v_add_f64 v[6:7], v[38:39], -v[18:19]
	v_add_f64 v[34:35], v[36:37], -v[32:33]
	v_mov_b32_e32 v38, v18
	v_mov_b32_e32 v46, v18
	v_add_f64 v[42:43], v[18:19], v[18:19]
	v_add_f64 v[44:45], v[32:33], v[32:33]
	v_mul_f64 v[32:33], v[32:33], v[32:33]
	s_mov_b64 s[12:13], 0
	v_and_b32_e32 v39, -8, v7
	v_and_b32_e32 v47, -8, v35
	v_add_f64 v[52:53], v[6:7], -v[38:39]
	v_add_f64 v[54:55], v[34:35], -v[46:47]
	v_add_f64 v[56:57], v[38:39], v[38:39]
	v_add_f64 v[66:67], v[46:47], v[46:47]
	v_mul_f64 v[6:7], v[18:19], v[18:19]
	v_mul_f64 v[36:37], v[42:43], v[38:39]
	;; [unrolled: 1-line block ×11, first 2 shown]
.LBB197_241:                            ;   Parent Loop BB197_162 Depth=1
                                        ; =>  This Inner Loop Header: Depth=2
	v_cmp_nlt_f64_e32 vcc, v[6:7], v[32:33]
	v_cndmask_b32_e32 v55, v7, v33, vcc
	v_cndmask_b32_e32 v54, v6, v32, vcc
	v_cmp_nlt_f64_e64 s[2:3], v[54:55], v[36:37]
	v_cndmask_b32_e32 v7, v33, v7, vcc
	v_cndmask_b32_e32 v6, v32, v6, vcc
	v_cndmask_b32_e64 v57, v55, v37, s[2:3]
	v_cndmask_b32_e64 v56, v54, v36, s[2:3]
	v_cmp_nlt_f64_e64 s[4:5], v[56:57], v[34:35]
	v_cndmask_b32_e64 v33, v37, v55, s[2:3]
	v_cndmask_b32_e64 v32, v36, v54, s[2:3]
	s_and_b64 s[38:39], vcc, s[2:3]
	v_cndmask_b32_e64 v67, v57, v35, s[4:5]
	v_cndmask_b32_e64 v66, v56, v34, s[4:5]
	v_cmp_nlt_f64_e64 s[6:7], v[66:67], v[40:41]
	v_cndmask_b32_e64 v37, v35, v57, s[4:5]
	v_cndmask_b32_e64 v36, v34, v56, s[4:5]
	;; [unrolled: 1-line block ×4, first 2 shown]
	v_cmp_nlt_f64_e32 vcc, v[54:55], v[46:47]
	v_cndmask_b32_e64 v35, v41, v67, s[6:7]
	v_cndmask_b32_e64 v34, v40, v66, s[6:7]
	s_and_b64 s[6:7], s[4:5], s[6:7]
	v_cndmask_b32_e32 v57, v55, v47, vcc
	v_cndmask_b32_e32 v56, v54, v46, vcc
	v_cmp_nlt_f64_e64 s[2:3], v[56:57], v[50:51]
	v_cndmask_b32_e32 v41, v47, v55, vcc
	v_cndmask_b32_e32 v40, v46, v54, vcc
	v_cndmask_b32_e64 v55, v57, v51, s[2:3]
	v_cndmask_b32_e64 v54, v56, v50, s[2:3]
	v_cmp_nlt_f64_e64 s[4:5], v[54:55], v[48:49]
	v_cndmask_b32_e64 v47, v51, v57, s[2:3]
	v_cndmask_b32_e64 v46, v50, v56, s[2:3]
	s_and_b64 s[2:3], vcc, s[2:3]
	v_cndmask_b32_e64 v57, v55, v49, s[4:5]
	v_cndmask_b32_e64 v56, v54, v48, s[4:5]
	v_cmp_nlt_f64_e32 vcc, v[56:57], v[44:45]
	v_cndmask_b32_e64 v51, v49, v55, s[4:5]
	v_cndmask_b32_e64 v50, v48, v54, s[4:5]
	s_and_b64 s[4:5], s[2:3], s[4:5]
	v_cndmask_b32_e32 v55, v57, v45, vcc
	v_cndmask_b32_e32 v54, v56, v44, vcc
	v_cmp_nlt_f64_e64 s[2:3], v[54:55], v[42:43]
	v_cndmask_b32_e32 v49, v45, v57, vcc
	v_cndmask_b32_e32 v48, v44, v56, vcc
	s_and_b64 s[4:5], s[4:5], vcc
	v_cndmask_b32_e64 v57, v55, v43, s[2:3]
	v_cndmask_b32_e64 v56, v54, v42, s[2:3]
	v_cmp_nlt_f64_e32 vcc, v[56:57], v[38:39]
	v_cndmask_b32_e64 v45, v43, v55, s[2:3]
	v_cndmask_b32_e64 v44, v42, v54, s[2:3]
	s_and_b64 s[4:5], s[4:5], s[2:3]
	v_cndmask_b32_e32 v67, v57, v39, vcc
	v_cndmask_b32_e32 v66, v56, v38, vcc
	v_cmp_nlt_f64_e64 s[2:3], v[66:67], v[52:53]
	s_and_b64 s[4:5], s[4:5], vcc
	v_cndmask_b32_e32 v43, v39, v57, vcc
	v_cndmask_b32_e32 v42, v38, v56, vcc
	v_cndmask_b32_e64 v55, v67, v53, s[2:3]
	v_cndmask_b32_e64 v54, v66, v52, s[2:3]
	v_cndmask_b32_e64 v39, v53, v67, s[2:3]
	v_cndmask_b32_e64 v38, v52, v66, s[2:3]
	s_and_b64 s[2:3], s[4:5], s[2:3]
	s_and_b64 s[2:3], s[2:3], s[6:7]
	;; [unrolled: 1-line block ×3, first 2 shown]
	s_and_b64 s[2:3], exec, s[2:3]
	v_mov_b32_e32 v52, v54
	s_or_b64 s[12:13], s[2:3], s[12:13]
	v_mov_b32_e32 v53, v55
	s_andn2_b64 exec, exec, s[12:13]
	s_cbranch_execnz .LBB197_241
; %bb.242:                              ;   in Loop: Header=BB197_162 Depth=1
	s_or_b64 exec, exec, s[12:13]
	v_add_f64 v[6:7], v[6:7], -1.0
	s_mov_b32 s31, s19
	s_mov_b32 s92, s76
	;; [unrolled: 1-line block ×4, first 2 shown]
	v_cmp_class_f64_e64 s[12:13], v[12:13], s42
	v_cmp_class_f64_e64 s[38:39], v[10:11], s42
	v_add_f64 v[6:7], v[6:7], v[32:33]
	v_add_f64 v[6:7], v[6:7], v[36:37]
	;; [unrolled: 1-line block ×11, first 2 shown]
	v_add_f64 v[32:33], v[7:8], 1.0
	v_cmp_nge_f64_e64 s[4:5], -1.0, v[7:8]
	v_cmp_neq_f64_e64 s[6:7], s[6:7], v[7:8]
	v_frexp_mant_f64_e32 v[36:37], v[32:33]
	v_frexp_exp_i32_f64_e32 v6, v[32:33]
	v_add_f64 v[34:35], v[32:33], -1.0
	v_cmp_gt_f64_e32 vcc, s[18:19], v[36:37]
	v_add_f64 v[38:39], v[34:35], -v[32:33]
	v_add_f64 v[34:35], v[7:8], -v[34:35]
	v_subbrev_co_u32_e32 v6, vcc, 0, v6, vcc
	v_sub_u32_e32 v16, 0, v6
	v_ldexp_f64 v[32:33], v[32:33], v16
	v_add_f64 v[36:37], v[38:39], 1.0
	v_add_f64 v[38:39], v[32:33], 1.0
	v_add_f64 v[34:35], v[34:35], v[36:37]
	v_add_f64 v[44:45], v[32:33], -1.0
	v_add_f64 v[36:37], v[38:39], -1.0
	v_ldexp_f64 v[34:35], v[34:35], v16
	v_add_f64 v[46:47], v[44:45], 1.0
	v_add_f64 v[36:37], v[32:33], -v[36:37]
	v_add_f64 v[32:33], v[32:33], -v[46:47]
	v_add_f64 v[40:41], v[34:35], v[36:37]
	v_add_f64 v[46:47], v[34:35], v[32:33]
	;; [unrolled: 1-line block ×3, first 2 shown]
	v_rcp_f64_e32 v[42:43], v[36:37]
	v_add_f64 v[38:39], v[36:37], -v[38:39]
	v_add_f64 v[40:41], v[40:41], -v[38:39]
	v_fma_f64 v[48:49], -v[36:37], v[42:43], 1.0
	v_fma_f64 v[42:43], v[48:49], v[42:43], v[42:43]
	v_add_f64 v[48:49], v[44:45], v[46:47]
	v_fma_f64 v[32:33], -v[36:37], v[42:43], 1.0
	v_add_f64 v[44:45], v[48:49], -v[44:45]
	v_fma_f64 v[32:33], v[32:33], v[42:43], v[42:43]
	v_add_f64 v[44:45], v[46:47], -v[44:45]
	v_mul_f64 v[34:35], v[48:49], v[32:33]
	v_mul_f64 v[42:43], v[36:37], v[34:35]
	v_fma_f64 v[38:39], v[34:35], v[36:37], -v[42:43]
	v_fma_f64 v[50:51], v[34:35], v[40:41], v[38:39]
	v_add_f64 v[52:53], v[42:43], v[50:51]
	v_add_f64 v[38:39], v[48:49], -v[52:53]
	v_add_f64 v[42:43], v[52:53], -v[42:43]
	;; [unrolled: 1-line block ×5, first 2 shown]
	v_add_f64 v[44:45], v[44:45], v[46:47]
	v_max_f64 v[46:47], |v[10:11]|, |v[10:11]|
	v_add_f64 v[42:43], v[42:43], v[44:45]
	v_max_f64 v[44:45], |v[12:13]|, |v[12:13]|
	v_add_f64 v[48:49], v[38:39], v[42:43]
	v_max_f64 v[50:51], v[46:47], v[44:45]
	v_min_f64 v[44:45], v[46:47], v[44:45]
	v_mul_f64 v[46:47], v[32:33], v[48:49]
	v_add_f64 v[38:39], v[38:39], -v[48:49]
	v_div_scale_f64 v[52:53], s[2:3], v[50:51], v[50:51], v[44:45]
	s_mov_b32 s2, 0xb5e68a13
	s_mov_b32 s3, 0x3eeba404
	v_mul_f64 v[54:55], v[36:37], v[46:47]
	v_add_f64 v[38:39], v[42:43], v[38:39]
	v_fma_f64 v[36:37], v[46:47], v[36:37], -v[54:55]
	v_rcp_f64_e32 v[56:57], v[52:53]
	v_fma_f64 v[36:37], v[46:47], v[40:41], v[36:37]
	v_add_f64 v[40:41], v[54:55], v[36:37]
	v_fma_f64 v[66:67], -v[52:53], v[56:57], 1.0
	v_add_f64 v[68:69], v[48:49], -v[40:41]
	v_add_f64 v[42:43], v[40:41], -v[54:55]
	v_fma_f64 v[56:57], v[56:57], v[66:67], v[56:57]
	v_div_scale_f64 v[66:67], vcc, v[44:45], v[50:51], v[44:45]
	v_add_f64 v[48:49], v[48:49], -v[68:69]
	v_add_f64 v[36:37], v[42:43], -v[36:37]
	v_fma_f64 v[70:71], -v[52:53], v[56:57], 1.0
	v_add_f64 v[42:43], v[34:35], v[46:47]
	v_add_f64 v[40:41], v[48:49], -v[40:41]
	v_fma_f64 v[48:49], v[56:57], v[70:71], v[56:57]
	v_add_f64 v[34:35], v[42:43], -v[34:35]
	v_add_f64 v[38:39], v[38:39], v[40:41]
	v_mul_f64 v[40:41], v[66:67], v[48:49]
	v_add_f64 v[34:35], v[46:47], -v[34:35]
	v_add_f64 v[36:37], v[36:37], v[38:39]
	v_fma_f64 v[38:39], -v[52:53], v[40:41], v[66:67]
	v_add_f64 v[36:37], v[68:69], v[36:37]
	v_div_fmas_f64 v[38:39], v[38:39], v[48:49], v[40:41]
	v_cmp_gt_i32_e32 vcc, 0, v11
	v_cndmask_b32_e32 v19, v64, v65, vcc
	v_cndmask_b32_e32 v16, v62, v63, vcc
	v_bfi_b32 v19, s40, v19, v13
	v_mul_f64 v[32:33], v[32:33], v[36:37]
	v_add_f64 v[32:33], v[34:35], v[32:33]
	v_div_fixup_f64 v[34:35], v[38:39], v[50:51], v[44:45]
	v_add_f64 v[36:37], v[42:43], v[32:33]
	v_mul_f64 v[38:39], v[34:35], v[34:35]
	v_mul_f64 v[40:41], v[36:37], v[36:37]
	v_fma_f64 v[44:45], v[38:39], s[2:3], v[22:23]
	s_mov_b32 s2, 0x69efb384
	s_mov_b32 s3, 0x3f4b2bb0
	v_fma_f64 v[46:47], v[40:41], s[20:21], v[20:21]
	v_mul_f64 v[48:49], v[36:37], v[40:41]
	v_fma_f64 v[44:45], v[38:39], v[44:45], s[2:3]
	s_mov_b32 s2, 0xaf56de9b
	s_mov_b32 s3, 0xbf67952d
	v_fma_f64 v[46:47], v[40:41], v[46:47], s[22:23]
	v_fma_f64 v[44:45], v[38:39], v[44:45], s[2:3]
	v_cmp_eq_f64_e64 s[2:3], 0, v[12:13]
	v_fma_f64 v[46:47], v[40:41], v[46:47], s[24:25]
	v_fma_f64 v[44:45], v[38:39], v[44:45], s[44:45]
	;; [unrolled: 1-line block ×7, first 2 shown]
	v_ldexp_f64 v[46:47], v[36:37], 1
	v_fma_f64 v[44:45], v[38:39], v[44:45], s[50:51]
	v_add_f64 v[36:37], v[36:37], -v[42:43]
	v_mul_f64 v[40:41], v[48:49], v[40:41]
	v_cvt_f64_i32_e32 v[48:49], v6
	v_fma_f64 v[44:45], v[38:39], v[44:45], s[52:53]
	v_add_f64 v[32:33], v[32:33], -v[36:37]
	v_ashrrev_i32_e32 v6, 31, v11
	v_mul_f64 v[50:51], v[48:49], s[34:35]
	v_add_f64 v[42:43], v[46:47], v[40:41]
	v_fma_f64 v[44:45], v[38:39], v[44:45], s[54:55]
	v_ldexp_f64 v[32:33], v[32:33], 1
	v_add_f64 v[36:37], v[42:43], -v[46:47]
	v_fma_f64 v[46:47], v[48:49], s[34:35], -v[50:51]
	v_fma_f64 v[44:45], v[38:39], v[44:45], s[56:57]
	v_add_f64 v[36:37], v[40:41], -v[36:37]
	v_fma_f64 v[40:41], v[38:39], v[44:45], s[58:59]
	v_fma_f64 v[44:45], v[48:49], s[36:37], v[46:47]
	v_add_f64 v[32:33], v[32:33], v[36:37]
	v_fma_f64 v[36:37], v[38:39], v[40:41], s[60:61]
	v_add_f64 v[40:41], v[50:51], v[44:45]
	v_add_f64 v[46:47], v[42:43], v[32:33]
	v_fma_f64 v[36:37], v[38:39], v[36:37], s[62:63]
	v_add_f64 v[50:51], v[40:41], -v[50:51]
	v_add_f64 v[48:49], v[40:41], v[46:47]
	v_add_f64 v[42:43], v[46:47], -v[42:43]
	v_fma_f64 v[36:37], v[38:39], v[36:37], s[64:65]
	v_add_f64 v[44:45], v[44:45], -v[50:51]
	v_add_f64 v[52:53], v[48:49], -v[40:41]
	;; [unrolled: 1-line block ×3, first 2 shown]
	v_fma_f64 v[36:37], v[38:39], v[36:37], s[66:67]
	v_add_f64 v[54:55], v[48:49], -v[52:53]
	v_add_f64 v[42:43], v[46:47], -v[52:53]
	v_fma_f64 v[36:37], v[38:39], v[36:37], s[68:69]
	v_add_f64 v[46:47], v[44:45], v[32:33]
	v_add_f64 v[40:41], v[40:41], -v[54:55]
	v_fma_f64 v[36:37], v[38:39], v[36:37], s[70:71]
	v_add_f64 v[40:41], v[42:43], v[40:41]
	;; [unrolled: 3-line block ×3, first 2 shown]
	v_add_f64 v[46:47], v[46:47], -v[42:43]
	v_fma_f64 v[36:37], v[38:39], v[36:37], s[74:75]
	v_add_f64 v[32:33], v[32:33], -v[42:43]
	v_add_f64 v[50:51], v[48:49], v[40:41]
	v_mul_f64 v[36:37], v[38:39], v[36:37]
	v_add_f64 v[38:39], v[44:45], -v[46:47]
	v_add_f64 v[42:43], v[50:51], -v[48:49]
	v_fma_f64 v[34:35], v[34:35], v[36:37], v[34:35]
	v_add_f64 v[32:33], v[32:33], v[38:39]
	v_add_f64 v[36:37], v[40:41], -v[42:43]
	v_add_f64 v[38:39], -v[34:35], s[76:77]
	v_add_f64 v[32:33], v[32:33], v[36:37]
	v_cndmask_b32_e64 v35, v35, v39, s[0:1]
	v_cndmask_b32_e64 v34, v34, v38, s[0:1]
	v_add_f64 v[36:37], -v[34:35], s[92:93]
	v_and_b32_e32 v38, 0x54442d18, v6
	v_and_b32_e32 v6, 0x400921fb, v6
	v_add_f64 v[32:33], v[50:51], v[32:33]
	v_cndmask_b32_e32 v34, v34, v36, vcc
	v_cndmask_b32_e64 v34, v34, v38, s[2:3]
	v_mul_f64 v[10:11], v[32:33], 0.5
	v_cndmask_b32_e32 v32, v35, v37, vcc
	v_cndmask_b32_e64 v6, v32, v6, s[2:3]
	s_and_b64 vcc, s[38:39], s[12:13]
	s_and_b64 s[2:3], s[4:5], s[6:7]
	v_cndmask_b32_e32 v33, v6, v19, vcc
	s_mov_b32 s38, 0xb5e68a13
	s_mov_b32 s39, 0x3eeba404
	v_cndmask_b32_e64 v6, 0, v10, s[2:3]
	v_cmp_ngt_f64_e64 s[2:3], -1.0, v[7:8]
	v_cndmask_b32_e64 v11, v59, v11, s[6:7]
	v_cndmask_b32_e32 v32, v34, v16, vcc
	v_cndmask_b32_e64 v10, v60, v11, s[2:3]
	v_cmp_neq_f64_e64 s[2:3], -1.0, v[7:8]
	v_cndmask_b32_e64 v7, v61, v10, s[2:3]
.LBB197_243:                            ;   in Loop: Header=BB197_162 Depth=1
	s_or_b64 exec, exec, s[80:81]
.LBB197_244:                            ;   in Loop: Header=BB197_162 Depth=1
	s_or_b64 exec, exec, s[16:17]
.LBB197_245:                            ;   in Loop: Header=BB197_162 Depth=1
	s_andn2_saveexec_b64 s[6:7], s[14:15]
	s_cbranch_execz .LBB197_247
; %bb.246:                              ;   in Loop: Header=BB197_162 Depth=1
	v_max_f64 v[32:33], |v[12:13]|, |v[12:13]|
	v_max_f64 v[34:35], |v[10:11]|, |v[10:11]|
	v_cmp_class_f64_e64 s[14:15], v[10:11], s42
	v_cmp_class_f64_e64 s[16:17], v[12:13], s42
	s_mov_b32 s31, s19
	s_mov_b32 s92, s76
	v_max_f64 v[36:37], v[34:35], v[32:33]
	v_min_f64 v[32:33], v[34:35], v[32:33]
	v_frexp_exp_i32_f64_e32 v8, v[36:37]
	v_sub_u32_e32 v16, 0, v8
	v_ldexp_f64 v[6:7], |v[12:13]|, v16
	v_ldexp_f64 v[38:39], |v[10:11]|, v16
	v_mul_f64 v[6:7], v[6:7], v[6:7]
	v_fma_f64 v[6:7], v[38:39], v[38:39], v[6:7]
	v_rsq_f64_e32 v[38:39], v[6:7]
	v_cmp_eq_f64_e32 vcc, 0, v[6:7]
	v_mul_f64 v[40:41], v[6:7], v[38:39]
	v_mul_f64 v[38:39], v[38:39], 0.5
	v_fma_f64 v[42:43], -v[38:39], v[40:41], 0.5
	v_fma_f64 v[40:41], v[40:41], v[42:43], v[40:41]
	v_fma_f64 v[38:39], v[38:39], v[42:43], v[38:39]
	v_fma_f64 v[42:43], -v[40:41], v[40:41], v[6:7]
	v_fma_f64 v[38:39], v[42:43], v[38:39], v[40:41]
	v_cndmask_b32_e32 v7, v39, v7, vcc
	v_cndmask_b32_e32 v6, v38, v6, vcc
	v_ldexp_f64 v[6:7], v[6:7], v8
	s_or_b64 vcc, s[14:15], s[16:17]
	v_cndmask_b32_e32 v8, v7, v59, vcc
	v_cndmask_b32_e64 v7, v6, 0, vcc
	v_frexp_mant_f64_e32 v[38:39], v[7:8]
	v_cmp_gt_f64_e64 s[2:3], s[18:19], v[38:39]
	v_cndmask_b32_e64 v6, 0, 1, s[2:3]
	v_ldexp_f64 v[38:39], v[38:39], v6
	v_frexp_exp_i32_f64_e32 v6, v[7:8]
	v_add_f64 v[40:41], v[38:39], 1.0
	v_add_f64 v[46:47], v[38:39], -1.0
	v_rcp_f64_e32 v[42:43], v[40:41]
	v_add_f64 v[50:51], v[40:41], -1.0
	v_add_f64 v[38:39], v[38:39], -v[50:51]
	v_fma_f64 v[44:45], -v[40:41], v[42:43], 1.0
	v_fma_f64 v[34:35], v[44:45], v[42:43], v[42:43]
	v_div_scale_f64 v[42:43], s[4:5], v[36:37], v[36:37], v[32:33]
	s_mov_b32 s4, 0x69efb384
	s_mov_b32 s5, 0x3f4b2bb0
	v_fma_f64 v[44:45], -v[40:41], v[34:35], 1.0
	v_fma_f64 v[34:35], v[44:45], v[34:35], v[34:35]
	v_rcp_f64_e32 v[44:45], v[42:43]
	v_mul_f64 v[48:49], v[46:47], v[34:35]
	v_mul_f64 v[52:53], v[40:41], v[48:49]
	v_fma_f64 v[54:55], -v[42:43], v[44:45], 1.0
	v_fma_f64 v[40:41], v[48:49], v[40:41], -v[52:53]
	v_fma_f64 v[44:45], v[44:45], v[54:55], v[44:45]
	v_fma_f64 v[38:39], v[48:49], v[38:39], v[40:41]
	v_div_scale_f64 v[40:41], vcc, v[32:33], v[36:37], v[32:33]
	v_fma_f64 v[50:51], -v[42:43], v[44:45], 1.0
	v_add_f64 v[54:55], v[52:53], v[38:39]
	v_fma_f64 v[44:45], v[44:45], v[50:51], v[44:45]
	v_add_f64 v[50:51], v[46:47], -v[54:55]
	v_add_f64 v[52:53], v[54:55], -v[52:53]
	v_mul_f64 v[56:57], v[40:41], v[44:45]
	v_add_f64 v[46:47], v[46:47], -v[50:51]
	v_add_f64 v[38:39], v[52:53], -v[38:39]
	v_fma_f64 v[40:41], -v[42:43], v[56:57], v[40:41]
	v_add_f64 v[42:43], v[46:47], -v[54:55]
	v_div_fmas_f64 v[40:41], v[40:41], v[44:45], v[56:57]
	v_subbrev_co_u32_e64 v6, vcc, 0, v6, s[2:3]
	v_cmp_eq_f64_e64 s[2:3], 0, v[12:13]
	v_cmp_gt_i32_e32 vcc, 0, v11
	v_add_f64 v[38:39], v[38:39], v[42:43]
	v_cndmask_b32_e32 v16, v62, v63, vcc
	v_add_f64 v[38:39], v[50:51], v[38:39]
	v_div_fixup_f64 v[32:33], v[40:41], v[36:37], v[32:33]
	v_mul_f64 v[34:35], v[34:35], v[38:39]
	v_mul_f64 v[36:37], v[32:33], v[32:33]
	v_add_f64 v[38:39], v[48:49], v[34:35]
	v_fma_f64 v[40:41], v[36:37], s[38:39], v[22:23]
	v_mul_f64 v[42:43], v[38:39], v[38:39]
	v_fma_f64 v[40:41], v[36:37], v[40:41], s[4:5]
	s_mov_b32 s4, 0xaf56de9b
	s_mov_b32 s5, 0xbf67952d
	v_fma_f64 v[44:45], v[42:43], s[20:21], v[20:21]
	v_mul_f64 v[46:47], v[38:39], v[42:43]
	v_fma_f64 v[40:41], v[36:37], v[40:41], s[4:5]
	v_cmp_class_f64_e64 s[4:5], v[7:8], s42
	v_fma_f64 v[44:45], v[42:43], v[44:45], s[22:23]
	v_fma_f64 v[40:41], v[36:37], v[40:41], s[44:45]
	;; [unrolled: 1-line block ×9, first 2 shown]
	v_ldexp_f64 v[44:45], v[38:39], 1
	v_add_f64 v[38:39], v[38:39], -v[48:49]
	v_fma_f64 v[40:41], v[36:37], v[40:41], s[52:53]
	v_cvt_f64_i32_e32 v[48:49], v6
	v_ashrrev_i32_e32 v6, 31, v11
	v_and_b32_e32 v19, 0x54442d18, v6
	v_and_b32_e32 v6, 0x400921fb, v6
	v_mul_f64 v[42:43], v[46:47], v[42:43]
	v_mul_f64 v[50:51], v[48:49], s[34:35]
	v_add_f64 v[34:35], v[34:35], -v[38:39]
	v_fma_f64 v[40:41], v[36:37], v[40:41], s[54:55]
	v_add_f64 v[46:47], v[44:45], v[42:43]
	v_ldexp_f64 v[34:35], v[34:35], 1
	v_fma_f64 v[40:41], v[36:37], v[40:41], s[56:57]
	v_add_f64 v[38:39], v[46:47], -v[44:45]
	v_fma_f64 v[44:45], v[48:49], s[34:35], -v[50:51]
	v_fma_f64 v[40:41], v[36:37], v[40:41], s[58:59]
	v_add_f64 v[38:39], v[42:43], -v[38:39]
	v_fma_f64 v[42:43], v[48:49], s[36:37], v[44:45]
	v_fma_f64 v[40:41], v[36:37], v[40:41], s[60:61]
	v_add_f64 v[34:35], v[34:35], v[38:39]
	v_fma_f64 v[38:39], v[36:37], v[40:41], s[62:63]
	v_add_f64 v[40:41], v[50:51], v[42:43]
	v_add_f64 v[44:45], v[46:47], v[34:35]
	v_fma_f64 v[38:39], v[36:37], v[38:39], s[64:65]
	v_add_f64 v[50:51], v[40:41], -v[50:51]
	v_add_f64 v[48:49], v[40:41], v[44:45]
	v_add_f64 v[46:47], v[44:45], -v[46:47]
	v_fma_f64 v[38:39], v[36:37], v[38:39], s[66:67]
	v_add_f64 v[42:43], v[42:43], -v[50:51]
	v_add_f64 v[52:53], v[48:49], -v[40:41]
	;; [unrolled: 1-line block ×3, first 2 shown]
	v_fma_f64 v[38:39], v[36:37], v[38:39], s[68:69]
	v_add_f64 v[54:55], v[48:49], -v[52:53]
	v_add_f64 v[44:45], v[44:45], -v[52:53]
	v_add_f64 v[46:47], v[42:43], v[34:35]
	v_fma_f64 v[38:39], v[36:37], v[38:39], s[70:71]
	v_add_f64 v[40:41], v[40:41], -v[54:55]
	v_fma_f64 v[38:39], v[36:37], v[38:39], s[72:73]
	v_add_f64 v[40:41], v[44:45], v[40:41]
	v_add_f64 v[44:45], v[46:47], -v[42:43]
	v_fma_f64 v[38:39], v[36:37], v[38:39], s[74:75]
	v_add_f64 v[40:41], v[46:47], v[40:41]
	v_add_f64 v[34:35], v[34:35], -v[44:45]
	v_mul_f64 v[36:37], v[36:37], v[38:39]
	v_add_f64 v[38:39], v[46:47], -v[44:45]
	v_add_f64 v[46:47], v[48:49], v[40:41]
	v_fma_f64 v[32:33], v[32:33], v[36:37], v[32:33]
	v_add_f64 v[36:37], v[42:43], -v[38:39]
	v_add_f64 v[38:39], v[46:47], -v[48:49]
	v_add_f64 v[42:43], -v[32:33], s[76:77]
	v_add_f64 v[34:35], v[34:35], v[36:37]
	v_add_f64 v[36:37], v[40:41], -v[38:39]
	v_cndmask_b32_e64 v33, v33, v43, s[0:1]
	v_cndmask_b32_e64 v32, v32, v42, s[0:1]
	v_add_f64 v[38:39], -v[32:33], s[92:93]
	v_add_f64 v[34:35], v[34:35], v[36:37]
	v_cndmask_b32_e32 v36, v64, v65, vcc
	v_cndmask_b32_e32 v32, v32, v38, vcc
	;; [unrolled: 1-line block ×3, first 2 shown]
	v_cndmask_b32_e64 v19, v32, v19, s[2:3]
	v_add_f64 v[10:11], v[46:47], v[34:35]
	v_cndmask_b32_e64 v6, v33, v6, s[2:3]
	v_cmp_ngt_f64_e64 s[2:3], 0, v[7:8]
	v_bfi_b32 v34, s40, v36, v13
	s_and_b64 vcc, s[14:15], s[16:17]
	v_cndmask_b32_e32 v33, v6, v34, vcc
	v_cndmask_b32_e32 v32, v19, v16, vcc
	v_cndmask_b32_e64 v6, v10, v7, s[4:5]
	v_cndmask_b32_e64 v10, v11, v8, s[4:5]
	;; [unrolled: 1-line block ×3, first 2 shown]
	v_cmp_nge_f64_e64 s[2:3], 0, v[7:8]
	v_cndmask_b32_e64 v6, 0, v6, s[2:3]
	v_cmp_neq_f64_e64 s[2:3], 0, v[7:8]
	v_cndmask_b32_e64 v7, v61, v10, s[2:3]
.LBB197_247:                            ;   in Loop: Header=BB197_162 Depth=1
	s_or_b64 exec, exec, s[6:7]
                                        ; implicit-def: $vgpr36_vgpr37
.LBB197_248:                            ;   in Loop: Header=BB197_162 Depth=1
	s_andn2_saveexec_b64 s[6:7], s[86:87]
	s_cbranch_execz .LBB197_254
; %bb.249:                              ;   in Loop: Header=BB197_162 Depth=1
	s_mov_b32 s2, 0x6a3f9475
	s_mov_b32 s3, 0x20ca2fe7
	v_cmp_ngt_f64_e32 vcc, s[2:3], v[36:37]
                                        ; implicit-def: $vgpr6_vgpr7
                                        ; implicit-def: $vgpr32_vgpr33
	s_and_saveexec_b64 s[2:3], vcc
	s_xor_b64 s[14:15], exec, s[2:3]
	s_cbranch_execz .LBB197_251
; %bb.250:                              ;   in Loop: Header=BB197_162 Depth=1
	v_mul_f64 v[6:7], v[36:37], v[36:37]
	s_mov_b32 s31, s19
	s_mov_b32 s92, s76
	;; [unrolled: 1-line block ×3, first 2 shown]
	v_cmp_class_f64_e64 s[12:13], v[12:13], s42
	v_cmp_class_f64_e64 s[16:17], v[10:11], s42
	s_mov_b32 s5, 0x7ff00000
	v_add_f64 v[32:33], v[6:7], 1.0
	v_cmp_neq_f64_e64 s[4:5], s[4:5], v[6:7]
	v_frexp_mant_f64_e32 v[36:37], v[32:33]
	v_frexp_exp_i32_f64_e32 v8, v[32:33]
	v_add_f64 v[34:35], v[32:33], -1.0
	v_cmp_gt_f64_e32 vcc, s[18:19], v[36:37]
	v_add_f64 v[38:39], v[34:35], -v[32:33]
	v_add_f64 v[34:35], v[6:7], -v[34:35]
	v_subbrev_co_u32_e32 v8, vcc, 0, v8, vcc
	v_sub_u32_e32 v16, 0, v8
	v_ldexp_f64 v[32:33], v[32:33], v16
	v_add_f64 v[36:37], v[38:39], 1.0
	v_add_f64 v[38:39], v[32:33], 1.0
	v_add_f64 v[34:35], v[34:35], v[36:37]
	v_add_f64 v[44:45], v[32:33], -1.0
	v_add_f64 v[36:37], v[38:39], -1.0
	v_ldexp_f64 v[34:35], v[34:35], v16
	v_add_f64 v[46:47], v[44:45], 1.0
	v_add_f64 v[36:37], v[32:33], -v[36:37]
	v_add_f64 v[32:33], v[32:33], -v[46:47]
	v_add_f64 v[40:41], v[34:35], v[36:37]
	v_add_f64 v[46:47], v[34:35], v[32:33]
	;; [unrolled: 1-line block ×3, first 2 shown]
	v_rcp_f64_e32 v[42:43], v[36:37]
	v_add_f64 v[38:39], v[38:39], -v[36:37]
	v_add_f64 v[40:41], v[40:41], v[38:39]
	v_fma_f64 v[48:49], -v[36:37], v[42:43], 1.0
	v_fma_f64 v[42:43], v[48:49], v[42:43], v[42:43]
	v_add_f64 v[48:49], v[44:45], v[46:47]
	v_fma_f64 v[32:33], -v[36:37], v[42:43], 1.0
	v_add_f64 v[44:45], v[44:45], -v[48:49]
	v_fma_f64 v[32:33], v[32:33], v[42:43], v[42:43]
	v_add_f64 v[44:45], v[46:47], v[44:45]
	v_mul_f64 v[34:35], v[48:49], v[32:33]
	v_mul_f64 v[42:43], v[36:37], v[34:35]
	v_fma_f64 v[38:39], v[34:35], v[36:37], -v[42:43]
	v_fma_f64 v[50:51], v[34:35], v[40:41], v[38:39]
	v_add_f64 v[52:53], v[42:43], v[50:51]
	v_add_f64 v[38:39], v[48:49], -v[52:53]
	v_add_f64 v[42:43], v[52:53], -v[42:43]
	;; [unrolled: 1-line block ×5, first 2 shown]
	v_add_f64 v[44:45], v[44:45], v[46:47]
	v_max_f64 v[46:47], |v[10:11]|, |v[10:11]|
	v_ashrrev_i32_e32 v10, 31, v11
	v_and_b32_e32 v16, 0x54442d18, v10
	v_add_f64 v[42:43], v[42:43], v[44:45]
	v_max_f64 v[44:45], |v[12:13]|, |v[12:13]|
	v_add_f64 v[48:49], v[38:39], v[42:43]
	v_max_f64 v[50:51], v[46:47], v[44:45]
	v_min_f64 v[44:45], v[46:47], v[44:45]
	v_mul_f64 v[46:47], v[32:33], v[48:49]
	v_add_f64 v[38:39], v[38:39], -v[48:49]
	v_div_scale_f64 v[52:53], s[2:3], v[50:51], v[50:51], v[44:45]
	s_mov_b32 s2, 0x69efb384
	s_mov_b32 s3, 0x3f4b2bb0
	v_mul_f64 v[54:55], v[36:37], v[46:47]
	v_add_f64 v[38:39], v[42:43], v[38:39]
	v_fma_f64 v[36:37], v[46:47], v[36:37], -v[54:55]
	v_rcp_f64_e32 v[56:57], v[52:53]
	v_fma_f64 v[36:37], v[46:47], v[40:41], v[36:37]
	v_add_f64 v[40:41], v[54:55], v[36:37]
	v_fma_f64 v[66:67], -v[52:53], v[56:57], 1.0
	v_add_f64 v[68:69], v[48:49], -v[40:41]
	v_add_f64 v[42:43], v[40:41], -v[54:55]
	v_fma_f64 v[56:57], v[56:57], v[66:67], v[56:57]
	v_div_scale_f64 v[66:67], vcc, v[44:45], v[50:51], v[44:45]
	v_add_f64 v[48:49], v[48:49], -v[68:69]
	v_add_f64 v[36:37], v[42:43], -v[36:37]
	v_fma_f64 v[70:71], -v[52:53], v[56:57], 1.0
	v_add_f64 v[42:43], v[34:35], v[46:47]
	v_add_f64 v[40:41], v[48:49], -v[40:41]
	v_fma_f64 v[48:49], v[56:57], v[70:71], v[56:57]
	v_add_f64 v[34:35], v[42:43], -v[34:35]
	v_add_f64 v[38:39], v[38:39], v[40:41]
	v_mul_f64 v[40:41], v[66:67], v[48:49]
	v_add_f64 v[34:35], v[46:47], -v[34:35]
	v_add_f64 v[36:37], v[36:37], v[38:39]
	v_fma_f64 v[38:39], -v[52:53], v[40:41], v[66:67]
	v_add_f64 v[36:37], v[68:69], v[36:37]
	v_div_fmas_f64 v[38:39], v[38:39], v[48:49], v[40:41]
	v_cmp_gt_i32_e32 vcc, 0, v11
	v_mul_f64 v[32:33], v[32:33], v[36:37]
	v_add_f64 v[32:33], v[34:35], v[32:33]
	v_div_fixup_f64 v[34:35], v[38:39], v[50:51], v[44:45]
	v_add_f64 v[36:37], v[42:43], v[32:33]
	v_mul_f64 v[38:39], v[34:35], v[34:35]
	v_mul_f64 v[40:41], v[36:37], v[36:37]
	v_fma_f64 v[44:45], v[38:39], s[38:39], v[22:23]
	v_fma_f64 v[46:47], v[40:41], s[20:21], v[20:21]
	v_mul_f64 v[48:49], v[36:37], v[40:41]
	v_fma_f64 v[44:45], v[38:39], v[44:45], s[2:3]
	s_mov_b32 s2, 0xaf56de9b
	s_mov_b32 s3, 0xbf67952d
	v_fma_f64 v[46:47], v[40:41], v[46:47], s[22:23]
	v_fma_f64 v[44:45], v[38:39], v[44:45], s[2:3]
	v_cmp_eq_f64_e64 s[2:3], 0, v[12:13]
	v_fma_f64 v[46:47], v[40:41], v[46:47], s[24:25]
	v_fma_f64 v[44:45], v[38:39], v[44:45], s[44:45]
	;; [unrolled: 1-line block ×7, first 2 shown]
	v_ldexp_f64 v[46:47], v[36:37], 1
	v_fma_f64 v[44:45], v[38:39], v[44:45], s[50:51]
	v_add_f64 v[36:37], v[36:37], -v[42:43]
	v_mul_f64 v[40:41], v[48:49], v[40:41]
	v_cvt_f64_i32_e32 v[48:49], v8
	v_fma_f64 v[44:45], v[38:39], v[44:45], s[52:53]
	v_add_f64 v[32:33], v[32:33], -v[36:37]
	v_cndmask_b32_e32 v8, v62, v63, vcc
	v_mul_f64 v[50:51], v[48:49], s[34:35]
	v_add_f64 v[42:43], v[46:47], v[40:41]
	v_fma_f64 v[44:45], v[38:39], v[44:45], s[54:55]
	v_ldexp_f64 v[32:33], v[32:33], 1
	v_add_f64 v[36:37], v[42:43], -v[46:47]
	v_fma_f64 v[46:47], v[48:49], s[34:35], -v[50:51]
	v_fma_f64 v[44:45], v[38:39], v[44:45], s[56:57]
	v_add_f64 v[36:37], v[40:41], -v[36:37]
	v_fma_f64 v[40:41], v[38:39], v[44:45], s[58:59]
	v_fma_f64 v[44:45], v[48:49], s[36:37], v[46:47]
	v_add_f64 v[32:33], v[32:33], v[36:37]
	v_fma_f64 v[36:37], v[38:39], v[40:41], s[60:61]
	v_add_f64 v[40:41], v[50:51], v[44:45]
	v_add_f64 v[46:47], v[42:43], v[32:33]
	v_fma_f64 v[36:37], v[38:39], v[36:37], s[62:63]
	v_add_f64 v[50:51], v[40:41], -v[50:51]
	v_add_f64 v[48:49], v[40:41], v[46:47]
	v_add_f64 v[42:43], v[46:47], -v[42:43]
	v_fma_f64 v[36:37], v[38:39], v[36:37], s[64:65]
	v_add_f64 v[44:45], v[44:45], -v[50:51]
	v_add_f64 v[52:53], v[48:49], -v[40:41]
	;; [unrolled: 1-line block ×3, first 2 shown]
	v_fma_f64 v[36:37], v[38:39], v[36:37], s[66:67]
	v_add_f64 v[54:55], v[48:49], -v[52:53]
	v_add_f64 v[42:43], v[46:47], -v[52:53]
	v_fma_f64 v[36:37], v[38:39], v[36:37], s[68:69]
	v_add_f64 v[46:47], v[44:45], v[32:33]
	v_add_f64 v[40:41], v[40:41], -v[54:55]
	v_fma_f64 v[36:37], v[38:39], v[36:37], s[70:71]
	v_add_f64 v[40:41], v[42:43], v[40:41]
	v_add_f64 v[42:43], v[46:47], -v[44:45]
	v_fma_f64 v[36:37], v[38:39], v[36:37], s[72:73]
	v_add_f64 v[40:41], v[46:47], v[40:41]
	v_add_f64 v[46:47], v[46:47], -v[42:43]
	v_fma_f64 v[36:37], v[38:39], v[36:37], s[74:75]
	v_add_f64 v[32:33], v[32:33], -v[42:43]
	v_add_f64 v[50:51], v[48:49], v[40:41]
	v_mul_f64 v[36:37], v[38:39], v[36:37]
	v_add_f64 v[38:39], v[44:45], -v[46:47]
	v_add_f64 v[42:43], v[50:51], -v[48:49]
	v_fma_f64 v[34:35], v[34:35], v[36:37], v[34:35]
	v_add_f64 v[32:33], v[32:33], v[38:39]
	v_add_f64 v[36:37], v[40:41], -v[42:43]
	v_add_f64 v[38:39], -v[34:35], s[76:77]
	v_add_f64 v[32:33], v[32:33], v[36:37]
	v_cndmask_b32_e64 v35, v35, v39, s[0:1]
	v_cndmask_b32_e64 v34, v34, v38, s[0:1]
	v_add_f64 v[36:37], -v[34:35], s[92:93]
	v_add_f64 v[32:33], v[50:51], v[32:33]
	v_cndmask_b32_e32 v19, v34, v36, vcc
	v_and_b32_e32 v36, 0x400921fb, v10
	v_cndmask_b32_e32 v34, v64, v65, vcc
	v_cndmask_b32_e32 v7, v35, v37, vcc
	v_mul_f64 v[10:11], v[32:33], 0.5
	v_bfi_b32 v6, s40, v34, v13
	v_cndmask_b32_e64 v16, v19, v16, s[2:3]
	v_cndmask_b32_e64 v7, v7, v36, s[2:3]
	s_and_b64 vcc, s[16:17], s[12:13]
	v_cndmask_b32_e32 v33, v7, v6, vcc
	v_cndmask_b32_e32 v32, v16, v8, vcc
                                        ; implicit-def: $vgpr36_vgpr37
	v_cndmask_b32_e64 v7, v59, v11, s[4:5]
	v_cndmask_b32_e64 v6, 0, v10, s[4:5]
.LBB197_251:                            ;   in Loop: Header=BB197_162 Depth=1
	s_andn2_saveexec_b64 s[4:5], s[14:15]
	s_cbranch_execz .LBB197_253
; %bb.252:                              ;   in Loop: Header=BB197_162 Depth=1
	v_max_f64 v[6:7], |v[12:13]|, |v[12:13]|
	v_max_f64 v[32:33], |v[10:11]|, |v[10:11]|
	s_mov_b32 s92, s76
	v_cmp_class_f64_e64 s[12:13], v[12:13], s42
	v_cmp_class_f64_e64 s[14:15], v[10:11], s42
	v_max_f64 v[34:35], v[32:33], v[6:7]
	v_min_f64 v[6:7], v[32:33], v[6:7]
	v_div_scale_f64 v[32:33], s[2:3], v[34:35], v[34:35], v[6:7]
	s_mov_b32 s2, 0x69efb384
	s_mov_b32 s3, 0x3f4b2bb0
	v_rcp_f64_e32 v[38:39], v[32:33]
	v_fma_f64 v[40:41], -v[32:33], v[38:39], 1.0
	v_fma_f64 v[38:39], v[38:39], v[40:41], v[38:39]
	v_div_scale_f64 v[40:41], vcc, v[6:7], v[34:35], v[6:7]
	v_fma_f64 v[42:43], -v[32:33], v[38:39], 1.0
	v_fma_f64 v[38:39], v[38:39], v[42:43], v[38:39]
	v_mul_f64 v[42:43], v[40:41], v[38:39]
	v_fma_f64 v[32:33], -v[32:33], v[42:43], v[40:41]
	v_div_fmas_f64 v[32:33], v[32:33], v[38:39], v[42:43]
	v_cmp_gt_i32_e32 vcc, 0, v11
	v_cndmask_b32_e32 v10, v64, v65, vcc
	v_cndmask_b32_e32 v16, v62, v63, vcc
	v_bfi_b32 v10, s40, v10, v13
	v_div_fixup_f64 v[6:7], v[32:33], v[34:35], v[6:7]
	v_mul_f64 v[32:33], v[6:7], v[6:7]
	v_fma_f64 v[34:35], v[32:33], s[38:39], v[22:23]
	v_fma_f64 v[34:35], v[32:33], v[34:35], s[2:3]
	s_mov_b32 s2, 0xaf56de9b
	s_mov_b32 s3, 0xbf67952d
	v_fma_f64 v[34:35], v[32:33], v[34:35], s[2:3]
	v_cmp_eq_f64_e64 s[2:3], 0, v[12:13]
	v_fma_f64 v[34:35], v[32:33], v[34:35], s[44:45]
	v_fma_f64 v[34:35], v[32:33], v[34:35], s[46:47]
	;; [unrolled: 1-line block ×16, first 2 shown]
	v_mul_f64 v[32:33], v[32:33], v[34:35]
	v_mul_f64 v[34:35], v[36:37], 0.5
	v_fma_f64 v[6:7], v[6:7], v[32:33], v[6:7]
	v_add_f64 v[32:33], -v[6:7], s[76:77]
	v_cndmask_b32_e64 v8, v7, v33, s[0:1]
	v_cndmask_b32_e64 v7, v6, v32, s[0:1]
	v_add_f64 v[32:33], -v[7:8], s[92:93]
	v_ashrrev_i32_e32 v6, 31, v11
	v_and_b32_e32 v19, 0x54442d18, v6
	v_and_b32_e32 v11, 0x400921fb, v6
	v_cndmask_b32_e32 v32, v7, v32, vcc
	v_mul_f64 v[6:7], v[36:37], v[34:35]
	v_cndmask_b32_e32 v8, v8, v33, vcc
	v_cndmask_b32_e64 v19, v32, v19, s[2:3]
	v_cndmask_b32_e64 v8, v8, v11, s[2:3]
	s_and_b64 vcc, s[14:15], s[12:13]
	v_cndmask_b32_e32 v33, v8, v10, vcc
	v_cndmask_b32_e32 v32, v19, v16, vcc
.LBB197_253:                            ;   in Loop: Header=BB197_162 Depth=1
	s_or_b64 exec, exec, s[4:5]
.LBB197_254:                            ;   in Loop: Header=BB197_162 Depth=1
	s_or_b64 exec, exec, s[6:7]
.LBB197_255:                            ;   in Loop: Header=BB197_162 Depth=1
	s_andn2_saveexec_b64 s[6:7], s[78:79]
	s_cbranch_execz .LBB197_257
; %bb.256:                              ;   in Loop: Header=BB197_162 Depth=1
	v_div_scale_f64 v[6:7], s[2:3], s[82:83], s[82:83], v[10:11]
	s_mov_b32 s31, s19
	s_mov_b32 s92, s76
	v_rcp_f64_e32 v[32:33], v[6:7]
	v_fma_f64 v[34:35], -v[6:7], v[32:33], 1.0
	v_fma_f64 v[32:33], v[32:33], v[34:35], v[32:33]
	v_fma_f64 v[34:35], -v[6:7], v[32:33], 1.0
	v_fma_f64 v[32:33], v[32:33], v[34:35], v[32:33]
	v_div_scale_f64 v[34:35], vcc, v[10:11], s[82:83], v[10:11]
	v_mul_f64 v[36:37], v[34:35], v[32:33]
	v_fma_f64 v[6:7], -v[6:7], v[36:37], v[34:35]
	s_nop 1
	v_div_fmas_f64 v[6:7], v[6:7], v[32:33], v[36:37]
	v_div_scale_f64 v[32:33], s[2:3], s[82:83], s[82:83], v[12:13]
	v_div_fixup_f64 v[6:7], v[6:7], s[82:83], v[10:11]
	v_rcp_f64_e32 v[34:35], v[32:33]
	v_cmp_class_f64_e64 s[2:3], v[6:7], s42
	v_fma_f64 v[36:37], -v[32:33], v[34:35], 1.0
	v_fma_f64 v[34:35], v[34:35], v[36:37], v[34:35]
	v_fma_f64 v[36:37], -v[32:33], v[34:35], 1.0
	v_fma_f64 v[34:35], v[34:35], v[36:37], v[34:35]
	v_div_scale_f64 v[36:37], vcc, v[12:13], s[82:83], v[12:13]
	v_mul_f64 v[38:39], v[36:37], v[34:35]
	v_fma_f64 v[32:33], -v[32:33], v[38:39], v[36:37]
	s_nop 1
	v_div_fmas_f64 v[32:33], v[32:33], v[34:35], v[38:39]
	v_div_fixup_f64 v[32:33], v[32:33], s[82:83], v[12:13]
	v_max_f64 v[34:35], |v[6:7]|, |v[32:33]|
	v_cmp_class_f64_e64 s[4:5], v[32:33], s42
	v_frexp_exp_i32_f64_e32 v8, v[34:35]
	v_sub_u32_e32 v16, 0, v8
	v_ldexp_f64 v[36:37], |v[32:33]|, v16
	v_ldexp_f64 v[34:35], |v[6:7]|, v16
	v_mul_f64 v[36:37], v[36:37], v[36:37]
	v_fma_f64 v[34:35], v[34:35], v[34:35], v[36:37]
	v_rsq_f64_e32 v[36:37], v[34:35]
	v_cmp_eq_f64_e32 vcc, 0, v[34:35]
	v_mul_f64 v[38:39], v[34:35], v[36:37]
	v_mul_f64 v[36:37], v[36:37], 0.5
	v_fma_f64 v[40:41], -v[36:37], v[38:39], 0.5
	v_fma_f64 v[38:39], v[38:39], v[40:41], v[38:39]
	v_fma_f64 v[36:37], v[36:37], v[40:41], v[36:37]
	v_fma_f64 v[40:41], -v[38:39], v[38:39], v[34:35]
	v_fma_f64 v[36:37], v[40:41], v[36:37], v[38:39]
	v_cndmask_b32_e32 v35, v37, v35, vcc
	v_cndmask_b32_e32 v34, v36, v34, vcc
	v_ldexp_f64 v[34:35], v[34:35], v8
	v_cmp_o_f64_e32 vcc, v[6:7], v[32:33]
	v_cndmask_b32_e32 v16, 0, v34, vcc
	v_cndmask_b32_e32 v8, v60, v35, vcc
	s_or_b64 vcc, s[2:3], s[4:5]
	v_cndmask_b32_e32 v8, v8, v59, vcc
	v_cndmask_b32_e64 v7, v16, 0, vcc
	v_frexp_mant_f64_e32 v[32:33], v[7:8]
	v_frexp_exp_i32_f64_e32 v6, v[7:8]
	v_cmp_class_f64_e64 s[4:5], v[10:11], s42
	v_cmp_gt_f64_e32 vcc, s[18:19], v[32:33]
	v_cndmask_b32_e64 v16, 0, 1, vcc
	v_ldexp_f64 v[32:33], v[32:33], v16
	v_subbrev_co_u32_e32 v6, vcc, 0, v6, vcc
	v_cmp_class_f64_e64 vcc, v[7:8], s42
	v_add_f64 v[36:37], v[32:33], 1.0
	v_add_f64 v[34:35], v[32:33], -1.0
	v_add_f64 v[38:39], v[36:37], -1.0
	v_add_f64 v[32:33], v[32:33], -v[38:39]
	v_rcp_f64_e32 v[38:39], v[36:37]
	v_fma_f64 v[40:41], -v[36:37], v[38:39], 1.0
	v_fma_f64 v[38:39], v[40:41], v[38:39], v[38:39]
	v_fma_f64 v[40:41], -v[36:37], v[38:39], 1.0
	v_fma_f64 v[38:39], v[40:41], v[38:39], v[38:39]
	v_mul_f64 v[40:41], v[34:35], v[38:39]
	v_mul_f64 v[42:43], v[36:37], v[40:41]
	v_fma_f64 v[36:37], v[40:41], v[36:37], -v[42:43]
	v_fma_f64 v[32:33], v[40:41], v[32:33], v[36:37]
	v_add_f64 v[36:37], v[42:43], v[32:33]
	v_add_f64 v[44:45], v[34:35], -v[36:37]
	v_add_f64 v[42:43], v[36:37], -v[42:43]
	;; [unrolled: 1-line block ×5, first 2 shown]
	v_add_f64 v[32:33], v[32:33], v[34:35]
	v_add_f64 v[32:33], v[44:45], v[32:33]
	v_mul_f64 v[32:33], v[38:39], v[32:33]
	v_add_f64 v[34:35], v[40:41], v[32:33]
	v_add_f64 v[36:37], v[34:35], -v[40:41]
	v_ldexp_f64 v[40:41], v[34:35], 1
	v_add_f64 v[32:33], v[32:33], -v[36:37]
	v_mul_f64 v[36:37], v[34:35], v[34:35]
	v_ldexp_f64 v[32:33], v[32:33], 1
	v_fma_f64 v[38:39], v[36:37], s[20:21], v[20:21]
	v_mul_f64 v[34:35], v[34:35], v[36:37]
	v_fma_f64 v[38:39], v[36:37], v[38:39], s[22:23]
	v_fma_f64 v[38:39], v[36:37], v[38:39], s[24:25]
	;; [unrolled: 1-line block ×5, first 2 shown]
	v_mul_f64 v[34:35], v[34:35], v[38:39]
	v_add_f64 v[36:37], v[40:41], v[34:35]
	v_add_f64 v[38:39], v[36:37], -v[40:41]
	v_add_f64 v[34:35], v[34:35], -v[38:39]
	v_add_f64 v[32:33], v[32:33], v[34:35]
	v_add_f64 v[34:35], v[36:37], v[32:33]
	v_add_f64 v[36:37], v[34:35], -v[36:37]
	v_add_f64 v[32:33], v[32:33], -v[36:37]
	v_cvt_f64_i32_e32 v[36:37], v6
	v_mul_f64 v[38:39], v[36:37], s[34:35]
	v_fma_f64 v[40:41], v[36:37], s[34:35], -v[38:39]
	v_fma_f64 v[36:37], v[36:37], s[36:37], v[40:41]
	v_add_f64 v[40:41], v[38:39], v[36:37]
	v_add_f64 v[38:39], v[40:41], -v[38:39]
	v_add_f64 v[36:37], v[36:37], -v[38:39]
	v_add_f64 v[38:39], v[40:41], v[34:35]
	v_add_f64 v[42:43], v[38:39], -v[40:41]
	v_add_f64 v[44:45], v[38:39], -v[42:43]
	;; [unrolled: 1-line block ×4, first 2 shown]
	v_add_f64 v[34:35], v[34:35], v[40:41]
	v_add_f64 v[40:41], v[36:37], v[32:33]
	v_add_f64 v[42:43], v[40:41], -v[36:37]
	v_add_f64 v[34:35], v[40:41], v[34:35]
	v_add_f64 v[44:45], v[40:41], -v[42:43]
	v_add_f64 v[32:33], v[32:33], -v[42:43]
	v_add_f64 v[36:37], v[36:37], -v[44:45]
	v_add_f64 v[32:33], v[32:33], v[36:37]
	v_add_f64 v[36:37], v[38:39], v[34:35]
	v_add_f64 v[38:39], v[36:37], -v[38:39]
	v_add_f64 v[34:35], v[34:35], -v[38:39]
	v_add_f64 v[32:33], v[32:33], v[34:35]
	v_max_f64 v[34:35], |v[10:11]|, |v[10:11]|
	v_add_f64 v[32:33], v[36:37], v[32:33]
	v_cndmask_b32_e32 v33, v33, v8, vcc
	v_cndmask_b32_e32 v32, v32, v7, vcc
	v_add_f64 v[32:33], v[32:33], 1.0
	v_cmp_ngt_f64_e32 vcc, 0, v[7:8]
	v_cndmask_b32_e32 v16, v60, v33, vcc
	v_cmp_nge_f64_e32 vcc, 0, v[7:8]
	v_cndmask_b32_e32 v6, 0, v32, vcc
	v_max_f64 v[32:33], |v[12:13]|, |v[12:13]|
	v_cmp_neq_f64_e32 vcc, 0, v[7:8]
	v_max_f64 v[36:37], v[34:35], v[32:33]
	v_min_f64 v[32:33], v[34:35], v[32:33]
	v_cndmask_b32_e32 v7, v61, v16, vcc
	v_div_scale_f64 v[34:35], s[2:3], v[36:37], v[36:37], v[32:33]
	s_mov_b32 s2, 0x69efb384
	s_mov_b32 s3, 0x3f4b2bb0
	v_rcp_f64_e32 v[38:39], v[34:35]
	v_fma_f64 v[40:41], -v[34:35], v[38:39], 1.0
	v_fma_f64 v[38:39], v[38:39], v[40:41], v[38:39]
	v_fma_f64 v[40:41], -v[34:35], v[38:39], 1.0
	v_fma_f64 v[38:39], v[38:39], v[40:41], v[38:39]
	v_div_scale_f64 v[40:41], vcc, v[32:33], v[36:37], v[32:33]
	v_mul_f64 v[42:43], v[40:41], v[38:39]
	v_fma_f64 v[34:35], -v[34:35], v[42:43], v[40:41]
	s_nop 1
	v_div_fmas_f64 v[34:35], v[34:35], v[38:39], v[42:43]
	v_div_fixup_f64 v[32:33], v[34:35], v[36:37], v[32:33]
	v_mul_f64 v[34:35], v[32:33], v[32:33]
	v_fma_f64 v[36:37], v[34:35], s[38:39], v[22:23]
	v_fma_f64 v[36:37], v[34:35], v[36:37], s[2:3]
	s_mov_b32 s2, 0xaf56de9b
	s_mov_b32 s3, 0xbf67952d
	v_fma_f64 v[36:37], v[34:35], v[36:37], s[2:3]
	v_cmp_class_f64_e64 s[2:3], v[12:13], s42
	v_fma_f64 v[36:37], v[34:35], v[36:37], s[44:45]
	s_and_b64 vcc, s[4:5], s[2:3]
	v_cmp_gt_i32_e64 s[2:3], 0, v11
	v_cndmask_b32_e64 v10, v64, v65, s[2:3]
	v_bfi_b32 v16, s40, v10, v13
	v_ashrrev_i32_e32 v10, 31, v11
	v_and_b32_e32 v19, 0x400921fb, v10
	v_cmp_eq_f64_e64 s[4:5], 0, v[12:13]
	v_fma_f64 v[36:37], v[34:35], v[36:37], s[46:47]
	v_cndmask_b32_e64 v8, v62, v63, s[2:3]
	v_fma_f64 v[36:37], v[34:35], v[36:37], s[48:49]
	v_fma_f64 v[36:37], v[34:35], v[36:37], s[50:51]
	;; [unrolled: 1-line block ×14, first 2 shown]
	v_mul_f64 v[34:35], v[34:35], v[36:37]
	v_fma_f64 v[32:33], v[32:33], v[34:35], v[32:33]
	v_and_b32_e32 v34, 0x54442d18, v10
	v_add_f64 v[10:11], -v[32:33], s[76:77]
	v_cndmask_b32_e64 v11, v33, v11, s[0:1]
	v_cndmask_b32_e64 v10, v32, v10, s[0:1]
	v_add_f64 v[32:33], -v[10:11], s[92:93]
	v_cndmask_b32_e64 v11, v11, v33, s[2:3]
	v_cndmask_b32_e64 v10, v10, v32, s[2:3]
	;; [unrolled: 1-line block ×4, first 2 shown]
	v_cndmask_b32_e32 v33, v11, v16, vcc
	v_cndmask_b32_e32 v32, v10, v8, vcc
.LBB197_257:                            ;   in Loop: Header=BB197_162 Depth=1
	s_or_b64 exec, exec, s[6:7]
.LBB197_258:                            ;   in Loop: Header=BB197_162 Depth=1
	s_andn2_saveexec_b64 s[0:1], s[94:95]
	s_cbranch_execz .LBB197_264
; %bb.259:                              ;   in Loop: Header=BB197_162 Depth=1
	v_cmp_nlt_f64_e64 s[2:3], |v[10:11]|, s[88:89]
	v_cmp_nlt_f64_e64 s[4:5], |v[12:13]|, s[88:89]
                                        ; implicit-def: $vgpr7_vgpr8
	s_or_b64 s[2:3], s[2:3], s[4:5]
	s_and_saveexec_b64 s[4:5], s[2:3]
	s_xor_b64 s[2:3], exec, s[4:5]
	s_cbranch_execz .LBB197_261
; %bb.260:                              ;   in Loop: Header=BB197_162 Depth=1
	v_mul_f64 v[6:7], v[12:13], v[12:13]
	v_fma_f64 v[7:8], v[10:11], v[10:11], v[6:7]
.LBB197_261:                            ;   in Loop: Header=BB197_162 Depth=1
	s_andn2_saveexec_b64 s[2:3], s[2:3]
	s_cbranch_execz .LBB197_263
; %bb.262:                              ;   in Loop: Header=BB197_162 Depth=1
	v_mul_f64 v[6:7], v[12:13], 4.0
	v_mul_f64 v[10:11], v[10:11], 4.0
	v_mul_f64 v[6:7], v[6:7], v[6:7]
	v_fma_f64 v[6:7], v[10:11], v[10:11], v[6:7]
	v_ldexp_f64 v[7:8], v[6:7], -4
.LBB197_263:                            ;   in Loop: Header=BB197_162 Depth=1
	s_or_b64 exec, exec, s[2:3]
	v_frexp_mant_f64_e32 v[10:11], v[7:8]
	s_mov_b32 s31, s19
	v_cmp_gt_f64_e32 vcc, s[18:19], v[10:11]
	v_cndmask_b32_e64 v6, 0, 1, vcc
	v_ldexp_f64 v[10:11], v[10:11], v6
	v_frexp_exp_i32_f64_e32 v6, v[7:8]
	v_add_f64 v[32:33], v[10:11], 1.0
	v_add_f64 v[38:39], v[10:11], -1.0
	v_subbrev_co_u32_e32 v6, vcc, 0, v6, vcc
	v_cmp_class_f64_e64 vcc, v[7:8], s42
	v_rcp_f64_e32 v[34:35], v[32:33]
	v_add_f64 v[40:41], v[32:33], -1.0
	v_add_f64 v[10:11], v[10:11], -v[40:41]
	v_fma_f64 v[36:37], -v[32:33], v[34:35], 1.0
	v_fma_f64 v[34:35], v[36:37], v[34:35], v[34:35]
	v_fma_f64 v[36:37], -v[32:33], v[34:35], 1.0
	v_fma_f64 v[34:35], v[36:37], v[34:35], v[34:35]
	v_mul_f64 v[36:37], v[38:39], v[34:35]
	v_mul_f64 v[42:43], v[32:33], v[36:37]
	v_fma_f64 v[32:33], v[36:37], v[32:33], -v[42:43]
	v_fma_f64 v[10:11], v[36:37], v[10:11], v[32:33]
	v_add_f64 v[32:33], v[42:43], v[10:11]
	v_add_f64 v[40:41], v[38:39], -v[32:33]
	v_add_f64 v[42:43], v[32:33], -v[42:43]
	;; [unrolled: 1-line block ×5, first 2 shown]
	v_add_f64 v[10:11], v[10:11], v[32:33]
	v_add_f64 v[10:11], v[40:41], v[10:11]
	v_mul_f64 v[10:11], v[34:35], v[10:11]
	v_add_f64 v[32:33], v[36:37], v[10:11]
	v_mul_f64 v[34:35], v[32:33], v[32:33]
	v_fma_f64 v[38:39], v[34:35], s[20:21], v[20:21]
	v_mul_f64 v[40:41], v[32:33], v[34:35]
	v_fma_f64 v[38:39], v[34:35], v[38:39], s[22:23]
	v_fma_f64 v[38:39], v[34:35], v[38:39], s[24:25]
	;; [unrolled: 1-line block ×5, first 2 shown]
	v_ldexp_f64 v[38:39], v[32:33], 1
	v_add_f64 v[32:33], v[32:33], -v[36:37]
	v_mul_f64 v[34:35], v[40:41], v[34:35]
	v_cvt_f64_i32_e32 v[40:41], v6
	v_add_f64 v[10:11], v[10:11], -v[32:33]
	v_mul_f64 v[42:43], v[40:41], s[34:35]
	v_add_f64 v[36:37], v[38:39], v[34:35]
	v_ldexp_f64 v[10:11], v[10:11], 1
	v_add_f64 v[32:33], v[36:37], -v[38:39]
	v_fma_f64 v[38:39], v[40:41], s[34:35], -v[42:43]
	v_add_f64 v[32:33], v[34:35], -v[32:33]
	v_fma_f64 v[34:35], v[40:41], s[36:37], v[38:39]
	v_add_f64 v[10:11], v[10:11], v[32:33]
	v_add_f64 v[32:33], v[42:43], v[34:35]
	;; [unrolled: 1-line block ×3, first 2 shown]
	v_add_f64 v[42:43], v[32:33], -v[42:43]
	v_add_f64 v[40:41], v[32:33], v[38:39]
	v_add_f64 v[36:37], v[38:39], -v[36:37]
	v_add_f64 v[34:35], v[34:35], -v[42:43]
	;; [unrolled: 1-line block ×6, first 2 shown]
	v_add_f64 v[38:39], v[34:35], v[10:11]
	v_add_f64 v[32:33], v[32:33], -v[46:47]
	v_add_f64 v[32:33], v[36:37], v[32:33]
	v_add_f64 v[36:37], v[38:39], -v[34:35]
	;; [unrolled: 2-line block ×3, first 2 shown]
	v_add_f64 v[10:11], v[10:11], -v[36:37]
	v_add_f64 v[42:43], v[40:41], v[32:33]
	v_add_f64 v[34:35], v[34:35], -v[38:39]
	v_add_f64 v[36:37], v[42:43], -v[40:41]
	v_add_f64 v[10:11], v[10:11], v[34:35]
	v_add_f64 v[32:33], v[32:33], -v[36:37]
	v_add_f64 v[10:11], v[10:11], v[32:33]
	v_mov_b32_e32 v32, 0
	v_mov_b32_e32 v33, 0x7ff80000
	v_add_f64 v[10:11], v[42:43], v[10:11]
	v_cndmask_b32_e32 v6, v10, v7, vcc
	v_cndmask_b32_e32 v10, v11, v8, vcc
	v_cmp_ngt_f64_e32 vcc, 0, v[7:8]
	v_cndmask_b32_e32 v10, v60, v10, vcc
	v_cmp_nge_f64_e32 vcc, 0, v[7:8]
	v_cndmask_b32_e32 v6, 0, v6, vcc
	v_cmp_neq_f64_e32 vcc, 0, v[7:8]
	v_cndmask_b32_e32 v7, v61, v10, vcc
.LBB197_264:                            ;   in Loop: Header=BB197_162 Depth=1
	s_or_b64 exec, exec, s[0:1]
	v_cmp_o_f64_e32 vcc, v[2:3], v[4:5]
                                        ; implicit-def: $vgpr34_vgpr35
                                        ; implicit-def: $vgpr36_vgpr37
	s_and_saveexec_b64 s[0:1], vcc
	s_xor_b64 s[94:95], exec, s[0:1]
	s_cbranch_execz .LBB197_292
; %bb.265:                              ;   in Loop: Header=BB197_162 Depth=1
	v_cmp_lt_f64_e64 s[0:1], |v[2:3]|, |v[4:5]|
	v_and_b32_e32 v8, 0x7fffffff, v3
	v_and_b32_e32 v10, 0x7fffffff, v5
	s_mov_b32 s2, 0x85ebc8a0
	s_mov_b32 s3, 0x7fd1ccf3
	v_mov_b32_e32 v11, v4
                                        ; implicit-def: $vgpr34_vgpr35
                                        ; implicit-def: $vgpr36_vgpr37
	v_cndmask_b32_e64 v39, v10, v8, s[0:1]
	v_cndmask_b32_e64 v38, v4, v2, s[0:1]
	v_cmp_nlt_f64_e32 vcc, s[2:3], v[38:39]
	s_and_saveexec_b64 s[2:3], vcc
	s_xor_b64 s[78:79], exec, s[2:3]
	s_cbranch_execz .LBB197_289
; %bb.266:                              ;   in Loop: Header=BB197_162 Depth=1
	v_cndmask_b32_e64 v41, v8, v10, s[0:1]
	v_cndmask_b32_e64 v40, v2, v11, s[0:1]
	v_cmp_neq_f64_e32 vcc, 1.0, v[40:41]
                                        ; implicit-def: $vgpr34_vgpr35
                                        ; implicit-def: $vgpr36_vgpr37
	s_and_saveexec_b64 s[2:3], vcc
	s_xor_b64 s[86:87], exec, s[2:3]
	s_cbranch_execz .LBB197_282
; %bb.267:                              ;   in Loop: Header=BB197_162 Depth=1
	v_max_f64 v[10:11], v[38:39], v[38:39]
	v_max_f64 v[34:35], v[40:41], v[40:41]
	s_mov_b32 s2, 0x4ad4b81f
	s_mov_b32 s3, 0x358dee7a
	v_min_f64 v[36:37], v[34:35], v[10:11]
	v_max_f64 v[10:11], v[34:35], v[10:11]
                                        ; implicit-def: $vgpr34_vgpr35
	v_cmp_ngt_f64_e32 vcc, s[2:3], v[36:37]
	s_mov_b32 s2, 0xc57e649a
	s_mov_b32 s3, 0x4a511b0e
	v_cmp_nlt_f64_e64 s[2:3], s[2:3], v[10:11]
                                        ; implicit-def: $vgpr36_vgpr37
	s_and_b64 s[2:3], s[2:3], vcc
	s_and_saveexec_b64 s[4:5], s[2:3]
	s_xor_b64 s[14:15], exec, s[4:5]
	s_cbranch_execz .LBB197_279
; %bb.268:                              ;   in Loop: Header=BB197_162 Depth=1
	v_cmp_le_f64_e32 vcc, 1.0, v[40:41]
                                        ; implicit-def: $vgpr34_vgpr35
                                        ; implicit-def: $vgpr36_vgpr37
	s_and_saveexec_b64 s[2:3], vcc
	s_xor_b64 s[16:17], exec, s[2:3]
	s_cbranch_execz .LBB197_270
; %bb.269:                              ;   in Loop: Header=BB197_162 Depth=1
	v_add_f64 v[10:11], v[40:41], -1.0
	v_add_f64 v[34:35], v[40:41], 1.0
	s_mov_b32 s31, s19
	s_mov_b32 s92, s76
	;; [unrolled: 1-line block ×4, first 2 shown]
	v_cmp_class_f64_e64 s[12:13], v[4:5], s42
	v_mul_f64 v[10:11], v[10:11], v[34:35]
	v_fma_f64 v[10:11], v[38:39], v[38:39], v[10:11]
	v_add_f64 v[34:35], v[10:11], 1.0
	v_cmp_nge_f64_e64 s[4:5], -1.0, v[10:11]
	v_cmp_neq_f64_e64 s[6:7], s[6:7], v[10:11]
	v_frexp_mant_f64_e32 v[38:39], v[34:35]
	v_frexp_exp_i32_f64_e32 v8, v[34:35]
	v_add_f64 v[36:37], v[34:35], -1.0
	v_cmp_gt_f64_e32 vcc, s[18:19], v[38:39]
	v_add_f64 v[40:41], v[36:37], -v[34:35]
	v_add_f64 v[36:37], v[10:11], -v[36:37]
	v_subbrev_co_u32_e32 v8, vcc, 0, v8, vcc
	v_sub_u32_e32 v12, 0, v8
	v_ldexp_f64 v[34:35], v[34:35], v12
	v_add_f64 v[38:39], v[40:41], 1.0
	v_add_f64 v[40:41], v[34:35], 1.0
	v_add_f64 v[36:37], v[36:37], v[38:39]
	v_add_f64 v[46:47], v[34:35], -1.0
	v_add_f64 v[38:39], v[40:41], -1.0
	v_ldexp_f64 v[36:37], v[36:37], v12
	v_add_f64 v[48:49], v[46:47], 1.0
	v_add_f64 v[38:39], v[34:35], -v[38:39]
	v_add_f64 v[34:35], v[34:35], -v[48:49]
	v_add_f64 v[42:43], v[36:37], v[38:39]
	v_add_f64 v[48:49], v[36:37], v[34:35]
	;; [unrolled: 1-line block ×3, first 2 shown]
	v_rcp_f64_e32 v[44:45], v[38:39]
	v_add_f64 v[40:41], v[38:39], -v[40:41]
	v_add_f64 v[42:43], v[42:43], -v[40:41]
	v_fma_f64 v[50:51], -v[38:39], v[44:45], 1.0
	v_fma_f64 v[44:45], v[50:51], v[44:45], v[44:45]
	v_add_f64 v[50:51], v[46:47], v[48:49]
	v_fma_f64 v[34:35], -v[38:39], v[44:45], 1.0
	v_add_f64 v[46:47], v[50:51], -v[46:47]
	v_fma_f64 v[34:35], v[34:35], v[44:45], v[44:45]
	v_add_f64 v[46:47], v[48:49], -v[46:47]
	v_mul_f64 v[36:37], v[50:51], v[34:35]
	v_mul_f64 v[44:45], v[38:39], v[36:37]
	v_fma_f64 v[40:41], v[36:37], v[38:39], -v[44:45]
	v_fma_f64 v[52:53], v[36:37], v[42:43], v[40:41]
	v_add_f64 v[54:55], v[44:45], v[52:53]
	v_add_f64 v[40:41], v[50:51], -v[54:55]
	v_add_f64 v[44:45], v[54:55], -v[44:45]
	;; [unrolled: 1-line block ×5, first 2 shown]
	v_add_f64 v[46:47], v[46:47], v[48:49]
	v_max_f64 v[48:49], |v[2:3]|, |v[2:3]|
	v_add_f64 v[44:45], v[44:45], v[46:47]
	v_max_f64 v[46:47], |v[4:5]|, |v[4:5]|
	v_add_f64 v[50:51], v[40:41], v[44:45]
	v_max_f64 v[52:53], v[48:49], v[46:47]
	v_min_f64 v[46:47], v[48:49], v[46:47]
	v_mul_f64 v[48:49], v[34:35], v[50:51]
	v_add_f64 v[40:41], v[40:41], -v[50:51]
	v_div_scale_f64 v[54:55], s[2:3], v[52:53], v[52:53], v[46:47]
	s_mov_b32 s2, 0x69efb384
	s_mov_b32 s3, 0x3f4b2bb0
	v_mul_f64 v[56:57], v[38:39], v[48:49]
	v_add_f64 v[40:41], v[44:45], v[40:41]
	v_fma_f64 v[38:39], v[48:49], v[38:39], -v[56:57]
	v_rcp_f64_e32 v[66:67], v[54:55]
	v_fma_f64 v[38:39], v[48:49], v[42:43], v[38:39]
	v_add_f64 v[42:43], v[56:57], v[38:39]
	v_fma_f64 v[68:69], -v[54:55], v[66:67], 1.0
	v_add_f64 v[70:71], v[50:51], -v[42:43]
	v_add_f64 v[44:45], v[42:43], -v[56:57]
	v_fma_f64 v[66:67], v[66:67], v[68:69], v[66:67]
	v_div_scale_f64 v[68:69], vcc, v[46:47], v[52:53], v[46:47]
	v_add_f64 v[50:51], v[50:51], -v[70:71]
	v_add_f64 v[38:39], v[44:45], -v[38:39]
	v_fma_f64 v[72:73], -v[54:55], v[66:67], 1.0
	v_add_f64 v[44:45], v[36:37], v[48:49]
	v_add_f64 v[42:43], v[50:51], -v[42:43]
	v_fma_f64 v[50:51], v[66:67], v[72:73], v[66:67]
	v_add_f64 v[36:37], v[44:45], -v[36:37]
	v_add_f64 v[40:41], v[40:41], v[42:43]
	v_mul_f64 v[42:43], v[68:69], v[50:51]
	v_add_f64 v[36:37], v[48:49], -v[36:37]
	v_add_f64 v[38:39], v[38:39], v[40:41]
	v_fma_f64 v[40:41], -v[54:55], v[42:43], v[68:69]
	v_add_f64 v[38:39], v[70:71], v[38:39]
	v_div_fmas_f64 v[40:41], v[40:41], v[50:51], v[42:43]
	v_cmp_gt_i32_e32 vcc, 0, v3
	v_cndmask_b32_e32 v12, v64, v65, vcc
	v_bfi_b32 v12, s40, v12, v5
	v_mul_f64 v[34:35], v[34:35], v[38:39]
	v_add_f64 v[34:35], v[36:37], v[34:35]
	v_div_fixup_f64 v[36:37], v[40:41], v[52:53], v[46:47]
	v_add_f64 v[38:39], v[44:45], v[34:35]
	v_mul_f64 v[40:41], v[36:37], v[36:37]
	v_mul_f64 v[42:43], v[38:39], v[38:39]
	v_fma_f64 v[46:47], v[40:41], s[38:39], v[22:23]
	v_cmp_class_f64_e64 s[38:39], v[2:3], s42
	v_ashrrev_i32_e32 v2, 31, v3
	v_and_b32_e32 v16, 0x54442d18, v2
	v_fma_f64 v[48:49], v[42:43], s[20:21], v[20:21]
	v_mul_f64 v[50:51], v[38:39], v[42:43]
	v_fma_f64 v[46:47], v[40:41], v[46:47], s[2:3]
	s_mov_b32 s2, 0xaf56de9b
	s_mov_b32 s3, 0xbf67952d
	v_fma_f64 v[48:49], v[42:43], v[48:49], s[22:23]
	v_fma_f64 v[46:47], v[40:41], v[46:47], s[2:3]
	v_cmp_eq_f64_e64 s[2:3], 0, v[4:5]
	v_fma_f64 v[48:49], v[42:43], v[48:49], s[24:25]
	v_fma_f64 v[46:47], v[40:41], v[46:47], s[44:45]
	;; [unrolled: 1-line block ×7, first 2 shown]
	v_ldexp_f64 v[48:49], v[38:39], 1
	v_fma_f64 v[46:47], v[40:41], v[46:47], s[50:51]
	v_add_f64 v[38:39], v[38:39], -v[44:45]
	v_mul_f64 v[42:43], v[50:51], v[42:43]
	v_cvt_f64_i32_e32 v[50:51], v8
	v_fma_f64 v[46:47], v[40:41], v[46:47], s[52:53]
	v_add_f64 v[34:35], v[34:35], -v[38:39]
	v_cndmask_b32_e32 v8, v62, v63, vcc
	v_mul_f64 v[52:53], v[50:51], s[34:35]
	v_add_f64 v[44:45], v[48:49], v[42:43]
	v_fma_f64 v[46:47], v[40:41], v[46:47], s[54:55]
	v_ldexp_f64 v[34:35], v[34:35], 1
	v_add_f64 v[38:39], v[44:45], -v[48:49]
	v_fma_f64 v[48:49], v[50:51], s[34:35], -v[52:53]
	v_fma_f64 v[46:47], v[40:41], v[46:47], s[56:57]
	v_add_f64 v[38:39], v[42:43], -v[38:39]
	v_fma_f64 v[42:43], v[40:41], v[46:47], s[58:59]
	v_fma_f64 v[46:47], v[50:51], s[36:37], v[48:49]
	v_add_f64 v[34:35], v[34:35], v[38:39]
	v_fma_f64 v[38:39], v[40:41], v[42:43], s[60:61]
	v_add_f64 v[42:43], v[52:53], v[46:47]
	v_add_f64 v[48:49], v[44:45], v[34:35]
	v_fma_f64 v[38:39], v[40:41], v[38:39], s[62:63]
	v_add_f64 v[52:53], v[42:43], -v[52:53]
	v_add_f64 v[50:51], v[42:43], v[48:49]
	v_add_f64 v[44:45], v[48:49], -v[44:45]
	v_fma_f64 v[38:39], v[40:41], v[38:39], s[64:65]
	v_add_f64 v[46:47], v[46:47], -v[52:53]
	v_add_f64 v[54:55], v[50:51], -v[42:43]
	;; [unrolled: 1-line block ×3, first 2 shown]
	v_fma_f64 v[38:39], v[40:41], v[38:39], s[66:67]
	v_add_f64 v[56:57], v[50:51], -v[54:55]
	v_add_f64 v[44:45], v[48:49], -v[54:55]
	v_fma_f64 v[38:39], v[40:41], v[38:39], s[68:69]
	v_add_f64 v[48:49], v[46:47], v[34:35]
	v_add_f64 v[42:43], v[42:43], -v[56:57]
	v_fma_f64 v[38:39], v[40:41], v[38:39], s[70:71]
	v_add_f64 v[42:43], v[44:45], v[42:43]
	v_add_f64 v[44:45], v[48:49], -v[46:47]
	v_fma_f64 v[38:39], v[40:41], v[38:39], s[72:73]
	v_add_f64 v[42:43], v[48:49], v[42:43]
	v_add_f64 v[48:49], v[48:49], -v[44:45]
	v_fma_f64 v[38:39], v[40:41], v[38:39], s[74:75]
	v_add_f64 v[34:35], v[34:35], -v[44:45]
	v_add_f64 v[52:53], v[50:51], v[42:43]
	v_mul_f64 v[38:39], v[40:41], v[38:39]
	v_add_f64 v[40:41], v[46:47], -v[48:49]
	v_add_f64 v[44:45], v[52:53], -v[50:51]
	v_fma_f64 v[36:37], v[36:37], v[38:39], v[36:37]
	v_add_f64 v[34:35], v[34:35], v[40:41]
	v_add_f64 v[38:39], v[42:43], -v[44:45]
	v_add_f64 v[40:41], -v[36:37], s[76:77]
	v_add_f64 v[34:35], v[34:35], v[38:39]
	v_cndmask_b32_e64 v37, v37, v41, s[0:1]
	v_cndmask_b32_e64 v36, v36, v40, s[0:1]
	v_add_f64 v[38:39], -v[36:37], s[92:93]
                                        ; implicit-def: $vgpr40_vgpr41
	v_add_f64 v[34:35], v[52:53], v[34:35]
	v_cndmask_b32_e32 v19, v36, v38, vcc
	v_and_b32_e32 v36, 0x400921fb, v2
	v_cndmask_b32_e64 v16, v19, v16, s[2:3]
	v_mul_f64 v[2:3], v[34:35], 0.5
	v_cndmask_b32_e32 v34, v37, v39, vcc
	v_cndmask_b32_e64 v19, v34, v36, s[2:3]
	s_and_b64 s[2:3], s[4:5], s[6:7]
	s_and_b64 vcc, s[38:39], s[12:13]
	s_mov_b32 s38, 0xb5e68a13
	s_mov_b32 s39, 0x3eeba404
	v_cndmask_b32_e32 v37, v19, v12, vcc
	v_cndmask_b32_e64 v34, 0, v2, s[2:3]
	v_cmp_ngt_f64_e64 s[2:3], -1.0, v[10:11]
	v_cndmask_b32_e64 v3, v59, v3, s[6:7]
	v_cndmask_b32_e32 v36, v16, v8, vcc
                                        ; implicit-def: $vgpr38_vgpr39
	v_cndmask_b32_e64 v2, v60, v3, s[2:3]
	v_cmp_neq_f64_e64 s[2:3], -1.0, v[10:11]
	v_cndmask_b32_e64 v35, v61, v2, s[2:3]
.LBB197_270:                            ;   in Loop: Header=BB197_162 Depth=1
	s_andn2_saveexec_b64 s[16:17], s[16:17]
	s_cbranch_execz .LBB197_278
; %bb.271:                              ;   in Loop: Header=BB197_162 Depth=1
	v_mul_f64 v[10:11], v[38:39], v[38:39]
	s_mov_b32 s2, 0x66666666
	s_mov_b32 s3, 0x3fe66666
                                        ; implicit-def: $vgpr34_vgpr35
                                        ; implicit-def: $vgpr36_vgpr37
	v_fma_f64 v[10:11], v[40:41], v[40:41], v[10:11]
	v_cmp_ge_f64_e32 vcc, s[2:3], v[10:11]
	s_and_saveexec_b64 s[2:3], vcc
	s_xor_b64 s[6:7], exec, s[2:3]
	s_cbranch_execz .LBB197_273
; %bb.272:                              ;   in Loop: Header=BB197_162 Depth=1
	v_frexp_mant_f64_e32 v[34:35], v[10:11]
	v_max_f64 v[42:43], |v[4:5]|, |v[4:5]|
	v_max_f64 v[44:45], |v[2:3]|, |v[2:3]|
	s_mov_b32 s31, s19
	s_mov_b32 s92, s76
	v_cmp_class_f64_e64 s[12:13], v[4:5], s42
	v_cmp_gt_f64_e64 s[2:3], s[18:19], v[34:35]
	v_cndmask_b32_e64 v8, 0, 1, s[2:3]
	v_ldexp_f64 v[34:35], v[34:35], v8
	v_frexp_exp_i32_f64_e32 v8, v[10:11]
	v_add_f64 v[36:37], v[34:35], 1.0
	v_add_f64 v[48:49], v[34:35], -1.0
	v_rcp_f64_e32 v[38:39], v[36:37]
	v_add_f64 v[52:53], v[36:37], -1.0
	v_add_f64 v[34:35], v[34:35], -v[52:53]
	v_fma_f64 v[40:41], -v[36:37], v[38:39], 1.0
	v_fma_f64 v[38:39], v[40:41], v[38:39], v[38:39]
	v_max_f64 v[40:41], v[44:45], v[42:43]
	v_min_f64 v[42:43], v[44:45], v[42:43]
	v_fma_f64 v[44:45], -v[36:37], v[38:39], 1.0
	v_div_scale_f64 v[46:47], s[4:5], v[40:41], v[40:41], v[42:43]
	s_mov_b32 s4, 0x69efb384
	s_mov_b32 s5, 0x3f4b2bb0
	v_fma_f64 v[38:39], v[44:45], v[38:39], v[38:39]
	v_mul_f64 v[44:45], v[48:49], v[38:39]
	v_rcp_f64_e32 v[50:51], v[46:47]
	v_mul_f64 v[54:55], v[36:37], v[44:45]
	v_fma_f64 v[36:37], v[44:45], v[36:37], -v[54:55]
	v_fma_f64 v[52:53], -v[46:47], v[50:51], 1.0
	v_fma_f64 v[34:35], v[44:45], v[34:35], v[36:37]
	v_fma_f64 v[36:37], v[50:51], v[52:53], v[50:51]
	v_div_scale_f64 v[52:53], vcc, v[42:43], v[40:41], v[42:43]
	v_add_f64 v[50:51], v[54:55], v[34:35]
	v_fma_f64 v[56:57], -v[46:47], v[36:37], 1.0
	v_add_f64 v[66:67], v[48:49], -v[50:51]
	v_add_f64 v[54:55], v[50:51], -v[54:55]
	v_fma_f64 v[36:37], v[36:37], v[56:57], v[36:37]
	v_add_f64 v[48:49], v[48:49], -v[66:67]
	v_add_f64 v[34:35], v[54:55], -v[34:35]
	v_mul_f64 v[56:57], v[52:53], v[36:37]
	v_add_f64 v[48:49], v[48:49], -v[50:51]
	v_fma_f64 v[46:47], -v[46:47], v[56:57], v[52:53]
	v_add_f64 v[34:35], v[34:35], v[48:49]
	v_div_fmas_f64 v[36:37], v[46:47], v[36:37], v[56:57]
	v_subbrev_co_u32_e64 v8, vcc, 0, v8, s[2:3]
	v_cmp_gt_i32_e32 vcc, 0, v3
	v_cmp_eq_f64_e64 s[2:3], 0, v[4:5]
	v_cndmask_b32_e32 v19, v64, v65, vcc
	v_add_f64 v[34:35], v[66:67], v[34:35]
	v_mul_f64 v[34:35], v[38:39], v[34:35]
	v_div_fixup_f64 v[36:37], v[36:37], v[40:41], v[42:43]
	v_add_f64 v[38:39], v[44:45], v[34:35]
	v_mul_f64 v[40:41], v[36:37], v[36:37]
	v_mul_f64 v[42:43], v[38:39], v[38:39]
	v_fma_f64 v[46:47], v[40:41], s[38:39], v[22:23]
	v_cmp_class_f64_e64 s[38:39], v[2:3], s42
	v_ashrrev_i32_e32 v2, 31, v3
	v_and_b32_e32 v12, 0x54442d18, v2
	v_fma_f64 v[48:49], v[42:43], s[20:21], v[20:21]
	v_mul_f64 v[50:51], v[38:39], v[42:43]
	v_fma_f64 v[46:47], v[40:41], v[46:47], s[4:5]
	s_mov_b32 s4, 0xaf56de9b
	s_mov_b32 s5, 0xbf67952d
	v_fma_f64 v[48:49], v[42:43], v[48:49], s[22:23]
	v_fma_f64 v[46:47], v[40:41], v[46:47], s[4:5]
	v_cmp_neq_f64_e64 s[4:5], 0, v[10:11]
	v_bfi_b32 v10, s40, v19, v5
	v_fma_f64 v[48:49], v[42:43], v[48:49], s[24:25]
	v_fma_f64 v[46:47], v[40:41], v[46:47], s[44:45]
	;; [unrolled: 1-line block ×7, first 2 shown]
	v_ldexp_f64 v[48:49], v[38:39], 1
	v_fma_f64 v[46:47], v[40:41], v[46:47], s[50:51]
	v_add_f64 v[38:39], v[38:39], -v[44:45]
	v_mul_f64 v[42:43], v[50:51], v[42:43]
	v_cvt_f64_i32_e32 v[50:51], v8
	v_fma_f64 v[46:47], v[40:41], v[46:47], s[52:53]
	v_add_f64 v[34:35], v[34:35], -v[38:39]
	v_cndmask_b32_e32 v8, v62, v63, vcc
	v_mul_f64 v[52:53], v[50:51], s[34:35]
	v_add_f64 v[44:45], v[48:49], v[42:43]
	v_fma_f64 v[46:47], v[40:41], v[46:47], s[54:55]
	v_ldexp_f64 v[34:35], v[34:35], 1
	v_add_f64 v[38:39], v[44:45], -v[48:49]
	v_fma_f64 v[48:49], v[50:51], s[34:35], -v[52:53]
	v_fma_f64 v[46:47], v[40:41], v[46:47], s[56:57]
	v_add_f64 v[38:39], v[42:43], -v[38:39]
	v_fma_f64 v[42:43], v[40:41], v[46:47], s[58:59]
	v_fma_f64 v[46:47], v[50:51], s[36:37], v[48:49]
	v_add_f64 v[34:35], v[34:35], v[38:39]
	v_fma_f64 v[38:39], v[40:41], v[42:43], s[60:61]
	v_add_f64 v[42:43], v[52:53], v[46:47]
	v_add_f64 v[48:49], v[44:45], v[34:35]
	v_fma_f64 v[38:39], v[40:41], v[38:39], s[62:63]
	v_add_f64 v[52:53], v[42:43], -v[52:53]
	v_add_f64 v[50:51], v[42:43], v[48:49]
	v_add_f64 v[44:45], v[48:49], -v[44:45]
	v_fma_f64 v[38:39], v[40:41], v[38:39], s[64:65]
	v_add_f64 v[46:47], v[46:47], -v[52:53]
	v_add_f64 v[54:55], v[50:51], -v[42:43]
	;; [unrolled: 1-line block ×3, first 2 shown]
	v_fma_f64 v[38:39], v[40:41], v[38:39], s[66:67]
	v_add_f64 v[56:57], v[50:51], -v[54:55]
	v_add_f64 v[44:45], v[48:49], -v[54:55]
	v_fma_f64 v[38:39], v[40:41], v[38:39], s[68:69]
	v_add_f64 v[48:49], v[46:47], v[34:35]
	v_add_f64 v[42:43], v[42:43], -v[56:57]
	v_fma_f64 v[38:39], v[40:41], v[38:39], s[70:71]
	v_add_f64 v[42:43], v[44:45], v[42:43]
	;; [unrolled: 3-line block ×3, first 2 shown]
	v_add_f64 v[48:49], v[48:49], -v[44:45]
	v_fma_f64 v[38:39], v[40:41], v[38:39], s[74:75]
	v_add_f64 v[34:35], v[34:35], -v[44:45]
	v_add_f64 v[52:53], v[50:51], v[42:43]
	v_mul_f64 v[38:39], v[40:41], v[38:39]
	v_add_f64 v[40:41], v[46:47], -v[48:49]
	v_add_f64 v[44:45], v[52:53], -v[50:51]
	v_fma_f64 v[36:37], v[36:37], v[38:39], v[36:37]
	v_add_f64 v[34:35], v[34:35], v[40:41]
	v_add_f64 v[38:39], v[42:43], -v[44:45]
	v_add_f64 v[40:41], -v[36:37], s[76:77]
	v_add_f64 v[34:35], v[34:35], v[38:39]
	v_cndmask_b32_e64 v37, v37, v41, s[0:1]
	v_cndmask_b32_e64 v36, v36, v40, s[0:1]
	v_add_f64 v[38:39], -v[36:37], s[92:93]
                                        ; implicit-def: $vgpr40_vgpr41
	v_add_f64 v[34:35], v[52:53], v[34:35]
	v_cndmask_b32_e32 v16, v36, v38, vcc
	v_and_b32_e32 v36, 0x400921fb, v2
	v_cndmask_b32_e32 v11, v37, v39, vcc
	v_cndmask_b32_e64 v12, v16, v12, s[2:3]
	v_mul_f64 v[2:3], v[34:35], 0.5
	v_cndmask_b32_e64 v11, v11, v36, s[2:3]
	s_and_b64 vcc, s[38:39], s[12:13]
	s_mov_b32 s38, 0xb5e68a13
	s_mov_b32 s39, 0x3eeba404
	v_cndmask_b32_e32 v37, v11, v10, vcc
	v_cndmask_b32_e32 v36, v12, v8, vcc
                                        ; implicit-def: $vgpr38_vgpr39
	v_cndmask_b32_e64 v35, v61, v3, s[4:5]
	v_cndmask_b32_e64 v34, 0, v2, s[4:5]
.LBB197_273:                            ;   in Loop: Header=BB197_162 Depth=1
	s_andn2_saveexec_b64 s[80:81], s[6:7]
	s_cbranch_execz .LBB197_277
; %bb.274:                              ;   in Loop: Header=BB197_162 Depth=1
	v_and_b32_e32 v19, 0x7ffffff8, v41
	v_and_b32_e32 v35, 0x7ffffff8, v39
	v_mov_b32_e32 v34, v18
	v_add_f64 v[10:11], v[40:41], -v[18:19]
	v_add_f64 v[36:37], v[38:39], -v[34:35]
	v_mov_b32_e32 v40, v18
	v_mov_b32_e32 v48, v18
	v_add_f64 v[44:45], v[18:19], v[18:19]
	v_add_f64 v[46:47], v[34:35], v[34:35]
	v_mul_f64 v[34:35], v[34:35], v[34:35]
	s_mov_b64 s[12:13], 0
	v_and_b32_e32 v41, -8, v11
	v_and_b32_e32 v49, -8, v37
	v_add_f64 v[54:55], v[10:11], -v[40:41]
	v_add_f64 v[56:57], v[36:37], -v[48:49]
	v_add_f64 v[66:67], v[40:41], v[40:41]
	v_add_f64 v[68:69], v[48:49], v[48:49]
	v_mul_f64 v[10:11], v[18:19], v[18:19]
	v_mul_f64 v[38:39], v[44:45], v[40:41]
	;; [unrolled: 1-line block ×11, first 2 shown]
.LBB197_275:                            ;   Parent Loop BB197_162 Depth=1
                                        ; =>  This Inner Loop Header: Depth=2
	v_cmp_nlt_f64_e32 vcc, v[10:11], v[34:35]
	v_cndmask_b32_e32 v57, v11, v35, vcc
	v_cndmask_b32_e32 v56, v10, v34, vcc
	v_cmp_nlt_f64_e64 s[2:3], v[56:57], v[38:39]
	v_cndmask_b32_e32 v11, v35, v11, vcc
	v_cndmask_b32_e32 v10, v34, v10, vcc
	v_cndmask_b32_e64 v67, v57, v39, s[2:3]
	v_cndmask_b32_e64 v66, v56, v38, s[2:3]
	v_cmp_nlt_f64_e64 s[4:5], v[66:67], v[36:37]
	v_cndmask_b32_e64 v35, v39, v57, s[2:3]
	v_cndmask_b32_e64 v34, v38, v56, s[2:3]
	s_and_b64 s[38:39], vcc, s[2:3]
	v_cndmask_b32_e64 v69, v67, v37, s[4:5]
	v_cndmask_b32_e64 v68, v66, v36, s[4:5]
	v_cmp_nlt_f64_e64 s[6:7], v[68:69], v[42:43]
	v_cndmask_b32_e64 v39, v37, v67, s[4:5]
	v_cndmask_b32_e64 v38, v36, v66, s[4:5]
	;; [unrolled: 1-line block ×4, first 2 shown]
	v_cmp_nlt_f64_e32 vcc, v[56:57], v[48:49]
	v_cndmask_b32_e64 v37, v43, v69, s[6:7]
	v_cndmask_b32_e64 v36, v42, v68, s[6:7]
	s_and_b64 s[6:7], s[4:5], s[6:7]
	v_cndmask_b32_e32 v67, v57, v49, vcc
	v_cndmask_b32_e32 v66, v56, v48, vcc
	v_cmp_nlt_f64_e64 s[2:3], v[66:67], v[52:53]
	v_cndmask_b32_e32 v43, v49, v57, vcc
	v_cndmask_b32_e32 v42, v48, v56, vcc
	v_cndmask_b32_e64 v57, v67, v53, s[2:3]
	v_cndmask_b32_e64 v56, v66, v52, s[2:3]
	v_cmp_nlt_f64_e64 s[4:5], v[56:57], v[50:51]
	v_cndmask_b32_e64 v49, v53, v67, s[2:3]
	v_cndmask_b32_e64 v48, v52, v66, s[2:3]
	s_and_b64 s[2:3], vcc, s[2:3]
	v_cndmask_b32_e64 v67, v57, v51, s[4:5]
	v_cndmask_b32_e64 v66, v56, v50, s[4:5]
	v_cmp_nlt_f64_e32 vcc, v[66:67], v[46:47]
	v_cndmask_b32_e64 v53, v51, v57, s[4:5]
	v_cndmask_b32_e64 v52, v50, v56, s[4:5]
	s_and_b64 s[4:5], s[2:3], s[4:5]
	v_cndmask_b32_e32 v57, v67, v47, vcc
	v_cndmask_b32_e32 v56, v66, v46, vcc
	v_cmp_nlt_f64_e64 s[2:3], v[56:57], v[44:45]
	v_cndmask_b32_e32 v51, v47, v67, vcc
	v_cndmask_b32_e32 v50, v46, v66, vcc
	s_and_b64 s[4:5], s[4:5], vcc
	v_cndmask_b32_e64 v67, v57, v45, s[2:3]
	v_cndmask_b32_e64 v66, v56, v44, s[2:3]
	v_cmp_nlt_f64_e32 vcc, v[66:67], v[40:41]
	v_cndmask_b32_e64 v47, v45, v57, s[2:3]
	v_cndmask_b32_e64 v46, v44, v56, s[2:3]
	s_and_b64 s[4:5], s[4:5], s[2:3]
	v_cndmask_b32_e32 v69, v67, v41, vcc
	v_cndmask_b32_e32 v68, v66, v40, vcc
	v_cmp_nlt_f64_e64 s[2:3], v[68:69], v[54:55]
	s_and_b64 s[4:5], s[4:5], vcc
	v_cndmask_b32_e32 v45, v41, v67, vcc
	v_cndmask_b32_e32 v44, v40, v66, vcc
	v_cndmask_b32_e64 v57, v69, v55, s[2:3]
	v_cndmask_b32_e64 v56, v68, v54, s[2:3]
	;; [unrolled: 1-line block ×4, first 2 shown]
	s_and_b64 s[2:3], s[4:5], s[2:3]
	s_and_b64 s[2:3], s[2:3], s[6:7]
	s_and_b64 s[2:3], s[2:3], s[38:39]
	s_and_b64 s[2:3], exec, s[2:3]
	v_mov_b32_e32 v54, v56
	s_or_b64 s[12:13], s[2:3], s[12:13]
	v_mov_b32_e32 v55, v57
	s_andn2_b64 exec, exec, s[12:13]
	s_cbranch_execnz .LBB197_275
; %bb.276:                              ;   in Loop: Header=BB197_162 Depth=1
	s_or_b64 exec, exec, s[12:13]
	v_add_f64 v[10:11], v[10:11], -1.0
	s_mov_b32 s31, s19
	s_mov_b32 s92, s76
	;; [unrolled: 1-line block ×4, first 2 shown]
	v_cmp_class_f64_e64 s[38:39], v[2:3], s42
	v_cmp_class_f64_e64 s[12:13], v[4:5], s42
	v_add_f64 v[10:11], v[10:11], v[34:35]
	v_add_f64 v[10:11], v[10:11], v[38:39]
	;; [unrolled: 1-line block ×11, first 2 shown]
	v_add_f64 v[34:35], v[10:11], 1.0
	v_cmp_nge_f64_e64 s[4:5], -1.0, v[10:11]
	v_cmp_neq_f64_e64 s[6:7], s[6:7], v[10:11]
	v_frexp_mant_f64_e32 v[38:39], v[34:35]
	v_frexp_exp_i32_f64_e32 v8, v[34:35]
	v_add_f64 v[36:37], v[34:35], -1.0
	v_cmp_gt_f64_e32 vcc, s[18:19], v[38:39]
	v_add_f64 v[40:41], v[36:37], -v[34:35]
	v_add_f64 v[36:37], v[10:11], -v[36:37]
	v_subbrev_co_u32_e32 v8, vcc, 0, v8, vcc
	v_sub_u32_e32 v12, 0, v8
	v_ldexp_f64 v[34:35], v[34:35], v12
	v_add_f64 v[38:39], v[40:41], 1.0
	v_add_f64 v[40:41], v[34:35], 1.0
	v_add_f64 v[36:37], v[36:37], v[38:39]
	v_add_f64 v[46:47], v[34:35], -1.0
	v_add_f64 v[38:39], v[40:41], -1.0
	v_ldexp_f64 v[36:37], v[36:37], v12
	v_add_f64 v[48:49], v[46:47], 1.0
	v_add_f64 v[38:39], v[34:35], -v[38:39]
	v_add_f64 v[34:35], v[34:35], -v[48:49]
	v_add_f64 v[42:43], v[36:37], v[38:39]
	v_add_f64 v[48:49], v[36:37], v[34:35]
	;; [unrolled: 1-line block ×3, first 2 shown]
	v_rcp_f64_e32 v[44:45], v[38:39]
	v_add_f64 v[40:41], v[38:39], -v[40:41]
	v_add_f64 v[42:43], v[42:43], -v[40:41]
	v_fma_f64 v[50:51], -v[38:39], v[44:45], 1.0
	v_fma_f64 v[44:45], v[50:51], v[44:45], v[44:45]
	v_add_f64 v[50:51], v[46:47], v[48:49]
	v_fma_f64 v[34:35], -v[38:39], v[44:45], 1.0
	v_add_f64 v[46:47], v[50:51], -v[46:47]
	v_fma_f64 v[34:35], v[34:35], v[44:45], v[44:45]
	v_add_f64 v[46:47], v[48:49], -v[46:47]
	v_mul_f64 v[36:37], v[50:51], v[34:35]
	v_mul_f64 v[44:45], v[38:39], v[36:37]
	v_fma_f64 v[40:41], v[36:37], v[38:39], -v[44:45]
	v_fma_f64 v[52:53], v[36:37], v[42:43], v[40:41]
	v_add_f64 v[54:55], v[44:45], v[52:53]
	v_add_f64 v[40:41], v[50:51], -v[54:55]
	v_add_f64 v[44:45], v[54:55], -v[44:45]
	v_add_f64 v[50:51], v[50:51], -v[40:41]
	v_add_f64 v[44:45], v[44:45], -v[52:53]
	v_add_f64 v[48:49], v[50:51], -v[54:55]
	v_add_f64 v[46:47], v[46:47], v[48:49]
	v_max_f64 v[48:49], |v[2:3]|, |v[2:3]|
	v_ashrrev_i32_e32 v2, 31, v3
	v_and_b32_e32 v16, 0x54442d18, v2
	v_add_f64 v[44:45], v[44:45], v[46:47]
	v_max_f64 v[46:47], |v[4:5]|, |v[4:5]|
	v_add_f64 v[50:51], v[40:41], v[44:45]
	v_max_f64 v[52:53], v[48:49], v[46:47]
	v_min_f64 v[46:47], v[48:49], v[46:47]
	v_mul_f64 v[48:49], v[34:35], v[50:51]
	v_add_f64 v[40:41], v[40:41], -v[50:51]
	v_div_scale_f64 v[54:55], s[2:3], v[52:53], v[52:53], v[46:47]
	s_mov_b32 s2, 0xb5e68a13
	s_mov_b32 s3, 0x3eeba404
	v_mul_f64 v[56:57], v[38:39], v[48:49]
	v_add_f64 v[40:41], v[44:45], v[40:41]
	v_fma_f64 v[38:39], v[48:49], v[38:39], -v[56:57]
	v_rcp_f64_e32 v[66:67], v[54:55]
	v_fma_f64 v[38:39], v[48:49], v[42:43], v[38:39]
	v_add_f64 v[42:43], v[56:57], v[38:39]
	v_fma_f64 v[68:69], -v[54:55], v[66:67], 1.0
	v_add_f64 v[70:71], v[50:51], -v[42:43]
	v_add_f64 v[44:45], v[42:43], -v[56:57]
	v_fma_f64 v[66:67], v[66:67], v[68:69], v[66:67]
	v_div_scale_f64 v[68:69], vcc, v[46:47], v[52:53], v[46:47]
	v_add_f64 v[50:51], v[50:51], -v[70:71]
	v_add_f64 v[38:39], v[44:45], -v[38:39]
	v_fma_f64 v[72:73], -v[54:55], v[66:67], 1.0
	v_add_f64 v[44:45], v[36:37], v[48:49]
	v_add_f64 v[42:43], v[50:51], -v[42:43]
	v_fma_f64 v[50:51], v[66:67], v[72:73], v[66:67]
	v_add_f64 v[36:37], v[44:45], -v[36:37]
	v_add_f64 v[40:41], v[40:41], v[42:43]
	v_mul_f64 v[42:43], v[68:69], v[50:51]
	v_add_f64 v[36:37], v[48:49], -v[36:37]
	v_add_f64 v[38:39], v[38:39], v[40:41]
	v_fma_f64 v[40:41], -v[54:55], v[42:43], v[68:69]
	v_add_f64 v[38:39], v[70:71], v[38:39]
	v_div_fmas_f64 v[40:41], v[40:41], v[50:51], v[42:43]
	v_cmp_gt_i32_e32 vcc, 0, v3
	v_cndmask_b32_e32 v12, v64, v65, vcc
	v_bfi_b32 v12, s40, v12, v5
	v_mul_f64 v[34:35], v[34:35], v[38:39]
	v_add_f64 v[34:35], v[36:37], v[34:35]
	v_div_fixup_f64 v[36:37], v[40:41], v[52:53], v[46:47]
	v_add_f64 v[38:39], v[44:45], v[34:35]
	v_mul_f64 v[40:41], v[36:37], v[36:37]
	v_mul_f64 v[42:43], v[38:39], v[38:39]
	v_fma_f64 v[46:47], v[40:41], s[2:3], v[22:23]
	s_mov_b32 s2, 0x69efb384
	s_mov_b32 s3, 0x3f4b2bb0
	v_fma_f64 v[48:49], v[42:43], s[20:21], v[20:21]
	v_mul_f64 v[50:51], v[38:39], v[42:43]
	v_fma_f64 v[46:47], v[40:41], v[46:47], s[2:3]
	s_mov_b32 s2, 0xaf56de9b
	s_mov_b32 s3, 0xbf67952d
	v_fma_f64 v[48:49], v[42:43], v[48:49], s[22:23]
	v_fma_f64 v[46:47], v[40:41], v[46:47], s[2:3]
	v_cmp_eq_f64_e64 s[2:3], 0, v[4:5]
	v_fma_f64 v[48:49], v[42:43], v[48:49], s[24:25]
	v_fma_f64 v[46:47], v[40:41], v[46:47], s[44:45]
	;; [unrolled: 1-line block ×7, first 2 shown]
	v_ldexp_f64 v[48:49], v[38:39], 1
	v_fma_f64 v[46:47], v[40:41], v[46:47], s[50:51]
	v_add_f64 v[38:39], v[38:39], -v[44:45]
	v_mul_f64 v[42:43], v[50:51], v[42:43]
	v_cvt_f64_i32_e32 v[50:51], v8
	v_fma_f64 v[46:47], v[40:41], v[46:47], s[52:53]
	v_add_f64 v[34:35], v[34:35], -v[38:39]
	v_cndmask_b32_e32 v8, v62, v63, vcc
	v_mul_f64 v[52:53], v[50:51], s[34:35]
	v_add_f64 v[44:45], v[48:49], v[42:43]
	v_fma_f64 v[46:47], v[40:41], v[46:47], s[54:55]
	v_ldexp_f64 v[34:35], v[34:35], 1
	v_add_f64 v[38:39], v[44:45], -v[48:49]
	v_fma_f64 v[48:49], v[50:51], s[34:35], -v[52:53]
	v_fma_f64 v[46:47], v[40:41], v[46:47], s[56:57]
	v_add_f64 v[38:39], v[42:43], -v[38:39]
	v_fma_f64 v[42:43], v[40:41], v[46:47], s[58:59]
	v_fma_f64 v[46:47], v[50:51], s[36:37], v[48:49]
	v_add_f64 v[34:35], v[34:35], v[38:39]
	v_fma_f64 v[38:39], v[40:41], v[42:43], s[60:61]
	v_add_f64 v[42:43], v[52:53], v[46:47]
	v_add_f64 v[48:49], v[44:45], v[34:35]
	v_fma_f64 v[38:39], v[40:41], v[38:39], s[62:63]
	v_add_f64 v[52:53], v[42:43], -v[52:53]
	v_add_f64 v[50:51], v[42:43], v[48:49]
	v_add_f64 v[44:45], v[48:49], -v[44:45]
	v_fma_f64 v[38:39], v[40:41], v[38:39], s[64:65]
	v_add_f64 v[46:47], v[46:47], -v[52:53]
	v_add_f64 v[54:55], v[50:51], -v[42:43]
	;; [unrolled: 1-line block ×3, first 2 shown]
	v_fma_f64 v[38:39], v[40:41], v[38:39], s[66:67]
	v_add_f64 v[56:57], v[50:51], -v[54:55]
	v_add_f64 v[44:45], v[48:49], -v[54:55]
	v_fma_f64 v[38:39], v[40:41], v[38:39], s[68:69]
	v_add_f64 v[48:49], v[46:47], v[34:35]
	v_add_f64 v[42:43], v[42:43], -v[56:57]
	v_fma_f64 v[38:39], v[40:41], v[38:39], s[70:71]
	v_add_f64 v[42:43], v[44:45], v[42:43]
	;; [unrolled: 3-line block ×3, first 2 shown]
	v_add_f64 v[48:49], v[48:49], -v[44:45]
	v_fma_f64 v[38:39], v[40:41], v[38:39], s[74:75]
	v_add_f64 v[34:35], v[34:35], -v[44:45]
	v_add_f64 v[52:53], v[50:51], v[42:43]
	v_mul_f64 v[38:39], v[40:41], v[38:39]
	v_add_f64 v[40:41], v[46:47], -v[48:49]
	v_add_f64 v[44:45], v[52:53], -v[50:51]
	v_fma_f64 v[36:37], v[36:37], v[38:39], v[36:37]
	v_add_f64 v[34:35], v[34:35], v[40:41]
	v_add_f64 v[38:39], v[42:43], -v[44:45]
	v_add_f64 v[40:41], -v[36:37], s[76:77]
	v_add_f64 v[34:35], v[34:35], v[38:39]
	v_cndmask_b32_e64 v37, v37, v41, s[0:1]
	v_cndmask_b32_e64 v36, v36, v40, s[0:1]
	v_add_f64 v[38:39], -v[36:37], s[92:93]
	v_add_f64 v[34:35], v[52:53], v[34:35]
	v_cndmask_b32_e32 v19, v36, v38, vcc
	v_and_b32_e32 v36, 0x400921fb, v2
	v_cndmask_b32_e64 v16, v19, v16, s[2:3]
	v_mul_f64 v[2:3], v[34:35], 0.5
	v_cndmask_b32_e32 v34, v37, v39, vcc
	v_cndmask_b32_e64 v19, v34, v36, s[2:3]
	s_and_b64 s[2:3], s[4:5], s[6:7]
	s_and_b64 vcc, s[38:39], s[12:13]
	s_mov_b32 s38, 0xb5e68a13
	s_mov_b32 s39, 0x3eeba404
	v_cndmask_b32_e32 v37, v19, v12, vcc
	v_cndmask_b32_e64 v34, 0, v2, s[2:3]
	v_cmp_ngt_f64_e64 s[2:3], -1.0, v[10:11]
	v_cndmask_b32_e64 v3, v59, v3, s[6:7]
	v_cndmask_b32_e32 v36, v16, v8, vcc
	v_cndmask_b32_e64 v2, v60, v3, s[2:3]
	v_cmp_neq_f64_e64 s[2:3], -1.0, v[10:11]
	v_cndmask_b32_e64 v35, v61, v2, s[2:3]
.LBB197_277:                            ;   in Loop: Header=BB197_162 Depth=1
	s_or_b64 exec, exec, s[80:81]
.LBB197_278:                            ;   in Loop: Header=BB197_162 Depth=1
	s_or_b64 exec, exec, s[16:17]
.LBB197_279:                            ;   in Loop: Header=BB197_162 Depth=1
	s_andn2_saveexec_b64 s[6:7], s[14:15]
	s_cbranch_execz .LBB197_281
; %bb.280:                              ;   in Loop: Header=BB197_162 Depth=1
	v_max_f64 v[36:37], |v[4:5]|, |v[4:5]|
	v_max_f64 v[38:39], |v[2:3]|, |v[2:3]|
	v_cmp_class_f64_e64 s[14:15], v[2:3], s42
	v_cmp_class_f64_e64 s[16:17], v[4:5], s42
	s_mov_b32 s31, s19
	s_mov_b32 s92, s76
	v_max_f64 v[34:35], v[38:39], v[36:37]
	v_min_f64 v[36:37], v[38:39], v[36:37]
	v_frexp_exp_i32_f64_e32 v8, v[34:35]
	v_sub_u32_e32 v12, 0, v8
	v_ldexp_f64 v[10:11], |v[4:5]|, v12
	v_ldexp_f64 v[40:41], |v[2:3]|, v12
	v_mul_f64 v[10:11], v[10:11], v[10:11]
	v_fma_f64 v[10:11], v[40:41], v[40:41], v[10:11]
	v_rsq_f64_e32 v[40:41], v[10:11]
	v_cmp_eq_f64_e32 vcc, 0, v[10:11]
	v_mul_f64 v[42:43], v[10:11], v[40:41]
	v_mul_f64 v[40:41], v[40:41], 0.5
	v_fma_f64 v[44:45], -v[40:41], v[42:43], 0.5
	v_fma_f64 v[42:43], v[42:43], v[44:45], v[42:43]
	v_fma_f64 v[40:41], v[40:41], v[44:45], v[40:41]
	v_fma_f64 v[44:45], -v[42:43], v[42:43], v[10:11]
	v_fma_f64 v[40:41], v[44:45], v[40:41], v[42:43]
	v_cndmask_b32_e32 v11, v41, v11, vcc
	v_cndmask_b32_e32 v10, v40, v10, vcc
	v_ldexp_f64 v[10:11], v[10:11], v8
	s_or_b64 vcc, s[14:15], s[16:17]
	v_cndmask_b32_e32 v11, v11, v59, vcc
	v_cndmask_b32_e64 v10, v10, 0, vcc
	v_frexp_mant_f64_e32 v[40:41], v[10:11]
	v_cmp_gt_f64_e64 s[2:3], s[18:19], v[40:41]
	v_cndmask_b32_e64 v2, 0, 1, s[2:3]
	v_ldexp_f64 v[40:41], v[40:41], v2
	v_frexp_exp_i32_f64_e32 v2, v[10:11]
	v_add_f64 v[42:43], v[40:41], 1.0
	v_add_f64 v[48:49], v[40:41], -1.0
	v_rcp_f64_e32 v[44:45], v[42:43]
	v_add_f64 v[52:53], v[42:43], -1.0
	v_add_f64 v[40:41], v[40:41], -v[52:53]
	v_fma_f64 v[46:47], -v[42:43], v[44:45], 1.0
	v_fma_f64 v[38:39], v[46:47], v[44:45], v[44:45]
	v_div_scale_f64 v[44:45], s[4:5], v[34:35], v[34:35], v[36:37]
	s_mov_b32 s4, 0x69efb384
	s_mov_b32 s5, 0x3f4b2bb0
	v_fma_f64 v[46:47], -v[42:43], v[38:39], 1.0
	v_fma_f64 v[38:39], v[46:47], v[38:39], v[38:39]
	v_rcp_f64_e32 v[46:47], v[44:45]
	v_mul_f64 v[50:51], v[48:49], v[38:39]
	v_mul_f64 v[54:55], v[42:43], v[50:51]
	v_fma_f64 v[56:57], -v[44:45], v[46:47], 1.0
	v_fma_f64 v[42:43], v[50:51], v[42:43], -v[54:55]
	v_fma_f64 v[46:47], v[46:47], v[56:57], v[46:47]
	v_fma_f64 v[40:41], v[50:51], v[40:41], v[42:43]
	v_div_scale_f64 v[42:43], vcc, v[36:37], v[34:35], v[36:37]
	v_fma_f64 v[52:53], -v[44:45], v[46:47], 1.0
	v_add_f64 v[56:57], v[54:55], v[40:41]
	v_fma_f64 v[46:47], v[46:47], v[52:53], v[46:47]
	v_add_f64 v[52:53], v[48:49], -v[56:57]
	v_add_f64 v[54:55], v[56:57], -v[54:55]
	v_mul_f64 v[66:67], v[42:43], v[46:47]
	v_add_f64 v[48:49], v[48:49], -v[52:53]
	v_add_f64 v[40:41], v[54:55], -v[40:41]
	v_fma_f64 v[42:43], -v[44:45], v[66:67], v[42:43]
	v_add_f64 v[44:45], v[48:49], -v[56:57]
	v_div_fmas_f64 v[42:43], v[42:43], v[46:47], v[66:67]
	v_subbrev_co_u32_e64 v2, vcc, 0, v2, s[2:3]
	v_cmp_eq_f64_e64 s[2:3], 0, v[4:5]
	v_cmp_gt_i32_e32 vcc, 0, v3
	v_add_f64 v[40:41], v[40:41], v[44:45]
	v_cndmask_b32_e32 v19, v64, v65, vcc
	v_cndmask_b32_e32 v8, v62, v63, vcc
	v_bfi_b32 v19, s40, v19, v5
	v_add_f64 v[40:41], v[52:53], v[40:41]
	v_div_fixup_f64 v[34:35], v[42:43], v[34:35], v[36:37]
	v_mul_f64 v[36:37], v[38:39], v[40:41]
	v_mul_f64 v[38:39], v[34:35], v[34:35]
	v_add_f64 v[40:41], v[50:51], v[36:37]
	v_fma_f64 v[42:43], v[38:39], s[38:39], v[22:23]
	v_mul_f64 v[44:45], v[40:41], v[40:41]
	v_fma_f64 v[42:43], v[38:39], v[42:43], s[4:5]
	s_mov_b32 s4, 0xaf56de9b
	s_mov_b32 s5, 0xbf67952d
	v_fma_f64 v[46:47], v[44:45], s[20:21], v[20:21]
	v_mul_f64 v[48:49], v[40:41], v[44:45]
	v_fma_f64 v[42:43], v[38:39], v[42:43], s[4:5]
	v_cmp_class_f64_e64 s[4:5], v[10:11], s42
	v_fma_f64 v[46:47], v[44:45], v[46:47], s[22:23]
	v_fma_f64 v[42:43], v[38:39], v[42:43], s[44:45]
	;; [unrolled: 1-line block ×9, first 2 shown]
	v_ldexp_f64 v[46:47], v[40:41], 1
	v_add_f64 v[40:41], v[40:41], -v[50:51]
	v_fma_f64 v[42:43], v[38:39], v[42:43], s[52:53]
	v_cvt_f64_i32_e32 v[50:51], v2
	v_ashrrev_i32_e32 v2, 31, v3
	v_and_b32_e32 v12, 0x54442d18, v2
	v_mul_f64 v[44:45], v[48:49], v[44:45]
	v_mul_f64 v[52:53], v[50:51], s[34:35]
	v_add_f64 v[36:37], v[36:37], -v[40:41]
	v_fma_f64 v[42:43], v[38:39], v[42:43], s[54:55]
	v_add_f64 v[48:49], v[46:47], v[44:45]
	v_ldexp_f64 v[36:37], v[36:37], 1
	v_fma_f64 v[42:43], v[38:39], v[42:43], s[56:57]
	v_add_f64 v[40:41], v[48:49], -v[46:47]
	v_fma_f64 v[46:47], v[50:51], s[34:35], -v[52:53]
	v_fma_f64 v[42:43], v[38:39], v[42:43], s[58:59]
	v_add_f64 v[40:41], v[44:45], -v[40:41]
	v_fma_f64 v[44:45], v[50:51], s[36:37], v[46:47]
	v_fma_f64 v[42:43], v[38:39], v[42:43], s[60:61]
	v_add_f64 v[36:37], v[36:37], v[40:41]
	v_fma_f64 v[40:41], v[38:39], v[42:43], s[62:63]
	v_add_f64 v[42:43], v[52:53], v[44:45]
	v_add_f64 v[46:47], v[48:49], v[36:37]
	v_fma_f64 v[40:41], v[38:39], v[40:41], s[64:65]
	v_add_f64 v[52:53], v[42:43], -v[52:53]
	v_add_f64 v[50:51], v[42:43], v[46:47]
	v_add_f64 v[48:49], v[46:47], -v[48:49]
	v_fma_f64 v[40:41], v[38:39], v[40:41], s[66:67]
	v_add_f64 v[44:45], v[44:45], -v[52:53]
	v_add_f64 v[54:55], v[50:51], -v[42:43]
	;; [unrolled: 1-line block ×3, first 2 shown]
	v_fma_f64 v[40:41], v[38:39], v[40:41], s[68:69]
	v_add_f64 v[56:57], v[50:51], -v[54:55]
	v_add_f64 v[46:47], v[46:47], -v[54:55]
	v_add_f64 v[48:49], v[44:45], v[36:37]
	v_fma_f64 v[40:41], v[38:39], v[40:41], s[70:71]
	v_add_f64 v[42:43], v[42:43], -v[56:57]
	v_fma_f64 v[40:41], v[38:39], v[40:41], s[72:73]
	v_add_f64 v[42:43], v[46:47], v[42:43]
	v_add_f64 v[46:47], v[48:49], -v[44:45]
	v_fma_f64 v[40:41], v[38:39], v[40:41], s[74:75]
	v_add_f64 v[42:43], v[48:49], v[42:43]
	v_add_f64 v[36:37], v[36:37], -v[46:47]
	v_mul_f64 v[38:39], v[38:39], v[40:41]
	v_add_f64 v[40:41], v[48:49], -v[46:47]
	v_add_f64 v[48:49], v[50:51], v[42:43]
	v_fma_f64 v[34:35], v[34:35], v[38:39], v[34:35]
	v_add_f64 v[38:39], v[44:45], -v[40:41]
	v_add_f64 v[40:41], v[48:49], -v[50:51]
	v_add_f64 v[44:45], -v[34:35], s[76:77]
	v_add_f64 v[36:37], v[36:37], v[38:39]
	v_add_f64 v[38:39], v[42:43], -v[40:41]
	v_cndmask_b32_e64 v35, v35, v45, s[0:1]
	v_cndmask_b32_e64 v34, v34, v44, s[0:1]
	v_add_f64 v[40:41], -v[34:35], s[92:93]
	v_add_f64 v[36:37], v[36:37], v[38:39]
	v_cndmask_b32_e32 v16, v34, v40, vcc
	v_and_b32_e32 v34, 0x400921fb, v2
	v_cndmask_b32_e32 v35, v35, v41, vcc
	v_add_f64 v[2:3], v[48:49], v[36:37]
	v_cndmask_b32_e64 v12, v16, v12, s[2:3]
	v_cndmask_b32_e64 v16, v35, v34, s[2:3]
	v_cmp_ngt_f64_e64 s[2:3], 0, v[10:11]
	s_and_b64 vcc, s[14:15], s[16:17]
	v_cndmask_b32_e32 v37, v16, v19, vcc
	v_cndmask_b32_e32 v36, v12, v8, vcc
	v_cndmask_b32_e64 v3, v3, v11, s[4:5]
	v_cndmask_b32_e64 v2, v2, v10, s[4:5]
	;; [unrolled: 1-line block ×3, first 2 shown]
	v_cmp_nge_f64_e64 s[2:3], 0, v[10:11]
	v_cndmask_b32_e64 v34, 0, v2, s[2:3]
	v_cmp_neq_f64_e64 s[2:3], 0, v[10:11]
	v_cndmask_b32_e64 v35, v61, v3, s[2:3]
.LBB197_281:                            ;   in Loop: Header=BB197_162 Depth=1
	s_or_b64 exec, exec, s[6:7]
                                        ; implicit-def: $vgpr38_vgpr39
.LBB197_282:                            ;   in Loop: Header=BB197_162 Depth=1
	s_andn2_saveexec_b64 s[6:7], s[86:87]
	s_cbranch_execz .LBB197_288
; %bb.283:                              ;   in Loop: Header=BB197_162 Depth=1
	s_mov_b32 s2, 0x6a3f9475
	s_mov_b32 s3, 0x20ca2fe7
	v_cmp_ngt_f64_e32 vcc, s[2:3], v[38:39]
                                        ; implicit-def: $vgpr34_vgpr35
                                        ; implicit-def: $vgpr36_vgpr37
	s_and_saveexec_b64 s[2:3], vcc
	s_xor_b64 s[14:15], exec, s[2:3]
	s_cbranch_execz .LBB197_285
; %bb.284:                              ;   in Loop: Header=BB197_162 Depth=1
	v_mul_f64 v[10:11], v[38:39], v[38:39]
	s_mov_b32 s31, s19
	s_mov_b32 s92, s76
	;; [unrolled: 1-line block ×3, first 2 shown]
	v_cmp_class_f64_e64 s[12:13], v[4:5], s42
	v_cmp_class_f64_e64 s[16:17], v[2:3], s42
	s_mov_b32 s5, 0x7ff00000
	v_add_f64 v[34:35], v[10:11], 1.0
	v_cmp_neq_f64_e64 s[4:5], s[4:5], v[10:11]
	v_frexp_mant_f64_e32 v[38:39], v[34:35]
	v_frexp_exp_i32_f64_e32 v8, v[34:35]
	v_add_f64 v[36:37], v[34:35], -1.0
	v_cmp_gt_f64_e32 vcc, s[18:19], v[38:39]
	v_add_f64 v[40:41], v[36:37], -v[34:35]
	v_add_f64 v[36:37], v[10:11], -v[36:37]
	v_subbrev_co_u32_e32 v8, vcc, 0, v8, vcc
	v_sub_u32_e32 v12, 0, v8
	v_ldexp_f64 v[34:35], v[34:35], v12
	v_add_f64 v[38:39], v[40:41], 1.0
	v_add_f64 v[40:41], v[34:35], 1.0
	v_add_f64 v[36:37], v[36:37], v[38:39]
	v_add_f64 v[46:47], v[34:35], -1.0
	v_add_f64 v[38:39], v[40:41], -1.0
	v_ldexp_f64 v[36:37], v[36:37], v12
	v_add_f64 v[48:49], v[46:47], 1.0
	v_add_f64 v[38:39], v[34:35], -v[38:39]
	v_add_f64 v[34:35], v[34:35], -v[48:49]
	v_add_f64 v[42:43], v[36:37], v[38:39]
	v_add_f64 v[48:49], v[36:37], v[34:35]
	;; [unrolled: 1-line block ×3, first 2 shown]
	v_rcp_f64_e32 v[44:45], v[38:39]
	v_add_f64 v[40:41], v[40:41], -v[38:39]
	v_add_f64 v[42:43], v[42:43], v[40:41]
	v_fma_f64 v[50:51], -v[38:39], v[44:45], 1.0
	v_fma_f64 v[44:45], v[50:51], v[44:45], v[44:45]
	v_add_f64 v[50:51], v[46:47], v[48:49]
	v_fma_f64 v[34:35], -v[38:39], v[44:45], 1.0
	v_add_f64 v[46:47], v[46:47], -v[50:51]
	v_fma_f64 v[34:35], v[34:35], v[44:45], v[44:45]
	v_add_f64 v[46:47], v[48:49], v[46:47]
	v_mul_f64 v[36:37], v[50:51], v[34:35]
	v_mul_f64 v[44:45], v[38:39], v[36:37]
	v_fma_f64 v[40:41], v[36:37], v[38:39], -v[44:45]
	v_fma_f64 v[52:53], v[36:37], v[42:43], v[40:41]
	v_add_f64 v[54:55], v[44:45], v[52:53]
	v_add_f64 v[40:41], v[50:51], -v[54:55]
	v_add_f64 v[44:45], v[54:55], -v[44:45]
	;; [unrolled: 1-line block ×5, first 2 shown]
	v_add_f64 v[46:47], v[46:47], v[48:49]
	v_max_f64 v[48:49], |v[2:3]|, |v[2:3]|
	v_ashrrev_i32_e32 v2, 31, v3
	v_and_b32_e32 v12, 0x54442d18, v2
	v_add_f64 v[44:45], v[44:45], v[46:47]
	v_max_f64 v[46:47], |v[4:5]|, |v[4:5]|
	v_add_f64 v[50:51], v[40:41], v[44:45]
	v_max_f64 v[52:53], v[48:49], v[46:47]
	v_min_f64 v[46:47], v[48:49], v[46:47]
	v_mul_f64 v[48:49], v[34:35], v[50:51]
	v_add_f64 v[40:41], v[40:41], -v[50:51]
	v_div_scale_f64 v[54:55], s[2:3], v[52:53], v[52:53], v[46:47]
	s_mov_b32 s2, 0x69efb384
	s_mov_b32 s3, 0x3f4b2bb0
	v_mul_f64 v[56:57], v[38:39], v[48:49]
	v_add_f64 v[40:41], v[44:45], v[40:41]
	v_fma_f64 v[38:39], v[48:49], v[38:39], -v[56:57]
	v_rcp_f64_e32 v[66:67], v[54:55]
	v_fma_f64 v[38:39], v[48:49], v[42:43], v[38:39]
	v_add_f64 v[42:43], v[56:57], v[38:39]
	v_fma_f64 v[68:69], -v[54:55], v[66:67], 1.0
	v_add_f64 v[70:71], v[50:51], -v[42:43]
	v_add_f64 v[44:45], v[42:43], -v[56:57]
	v_fma_f64 v[66:67], v[66:67], v[68:69], v[66:67]
	v_div_scale_f64 v[68:69], vcc, v[46:47], v[52:53], v[46:47]
	v_add_f64 v[50:51], v[50:51], -v[70:71]
	v_add_f64 v[38:39], v[44:45], -v[38:39]
	v_fma_f64 v[72:73], -v[54:55], v[66:67], 1.0
	v_add_f64 v[44:45], v[36:37], v[48:49]
	v_add_f64 v[42:43], v[50:51], -v[42:43]
	v_fma_f64 v[50:51], v[66:67], v[72:73], v[66:67]
	v_add_f64 v[36:37], v[44:45], -v[36:37]
	v_add_f64 v[40:41], v[40:41], v[42:43]
	v_mul_f64 v[42:43], v[68:69], v[50:51]
	v_add_f64 v[36:37], v[48:49], -v[36:37]
	v_add_f64 v[38:39], v[38:39], v[40:41]
	v_fma_f64 v[40:41], -v[54:55], v[42:43], v[68:69]
	v_add_f64 v[38:39], v[70:71], v[38:39]
	v_div_fmas_f64 v[40:41], v[40:41], v[50:51], v[42:43]
	v_cmp_gt_i32_e32 vcc, 0, v3
	v_cndmask_b32_e32 v19, v64, v65, vcc
	v_bfi_b32 v10, s40, v19, v5
	v_mul_f64 v[34:35], v[34:35], v[38:39]
	v_add_f64 v[34:35], v[36:37], v[34:35]
	v_div_fixup_f64 v[36:37], v[40:41], v[52:53], v[46:47]
	v_add_f64 v[38:39], v[44:45], v[34:35]
	v_mul_f64 v[40:41], v[36:37], v[36:37]
	v_mul_f64 v[42:43], v[38:39], v[38:39]
	v_fma_f64 v[46:47], v[40:41], s[38:39], v[22:23]
	v_fma_f64 v[48:49], v[42:43], s[20:21], v[20:21]
	v_mul_f64 v[50:51], v[38:39], v[42:43]
	v_fma_f64 v[46:47], v[40:41], v[46:47], s[2:3]
	s_mov_b32 s2, 0xaf56de9b
	s_mov_b32 s3, 0xbf67952d
	v_fma_f64 v[48:49], v[42:43], v[48:49], s[22:23]
	v_fma_f64 v[46:47], v[40:41], v[46:47], s[2:3]
	v_cmp_eq_f64_e64 s[2:3], 0, v[4:5]
	v_fma_f64 v[48:49], v[42:43], v[48:49], s[24:25]
	v_fma_f64 v[46:47], v[40:41], v[46:47], s[44:45]
	;; [unrolled: 1-line block ×7, first 2 shown]
	v_ldexp_f64 v[48:49], v[38:39], 1
	v_fma_f64 v[46:47], v[40:41], v[46:47], s[50:51]
	v_add_f64 v[38:39], v[38:39], -v[44:45]
	v_mul_f64 v[42:43], v[50:51], v[42:43]
	v_cvt_f64_i32_e32 v[50:51], v8
	v_fma_f64 v[46:47], v[40:41], v[46:47], s[52:53]
	v_add_f64 v[34:35], v[34:35], -v[38:39]
	v_cndmask_b32_e32 v8, v62, v63, vcc
	v_mul_f64 v[52:53], v[50:51], s[34:35]
	v_add_f64 v[44:45], v[48:49], v[42:43]
	v_fma_f64 v[46:47], v[40:41], v[46:47], s[54:55]
	v_ldexp_f64 v[34:35], v[34:35], 1
	v_add_f64 v[38:39], v[44:45], -v[48:49]
	v_fma_f64 v[48:49], v[50:51], s[34:35], -v[52:53]
	v_fma_f64 v[46:47], v[40:41], v[46:47], s[56:57]
	v_add_f64 v[38:39], v[42:43], -v[38:39]
	v_fma_f64 v[42:43], v[40:41], v[46:47], s[58:59]
	v_fma_f64 v[46:47], v[50:51], s[36:37], v[48:49]
	v_add_f64 v[34:35], v[34:35], v[38:39]
	v_fma_f64 v[38:39], v[40:41], v[42:43], s[60:61]
	v_add_f64 v[42:43], v[52:53], v[46:47]
	v_add_f64 v[48:49], v[44:45], v[34:35]
	v_fma_f64 v[38:39], v[40:41], v[38:39], s[62:63]
	v_add_f64 v[52:53], v[42:43], -v[52:53]
	v_add_f64 v[50:51], v[42:43], v[48:49]
	v_add_f64 v[44:45], v[48:49], -v[44:45]
	v_fma_f64 v[38:39], v[40:41], v[38:39], s[64:65]
	v_add_f64 v[46:47], v[46:47], -v[52:53]
	v_add_f64 v[54:55], v[50:51], -v[42:43]
	;; [unrolled: 1-line block ×3, first 2 shown]
	v_fma_f64 v[38:39], v[40:41], v[38:39], s[66:67]
	v_add_f64 v[56:57], v[50:51], -v[54:55]
	v_add_f64 v[44:45], v[48:49], -v[54:55]
	v_fma_f64 v[38:39], v[40:41], v[38:39], s[68:69]
	v_add_f64 v[48:49], v[46:47], v[34:35]
	v_add_f64 v[42:43], v[42:43], -v[56:57]
	v_fma_f64 v[38:39], v[40:41], v[38:39], s[70:71]
	v_add_f64 v[42:43], v[44:45], v[42:43]
	;; [unrolled: 3-line block ×3, first 2 shown]
	v_add_f64 v[48:49], v[48:49], -v[44:45]
	v_fma_f64 v[38:39], v[40:41], v[38:39], s[74:75]
	v_add_f64 v[34:35], v[34:35], -v[44:45]
	v_add_f64 v[52:53], v[50:51], v[42:43]
	v_mul_f64 v[38:39], v[40:41], v[38:39]
	v_add_f64 v[40:41], v[46:47], -v[48:49]
	v_add_f64 v[44:45], v[52:53], -v[50:51]
	v_fma_f64 v[36:37], v[36:37], v[38:39], v[36:37]
	v_add_f64 v[34:35], v[34:35], v[40:41]
	v_add_f64 v[38:39], v[42:43], -v[44:45]
	v_add_f64 v[40:41], -v[36:37], s[76:77]
	v_add_f64 v[34:35], v[34:35], v[38:39]
	v_cndmask_b32_e64 v37, v37, v41, s[0:1]
	v_cndmask_b32_e64 v36, v36, v40, s[0:1]
	v_add_f64 v[38:39], -v[36:37], s[92:93]
	v_add_f64 v[34:35], v[52:53], v[34:35]
	v_cndmask_b32_e32 v16, v36, v38, vcc
	v_and_b32_e32 v36, 0x400921fb, v2
	v_cndmask_b32_e32 v11, v37, v39, vcc
	v_cndmask_b32_e64 v12, v16, v12, s[2:3]
	v_mul_f64 v[2:3], v[34:35], 0.5
	v_cndmask_b32_e64 v11, v11, v36, s[2:3]
	s_and_b64 vcc, s[16:17], s[12:13]
	v_cndmask_b32_e32 v37, v11, v10, vcc
	v_cndmask_b32_e32 v36, v12, v8, vcc
                                        ; implicit-def: $vgpr38_vgpr39
	v_cndmask_b32_e64 v35, v59, v3, s[4:5]
	v_cndmask_b32_e64 v34, 0, v2, s[4:5]
.LBB197_285:                            ;   in Loop: Header=BB197_162 Depth=1
	s_andn2_saveexec_b64 s[4:5], s[14:15]
	s_cbranch_execz .LBB197_287
; %bb.286:                              ;   in Loop: Header=BB197_162 Depth=1
	v_max_f64 v[10:11], |v[4:5]|, |v[4:5]|
	v_max_f64 v[34:35], |v[2:3]|, |v[2:3]|
	s_mov_b32 s92, s76
	v_cmp_class_f64_e64 s[12:13], v[4:5], s42
	v_cmp_class_f64_e64 s[14:15], v[2:3], s42
	v_ashrrev_i32_e32 v8, 31, v3
	v_and_b32_e32 v16, 0x54442d18, v8
	v_max_f64 v[36:37], v[34:35], v[10:11]
	v_min_f64 v[10:11], v[34:35], v[10:11]
	v_div_scale_f64 v[34:35], s[2:3], v[36:37], v[36:37], v[10:11]
	s_mov_b32 s2, 0x69efb384
	s_mov_b32 s3, 0x3f4b2bb0
	v_rcp_f64_e32 v[40:41], v[34:35]
	v_fma_f64 v[42:43], -v[34:35], v[40:41], 1.0
	v_fma_f64 v[40:41], v[40:41], v[42:43], v[40:41]
	v_div_scale_f64 v[42:43], vcc, v[10:11], v[36:37], v[10:11]
	v_fma_f64 v[44:45], -v[34:35], v[40:41], 1.0
	v_fma_f64 v[40:41], v[40:41], v[44:45], v[40:41]
	v_mul_f64 v[44:45], v[42:43], v[40:41]
	v_fma_f64 v[34:35], -v[34:35], v[44:45], v[42:43]
	v_div_fmas_f64 v[34:35], v[34:35], v[40:41], v[44:45]
	v_mul_f64 v[40:41], v[38:39], 0.5
	v_cmp_gt_i32_e32 vcc, 0, v3
	v_cndmask_b32_e32 v2, v64, v65, vcc
	v_and_b32_e32 v3, 0x400921fb, v8
	v_cndmask_b32_e32 v12, v62, v63, vcc
	v_bfi_b32 v2, s40, v2, v5
	v_div_fixup_f64 v[10:11], v[34:35], v[36:37], v[10:11]
	v_mul_f64 v[34:35], v[10:11], v[10:11]
	v_fma_f64 v[36:37], v[34:35], s[38:39], v[22:23]
	v_fma_f64 v[36:37], v[34:35], v[36:37], s[2:3]
	s_mov_b32 s2, 0xaf56de9b
	s_mov_b32 s3, 0xbf67952d
	v_fma_f64 v[36:37], v[34:35], v[36:37], s[2:3]
	v_cmp_eq_f64_e64 s[2:3], 0, v[4:5]
	v_fma_f64 v[36:37], v[34:35], v[36:37], s[44:45]
	v_fma_f64 v[36:37], v[34:35], v[36:37], s[46:47]
	;; [unrolled: 1-line block ×16, first 2 shown]
	v_mul_f64 v[34:35], v[34:35], v[36:37]
	v_fma_f64 v[10:11], v[10:11], v[34:35], v[10:11]
	v_add_f64 v[34:35], -v[10:11], s[76:77]
	v_cndmask_b32_e64 v11, v11, v35, s[0:1]
	v_cndmask_b32_e64 v10, v10, v34, s[0:1]
	v_add_f64 v[35:36], -v[10:11], s[92:93]
	v_cndmask_b32_e32 v10, v10, v35, vcc
	v_mul_f64 v[34:35], v[38:39], v[40:41]
	v_cndmask_b32_e32 v8, v11, v36, vcc
	v_cndmask_b32_e64 v10, v10, v16, s[2:3]
	v_cndmask_b32_e64 v3, v8, v3, s[2:3]
	s_and_b64 vcc, s[14:15], s[12:13]
	v_cndmask_b32_e32 v37, v3, v2, vcc
	v_cndmask_b32_e32 v36, v10, v12, vcc
.LBB197_287:                            ;   in Loop: Header=BB197_162 Depth=1
	s_or_b64 exec, exec, s[4:5]
.LBB197_288:                            ;   in Loop: Header=BB197_162 Depth=1
	s_or_b64 exec, exec, s[6:7]
.LBB197_289:                            ;   in Loop: Header=BB197_162 Depth=1
	s_andn2_saveexec_b64 s[6:7], s[78:79]
	s_cbranch_execz .LBB197_291
; %bb.290:                              ;   in Loop: Header=BB197_162 Depth=1
	v_div_scale_f64 v[10:11], s[2:3], s[82:83], s[82:83], v[2:3]
	s_mov_b32 s31, s19
	s_mov_b32 s92, s76
	v_rcp_f64_e32 v[34:35], v[10:11]
	v_fma_f64 v[36:37], -v[10:11], v[34:35], 1.0
	v_fma_f64 v[34:35], v[34:35], v[36:37], v[34:35]
	v_fma_f64 v[36:37], -v[10:11], v[34:35], 1.0
	v_fma_f64 v[34:35], v[34:35], v[36:37], v[34:35]
	v_div_scale_f64 v[36:37], vcc, v[2:3], s[82:83], v[2:3]
	v_mul_f64 v[38:39], v[36:37], v[34:35]
	v_fma_f64 v[10:11], -v[10:11], v[38:39], v[36:37]
	s_nop 1
	v_div_fmas_f64 v[10:11], v[10:11], v[34:35], v[38:39]
	v_div_scale_f64 v[34:35], s[2:3], s[82:83], s[82:83], v[4:5]
	v_div_fixup_f64 v[10:11], v[10:11], s[82:83], v[2:3]
	v_rcp_f64_e32 v[36:37], v[34:35]
	v_cmp_class_f64_e64 s[2:3], v[10:11], s42
	v_fma_f64 v[38:39], -v[34:35], v[36:37], 1.0
	v_fma_f64 v[36:37], v[36:37], v[38:39], v[36:37]
	v_fma_f64 v[38:39], -v[34:35], v[36:37], 1.0
	v_fma_f64 v[36:37], v[36:37], v[38:39], v[36:37]
	v_div_scale_f64 v[38:39], vcc, v[4:5], s[82:83], v[4:5]
	v_mul_f64 v[40:41], v[38:39], v[36:37]
	v_fma_f64 v[34:35], -v[34:35], v[40:41], v[38:39]
	s_nop 1
	v_div_fmas_f64 v[34:35], v[34:35], v[36:37], v[40:41]
	v_div_fixup_f64 v[34:35], v[34:35], s[82:83], v[4:5]
	v_max_f64 v[36:37], |v[10:11]|, |v[34:35]|
	v_cmp_class_f64_e64 s[4:5], v[34:35], s42
	v_frexp_exp_i32_f64_e32 v8, v[36:37]
	v_sub_u32_e32 v12, 0, v8
	v_ldexp_f64 v[38:39], |v[34:35]|, v12
	v_ldexp_f64 v[36:37], |v[10:11]|, v12
	v_mul_f64 v[38:39], v[38:39], v[38:39]
	v_fma_f64 v[36:37], v[36:37], v[36:37], v[38:39]
	v_rsq_f64_e32 v[38:39], v[36:37]
	v_cmp_eq_f64_e32 vcc, 0, v[36:37]
	v_mul_f64 v[40:41], v[36:37], v[38:39]
	v_mul_f64 v[38:39], v[38:39], 0.5
	v_fma_f64 v[42:43], -v[38:39], v[40:41], 0.5
	v_fma_f64 v[40:41], v[40:41], v[42:43], v[40:41]
	v_fma_f64 v[38:39], v[38:39], v[42:43], v[38:39]
	v_fma_f64 v[42:43], -v[40:41], v[40:41], v[36:37]
	v_fma_f64 v[38:39], v[42:43], v[38:39], v[40:41]
	v_cndmask_b32_e32 v37, v39, v37, vcc
	v_cndmask_b32_e32 v36, v38, v36, vcc
	v_ldexp_f64 v[36:37], v[36:37], v8
	v_cmp_o_f64_e32 vcc, v[10:11], v[34:35]
	v_cndmask_b32_e32 v8, 0, v36, vcc
	v_cndmask_b32_e32 v12, v60, v37, vcc
	s_or_b64 vcc, s[2:3], s[4:5]
	v_cndmask_b32_e32 v11, v12, v59, vcc
	v_cndmask_b32_e64 v10, v8, 0, vcc
	v_frexp_mant_f64_e32 v[34:35], v[10:11]
	v_frexp_exp_i32_f64_e32 v8, v[10:11]
	v_cmp_class_f64_e64 s[4:5], v[2:3], s42
	v_cmp_gt_f64_e32 vcc, s[18:19], v[34:35]
	v_cndmask_b32_e64 v12, 0, 1, vcc
	v_ldexp_f64 v[34:35], v[34:35], v12
	v_subbrev_co_u32_e32 v8, vcc, 0, v8, vcc
	v_cmp_class_f64_e64 vcc, v[10:11], s42
	v_add_f64 v[38:39], v[34:35], 1.0
	v_add_f64 v[36:37], v[34:35], -1.0
	v_add_f64 v[40:41], v[38:39], -1.0
	v_add_f64 v[34:35], v[34:35], -v[40:41]
	v_rcp_f64_e32 v[40:41], v[38:39]
	v_fma_f64 v[42:43], -v[38:39], v[40:41], 1.0
	v_fma_f64 v[40:41], v[42:43], v[40:41], v[40:41]
	v_fma_f64 v[42:43], -v[38:39], v[40:41], 1.0
	v_fma_f64 v[40:41], v[42:43], v[40:41], v[40:41]
	v_mul_f64 v[42:43], v[36:37], v[40:41]
	v_mul_f64 v[44:45], v[38:39], v[42:43]
	v_fma_f64 v[38:39], v[42:43], v[38:39], -v[44:45]
	v_fma_f64 v[34:35], v[42:43], v[34:35], v[38:39]
	v_add_f64 v[38:39], v[44:45], v[34:35]
	v_add_f64 v[46:47], v[36:37], -v[38:39]
	v_add_f64 v[44:45], v[38:39], -v[44:45]
	;; [unrolled: 1-line block ×5, first 2 shown]
	v_add_f64 v[34:35], v[34:35], v[36:37]
	v_add_f64 v[34:35], v[46:47], v[34:35]
	v_mul_f64 v[34:35], v[40:41], v[34:35]
	v_add_f64 v[36:37], v[42:43], v[34:35]
	v_add_f64 v[38:39], v[36:37], -v[42:43]
	v_ldexp_f64 v[42:43], v[36:37], 1
	v_add_f64 v[34:35], v[34:35], -v[38:39]
	v_mul_f64 v[38:39], v[36:37], v[36:37]
	v_ldexp_f64 v[34:35], v[34:35], 1
	v_fma_f64 v[40:41], v[38:39], s[20:21], v[20:21]
	v_mul_f64 v[36:37], v[36:37], v[38:39]
	v_fma_f64 v[40:41], v[38:39], v[40:41], s[22:23]
	v_fma_f64 v[40:41], v[38:39], v[40:41], s[24:25]
	;; [unrolled: 1-line block ×5, first 2 shown]
	v_mul_f64 v[36:37], v[36:37], v[40:41]
	v_add_f64 v[38:39], v[42:43], v[36:37]
	v_add_f64 v[40:41], v[38:39], -v[42:43]
	v_add_f64 v[36:37], v[36:37], -v[40:41]
	v_add_f64 v[34:35], v[34:35], v[36:37]
	v_add_f64 v[36:37], v[38:39], v[34:35]
	v_add_f64 v[38:39], v[36:37], -v[38:39]
	v_add_f64 v[34:35], v[34:35], -v[38:39]
	v_cvt_f64_i32_e32 v[38:39], v8
	v_mul_f64 v[40:41], v[38:39], s[34:35]
	v_fma_f64 v[42:43], v[38:39], s[34:35], -v[40:41]
	v_fma_f64 v[38:39], v[38:39], s[36:37], v[42:43]
	v_add_f64 v[42:43], v[40:41], v[38:39]
	v_add_f64 v[40:41], v[42:43], -v[40:41]
	v_add_f64 v[38:39], v[38:39], -v[40:41]
	v_add_f64 v[40:41], v[42:43], v[36:37]
	v_add_f64 v[44:45], v[40:41], -v[42:43]
	v_add_f64 v[46:47], v[40:41], -v[44:45]
	;; [unrolled: 1-line block ×4, first 2 shown]
	v_add_f64 v[36:37], v[36:37], v[42:43]
	v_add_f64 v[42:43], v[38:39], v[34:35]
	v_add_f64 v[44:45], v[42:43], -v[38:39]
	v_add_f64 v[36:37], v[42:43], v[36:37]
	v_add_f64 v[46:47], v[42:43], -v[44:45]
	v_add_f64 v[34:35], v[34:35], -v[44:45]
	;; [unrolled: 1-line block ×3, first 2 shown]
	v_add_f64 v[34:35], v[34:35], v[38:39]
	v_add_f64 v[38:39], v[40:41], v[36:37]
	v_add_f64 v[40:41], v[38:39], -v[40:41]
	v_add_f64 v[36:37], v[36:37], -v[40:41]
	v_add_f64 v[34:35], v[34:35], v[36:37]
	v_max_f64 v[36:37], |v[2:3]|, |v[2:3]|
	v_add_f64 v[34:35], v[38:39], v[34:35]
	v_cndmask_b32_e32 v35, v35, v11, vcc
	v_cndmask_b32_e32 v34, v34, v10, vcc
	v_add_f64 v[34:35], v[34:35], 1.0
	v_cmp_ngt_f64_e32 vcc, 0, v[10:11]
	v_cndmask_b32_e32 v8, v60, v35, vcc
	v_cmp_nge_f64_e32 vcc, 0, v[10:11]
	v_cndmask_b32_e32 v34, 0, v34, vcc
	v_cmp_neq_f64_e32 vcc, 0, v[10:11]
	v_max_f64 v[10:11], |v[4:5]|, |v[4:5]|
	v_cndmask_b32_e32 v35, v61, v8, vcc
	v_max_f64 v[38:39], v[36:37], v[10:11]
	v_min_f64 v[10:11], v[36:37], v[10:11]
	v_div_scale_f64 v[36:37], s[2:3], v[38:39], v[38:39], v[10:11]
	s_mov_b32 s2, 0x69efb384
	s_mov_b32 s3, 0x3f4b2bb0
	v_rcp_f64_e32 v[40:41], v[36:37]
	v_fma_f64 v[42:43], -v[36:37], v[40:41], 1.0
	v_fma_f64 v[40:41], v[40:41], v[42:43], v[40:41]
	v_fma_f64 v[42:43], -v[36:37], v[40:41], 1.0
	v_fma_f64 v[40:41], v[40:41], v[42:43], v[40:41]
	v_div_scale_f64 v[42:43], vcc, v[10:11], v[38:39], v[10:11]
	v_mul_f64 v[44:45], v[42:43], v[40:41]
	v_fma_f64 v[36:37], -v[36:37], v[44:45], v[42:43]
	s_nop 1
	v_div_fmas_f64 v[36:37], v[36:37], v[40:41], v[44:45]
	v_div_fixup_f64 v[10:11], v[36:37], v[38:39], v[10:11]
	v_mul_f64 v[36:37], v[10:11], v[10:11]
	v_fma_f64 v[38:39], v[36:37], s[38:39], v[22:23]
	v_fma_f64 v[38:39], v[36:37], v[38:39], s[2:3]
	s_mov_b32 s2, 0xaf56de9b
	s_mov_b32 s3, 0xbf67952d
	v_fma_f64 v[38:39], v[36:37], v[38:39], s[2:3]
	v_cmp_class_f64_e64 s[2:3], v[4:5], s42
	v_fma_f64 v[38:39], v[36:37], v[38:39], s[44:45]
	s_and_b64 vcc, s[4:5], s[2:3]
	v_cmp_gt_i32_e64 s[2:3], 0, v3
	v_cndmask_b32_e64 v2, v64, v65, s[2:3]
	v_bfi_b32 v12, s40, v2, v5
	v_ashrrev_i32_e32 v2, 31, v3
	v_and_b32_e32 v16, 0x400921fb, v2
	v_and_b32_e32 v19, 0x54442d18, v2
	v_fma_f64 v[38:39], v[36:37], v[38:39], s[46:47]
	v_cmp_eq_f64_e64 s[4:5], 0, v[4:5]
	v_cndmask_b32_e64 v8, v62, v63, s[2:3]
	v_fma_f64 v[38:39], v[36:37], v[38:39], s[48:49]
	v_fma_f64 v[38:39], v[36:37], v[38:39], s[50:51]
	v_fma_f64 v[38:39], v[36:37], v[38:39], s[52:53]
	v_fma_f64 v[38:39], v[36:37], v[38:39], s[54:55]
	v_fma_f64 v[38:39], v[36:37], v[38:39], s[56:57]
	v_fma_f64 v[38:39], v[36:37], v[38:39], s[58:59]
	v_fma_f64 v[38:39], v[36:37], v[38:39], s[60:61]
	v_fma_f64 v[38:39], v[36:37], v[38:39], s[62:63]
	v_fma_f64 v[38:39], v[36:37], v[38:39], s[64:65]
	v_fma_f64 v[38:39], v[36:37], v[38:39], s[66:67]
	v_fma_f64 v[38:39], v[36:37], v[38:39], s[68:69]
	v_fma_f64 v[38:39], v[36:37], v[38:39], s[70:71]
	v_fma_f64 v[38:39], v[36:37], v[38:39], s[72:73]
	v_fma_f64 v[38:39], v[36:37], v[38:39], s[74:75]
	v_mul_f64 v[36:37], v[36:37], v[38:39]
	v_fma_f64 v[10:11], v[10:11], v[36:37], v[10:11]
	v_add_f64 v[2:3], -v[10:11], s[76:77]
	v_cndmask_b32_e64 v3, v11, v3, s[0:1]
	v_cndmask_b32_e64 v2, v10, v2, s[0:1]
	v_add_f64 v[10:11], -v[2:3], s[92:93]
	v_cndmask_b32_e64 v3, v3, v11, s[2:3]
	v_cndmask_b32_e64 v2, v2, v10, s[2:3]
	;; [unrolled: 1-line block ×4, first 2 shown]
	v_cndmask_b32_e32 v37, v3, v12, vcc
	v_cndmask_b32_e32 v36, v2, v8, vcc
.LBB197_291:                            ;   in Loop: Header=BB197_162 Depth=1
	s_or_b64 exec, exec, s[6:7]
.LBB197_292:                            ;   in Loop: Header=BB197_162 Depth=1
	s_andn2_saveexec_b64 s[0:1], s[94:95]
	s_cbranch_execz .LBB197_161
; %bb.293:                              ;   in Loop: Header=BB197_162 Depth=1
	v_cmp_nlt_f64_e64 s[2:3], |v[2:3]|, s[88:89]
	v_cmp_nlt_f64_e64 s[4:5], |v[4:5]|, s[88:89]
                                        ; implicit-def: $vgpr10_vgpr11
	s_or_b64 s[2:3], s[2:3], s[4:5]
	s_and_saveexec_b64 s[4:5], s[2:3]
	s_xor_b64 s[2:3], exec, s[4:5]
	s_cbranch_execz .LBB197_295
; %bb.294:                              ;   in Loop: Header=BB197_162 Depth=1
	v_mul_f64 v[10:11], v[4:5], v[4:5]
	v_fma_f64 v[10:11], v[2:3], v[2:3], v[10:11]
.LBB197_295:                            ;   in Loop: Header=BB197_162 Depth=1
	s_andn2_saveexec_b64 s[2:3], s[2:3]
	s_cbranch_execz .LBB197_160
; %bb.296:                              ;   in Loop: Header=BB197_162 Depth=1
	v_mul_f64 v[10:11], v[4:5], 4.0
	v_mul_f64 v[2:3], v[2:3], 4.0
	v_mul_f64 v[10:11], v[10:11], v[10:11]
	v_fma_f64 v[2:3], v[2:3], v[2:3], v[10:11]
	v_ldexp_f64 v[10:11], v[2:3], -4
	s_branch .LBB197_160
.LBB197_297:
	s_endpgm
	.section	.rodata,"a",@progbits
	.p2align	6, 0x0
	.amdhsa_kernel _ZN2at6native12_GLOBAL__N_125multi_tensor_apply_kernelINS1_18TensorListMetadataILi1EEENS1_14UnaryOpFunctorIN3c107complexIdEELi1ELi1ELi0EEEJNS0_4Log2IS8_EEEEEvT_T0_DpT1_
		.amdhsa_group_segment_fixed_size 0
		.amdhsa_private_segment_fixed_size 0
		.amdhsa_kernarg_size 3632
		.amdhsa_user_sgpr_count 6
		.amdhsa_user_sgpr_private_segment_buffer 1
		.amdhsa_user_sgpr_dispatch_ptr 0
		.amdhsa_user_sgpr_queue_ptr 0
		.amdhsa_user_sgpr_kernarg_segment_ptr 1
		.amdhsa_user_sgpr_dispatch_id 0
		.amdhsa_user_sgpr_flat_scratch_init 0
		.amdhsa_user_sgpr_private_segment_size 0
		.amdhsa_uses_dynamic_stack 0
		.amdhsa_system_sgpr_private_segment_wavefront_offset 0
		.amdhsa_system_sgpr_workgroup_id_x 1
		.amdhsa_system_sgpr_workgroup_id_y 0
		.amdhsa_system_sgpr_workgroup_id_z 0
		.amdhsa_system_sgpr_workgroup_info 0
		.amdhsa_system_vgpr_workitem_id 0
		.amdhsa_next_free_vgpr 79
		.amdhsa_next_free_sgpr 96
		.amdhsa_reserve_vcc 1
		.amdhsa_reserve_flat_scratch 0
		.amdhsa_float_round_mode_32 0
		.amdhsa_float_round_mode_16_64 0
		.amdhsa_float_denorm_mode_32 3
		.amdhsa_float_denorm_mode_16_64 3
		.amdhsa_dx10_clamp 1
		.amdhsa_ieee_mode 1
		.amdhsa_fp16_overflow 0
		.amdhsa_exception_fp_ieee_invalid_op 0
		.amdhsa_exception_fp_denorm_src 0
		.amdhsa_exception_fp_ieee_div_zero 0
		.amdhsa_exception_fp_ieee_overflow 0
		.amdhsa_exception_fp_ieee_underflow 0
		.amdhsa_exception_fp_ieee_inexact 0
		.amdhsa_exception_int_div_zero 0
	.end_amdhsa_kernel
	.section	.text._ZN2at6native12_GLOBAL__N_125multi_tensor_apply_kernelINS1_18TensorListMetadataILi1EEENS1_14UnaryOpFunctorIN3c107complexIdEELi1ELi1ELi0EEEJNS0_4Log2IS8_EEEEEvT_T0_DpT1_,"axG",@progbits,_ZN2at6native12_GLOBAL__N_125multi_tensor_apply_kernelINS1_18TensorListMetadataILi1EEENS1_14UnaryOpFunctorIN3c107complexIdEELi1ELi1ELi0EEEJNS0_4Log2IS8_EEEEEvT_T0_DpT1_,comdat
.Lfunc_end197:
	.size	_ZN2at6native12_GLOBAL__N_125multi_tensor_apply_kernelINS1_18TensorListMetadataILi1EEENS1_14UnaryOpFunctorIN3c107complexIdEELi1ELi1ELi0EEEJNS0_4Log2IS8_EEEEEvT_T0_DpT1_, .Lfunc_end197-_ZN2at6native12_GLOBAL__N_125multi_tensor_apply_kernelINS1_18TensorListMetadataILi1EEENS1_14UnaryOpFunctorIN3c107complexIdEELi1ELi1ELi0EEEJNS0_4Log2IS8_EEEEEvT_T0_DpT1_
                                        ; -- End function
	.set _ZN2at6native12_GLOBAL__N_125multi_tensor_apply_kernelINS1_18TensorListMetadataILi1EEENS1_14UnaryOpFunctorIN3c107complexIdEELi1ELi1ELi0EEEJNS0_4Log2IS8_EEEEEvT_T0_DpT1_.num_vgpr, 79
	.set _ZN2at6native12_GLOBAL__N_125multi_tensor_apply_kernelINS1_18TensorListMetadataILi1EEENS1_14UnaryOpFunctorIN3c107complexIdEELi1ELi1ELi0EEEJNS0_4Log2IS8_EEEEEvT_T0_DpT1_.num_agpr, 0
	.set _ZN2at6native12_GLOBAL__N_125multi_tensor_apply_kernelINS1_18TensorListMetadataILi1EEENS1_14UnaryOpFunctorIN3c107complexIdEELi1ELi1ELi0EEEJNS0_4Log2IS8_EEEEEvT_T0_DpT1_.numbered_sgpr, 96
	.set _ZN2at6native12_GLOBAL__N_125multi_tensor_apply_kernelINS1_18TensorListMetadataILi1EEENS1_14UnaryOpFunctorIN3c107complexIdEELi1ELi1ELi0EEEJNS0_4Log2IS8_EEEEEvT_T0_DpT1_.num_named_barrier, 0
	.set _ZN2at6native12_GLOBAL__N_125multi_tensor_apply_kernelINS1_18TensorListMetadataILi1EEENS1_14UnaryOpFunctorIN3c107complexIdEELi1ELi1ELi0EEEJNS0_4Log2IS8_EEEEEvT_T0_DpT1_.private_seg_size, 0
	.set _ZN2at6native12_GLOBAL__N_125multi_tensor_apply_kernelINS1_18TensorListMetadataILi1EEENS1_14UnaryOpFunctorIN3c107complexIdEELi1ELi1ELi0EEEJNS0_4Log2IS8_EEEEEvT_T0_DpT1_.uses_vcc, 1
	.set _ZN2at6native12_GLOBAL__N_125multi_tensor_apply_kernelINS1_18TensorListMetadataILi1EEENS1_14UnaryOpFunctorIN3c107complexIdEELi1ELi1ELi0EEEJNS0_4Log2IS8_EEEEEvT_T0_DpT1_.uses_flat_scratch, 0
	.set _ZN2at6native12_GLOBAL__N_125multi_tensor_apply_kernelINS1_18TensorListMetadataILi1EEENS1_14UnaryOpFunctorIN3c107complexIdEELi1ELi1ELi0EEEJNS0_4Log2IS8_EEEEEvT_T0_DpT1_.has_dyn_sized_stack, 0
	.set _ZN2at6native12_GLOBAL__N_125multi_tensor_apply_kernelINS1_18TensorListMetadataILi1EEENS1_14UnaryOpFunctorIN3c107complexIdEELi1ELi1ELi0EEEJNS0_4Log2IS8_EEEEEvT_T0_DpT1_.has_recursion, 0
	.set _ZN2at6native12_GLOBAL__N_125multi_tensor_apply_kernelINS1_18TensorListMetadataILi1EEENS1_14UnaryOpFunctorIN3c107complexIdEELi1ELi1ELi0EEEJNS0_4Log2IS8_EEEEEvT_T0_DpT1_.has_indirect_call, 0
	.section	.AMDGPU.csdata,"",@progbits
; Kernel info:
; codeLenInByte = 88064
; TotalNumSgprs: 100
; NumVgprs: 79
; ScratchSize: 0
; MemoryBound: 1
; FloatMode: 240
; IeeeMode: 1
; LDSByteSize: 0 bytes/workgroup (compile time only)
; SGPRBlocks: 12
; VGPRBlocks: 19
; NumSGPRsForWavesPerEU: 100
; NumVGPRsForWavesPerEU: 79
; Occupancy: 3
; WaveLimiterHint : 0
; COMPUTE_PGM_RSRC2:SCRATCH_EN: 0
; COMPUTE_PGM_RSRC2:USER_SGPR: 6
; COMPUTE_PGM_RSRC2:TRAP_HANDLER: 0
; COMPUTE_PGM_RSRC2:TGID_X_EN: 1
; COMPUTE_PGM_RSRC2:TGID_Y_EN: 0
; COMPUTE_PGM_RSRC2:TGID_Z_EN: 0
; COMPUTE_PGM_RSRC2:TIDIG_COMP_CNT: 0
	.section	.text._ZN2at6native12_GLOBAL__N_125multi_tensor_apply_kernelINS1_18TensorListMetadataILi1EEENS1_14UnaryOpFunctorIN3c107complexIfEELi1ELi1ELi0EEEJNS0_4Log2IS8_EEEEEvT_T0_DpT1_,"axG",@progbits,_ZN2at6native12_GLOBAL__N_125multi_tensor_apply_kernelINS1_18TensorListMetadataILi1EEENS1_14UnaryOpFunctorIN3c107complexIfEELi1ELi1ELi0EEEJNS0_4Log2IS8_EEEEEvT_T0_DpT1_,comdat
	.globl	_ZN2at6native12_GLOBAL__N_125multi_tensor_apply_kernelINS1_18TensorListMetadataILi1EEENS1_14UnaryOpFunctorIN3c107complexIfEELi1ELi1ELi0EEEJNS0_4Log2IS8_EEEEEvT_T0_DpT1_ ; -- Begin function _ZN2at6native12_GLOBAL__N_125multi_tensor_apply_kernelINS1_18TensorListMetadataILi1EEENS1_14UnaryOpFunctorIN3c107complexIfEELi1ELi1ELi0EEEJNS0_4Log2IS8_EEEEEvT_T0_DpT1_
	.p2align	8
	.type	_ZN2at6native12_GLOBAL__N_125multi_tensor_apply_kernelINS1_18TensorListMetadataILi1EEENS1_14UnaryOpFunctorIN3c107complexIfEELi1ELi1ELi0EEEJNS0_4Log2IS8_EEEEEvT_T0_DpT1_,@function
_ZN2at6native12_GLOBAL__N_125multi_tensor_apply_kernelINS1_18TensorListMetadataILi1EEENS1_14UnaryOpFunctorIN3c107complexIfEELi1ELi1ELi0EEEJNS0_4Log2IS8_EEEEEvT_T0_DpT1_: ; @_ZN2at6native12_GLOBAL__N_125multi_tensor_apply_kernelINS1_18TensorListMetadataILi1EEENS1_14UnaryOpFunctorIN3c107complexIfEELi1ELi1ELi0EEEJNS0_4Log2IS8_EEEEEvT_T0_DpT1_
; %bb.0:
	v_mov_b32_e32 v1, s6
	global_load_ubyte v1, v1, s[4:5] offset:1760
	s_add_u32 s0, s4, s6
	s_mul_hi_u32 s1, s6, 3
	s_mul_i32 s6, s6, 3
	s_addc_u32 s2, s5, 0
	s_add_u32 s0, s0, s6
	s_addc_u32 s1, s2, s1
	s_load_dword s0, s[0:1], 0x820
	s_mov_b32 s9, 0
	s_waitcnt vmcnt(0)
	v_readfirstlane_b32 s1, v1
	s_lshl_b32 s1, s1, 3
	s_load_dwordx2 s[2:3], s[4:5], s1 offset:0x0
	s_load_dwordx2 s[6:7], s[4:5], s1 offset:0x370
	s_waitcnt lgkmcnt(0)
	s_ashr_i32 s1, s0, 31
	s_lshl_b64 s[10:11], s[0:1], 19
	s_add_u32 s33, s2, s10
	s_addc_u32 s38, s3, s11
	s_lshl_b64 s[0:1], s[0:1], 16
	s_and_b32 s8, s33, 31
	s_sub_u32 s14, s6, s0
	s_subb_u32 s15, s7, s1
	s_and_b32 s0, s6, 3
	s_mov_b32 s1, s9
	s_or_b64 s[0:1], s[8:9], s[0:1]
	s_cmp_eq_u64 s[0:1], 0
	s_cbranch_scc1 .LBB198_157
; %bb.1:
	v_cmp_lt_i64_e64 s[0:1], s[14:15], 1
	s_and_b64 vcc, exec, s[0:1]
	s_cbranch_vccnz .LBB198_156
; %bb.2:
	v_mov_b32_e32 v1, 0x10000
	s_load_dword s2, s[4:5], 0xd3c
	v_mov_b32_e32 v2, 0
	v_cmp_lt_i64_e32 vcc, s[14:15], v[1:2]
	s_mov_b64 s[20:21], 0
	s_and_b64 s[0:1], vcc, exec
	v_cmp_lt_u64_e32 vcc, s[14:15], v[1:2]
	s_cselect_b32 s17, s15, 0
	s_cselect_b32 s16, s14, 0x10000
	s_waitcnt lgkmcnt(0)
	s_and_b32 s39, s2, 0xffff
	s_and_b64 s[0:1], vcc, exec
	s_cselect_b32 s19, s15, 0
	s_cselect_b32 s18, s14, 0x10000
	s_lshl_b32 s40, s39, 1
	s_mul_i32 s41, s39, 3
	s_lshl_b32 s42, s39, 2
	s_brev_b32 s43, -2
	s_mov_b32 s44, 0x77f684df
	s_mov_b32 s45, 0x358637bd
	s_mov_b32 s46, 0x49742400
	s_mov_b32 s47, 0x3f2aaaab
	v_mov_b32_e32 v17, 0x3f2aaada
	s_mov_b32 s48, 0x3f317218
	s_mov_b32 s49, 0x7f800000
	s_mov_b32 s50, 0x33800000
	v_mov_b32_e32 v18, 0x3d29fb3f
	v_mov_b32_e32 v19, 0xbd97d4d7
	;; [unrolled: 1-line block ×6, first 2 shown]
	s_movk_i32 s51, 0x204
	s_mov_b32 s52, 0x3f333333
	s_mov_b32 s53, 0x800000
	;; [unrolled: 1-line block ×5, first 2 shown]
	s_brev_b32 s57, 4
	v_mov_b32_e32 v24, 0x7f800000
	v_mov_b32_e32 v25, 0x7fc00000
	;; [unrolled: 1-line block ×7, first 2 shown]
	s_branch .LBB198_4
.LBB198_3:                              ;   in Loop: Header=BB198_4 Depth=1
	s_or_b64 exec, exec, s[0:1]
	s_add_u32 s20, s20, s42
	v_mov_b32_e32 v1, s16
	s_addc_u32 s21, s21, 0
	v_mov_b32_e32 v2, s17
	v_cmp_ge_i64_e32 vcc, s[20:21], v[1:2]
	s_cbranch_vccnz .LBB198_156
.LBB198_4:                              ; =>This Loop Header: Depth=1
                                        ;     Child Loop BB198_23 Depth 2
                                        ;     Child Loop BB198_57 Depth 2
	;; [unrolled: 1-line block ×4, first 2 shown]
	v_mov_b32_e32 v1, s21
	v_add_co_u32_e32 v11, vcc, s20, v0
	v_addc_co_u32_e32 v12, vcc, 0, v1, vcc
	v_cmp_gt_u64_e64 s[0:1], s[18:19], v[11:12]
	v_lshlrev_b64 v[3:4], 3, v[11:12]
	v_mov_b32_e32 v10, 0
	v_mov_b32_e32 v9, 0
	s_and_saveexec_b64 s[2:3], s[0:1]
	s_cbranch_execz .LBB198_6
; %bb.5:                                ;   in Loop: Header=BB198_4 Depth=1
	v_mov_b32_e32 v2, s38
	v_add_co_u32_e32 v1, vcc, s33, v3
	v_addc_co_u32_e32 v2, vcc, v2, v4, vcc
	global_load_dwordx2 v[9:10], v[1:2], off
.LBB198_6:                              ;   in Loop: Header=BB198_4 Depth=1
	s_or_b64 exec, exec, s[2:3]
	v_add_co_u32_e32 v5, vcc, s39, v11
	v_addc_co_u32_e32 v6, vcc, 0, v12, vcc
	v_cmp_gt_u64_e64 s[2:3], s[18:19], v[5:6]
	v_lshlrev_b64 v[5:6], 3, v[5:6]
	v_mov_b32_e32 v2, 0
	v_mov_b32_e32 v14, 0
	v_mov_b32_e32 v13, 0
	s_and_saveexec_b64 s[6:7], s[2:3]
	s_cbranch_execz .LBB198_8
; %bb.7:                                ;   in Loop: Header=BB198_4 Depth=1
	v_mov_b32_e32 v1, s38
	v_add_co_u32_e32 v7, vcc, s33, v5
	v_addc_co_u32_e32 v8, vcc, v1, v6, vcc
	global_load_dwordx2 v[13:14], v[7:8], off
.LBB198_8:                              ;   in Loop: Header=BB198_4 Depth=1
	s_or_b64 exec, exec, s[6:7]
	v_add_co_u32_e32 v7, vcc, s40, v11
	v_addc_co_u32_e32 v8, vcc, 0, v12, vcc
	v_cmp_gt_u64_e64 s[6:7], s[18:19], v[7:8]
	v_lshlrev_b64 v[7:8], 3, v[7:8]
	v_mov_b32_e32 v1, 0
	s_and_saveexec_b64 s[8:9], s[6:7]
	s_cbranch_execz .LBB198_10
; %bb.9:                                ;   in Loop: Header=BB198_4 Depth=1
	v_mov_b32_e32 v2, s38
	v_add_co_u32_e32 v1, vcc, s33, v7
	v_addc_co_u32_e32 v2, vcc, v2, v8, vcc
	global_load_dwordx2 v[1:2], v[1:2], off
.LBB198_10:                             ;   in Loop: Header=BB198_4 Depth=1
	s_or_b64 exec, exec, s[8:9]
	v_add_co_u32_e32 v11, vcc, s41, v11
	v_addc_co_u32_e32 v12, vcc, 0, v12, vcc
	v_cmp_gt_u64_e64 s[8:9], s[18:19], v[11:12]
	v_lshlrev_b64 v[11:12], 3, v[11:12]
	v_mov_b32_e32 v16, 0
	v_mov_b32_e32 v15, 0
	s_and_saveexec_b64 s[10:11], s[8:9]
	s_cbranch_execz .LBB198_12
; %bb.11:                               ;   in Loop: Header=BB198_4 Depth=1
	v_mov_b32_e32 v16, s38
	v_add_co_u32_e32 v15, vcc, s33, v11
	v_addc_co_u32_e32 v16, vcc, v16, v12, vcc
	global_load_dwordx2 v[15:16], v[15:16], off
.LBB198_12:                             ;   in Loop: Header=BB198_4 Depth=1
	s_or_b64 exec, exec, s[10:11]
	s_waitcnt vmcnt(0)
	v_cmp_o_f32_e32 vcc, v10, v9
                                        ; implicit-def: $vgpr31
                                        ; implicit-def: $vgpr32
	s_and_saveexec_b64 s[10:11], vcc
	s_xor_b64 s[22:23], exec, s[10:11]
	s_cbranch_execz .LBB198_40
; %bb.13:                               ;   in Loop: Header=BB198_4 Depth=1
	v_cmp_lt_f32_e64 s[10:11], |v9|, |v10|
	v_cndmask_b32_e64 v33, |v10|, |v9|, s[10:11]
	v_cmp_nlt_f32_e32 vcc, s44, v33
                                        ; implicit-def: $vgpr31
                                        ; implicit-def: $vgpr32
	s_and_saveexec_b64 s[12:13], vcc
	s_xor_b64 s[24:25], exec, s[12:13]
	s_cbranch_execz .LBB198_37
; %bb.14:                               ;   in Loop: Header=BB198_4 Depth=1
	v_and_b32_e32 v31, 0x7fffffff, v10
	v_cndmask_b32_e64 v34, |v9|, v31, s[10:11]
	v_cmp_neq_f32_e32 vcc, 1.0, v34
                                        ; implicit-def: $vgpr31
                                        ; implicit-def: $vgpr32
	s_and_saveexec_b64 s[12:13], vcc
	s_xor_b64 s[26:27], exec, s[12:13]
	s_cbranch_execz .LBB198_30
; %bb.15:                               ;   in Loop: Header=BB198_4 Depth=1
	v_max_f32_e32 v31, v33, v33
	v_max_f32_e32 v32, v34, v34
	v_min_f32_e32 v35, v32, v31
	v_max_f32_e32 v31, v32, v31
	v_cmp_ngt_f32_e32 vcc, s45, v35
	v_cmp_nlt_f32_e64 s[12:13], s46, v31
	s_and_b64 s[12:13], s[12:13], vcc
                                        ; implicit-def: $vgpr31
                                        ; implicit-def: $vgpr32
	s_and_saveexec_b64 s[28:29], s[12:13]
	s_xor_b64 s[28:29], exec, s[28:29]
	s_cbranch_execz .LBB198_27
; %bb.16:                               ;   in Loop: Header=BB198_4 Depth=1
	v_cmp_le_f32_e32 vcc, 1.0, v34
                                        ; implicit-def: $vgpr31
                                        ; implicit-def: $vgpr32
	s_and_saveexec_b64 s[12:13], vcc
	s_xor_b64 s[30:31], exec, s[12:13]
	s_cbranch_execz .LBB198_18
; %bb.17:                               ;   in Loop: Header=BB198_4 Depth=1
	v_add_f32_e32 v31, -1.0, v34
	v_add_f32_e32 v32, 1.0, v34
	v_mul_f32_e32 v34, v31, v32
	v_fmac_f32_e32 v34, v33, v33
	v_add_f32_e32 v33, 1.0, v34
	v_cvt_f64_f32_e32 v[31:32], v33
	v_add_f32_e32 v35, -1.0, v33
	v_sub_f32_e32 v36, v35, v33
	v_sub_f32_e32 v35, v34, v35
	v_frexp_exp_i32_f64_e32 v31, v[31:32]
	v_frexp_mant_f32_e32 v32, v33
	v_cmp_gt_f32_e32 vcc, s47, v32
	v_add_f32_e32 v36, 1.0, v36
	v_add_f32_e32 v35, v35, v36
	v_cmp_gt_i32_e64 s[12:13], 0, v9
	v_cmp_class_f32_e64 s[34:35], v10, s51
	v_subbrev_co_u32_e32 v31, vcc, 0, v31, vcc
	v_sub_u32_e32 v32, 0, v31
	v_ldexp_f32 v33, v33, v32
	v_ldexp_f32 v32, v35, v32
	v_add_f32_e32 v35, -1.0, v33
	v_add_f32_e32 v38, 1.0, v33
	v_add_f32_e32 v36, 1.0, v35
	v_add_f32_e32 v39, -1.0, v38
	v_sub_f32_e32 v36, v33, v36
	v_sub_f32_e32 v33, v33, v39
	v_add_f32_e32 v36, v32, v36
	v_add_f32_e32 v32, v32, v33
	v_add_f32_e32 v33, v38, v32
	v_rcp_f32_e32 v39, v33
	v_add_f32_e32 v37, v35, v36
	v_sub_f32_e32 v35, v37, v35
	v_sub_f32_e32 v35, v36, v35
	;; [unrolled: 1-line block ×4, first 2 shown]
	v_mul_f32_e32 v36, v37, v39
	v_mul_f32_e32 v38, v33, v36
	v_fma_f32 v40, v36, v33, -v38
	v_fmac_f32_e32 v40, v36, v32
	v_add_f32_e32 v41, v38, v40
	v_sub_f32_e32 v42, v37, v41
	v_sub_f32_e32 v37, v37, v42
	;; [unrolled: 1-line block ×4, first 2 shown]
	v_add_f32_e32 v35, v35, v37
	v_sub_f32_e32 v37, v38, v40
	v_add_f32_e32 v35, v37, v35
	v_add_f32_e32 v37, v42, v35
	v_mul_f32_e32 v38, v39, v37
	v_mul_f32_e32 v40, v33, v38
	v_fma_f32 v33, v38, v33, -v40
	v_fmac_f32_e32 v33, v38, v32
	v_sub_f32_e32 v32, v42, v37
	v_add_f32_e32 v32, v35, v32
	v_add_f32_e32 v35, v40, v33
	v_sub_f32_e32 v41, v37, v35
	v_sub_f32_e32 v37, v37, v41
	;; [unrolled: 1-line block ×4, first 2 shown]
	v_add_f32_e32 v32, v32, v35
	v_sub_f32_e32 v33, v40, v33
	v_cvt_f32_i32_e32 v31, v31
	v_add_f32_e32 v32, v33, v32
	v_add_f32_e32 v33, v36, v38
	;; [unrolled: 1-line block ×3, first 2 shown]
	v_sub_f32_e32 v35, v33, v36
	v_mul_f32_e32 v32, v39, v32
	v_sub_f32_e32 v35, v38, v35
	v_add_f32_e32 v32, v35, v32
	v_mul_f32_e32 v38, 0x3f317218, v31
	v_add_f32_e32 v35, v33, v32
	v_fma_f32 v39, v31, s48, -v38
	v_mul_f32_e32 v36, v35, v35
	v_mov_b32_e32 v37, 0x3ecc95a3
	v_fmac_f32_e32 v39, 0xb102e308, v31
	v_sub_f32_e32 v31, v35, v33
	v_fmac_f32_e32 v37, 0x3e9b6dac, v36
	v_sub_f32_e32 v31, v32, v31
	v_add_f32_e32 v32, v38, v39
	v_fma_f32 v37, v36, v37, v17
	v_sub_f32_e32 v33, v32, v38
	v_ldexp_f32 v38, v35, 1
	v_mul_f32_e32 v35, v35, v36
	v_mul_f32_e32 v35, v35, v37
	v_add_f32_e32 v36, v38, v35
	v_sub_f32_e32 v37, v36, v38
	v_ldexp_f32 v31, v31, 1
	v_sub_f32_e32 v35, v35, v37
	v_add_f32_e32 v31, v31, v35
	v_add_f32_e32 v35, v36, v31
	v_sub_f32_e32 v36, v35, v36
	v_sub_f32_e32 v31, v31, v36
	v_add_f32_e32 v36, v32, v35
	v_sub_f32_e32 v37, v36, v32
	v_sub_f32_e32 v38, v36, v37
	;; [unrolled: 1-line block ×5, first 2 shown]
	v_add_f32_e32 v32, v35, v32
	v_add_f32_e32 v35, v33, v31
	v_sub_f32_e32 v37, v35, v33
	v_sub_f32_e32 v38, v35, v37
	;; [unrolled: 1-line block ×4, first 2 shown]
	v_add_f32_e32 v32, v35, v32
	v_add_f32_e32 v31, v31, v33
	;; [unrolled: 1-line block ×3, first 2 shown]
	v_sub_f32_e32 v35, v33, v36
	v_sub_f32_e32 v32, v32, v35
	v_add_f32_e32 v31, v31, v32
	v_add_f32_e32 v31, v33, v31
	v_cmp_neq_f32_e32 vcc, s49, v34
	v_cndmask_b32_e32 v31, v24, v31, vcc
	v_cmp_ngt_f32_e32 vcc, -1.0, v34
	v_cndmask_b32_e32 v31, v25, v31, vcc
	v_cmp_neq_f32_e32 vcc, -1.0, v34
	v_cndmask_b32_e32 v31, v26, v31, vcc
	v_cmp_lt_f32_e64 vcc, |v34|, s50
	v_max_f32_e64 v32, |v10|, |v10|
	v_max_f32_e64 v33, |v9|, |v9|
	v_cndmask_b32_e32 v31, v31, v34, vcc
	v_min_f32_e32 v34, v33, v32
	v_max_f32_e32 v32, v33, v32
	v_frexp_mant_f32_e32 v33, v32
	v_rcp_f32_e32 v33, v33
	v_frexp_exp_i32_f32_e32 v32, v32
	v_frexp_exp_i32_f32_e32 v35, v34
	v_frexp_mant_f32_e32 v34, v34
	v_mul_f32_e32 v33, v34, v33
	v_sub_u32_e32 v32, v35, v32
	v_ldexp_f32 v32, v33, v32
	v_mul_f32_e32 v33, v32, v32
	v_mov_b32_e32 v34, 0xbc7a590c
	v_fmac_f32_e32 v34, 0x3b2d2a58, v33
	v_fma_f32 v34, v33, v34, v18
	v_fma_f32 v34, v33, v34, v19
	;; [unrolled: 1-line block ×6, first 2 shown]
	v_mul_f32_e32 v33, v33, v34
	v_fmac_f32_e32 v32, v32, v33
	v_sub_f32_e32 v33, 0x3fc90fdb, v32
	v_cndmask_b32_e64 v32, v32, v33, s[10:11]
	v_sub_f32_e32 v33, 0x40490fdb, v32
	v_cmp_gt_f32_e32 vcc, 0, v9
	v_cndmask_b32_e32 v32, v32, v33, vcc
	v_cndmask_b32_e64 v33, 0, v27, s[12:13]
	v_cmp_eq_f32_e64 s[12:13], 0, v10
	v_cndmask_b32_e64 v32, v32, v33, s[12:13]
	v_cmp_class_f32_e64 s[12:13], v9, s51
	v_cndmask_b32_e32 v33, v28, v29, vcc
	s_and_b64 vcc, s[34:35], s[12:13]
	v_mul_f32_e32 v31, 0.5, v31
	v_cndmask_b32_e32 v32, v32, v33, vcc
                                        ; implicit-def: $vgpr33
                                        ; implicit-def: $vgpr34
.LBB198_18:                             ;   in Loop: Header=BB198_4 Depth=1
	s_andn2_saveexec_b64 s[30:31], s[30:31]
	s_cbranch_execz .LBB198_26
; %bb.19:                               ;   in Loop: Header=BB198_4 Depth=1
	v_mul_f32_e32 v35, v33, v33
	v_fmac_f32_e32 v35, v34, v34
	v_cmp_ge_f32_e32 vcc, s52, v35
                                        ; implicit-def: $vgpr31
                                        ; implicit-def: $vgpr32
	s_and_saveexec_b64 s[12:13], vcc
	s_xor_b64 s[34:35], exec, s[12:13]
	s_cbranch_execz .LBB198_21
; %bb.20:                               ;   in Loop: Header=BB198_4 Depth=1
	v_cmp_gt_f32_e32 vcc, s53, v35
	v_cndmask_b32_e64 v31, 0, 32, vcc
	v_ldexp_f32 v31, v35, v31
	v_log_f32_e32 v31, v31
	v_cndmask_b32_e32 v32, 0, v30, vcc
	v_cmp_gt_i32_e64 s[12:13], 0, v9
	v_cmp_class_f32_e64 s[36:37], v10, s51
	v_mul_f32_e32 v33, 0x3f317217, v31
	v_fma_f32 v33, v31, s54, -v33
	v_fmac_f32_e32 v33, 0x3377d1cf, v31
	v_fmac_f32_e32 v33, 0x3f317217, v31
	v_cmp_lt_f32_e64 vcc, |v31|, s49
	v_cndmask_b32_e32 v31, v31, v33, vcc
	v_sub_f32_e32 v31, v31, v32
	v_max_f32_e64 v32, |v10|, |v10|
	v_max_f32_e64 v33, |v9|, |v9|
	v_min_f32_e32 v34, v33, v32
	v_max_f32_e32 v32, v33, v32
	v_frexp_mant_f32_e32 v33, v32
	v_rcp_f32_e32 v33, v33
	v_frexp_exp_i32_f32_e32 v32, v32
	v_frexp_exp_i32_f32_e32 v35, v34
	v_frexp_mant_f32_e32 v34, v34
	v_mul_f32_e32 v33, v34, v33
	v_sub_u32_e32 v32, v35, v32
	v_ldexp_f32 v32, v33, v32
	v_mul_f32_e32 v33, v32, v32
	v_mov_b32_e32 v34, 0xbc7a590c
	v_fmac_f32_e32 v34, 0x3b2d2a58, v33
	v_fma_f32 v34, v33, v34, v18
	v_fma_f32 v34, v33, v34, v19
	;; [unrolled: 1-line block ×6, first 2 shown]
	v_mul_f32_e32 v33, v33, v34
	v_fmac_f32_e32 v32, v32, v33
	v_sub_f32_e32 v33, 0x3fc90fdb, v32
	v_cndmask_b32_e64 v32, v32, v33, s[10:11]
	v_sub_f32_e32 v33, 0x40490fdb, v32
	v_cmp_gt_f32_e32 vcc, 0, v9
	v_cndmask_b32_e32 v32, v32, v33, vcc
	v_cndmask_b32_e64 v33, 0, v27, s[12:13]
	v_cmp_eq_f32_e64 s[12:13], 0, v10
	v_cndmask_b32_e64 v32, v32, v33, s[12:13]
	v_cmp_class_f32_e64 s[12:13], v9, s51
	v_cndmask_b32_e32 v33, v28, v29, vcc
	s_and_b64 vcc, s[36:37], s[12:13]
	v_mul_f32_e32 v31, 0.5, v31
	v_cndmask_b32_e32 v32, v32, v33, vcc
                                        ; implicit-def: $vgpr34
                                        ; implicit-def: $vgpr33
.LBB198_21:                             ;   in Loop: Header=BB198_4 Depth=1
	s_andn2_saveexec_b64 s[34:35], s[34:35]
	s_cbranch_execz .LBB198_25
; %bb.22:                               ;   in Loop: Header=BB198_4 Depth=1
	v_and_b32_e32 v35, 0x7fff0000, v34
	v_sub_f32_e32 v31, v34, v35
	v_and_b32_e32 v39, 0xffff0000, v31
	v_and_b32_e32 v34, 0x7fff0000, v33
	v_sub_f32_e32 v41, v31, v39
	v_sub_f32_e32 v31, v33, v34
	v_and_b32_e32 v40, 0xffff0000, v31
	v_add_f32_e32 v36, v35, v35
	v_add_f32_e32 v43, v34, v34
	v_sub_f32_e32 v42, v31, v40
	v_mul_f32_e32 v31, v35, v35
	v_mul_f32_e32 v32, v34, v34
	;; [unrolled: 1-line block ×6, first 2 shown]
	v_add_f32_e32 v39, v39, v39
	v_add_f32_e32 v40, v40, v40
	v_mul_f32_e32 v37, v36, v41
	v_mul_f32_e32 v36, v43, v42
	;; [unrolled: 1-line block ×6, first 2 shown]
	s_mov_b64 s[36:37], 0
.LBB198_23:                             ;   Parent Loop BB198_4 Depth=1
                                        ; =>  This Inner Loop Header: Depth=2
	v_cmp_nlt_f32_e32 vcc, v31, v32
	v_mov_b32_e32 v43, v42
	v_cndmask_b32_e32 v42, v31, v32, vcc
	v_cmp_nlt_f32_e64 s[12:13], v42, v35
	v_cndmask_b32_e64 v44, v42, v35, s[12:13]
	v_cndmask_b32_e32 v31, v32, v31, vcc
	s_and_b64 s[58:59], vcc, s[12:13]
	v_cmp_nlt_f32_e32 vcc, v44, v34
	v_cndmask_b32_e64 v32, v35, v42, s[12:13]
	v_cndmask_b32_e32 v42, v44, v34, vcc
	v_cmp_nlt_f32_e64 s[12:13], v42, v38
	v_cndmask_b32_e32 v35, v34, v44, vcc
	v_cndmask_b32_e64 v44, v42, v38, s[12:13]
	s_and_b64 s[60:61], vcc, s[12:13]
	v_cmp_nlt_f32_e32 vcc, v44, v33
	v_cndmask_b32_e64 v34, v38, v42, s[12:13]
	v_cndmask_b32_e32 v42, v44, v33, vcc
	v_cmp_nlt_f32_e64 s[12:13], v42, v37
	v_cndmask_b32_e32 v38, v33, v44, vcc
	v_cndmask_b32_e64 v44, v42, v37, s[12:13]
	v_cndmask_b32_e64 v33, v37, v42, s[12:13]
	s_and_b64 s[12:13], vcc, s[12:13]
	v_cmp_nlt_f32_e32 vcc, v44, v36
	v_cndmask_b32_e32 v42, v44, v36, vcc
	v_cndmask_b32_e32 v37, v36, v44, vcc
	s_and_b64 s[12:13], s[12:13], vcc
	v_cmp_nlt_f32_e32 vcc, v42, v39
	v_cndmask_b32_e32 v44, v42, v39, vcc
	v_cndmask_b32_e32 v36, v39, v42, vcc
	s_and_b64 s[12:13], s[12:13], vcc
	;; [unrolled: 4-line block ×4, first 2 shown]
	v_cmp_nlt_f32_e32 vcc, v44, v43
	s_and_b64 s[12:13], s[12:13], vcc
	s_and_b64 s[12:13], s[12:13], s[60:61]
	s_and_b64 s[12:13], s[12:13], s[58:59]
	s_and_b64 s[12:13], exec, s[12:13]
	v_cndmask_b32_e32 v42, v44, v43, vcc
	s_or_b64 s[36:37], s[12:13], s[36:37]
	v_cndmask_b32_e32 v41, v43, v44, vcc
	s_andn2_b64 exec, exec, s[36:37]
	s_cbranch_execnz .LBB198_23
; %bb.24:                               ;   in Loop: Header=BB198_4 Depth=1
	s_or_b64 exec, exec, s[36:37]
	v_add_f32_e32 v31, -1.0, v31
	v_add_f32_e32 v31, v31, v32
	v_add_f32_e32 v31, v31, v35
	;; [unrolled: 1-line block ×11, first 2 shown]
	v_add_f32_e32 v34, 1.0, v33
	v_cvt_f64_f32_e32 v[31:32], v34
	v_add_f32_e32 v35, -1.0, v34
	v_sub_f32_e32 v36, v35, v34
	v_sub_f32_e32 v35, v33, v35
	v_frexp_exp_i32_f64_e32 v31, v[31:32]
	v_frexp_mant_f32_e32 v32, v34
	v_cmp_gt_f32_e32 vcc, s47, v32
	v_add_f32_e32 v36, 1.0, v36
	v_add_f32_e32 v35, v35, v36
	v_cmp_gt_i32_e64 s[12:13], 0, v9
	v_cmp_class_f32_e64 s[36:37], v10, s51
	v_subbrev_co_u32_e32 v31, vcc, 0, v31, vcc
	v_sub_u32_e32 v32, 0, v31
	v_ldexp_f32 v34, v34, v32
	v_ldexp_f32 v32, v35, v32
	v_add_f32_e32 v35, -1.0, v34
	v_add_f32_e32 v36, 1.0, v34
	v_add_f32_e32 v37, 1.0, v35
	v_add_f32_e32 v39, -1.0, v36
	v_sub_f32_e32 v37, v34, v37
	v_sub_f32_e32 v34, v34, v39
	v_add_f32_e32 v37, v32, v37
	v_add_f32_e32 v32, v32, v34
	;; [unrolled: 1-line block ×3, first 2 shown]
	v_rcp_f32_e32 v39, v34
	v_add_f32_e32 v38, v35, v37
	v_sub_f32_e32 v36, v34, v36
	v_sub_f32_e32 v35, v38, v35
	;; [unrolled: 1-line block ×3, first 2 shown]
	v_mul_f32_e32 v36, v38, v39
	v_sub_f32_e32 v35, v37, v35
	v_mul_f32_e32 v37, v34, v36
	v_fma_f32 v40, v36, v34, -v37
	v_fmac_f32_e32 v40, v36, v32
	v_add_f32_e32 v41, v37, v40
	v_sub_f32_e32 v42, v38, v41
	v_sub_f32_e32 v38, v38, v42
	;; [unrolled: 1-line block ×4, first 2 shown]
	v_add_f32_e32 v35, v35, v38
	v_sub_f32_e32 v37, v37, v40
	v_add_f32_e32 v35, v37, v35
	v_add_f32_e32 v37, v42, v35
	v_mul_f32_e32 v38, v39, v37
	v_mul_f32_e32 v40, v34, v38
	v_fma_f32 v34, v38, v34, -v40
	v_fmac_f32_e32 v34, v38, v32
	v_sub_f32_e32 v32, v42, v37
	v_add_f32_e32 v32, v35, v32
	v_add_f32_e32 v35, v40, v34
	v_sub_f32_e32 v41, v37, v35
	v_sub_f32_e32 v37, v37, v41
	;; [unrolled: 1-line block ×4, first 2 shown]
	v_add_f32_e32 v32, v32, v35
	v_sub_f32_e32 v34, v40, v34
	v_cvt_f32_i32_e32 v31, v31
	v_add_f32_e32 v32, v34, v32
	v_add_f32_e32 v34, v36, v38
	;; [unrolled: 1-line block ×3, first 2 shown]
	v_sub_f32_e32 v35, v34, v36
	v_mul_f32_e32 v32, v39, v32
	v_sub_f32_e32 v35, v38, v35
	v_add_f32_e32 v32, v35, v32
	v_mul_f32_e32 v38, 0x3f317218, v31
	v_add_f32_e32 v35, v34, v32
	v_fma_f32 v39, v31, s48, -v38
	v_mul_f32_e32 v36, v35, v35
	v_mov_b32_e32 v37, 0x3ecc95a3
	v_fmac_f32_e32 v39, 0xb102e308, v31
	v_sub_f32_e32 v31, v35, v34
	v_fmac_f32_e32 v37, 0x3e9b6dac, v36
	v_sub_f32_e32 v31, v32, v31
	v_add_f32_e32 v32, v38, v39
	v_fma_f32 v37, v36, v37, v17
	v_sub_f32_e32 v34, v32, v38
	v_ldexp_f32 v38, v35, 1
	v_mul_f32_e32 v35, v35, v36
	v_mul_f32_e32 v35, v35, v37
	v_add_f32_e32 v36, v38, v35
	v_sub_f32_e32 v37, v36, v38
	v_ldexp_f32 v31, v31, 1
	v_sub_f32_e32 v35, v35, v37
	v_add_f32_e32 v31, v31, v35
	v_add_f32_e32 v35, v36, v31
	v_sub_f32_e32 v36, v35, v36
	v_sub_f32_e32 v31, v31, v36
	v_add_f32_e32 v36, v32, v35
	v_sub_f32_e32 v37, v36, v32
	v_sub_f32_e32 v38, v36, v37
	v_sub_f32_e32 v34, v39, v34
	v_sub_f32_e32 v32, v32, v38
	v_sub_f32_e32 v35, v35, v37
	v_add_f32_e32 v32, v35, v32
	v_add_f32_e32 v35, v34, v31
	v_sub_f32_e32 v37, v35, v34
	v_sub_f32_e32 v38, v35, v37
	;; [unrolled: 1-line block ×4, first 2 shown]
	v_add_f32_e32 v32, v35, v32
	v_add_f32_e32 v31, v31, v34
	;; [unrolled: 1-line block ×3, first 2 shown]
	v_sub_f32_e32 v35, v34, v36
	v_sub_f32_e32 v32, v32, v35
	v_add_f32_e32 v31, v31, v32
	v_add_f32_e32 v31, v34, v31
	v_cmp_neq_f32_e32 vcc, s49, v33
	v_cndmask_b32_e32 v31, v24, v31, vcc
	v_cmp_ngt_f32_e32 vcc, -1.0, v33
	v_cndmask_b32_e32 v31, v25, v31, vcc
	v_cmp_neq_f32_e32 vcc, -1.0, v33
	v_cndmask_b32_e32 v31, v26, v31, vcc
	v_cmp_lt_f32_e64 vcc, |v33|, s50
	v_cndmask_b32_e32 v31, v31, v33, vcc
	v_max_f32_e64 v32, |v10|, |v10|
	v_max_f32_e64 v33, |v9|, |v9|
	v_min_f32_e32 v34, v33, v32
	v_max_f32_e32 v32, v33, v32
	v_frexp_mant_f32_e32 v33, v32
	v_rcp_f32_e32 v33, v33
	v_frexp_exp_i32_f32_e32 v32, v32
	v_frexp_exp_i32_f32_e32 v35, v34
	v_frexp_mant_f32_e32 v34, v34
	v_mul_f32_e32 v33, v34, v33
	v_sub_u32_e32 v32, v35, v32
	v_ldexp_f32 v32, v33, v32
	v_mul_f32_e32 v33, v32, v32
	v_mov_b32_e32 v34, 0xbc7a590c
	v_fmac_f32_e32 v34, 0x3b2d2a58, v33
	v_fma_f32 v34, v33, v34, v18
	v_fma_f32 v34, v33, v34, v19
	;; [unrolled: 1-line block ×6, first 2 shown]
	v_mul_f32_e32 v33, v33, v34
	v_fmac_f32_e32 v32, v32, v33
	v_sub_f32_e32 v33, 0x3fc90fdb, v32
	v_cndmask_b32_e64 v32, v32, v33, s[10:11]
	v_sub_f32_e32 v33, 0x40490fdb, v32
	v_cmp_gt_f32_e32 vcc, 0, v9
	v_cndmask_b32_e32 v32, v32, v33, vcc
	v_cndmask_b32_e64 v33, 0, v27, s[12:13]
	v_cmp_eq_f32_e64 s[12:13], 0, v10
	v_cndmask_b32_e64 v32, v32, v33, s[12:13]
	v_cmp_class_f32_e64 s[12:13], v9, s51
	v_cndmask_b32_e32 v33, v28, v29, vcc
	s_and_b64 vcc, s[36:37], s[12:13]
	v_mul_f32_e32 v31, 0.5, v31
	v_cndmask_b32_e32 v32, v32, v33, vcc
.LBB198_25:                             ;   in Loop: Header=BB198_4 Depth=1
	s_or_b64 exec, exec, s[34:35]
.LBB198_26:                             ;   in Loop: Header=BB198_4 Depth=1
	s_or_b64 exec, exec, s[30:31]
.LBB198_27:                             ;   in Loop: Header=BB198_4 Depth=1
	s_andn2_saveexec_b64 s[28:29], s[28:29]
	s_cbranch_execz .LBB198_29
; %bb.28:                               ;   in Loop: Header=BB198_4 Depth=1
	v_max_f32_e64 v33, |v10|, |v10|
	v_max_f32_e64 v34, |v9|, |v9|
	v_max_f32_e32 v35, v34, v33
	v_cvt_f64_f32_e32 v[31:32], v35
	v_cmp_neq_f32_e32 vcc, s49, v35
	v_cmp_gt_i32_e64 s[12:13], 0, v9
	v_cmp_class_f32_e64 s[30:31], v10, s51
	v_frexp_exp_i32_f64_e32 v31, v[31:32]
	v_min_f32_e32 v32, v34, v33
	v_frexp_mant_f32_e32 v34, v35
	v_rcp_f32_e32 v34, v34
	v_frexp_exp_i32_f32_e32 v36, v32
	v_frexp_mant_f32_e32 v32, v32
	v_frexp_exp_i32_f32_e32 v33, v35
	v_mul_f32_e32 v32, v32, v34
	v_sub_u32_e32 v37, 0, v31
	v_ldexp_f32 v38, |v9|, v37
	v_ldexp_f32 v37, |v10|, v37
	v_mul_f32_e32 v37, v37, v37
	v_fmac_f32_e32 v37, v38, v38
	v_sqrt_f32_e32 v37, v37
	v_sub_u32_e32 v33, v36, v33
	v_ldexp_f32 v32, v32, v33
	v_mul_f32_e32 v33, v32, v32
	v_ldexp_f32 v31, v37, v31
	v_cndmask_b32_e32 v31, v24, v31, vcc
	v_cmp_gt_f32_e32 vcc, s53, v31
	v_cndmask_b32_e64 v34, 0, 32, vcc
	v_ldexp_f32 v31, v31, v34
	v_log_f32_e32 v31, v31
	v_cndmask_b32_e32 v34, 0, v30, vcc
	v_mul_f32_e32 v35, 0x3f317217, v31
	v_fma_f32 v35, v31, s54, -v35
	v_fmac_f32_e32 v35, 0x3377d1cf, v31
	v_fmac_f32_e32 v35, 0x3f317217, v31
	v_cmp_lt_f32_e64 vcc, |v31|, s49
	v_cndmask_b32_e32 v31, v31, v35, vcc
	v_sub_f32_e32 v31, v31, v34
	v_mov_b32_e32 v34, 0xbc7a590c
	v_fmac_f32_e32 v34, 0x3b2d2a58, v33
	v_fma_f32 v34, v33, v34, v18
	v_fma_f32 v34, v33, v34, v19
	;; [unrolled: 1-line block ×6, first 2 shown]
	v_mul_f32_e32 v33, v33, v34
	v_fmac_f32_e32 v32, v32, v33
	v_sub_f32_e32 v33, 0x3fc90fdb, v32
	v_cndmask_b32_e64 v32, v32, v33, s[10:11]
	v_sub_f32_e32 v33, 0x40490fdb, v32
	v_cmp_gt_f32_e32 vcc, 0, v9
	v_cndmask_b32_e32 v32, v32, v33, vcc
	v_cndmask_b32_e64 v33, 0, v27, s[12:13]
	v_cmp_eq_f32_e64 s[12:13], 0, v10
	v_cndmask_b32_e64 v32, v32, v33, s[12:13]
	v_cmp_class_f32_e64 s[12:13], v9, s51
	v_cndmask_b32_e32 v33, v28, v29, vcc
	s_and_b64 vcc, s[30:31], s[12:13]
	v_cndmask_b32_e32 v32, v32, v33, vcc
.LBB198_29:                             ;   in Loop: Header=BB198_4 Depth=1
	s_or_b64 exec, exec, s[28:29]
                                        ; implicit-def: $vgpr33
.LBB198_30:                             ;   in Loop: Header=BB198_4 Depth=1
	s_andn2_saveexec_b64 s[26:27], s[26:27]
	s_cbranch_execz .LBB198_36
; %bb.31:                               ;   in Loop: Header=BB198_4 Depth=1
	v_cmp_ngt_f32_e32 vcc, s55, v33
                                        ; implicit-def: $vgpr31
                                        ; implicit-def: $vgpr32
	s_and_saveexec_b64 s[12:13], vcc
	s_xor_b64 s[28:29], exec, s[12:13]
	s_cbranch_execz .LBB198_33
; %bb.32:                               ;   in Loop: Header=BB198_4 Depth=1
	v_mul_f32_e32 v33, v33, v33
	v_add_f32_e32 v34, 1.0, v33
	v_cvt_f64_f32_e32 v[31:32], v34
	v_add_f32_e32 v35, -1.0, v34
	v_sub_f32_e32 v36, v35, v34
	v_sub_f32_e32 v35, v33, v35
	v_frexp_exp_i32_f64_e32 v31, v[31:32]
	v_frexp_mant_f32_e32 v32, v34
	v_cmp_gt_f32_e32 vcc, s47, v32
	v_add_f32_e32 v36, 1.0, v36
	v_add_f32_e32 v35, v35, v36
	v_cmp_gt_i32_e64 s[12:13], 0, v9
	v_cmp_class_f32_e64 s[30:31], v10, s51
	v_subbrev_co_u32_e32 v31, vcc, 0, v31, vcc
	v_sub_u32_e32 v32, 0, v31
	v_ldexp_f32 v34, v34, v32
	v_ldexp_f32 v32, v35, v32
	v_add_f32_e32 v35, -1.0, v34
	v_add_f32_e32 v36, 1.0, v34
	v_add_f32_e32 v37, 1.0, v35
	v_add_f32_e32 v39, -1.0, v36
	v_sub_f32_e32 v37, v34, v37
	v_sub_f32_e32 v34, v34, v39
	v_add_f32_e32 v37, v32, v37
	v_add_f32_e32 v32, v32, v34
	;; [unrolled: 1-line block ×3, first 2 shown]
	v_rcp_f32_e32 v39, v34
	v_add_f32_e32 v38, v35, v37
	v_sub_f32_e32 v36, v36, v34
	v_sub_f32_e32 v35, v35, v38
	v_add_f32_e32 v32, v32, v36
	v_mul_f32_e32 v36, v38, v39
	v_add_f32_e32 v35, v37, v35
	v_mul_f32_e32 v37, v34, v36
	v_fma_f32 v40, v36, v34, -v37
	v_fmac_f32_e32 v40, v36, v32
	v_add_f32_e32 v41, v37, v40
	v_sub_f32_e32 v42, v38, v41
	v_sub_f32_e32 v38, v38, v42
	;; [unrolled: 1-line block ×4, first 2 shown]
	v_add_f32_e32 v35, v35, v38
	v_sub_f32_e32 v37, v37, v40
	v_add_f32_e32 v35, v37, v35
	v_add_f32_e32 v37, v42, v35
	v_mul_f32_e32 v38, v39, v37
	v_mul_f32_e32 v40, v34, v38
	v_fma_f32 v34, v38, v34, -v40
	v_fmac_f32_e32 v34, v38, v32
	v_sub_f32_e32 v32, v42, v37
	v_add_f32_e32 v32, v35, v32
	v_add_f32_e32 v35, v40, v34
	v_sub_f32_e32 v41, v37, v35
	v_sub_f32_e32 v37, v37, v41
	;; [unrolled: 1-line block ×4, first 2 shown]
	v_add_f32_e32 v32, v32, v35
	v_sub_f32_e32 v34, v40, v34
	v_cvt_f32_i32_e32 v31, v31
	v_add_f32_e32 v32, v34, v32
	v_add_f32_e32 v34, v36, v38
	;; [unrolled: 1-line block ×3, first 2 shown]
	v_sub_f32_e32 v35, v34, v36
	v_mul_f32_e32 v32, v39, v32
	v_sub_f32_e32 v35, v38, v35
	v_add_f32_e32 v32, v35, v32
	v_mul_f32_e32 v38, 0x3f317218, v31
	v_add_f32_e32 v35, v34, v32
	v_fma_f32 v39, v31, s48, -v38
	v_mul_f32_e32 v36, v35, v35
	v_mov_b32_e32 v37, 0x3ecc95a3
	v_fmac_f32_e32 v39, 0xb102e308, v31
	v_sub_f32_e32 v31, v35, v34
	v_fmac_f32_e32 v37, 0x3e9b6dac, v36
	v_sub_f32_e32 v31, v32, v31
	v_add_f32_e32 v32, v38, v39
	v_fma_f32 v37, v36, v37, v17
	v_sub_f32_e32 v34, v32, v38
	v_ldexp_f32 v38, v35, 1
	v_mul_f32_e32 v35, v35, v36
	v_mul_f32_e32 v35, v35, v37
	v_add_f32_e32 v36, v38, v35
	v_sub_f32_e32 v37, v36, v38
	v_ldexp_f32 v31, v31, 1
	v_sub_f32_e32 v35, v35, v37
	v_add_f32_e32 v31, v31, v35
	v_add_f32_e32 v35, v36, v31
	v_sub_f32_e32 v36, v35, v36
	v_sub_f32_e32 v31, v31, v36
	v_add_f32_e32 v36, v32, v35
	v_sub_f32_e32 v37, v36, v32
	v_sub_f32_e32 v38, v36, v37
	;; [unrolled: 1-line block ×5, first 2 shown]
	v_add_f32_e32 v32, v35, v32
	v_add_f32_e32 v35, v34, v31
	v_sub_f32_e32 v37, v35, v34
	v_sub_f32_e32 v38, v35, v37
	;; [unrolled: 1-line block ×4, first 2 shown]
	v_add_f32_e32 v32, v35, v32
	v_add_f32_e32 v31, v31, v34
	;; [unrolled: 1-line block ×3, first 2 shown]
	v_sub_f32_e32 v35, v34, v36
	v_sub_f32_e32 v32, v32, v35
	v_add_f32_e32 v31, v31, v32
	v_add_f32_e32 v31, v34, v31
	v_cmp_neq_f32_e32 vcc, s49, v33
	v_cndmask_b32_e32 v31, v24, v31, vcc
	v_cmp_lt_f32_e64 vcc, |v33|, s50
	v_cndmask_b32_e32 v31, v31, v33, vcc
	v_max_f32_e64 v32, |v10|, |v10|
	v_max_f32_e64 v33, |v9|, |v9|
	v_min_f32_e32 v34, v33, v32
	v_max_f32_e32 v32, v33, v32
	v_frexp_mant_f32_e32 v33, v32
	v_rcp_f32_e32 v33, v33
	v_frexp_exp_i32_f32_e32 v32, v32
	v_frexp_exp_i32_f32_e32 v35, v34
	v_frexp_mant_f32_e32 v34, v34
	v_mul_f32_e32 v33, v34, v33
	v_sub_u32_e32 v32, v35, v32
	v_ldexp_f32 v32, v33, v32
	v_mul_f32_e32 v33, v32, v32
	v_mov_b32_e32 v34, 0xbc7a590c
	v_fmac_f32_e32 v34, 0x3b2d2a58, v33
	v_fma_f32 v34, v33, v34, v18
	v_fma_f32 v34, v33, v34, v19
	;; [unrolled: 1-line block ×6, first 2 shown]
	v_mul_f32_e32 v33, v33, v34
	v_fmac_f32_e32 v32, v32, v33
	v_sub_f32_e32 v33, 0x3fc90fdb, v32
	v_cndmask_b32_e64 v32, v32, v33, s[10:11]
	v_sub_f32_e32 v33, 0x40490fdb, v32
	v_cmp_gt_f32_e32 vcc, 0, v9
	v_cndmask_b32_e32 v32, v32, v33, vcc
	v_cndmask_b32_e64 v33, 0, v27, s[12:13]
	v_cmp_eq_f32_e64 s[12:13], 0, v10
	v_cndmask_b32_e64 v32, v32, v33, s[12:13]
	v_cmp_class_f32_e64 s[12:13], v9, s51
	v_cndmask_b32_e32 v33, v28, v29, vcc
	s_and_b64 vcc, s[30:31], s[12:13]
	v_mul_f32_e32 v31, 0.5, v31
	v_cndmask_b32_e32 v32, v32, v33, vcc
                                        ; implicit-def: $vgpr33
.LBB198_33:                             ;   in Loop: Header=BB198_4 Depth=1
	s_andn2_saveexec_b64 s[28:29], s[28:29]
	s_cbranch_execz .LBB198_35
; %bb.34:                               ;   in Loop: Header=BB198_4 Depth=1
	v_mul_f32_e32 v31, 0.5, v33
	v_mul_f32_e32 v31, v33, v31
	v_max_f32_e64 v32, |v10|, |v10|
	v_max_f32_e64 v33, |v9|, |v9|
	v_min_f32_e32 v34, v33, v32
	v_max_f32_e32 v32, v33, v32
	v_frexp_mant_f32_e32 v33, v32
	v_rcp_f32_e32 v33, v33
	v_frexp_exp_i32_f32_e32 v32, v32
	v_frexp_exp_i32_f32_e32 v35, v34
	v_frexp_mant_f32_e32 v34, v34
	v_mul_f32_e32 v33, v34, v33
	v_sub_u32_e32 v32, v35, v32
	v_ldexp_f32 v32, v33, v32
	v_mul_f32_e32 v33, v32, v32
	v_mov_b32_e32 v34, 0xbc7a590c
	v_fmac_f32_e32 v34, 0x3b2d2a58, v33
	v_fma_f32 v34, v33, v34, v18
	v_fma_f32 v34, v33, v34, v19
	v_fma_f32 v34, v33, v34, v20
	v_fma_f32 v34, v33, v34, v21
	v_fma_f32 v34, v33, v34, v22
	v_fma_f32 v34, v33, v34, v23
	v_mul_f32_e32 v33, v33, v34
	v_fmac_f32_e32 v32, v32, v33
	v_sub_f32_e32 v33, 0x3fc90fdb, v32
	v_cndmask_b32_e64 v32, v32, v33, s[10:11]
	v_sub_f32_e32 v33, 0x40490fdb, v32
	v_cmp_gt_f32_e32 vcc, 0, v9
	v_cmp_gt_i32_e64 s[12:13], 0, v9
	v_cndmask_b32_e32 v32, v32, v33, vcc
	v_cndmask_b32_e64 v33, 0, v27, s[12:13]
	v_cmp_eq_f32_e64 s[12:13], 0, v10
	v_cndmask_b32_e64 v32, v32, v33, s[12:13]
	v_cmp_class_f32_e64 s[12:13], v9, s51
	v_cmp_class_f32_e64 s[30:31], v10, s51
	v_cndmask_b32_e32 v33, v28, v29, vcc
	s_and_b64 vcc, s[30:31], s[12:13]
	v_cndmask_b32_e32 v32, v32, v33, vcc
.LBB198_35:                             ;   in Loop: Header=BB198_4 Depth=1
	s_or_b64 exec, exec, s[28:29]
.LBB198_36:                             ;   in Loop: Header=BB198_4 Depth=1
	s_or_b64 exec, exec, s[26:27]
.LBB198_37:                             ;   in Loop: Header=BB198_4 Depth=1
	s_andn2_saveexec_b64 s[24:25], s[24:25]
	s_cbranch_execz .LBB198_39
; %bb.38:                               ;   in Loop: Header=BB198_4 Depth=1
	v_div_scale_f32 v31, s[12:13], s56, s56, v9
	v_div_scale_f32 v32, s[12:13], s56, s56, v10
	v_div_scale_f32 v33, vcc, v9, s56, v9
	v_div_scale_f32 v34, s[12:13], v10, s56, v10
	v_rcp_f32_e32 v35, v31
	v_rcp_f32_e32 v36, v32
	v_fma_f32 v37, -v31, v35, 1.0
	v_fmac_f32_e32 v35, v37, v35
	v_fma_f32 v38, -v32, v36, 1.0
	v_fmac_f32_e32 v36, v38, v36
	v_mul_f32_e32 v37, v33, v35
	v_mul_f32_e32 v38, v34, v36
	v_fma_f32 v39, -v31, v37, v33
	v_fma_f32 v40, -v32, v38, v34
	v_fmac_f32_e32 v37, v39, v35
	v_fmac_f32_e32 v38, v40, v36
	v_fma_f32 v31, -v31, v37, v33
	v_fma_f32 v32, -v32, v38, v34
	v_div_fmas_f32 v31, v31, v35, v37
	s_mov_b64 vcc, s[12:13]
	v_div_fmas_f32 v32, v32, v36, v38
	v_max_f32_e64 v33, |v10|, |v10|
	v_max_f32_e64 v34, |v9|, |v9|
	v_min_f32_e32 v36, v34, v33
	v_max_f32_e32 v33, v34, v33
	v_frexp_exp_i32_f32_e32 v34, v33
	v_frexp_exp_i32_f32_e32 v37, v36
	v_sub_u32_e32 v34, v37, v34
	v_frexp_mant_f32_e32 v33, v33
	v_rcp_f32_e32 v33, v33
	v_frexp_mant_f32_e32 v36, v36
	v_mov_b32_e32 v35, 0xbc7a590c
	v_cmp_class_f32_e64 s[12:13], v10, s51
	v_mul_f32_e32 v33, v36, v33
	v_div_fixup_f32 v37, v31, s56, v9
	v_ldexp_f32 v33, v33, v34
	v_div_fixup_f32 v38, v32, s56, v10
	v_max_f32_e64 v39, |v37|, |v38|
	v_cvt_f64_f32_e32 v[31:32], v39
	v_mul_f32_e32 v34, v33, v33
	v_fmac_f32_e32 v35, 0x3b2d2a58, v34
	v_cmp_neq_f32_e32 vcc, s49, v39
	v_frexp_exp_i32_f64_e32 v31, v[31:32]
	v_fma_f32 v32, v34, v35, v18
	v_fma_f32 v32, v34, v32, v19
	;; [unrolled: 1-line block ×6, first 2 shown]
	v_mul_f32_e32 v32, v34, v32
	v_sub_u32_e32 v35, 0, v31
	v_ldexp_f32 v36, |v37|, v35
	v_ldexp_f32 v35, |v38|, v35
	v_mul_f32_e32 v35, v35, v35
	v_fmac_f32_e32 v35, v36, v36
	v_sqrt_f32_e32 v35, v35
	v_fmac_f32_e32 v33, v33, v32
	v_sub_f32_e32 v32, 0x3fc90fdb, v33
	v_cndmask_b32_e64 v32, v33, v32, s[10:11]
	v_ldexp_f32 v31, v35, v31
	v_cndmask_b32_e32 v31, v24, v31, vcc
	v_cmp_gt_f32_e32 vcc, s53, v31
	v_cndmask_b32_e64 v34, 0, 32, vcc
	v_ldexp_f32 v31, v31, v34
	v_log_f32_e32 v31, v31
	v_cndmask_b32_e32 v34, 0, v30, vcc
	v_sub_f32_e32 v33, 0x40490fdb, v32
	v_cmp_gt_i32_e64 s[10:11], 0, v9
	v_mul_f32_e32 v35, 0x3f317217, v31
	v_fma_f32 v35, v31, s54, -v35
	v_fmac_f32_e32 v35, 0x3377d1cf, v31
	v_fmac_f32_e32 v35, 0x3f317217, v31
	v_cmp_lt_f32_e64 vcc, |v31|, s49
	v_cndmask_b32_e32 v31, v31, v35, vcc
	v_cmp_gt_f32_e32 vcc, 0, v9
	v_cndmask_b32_e32 v32, v32, v33, vcc
	v_cndmask_b32_e64 v33, 0, v27, s[10:11]
	v_cmp_eq_f32_e64 s[10:11], 0, v10
	v_cndmask_b32_e64 v32, v32, v33, s[10:11]
	v_cmp_class_f32_e64 s[10:11], v9, s51
	v_sub_f32_e32 v31, v31, v34
	v_cndmask_b32_e32 v33, v28, v29, vcc
	s_and_b64 vcc, s[12:13], s[10:11]
	v_add_f32_e32 v31, 1.0, v31
	v_cndmask_b32_e32 v32, v32, v33, vcc
.LBB198_39:                             ;   in Loop: Header=BB198_4 Depth=1
	s_or_b64 exec, exec, s[24:25]
.LBB198_40:                             ;   in Loop: Header=BB198_4 Depth=1
	s_andn2_saveexec_b64 s[10:11], s[22:23]
	s_cbranch_execz .LBB198_46
; %bb.41:                               ;   in Loop: Header=BB198_4 Depth=1
	v_cmp_nlt_f32_e64 s[12:13], |v9|, s57
	v_cmp_nlt_f32_e64 s[22:23], |v10|, s57
	s_or_b64 s[12:13], s[22:23], s[12:13]
                                        ; implicit-def: $vgpr31
	s_and_saveexec_b64 s[22:23], s[12:13]
	s_xor_b64 s[12:13], exec, s[22:23]
; %bb.42:                               ;   in Loop: Header=BB198_4 Depth=1
	v_mul_f32_e32 v31, v9, v9
	v_fmac_f32_e32 v31, v10, v10
; %bb.43:                               ;   in Loop: Header=BB198_4 Depth=1
	s_andn2_saveexec_b64 s[12:13], s[12:13]
; %bb.44:                               ;   in Loop: Header=BB198_4 Depth=1
	v_mul_f32_e32 v9, 4.0, v9
	v_mul_f32_e32 v31, 4.0, v10
	v_mul_f32_e32 v9, v9, v9
	v_fmac_f32_e32 v9, v31, v31
	v_mul_f32_e32 v31, 0x3d800000, v9
; %bb.45:                               ;   in Loop: Header=BB198_4 Depth=1
	s_or_b64 exec, exec, s[12:13]
	v_cmp_gt_f32_e32 vcc, s53, v31
	v_cndmask_b32_e64 v9, 0, 32, vcc
	v_ldexp_f32 v9, v31, v9
	v_log_f32_e32 v9, v9
	v_cndmask_b32_e32 v31, 0, v30, vcc
	v_mul_f32_e32 v32, 0x3f317217, v9
	v_fma_f32 v32, v9, s54, -v32
	v_fmac_f32_e32 v32, 0x3377d1cf, v9
	v_fmac_f32_e32 v32, 0x3f317217, v9
	v_cmp_lt_f32_e64 vcc, |v9|, s49
	v_cndmask_b32_e32 v9, v9, v32, vcc
	v_sub_f32_e32 v31, v9, v31
	v_mov_b32_e32 v32, 0x7fc00000
.LBB198_46:                             ;   in Loop: Header=BB198_4 Depth=1
	s_or_b64 exec, exec, s[10:11]
	v_cmp_o_f32_e32 vcc, v14, v13
                                        ; implicit-def: $vgpr9
                                        ; implicit-def: $vgpr33
	s_and_saveexec_b64 s[10:11], vcc
	s_xor_b64 s[22:23], exec, s[10:11]
	s_cbranch_execz .LBB198_74
; %bb.47:                               ;   in Loop: Header=BB198_4 Depth=1
	v_cmp_lt_f32_e64 s[10:11], |v13|, |v14|
	v_cndmask_b32_e64 v34, |v14|, |v13|, s[10:11]
	v_cmp_nlt_f32_e32 vcc, s44, v34
                                        ; implicit-def: $vgpr9
                                        ; implicit-def: $vgpr33
	s_and_saveexec_b64 s[12:13], vcc
	s_xor_b64 s[24:25], exec, s[12:13]
	s_cbranch_execz .LBB198_71
; %bb.48:                               ;   in Loop: Header=BB198_4 Depth=1
	v_and_b32_e32 v9, 0x7fffffff, v14
	v_cndmask_b32_e64 v35, |v13|, v9, s[10:11]
	v_cmp_neq_f32_e32 vcc, 1.0, v35
                                        ; implicit-def: $vgpr9
                                        ; implicit-def: $vgpr33
	s_and_saveexec_b64 s[12:13], vcc
	s_xor_b64 s[26:27], exec, s[12:13]
	s_cbranch_execz .LBB198_64
; %bb.49:                               ;   in Loop: Header=BB198_4 Depth=1
	v_max_f32_e32 v9, v34, v34
	v_max_f32_e32 v33, v35, v35
	v_min_f32_e32 v36, v33, v9
	v_max_f32_e32 v9, v33, v9
	v_cmp_ngt_f32_e32 vcc, s45, v36
	v_cmp_nlt_f32_e64 s[12:13], s46, v9
	s_and_b64 s[12:13], s[12:13], vcc
                                        ; implicit-def: $vgpr9
                                        ; implicit-def: $vgpr33
	s_and_saveexec_b64 s[28:29], s[12:13]
	s_xor_b64 s[28:29], exec, s[28:29]
	s_cbranch_execz .LBB198_61
; %bb.50:                               ;   in Loop: Header=BB198_4 Depth=1
	v_cmp_le_f32_e32 vcc, 1.0, v35
                                        ; implicit-def: $vgpr9
                                        ; implicit-def: $vgpr33
	s_and_saveexec_b64 s[12:13], vcc
	s_xor_b64 s[30:31], exec, s[12:13]
	s_cbranch_execz .LBB198_52
; %bb.51:                               ;   in Loop: Header=BB198_4 Depth=1
	v_add_f32_e32 v9, -1.0, v35
	v_add_f32_e32 v33, 1.0, v35
	v_mul_f32_e32 v9, v9, v33
	v_fmac_f32_e32 v9, v34, v34
	v_add_f32_e32 v35, 1.0, v9
	v_cvt_f64_f32_e32 v[33:34], v35
	v_add_f32_e32 v36, -1.0, v35
	v_sub_f32_e32 v37, v36, v35
	v_sub_f32_e32 v36, v9, v36
	v_frexp_exp_i32_f64_e32 v33, v[33:34]
	v_frexp_mant_f32_e32 v34, v35
	v_cmp_gt_f32_e32 vcc, s47, v34
	v_add_f32_e32 v37, 1.0, v37
	v_add_f32_e32 v36, v36, v37
	v_cmp_gt_i32_e64 s[12:13], 0, v13
	v_cmp_class_f32_e64 s[34:35], v14, s51
	v_subbrev_co_u32_e32 v33, vcc, 0, v33, vcc
	v_sub_u32_e32 v34, 0, v33
	v_ldexp_f32 v35, v35, v34
	v_ldexp_f32 v34, v36, v34
	v_add_f32_e32 v36, -1.0, v35
	v_add_f32_e32 v39, 1.0, v35
	v_add_f32_e32 v37, 1.0, v36
	v_add_f32_e32 v40, -1.0, v39
	v_sub_f32_e32 v37, v35, v37
	v_sub_f32_e32 v35, v35, v40
	v_add_f32_e32 v37, v34, v37
	v_add_f32_e32 v34, v34, v35
	;; [unrolled: 1-line block ×3, first 2 shown]
	v_rcp_f32_e32 v40, v35
	v_add_f32_e32 v38, v36, v37
	v_sub_f32_e32 v36, v38, v36
	v_sub_f32_e32 v36, v37, v36
	;; [unrolled: 1-line block ×4, first 2 shown]
	v_mul_f32_e32 v37, v38, v40
	v_mul_f32_e32 v39, v35, v37
	v_fma_f32 v41, v37, v35, -v39
	v_fmac_f32_e32 v41, v37, v34
	v_add_f32_e32 v42, v39, v41
	v_sub_f32_e32 v43, v38, v42
	v_sub_f32_e32 v38, v38, v43
	;; [unrolled: 1-line block ×4, first 2 shown]
	v_add_f32_e32 v36, v36, v38
	v_sub_f32_e32 v38, v39, v41
	v_add_f32_e32 v36, v38, v36
	v_add_f32_e32 v38, v43, v36
	v_mul_f32_e32 v39, v40, v38
	v_mul_f32_e32 v41, v35, v39
	v_fma_f32 v35, v39, v35, -v41
	v_fmac_f32_e32 v35, v39, v34
	v_sub_f32_e32 v34, v43, v38
	v_add_f32_e32 v34, v36, v34
	v_add_f32_e32 v36, v41, v35
	v_sub_f32_e32 v42, v38, v36
	v_sub_f32_e32 v38, v38, v42
	;; [unrolled: 1-line block ×4, first 2 shown]
	v_add_f32_e32 v34, v34, v36
	v_sub_f32_e32 v35, v41, v35
	v_cvt_f32_i32_e32 v33, v33
	v_add_f32_e32 v34, v35, v34
	v_add_f32_e32 v35, v37, v39
	;; [unrolled: 1-line block ×3, first 2 shown]
	v_sub_f32_e32 v36, v35, v37
	v_mul_f32_e32 v34, v40, v34
	v_sub_f32_e32 v36, v39, v36
	v_add_f32_e32 v34, v36, v34
	v_mul_f32_e32 v39, 0x3f317218, v33
	v_add_f32_e32 v36, v35, v34
	v_fma_f32 v40, v33, s48, -v39
	v_mul_f32_e32 v37, v36, v36
	v_mov_b32_e32 v38, 0x3ecc95a3
	v_fmac_f32_e32 v40, 0xb102e308, v33
	v_sub_f32_e32 v33, v36, v35
	v_fmac_f32_e32 v38, 0x3e9b6dac, v37
	v_sub_f32_e32 v33, v34, v33
	v_add_f32_e32 v34, v39, v40
	v_fma_f32 v38, v37, v38, v17
	v_sub_f32_e32 v35, v34, v39
	v_ldexp_f32 v39, v36, 1
	v_mul_f32_e32 v36, v36, v37
	v_mul_f32_e32 v36, v36, v38
	v_add_f32_e32 v37, v39, v36
	v_sub_f32_e32 v38, v37, v39
	v_ldexp_f32 v33, v33, 1
	v_sub_f32_e32 v36, v36, v38
	v_add_f32_e32 v33, v33, v36
	v_add_f32_e32 v36, v37, v33
	v_sub_f32_e32 v37, v36, v37
	v_sub_f32_e32 v33, v33, v37
	v_add_f32_e32 v37, v34, v36
	v_sub_f32_e32 v38, v37, v34
	v_sub_f32_e32 v39, v37, v38
	;; [unrolled: 1-line block ×5, first 2 shown]
	v_add_f32_e32 v34, v36, v34
	v_add_f32_e32 v36, v35, v33
	v_sub_f32_e32 v38, v36, v35
	v_sub_f32_e32 v39, v36, v38
	v_sub_f32_e32 v35, v35, v39
	v_sub_f32_e32 v33, v33, v38
	v_add_f32_e32 v34, v36, v34
	v_add_f32_e32 v33, v33, v35
	;; [unrolled: 1-line block ×3, first 2 shown]
	v_sub_f32_e32 v36, v35, v37
	v_sub_f32_e32 v34, v34, v36
	v_add_f32_e32 v33, v33, v34
	v_add_f32_e32 v33, v35, v33
	v_cmp_neq_f32_e32 vcc, s49, v9
	v_cndmask_b32_e32 v33, v24, v33, vcc
	v_cmp_ngt_f32_e32 vcc, -1.0, v9
	v_cndmask_b32_e32 v33, v25, v33, vcc
	v_cmp_neq_f32_e32 vcc, -1.0, v9
	v_cndmask_b32_e32 v33, v26, v33, vcc
	v_cmp_lt_f32_e64 vcc, |v9|, s50
	v_cndmask_b32_e32 v9, v33, v9, vcc
	v_max_f32_e64 v33, |v14|, |v14|
	v_max_f32_e64 v34, |v13|, |v13|
	v_min_f32_e32 v35, v34, v33
	v_max_f32_e32 v33, v34, v33
	v_frexp_mant_f32_e32 v34, v33
	v_rcp_f32_e32 v34, v34
	v_frexp_exp_i32_f32_e32 v33, v33
	v_frexp_exp_i32_f32_e32 v36, v35
	v_frexp_mant_f32_e32 v35, v35
	v_mul_f32_e32 v34, v35, v34
	v_sub_u32_e32 v33, v36, v33
	v_ldexp_f32 v33, v34, v33
	v_mul_f32_e32 v34, v33, v33
	v_mov_b32_e32 v35, 0xbc7a590c
	v_fmac_f32_e32 v35, 0x3b2d2a58, v34
	v_fma_f32 v35, v34, v35, v18
	v_fma_f32 v35, v34, v35, v19
	;; [unrolled: 1-line block ×6, first 2 shown]
	v_mul_f32_e32 v34, v34, v35
	v_fmac_f32_e32 v33, v33, v34
	v_sub_f32_e32 v34, 0x3fc90fdb, v33
	v_cndmask_b32_e64 v33, v33, v34, s[10:11]
	v_sub_f32_e32 v34, 0x40490fdb, v33
	v_cmp_gt_f32_e32 vcc, 0, v13
	v_cndmask_b32_e32 v33, v33, v34, vcc
	v_cndmask_b32_e64 v34, 0, v27, s[12:13]
	v_cmp_eq_f32_e64 s[12:13], 0, v14
	v_cndmask_b32_e64 v33, v33, v34, s[12:13]
	v_cmp_class_f32_e64 s[12:13], v13, s51
	v_cndmask_b32_e32 v34, v28, v29, vcc
	s_and_b64 vcc, s[34:35], s[12:13]
	v_mul_f32_e32 v9, 0.5, v9
	v_cndmask_b32_e32 v33, v33, v34, vcc
                                        ; implicit-def: $vgpr34
                                        ; implicit-def: $vgpr35
.LBB198_52:                             ;   in Loop: Header=BB198_4 Depth=1
	s_andn2_saveexec_b64 s[30:31], s[30:31]
	s_cbranch_execz .LBB198_60
; %bb.53:                               ;   in Loop: Header=BB198_4 Depth=1
	v_mul_f32_e32 v36, v34, v34
	v_fmac_f32_e32 v36, v35, v35
	v_cmp_ge_f32_e32 vcc, s52, v36
                                        ; implicit-def: $vgpr9
                                        ; implicit-def: $vgpr33
	s_and_saveexec_b64 s[12:13], vcc
	s_xor_b64 s[34:35], exec, s[12:13]
	s_cbranch_execz .LBB198_55
; %bb.54:                               ;   in Loop: Header=BB198_4 Depth=1
	v_cmp_gt_f32_e32 vcc, s53, v36
	v_cndmask_b32_e64 v9, 0, 32, vcc
	v_ldexp_f32 v9, v36, v9
	v_log_f32_e32 v9, v9
	v_cndmask_b32_e32 v33, 0, v30, vcc
	v_cmp_gt_i32_e64 s[12:13], 0, v13
	v_cmp_class_f32_e64 s[36:37], v14, s51
	v_mul_f32_e32 v34, 0x3f317217, v9
	v_fma_f32 v34, v9, s54, -v34
	v_fmac_f32_e32 v34, 0x3377d1cf, v9
	v_fmac_f32_e32 v34, 0x3f317217, v9
	v_cmp_lt_f32_e64 vcc, |v9|, s49
	v_cndmask_b32_e32 v9, v9, v34, vcc
	v_sub_f32_e32 v9, v9, v33
	v_max_f32_e64 v33, |v14|, |v14|
	v_max_f32_e64 v34, |v13|, |v13|
	v_min_f32_e32 v35, v34, v33
	v_max_f32_e32 v33, v34, v33
	v_frexp_mant_f32_e32 v34, v33
	v_rcp_f32_e32 v34, v34
	v_frexp_exp_i32_f32_e32 v33, v33
	v_frexp_exp_i32_f32_e32 v36, v35
	v_frexp_mant_f32_e32 v35, v35
	v_mul_f32_e32 v34, v35, v34
	v_sub_u32_e32 v33, v36, v33
	v_ldexp_f32 v33, v34, v33
	v_mul_f32_e32 v34, v33, v33
	v_mov_b32_e32 v35, 0xbc7a590c
	v_fmac_f32_e32 v35, 0x3b2d2a58, v34
	v_fma_f32 v35, v34, v35, v18
	v_fma_f32 v35, v34, v35, v19
	;; [unrolled: 1-line block ×6, first 2 shown]
	v_mul_f32_e32 v34, v34, v35
	v_fmac_f32_e32 v33, v33, v34
	v_sub_f32_e32 v34, 0x3fc90fdb, v33
	v_cndmask_b32_e64 v33, v33, v34, s[10:11]
	v_sub_f32_e32 v34, 0x40490fdb, v33
	v_cmp_gt_f32_e32 vcc, 0, v13
	v_cndmask_b32_e32 v33, v33, v34, vcc
	v_cndmask_b32_e64 v34, 0, v27, s[12:13]
	v_cmp_eq_f32_e64 s[12:13], 0, v14
	v_cndmask_b32_e64 v33, v33, v34, s[12:13]
	v_cmp_class_f32_e64 s[12:13], v13, s51
	v_cndmask_b32_e32 v34, v28, v29, vcc
	s_and_b64 vcc, s[36:37], s[12:13]
	v_mul_f32_e32 v9, 0.5, v9
	v_cndmask_b32_e32 v33, v33, v34, vcc
                                        ; implicit-def: $vgpr35
                                        ; implicit-def: $vgpr34
.LBB198_55:                             ;   in Loop: Header=BB198_4 Depth=1
	s_andn2_saveexec_b64 s[34:35], s[34:35]
	s_cbranch_execz .LBB198_59
; %bb.56:                               ;   in Loop: Header=BB198_4 Depth=1
	v_and_b32_e32 v36, 0x7fff0000, v35
	v_sub_f32_e32 v9, v35, v36
	v_and_b32_e32 v40, 0xffff0000, v9
	v_and_b32_e32 v35, 0x7fff0000, v34
	v_sub_f32_e32 v42, v9, v40
	v_sub_f32_e32 v9, v34, v35
	v_and_b32_e32 v41, 0xffff0000, v9
	v_add_f32_e32 v37, v36, v36
	v_add_f32_e32 v44, v35, v35
	v_sub_f32_e32 v43, v9, v41
	v_mul_f32_e32 v9, v36, v36
	v_mul_f32_e32 v33, v35, v35
	;; [unrolled: 1-line block ×6, first 2 shown]
	v_add_f32_e32 v40, v40, v40
	v_add_f32_e32 v41, v41, v41
	v_mul_f32_e32 v38, v37, v42
	v_mul_f32_e32 v37, v44, v43
	;; [unrolled: 1-line block ×6, first 2 shown]
	s_mov_b64 s[36:37], 0
.LBB198_57:                             ;   Parent Loop BB198_4 Depth=1
                                        ; =>  This Inner Loop Header: Depth=2
	v_cmp_nlt_f32_e32 vcc, v9, v33
	v_mov_b32_e32 v44, v43
	v_cndmask_b32_e32 v43, v9, v33, vcc
	v_cmp_nlt_f32_e64 s[12:13], v43, v36
	v_cndmask_b32_e64 v45, v43, v36, s[12:13]
	v_cndmask_b32_e32 v9, v33, v9, vcc
	s_and_b64 s[58:59], vcc, s[12:13]
	v_cmp_nlt_f32_e32 vcc, v45, v35
	v_cndmask_b32_e64 v33, v36, v43, s[12:13]
	v_cndmask_b32_e32 v43, v45, v35, vcc
	v_cmp_nlt_f32_e64 s[12:13], v43, v39
	v_cndmask_b32_e32 v36, v35, v45, vcc
	v_cndmask_b32_e64 v45, v43, v39, s[12:13]
	s_and_b64 s[60:61], vcc, s[12:13]
	v_cmp_nlt_f32_e32 vcc, v45, v34
	v_cndmask_b32_e64 v35, v39, v43, s[12:13]
	v_cndmask_b32_e32 v43, v45, v34, vcc
	v_cmp_nlt_f32_e64 s[12:13], v43, v38
	v_cndmask_b32_e32 v39, v34, v45, vcc
	v_cndmask_b32_e64 v45, v43, v38, s[12:13]
	v_cndmask_b32_e64 v34, v38, v43, s[12:13]
	s_and_b64 s[12:13], vcc, s[12:13]
	v_cmp_nlt_f32_e32 vcc, v45, v37
	v_cndmask_b32_e32 v43, v45, v37, vcc
	v_cndmask_b32_e32 v38, v37, v45, vcc
	s_and_b64 s[12:13], s[12:13], vcc
	v_cmp_nlt_f32_e32 vcc, v43, v40
	v_cndmask_b32_e32 v45, v43, v40, vcc
	v_cndmask_b32_e32 v37, v40, v43, vcc
	s_and_b64 s[12:13], s[12:13], vcc
	;; [unrolled: 4-line block ×4, first 2 shown]
	v_cmp_nlt_f32_e32 vcc, v45, v44
	s_and_b64 s[12:13], s[12:13], vcc
	s_and_b64 s[12:13], s[12:13], s[60:61]
	s_and_b64 s[12:13], s[12:13], s[58:59]
	s_and_b64 s[12:13], exec, s[12:13]
	v_cndmask_b32_e32 v43, v45, v44, vcc
	s_or_b64 s[36:37], s[12:13], s[36:37]
	v_cndmask_b32_e32 v42, v44, v45, vcc
	s_andn2_b64 exec, exec, s[36:37]
	s_cbranch_execnz .LBB198_57
; %bb.58:                               ;   in Loop: Header=BB198_4 Depth=1
	s_or_b64 exec, exec, s[36:37]
	v_add_f32_e32 v9, -1.0, v9
	v_add_f32_e32 v9, v9, v33
	v_add_f32_e32 v9, v9, v36
	v_add_f32_e32 v9, v9, v35
	v_add_f32_e32 v9, v9, v39
	v_add_f32_e32 v9, v9, v34
	v_add_f32_e32 v9, v9, v38
	v_add_f32_e32 v9, v9, v37
	v_add_f32_e32 v9, v9, v40
	v_add_f32_e32 v9, v9, v41
	v_add_f32_e32 v9, v9, v42
	v_add_f32_e32 v9, v43, v9
	v_add_f32_e32 v35, 1.0, v9
	v_cvt_f64_f32_e32 v[33:34], v35
	v_add_f32_e32 v36, -1.0, v35
	v_sub_f32_e32 v37, v36, v35
	v_sub_f32_e32 v36, v9, v36
	v_frexp_exp_i32_f64_e32 v33, v[33:34]
	v_frexp_mant_f32_e32 v34, v35
	v_cmp_gt_f32_e32 vcc, s47, v34
	v_add_f32_e32 v37, 1.0, v37
	v_add_f32_e32 v36, v36, v37
	v_cmp_gt_i32_e64 s[12:13], 0, v13
	v_cmp_class_f32_e64 s[36:37], v14, s51
	v_subbrev_co_u32_e32 v33, vcc, 0, v33, vcc
	v_sub_u32_e32 v34, 0, v33
	v_ldexp_f32 v35, v35, v34
	v_ldexp_f32 v34, v36, v34
	v_add_f32_e32 v36, -1.0, v35
	v_add_f32_e32 v37, 1.0, v35
	v_add_f32_e32 v38, 1.0, v36
	v_add_f32_e32 v40, -1.0, v37
	v_sub_f32_e32 v38, v35, v38
	v_sub_f32_e32 v35, v35, v40
	v_add_f32_e32 v38, v34, v38
	v_add_f32_e32 v34, v34, v35
	;; [unrolled: 1-line block ×3, first 2 shown]
	v_rcp_f32_e32 v40, v35
	v_add_f32_e32 v39, v36, v38
	v_sub_f32_e32 v37, v35, v37
	v_sub_f32_e32 v36, v39, v36
	;; [unrolled: 1-line block ×3, first 2 shown]
	v_mul_f32_e32 v37, v39, v40
	v_sub_f32_e32 v36, v38, v36
	v_mul_f32_e32 v38, v35, v37
	v_fma_f32 v41, v37, v35, -v38
	v_fmac_f32_e32 v41, v37, v34
	v_add_f32_e32 v42, v38, v41
	v_sub_f32_e32 v43, v39, v42
	v_sub_f32_e32 v39, v39, v43
	;; [unrolled: 1-line block ×4, first 2 shown]
	v_add_f32_e32 v36, v36, v39
	v_sub_f32_e32 v38, v38, v41
	v_add_f32_e32 v36, v38, v36
	v_add_f32_e32 v38, v43, v36
	v_mul_f32_e32 v39, v40, v38
	v_mul_f32_e32 v41, v35, v39
	v_fma_f32 v35, v39, v35, -v41
	v_fmac_f32_e32 v35, v39, v34
	v_sub_f32_e32 v34, v43, v38
	v_add_f32_e32 v34, v36, v34
	v_add_f32_e32 v36, v41, v35
	v_sub_f32_e32 v42, v38, v36
	v_sub_f32_e32 v38, v38, v42
	;; [unrolled: 1-line block ×4, first 2 shown]
	v_add_f32_e32 v34, v34, v36
	v_sub_f32_e32 v35, v41, v35
	v_cvt_f32_i32_e32 v33, v33
	v_add_f32_e32 v34, v35, v34
	v_add_f32_e32 v35, v37, v39
	;; [unrolled: 1-line block ×3, first 2 shown]
	v_sub_f32_e32 v36, v35, v37
	v_mul_f32_e32 v34, v40, v34
	v_sub_f32_e32 v36, v39, v36
	v_add_f32_e32 v34, v36, v34
	v_mul_f32_e32 v39, 0x3f317218, v33
	v_add_f32_e32 v36, v35, v34
	v_fma_f32 v40, v33, s48, -v39
	v_mul_f32_e32 v37, v36, v36
	v_mov_b32_e32 v38, 0x3ecc95a3
	v_fmac_f32_e32 v40, 0xb102e308, v33
	v_sub_f32_e32 v33, v36, v35
	v_fmac_f32_e32 v38, 0x3e9b6dac, v37
	v_sub_f32_e32 v33, v34, v33
	v_add_f32_e32 v34, v39, v40
	v_fma_f32 v38, v37, v38, v17
	v_sub_f32_e32 v35, v34, v39
	v_ldexp_f32 v39, v36, 1
	v_mul_f32_e32 v36, v36, v37
	v_mul_f32_e32 v36, v36, v38
	v_add_f32_e32 v37, v39, v36
	v_sub_f32_e32 v38, v37, v39
	v_ldexp_f32 v33, v33, 1
	v_sub_f32_e32 v36, v36, v38
	v_add_f32_e32 v33, v33, v36
	v_add_f32_e32 v36, v37, v33
	v_sub_f32_e32 v37, v36, v37
	v_sub_f32_e32 v33, v33, v37
	v_add_f32_e32 v37, v34, v36
	v_sub_f32_e32 v38, v37, v34
	v_sub_f32_e32 v39, v37, v38
	v_sub_f32_e32 v35, v40, v35
	v_sub_f32_e32 v34, v34, v39
	v_sub_f32_e32 v36, v36, v38
	v_add_f32_e32 v34, v36, v34
	v_add_f32_e32 v36, v35, v33
	v_sub_f32_e32 v38, v36, v35
	v_sub_f32_e32 v39, v36, v38
	v_sub_f32_e32 v35, v35, v39
	v_sub_f32_e32 v33, v33, v38
	v_add_f32_e32 v34, v36, v34
	v_add_f32_e32 v33, v33, v35
	;; [unrolled: 1-line block ×3, first 2 shown]
	v_sub_f32_e32 v36, v35, v37
	v_sub_f32_e32 v34, v34, v36
	v_add_f32_e32 v33, v33, v34
	v_add_f32_e32 v33, v35, v33
	v_cmp_neq_f32_e32 vcc, s49, v9
	v_cndmask_b32_e32 v33, v24, v33, vcc
	v_cmp_ngt_f32_e32 vcc, -1.0, v9
	v_cndmask_b32_e32 v33, v25, v33, vcc
	v_cmp_neq_f32_e32 vcc, -1.0, v9
	v_cndmask_b32_e32 v33, v26, v33, vcc
	v_cmp_lt_f32_e64 vcc, |v9|, s50
	v_cndmask_b32_e32 v9, v33, v9, vcc
	v_max_f32_e64 v33, |v14|, |v14|
	v_max_f32_e64 v34, |v13|, |v13|
	v_min_f32_e32 v35, v34, v33
	v_max_f32_e32 v33, v34, v33
	v_frexp_mant_f32_e32 v34, v33
	v_rcp_f32_e32 v34, v34
	v_frexp_exp_i32_f32_e32 v33, v33
	v_frexp_exp_i32_f32_e32 v36, v35
	v_frexp_mant_f32_e32 v35, v35
	v_mul_f32_e32 v34, v35, v34
	v_sub_u32_e32 v33, v36, v33
	v_ldexp_f32 v33, v34, v33
	v_mul_f32_e32 v34, v33, v33
	v_mov_b32_e32 v35, 0xbc7a590c
	v_fmac_f32_e32 v35, 0x3b2d2a58, v34
	v_fma_f32 v35, v34, v35, v18
	v_fma_f32 v35, v34, v35, v19
	;; [unrolled: 1-line block ×6, first 2 shown]
	v_mul_f32_e32 v34, v34, v35
	v_fmac_f32_e32 v33, v33, v34
	v_sub_f32_e32 v34, 0x3fc90fdb, v33
	v_cndmask_b32_e64 v33, v33, v34, s[10:11]
	v_sub_f32_e32 v34, 0x40490fdb, v33
	v_cmp_gt_f32_e32 vcc, 0, v13
	v_cndmask_b32_e32 v33, v33, v34, vcc
	v_cndmask_b32_e64 v34, 0, v27, s[12:13]
	v_cmp_eq_f32_e64 s[12:13], 0, v14
	v_cndmask_b32_e64 v33, v33, v34, s[12:13]
	v_cmp_class_f32_e64 s[12:13], v13, s51
	v_cndmask_b32_e32 v34, v28, v29, vcc
	s_and_b64 vcc, s[36:37], s[12:13]
	v_mul_f32_e32 v9, 0.5, v9
	v_cndmask_b32_e32 v33, v33, v34, vcc
.LBB198_59:                             ;   in Loop: Header=BB198_4 Depth=1
	s_or_b64 exec, exec, s[34:35]
.LBB198_60:                             ;   in Loop: Header=BB198_4 Depth=1
	s_or_b64 exec, exec, s[30:31]
.LBB198_61:                             ;   in Loop: Header=BB198_4 Depth=1
	s_andn2_saveexec_b64 s[28:29], s[28:29]
	s_cbranch_execz .LBB198_63
; %bb.62:                               ;   in Loop: Header=BB198_4 Depth=1
	v_max_f32_e64 v9, |v14|, |v14|
	v_max_f32_e64 v35, |v13|, |v13|
	v_max_f32_e32 v36, v35, v9
	v_cvt_f64_f32_e32 v[33:34], v36
	v_min_f32_e32 v9, v35, v9
	v_frexp_mant_f32_e32 v35, v36
	v_rcp_f32_e32 v35, v35
	v_frexp_exp_i32_f64_e32 v33, v[33:34]
	v_cmp_neq_f32_e32 vcc, s49, v36
	v_frexp_exp_i32_f32_e32 v37, v9
	v_frexp_mant_f32_e32 v9, v9
	v_mul_f32_e32 v9, v9, v35
	v_frexp_exp_i32_f32_e32 v34, v36
	v_sub_u32_e32 v34, v37, v34
	v_ldexp_f32 v34, v9, v34
	v_sub_u32_e32 v38, 0, v33
	v_ldexp_f32 v39, |v13|, v38
	v_ldexp_f32 v38, |v14|, v38
	v_mul_f32_e32 v38, v38, v38
	v_fmac_f32_e32 v38, v39, v39
	v_sqrt_f32_e32 v38, v38
	v_cmp_gt_i32_e64 s[12:13], 0, v13
	v_cmp_class_f32_e64 s[30:31], v14, s51
	v_ldexp_f32 v33, v38, v33
	v_cndmask_b32_e32 v33, v24, v33, vcc
	v_cmp_gt_f32_e32 vcc, s53, v33
	v_cndmask_b32_e64 v35, 0, 32, vcc
	v_ldexp_f32 v33, v33, v35
	v_log_f32_e32 v33, v33
	v_cndmask_b32_e32 v9, 0, v30, vcc
	v_mul_f32_e32 v35, v34, v34
	v_mul_f32_e32 v36, 0x3f317217, v33
	v_fma_f32 v36, v33, s54, -v36
	v_fmac_f32_e32 v36, 0x3377d1cf, v33
	v_fmac_f32_e32 v36, 0x3f317217, v33
	v_cmp_lt_f32_e64 vcc, |v33|, s49
	v_cndmask_b32_e32 v33, v33, v36, vcc
	v_sub_f32_e32 v9, v33, v9
	v_mov_b32_e32 v33, 0xbc7a590c
	v_fmac_f32_e32 v33, 0x3b2d2a58, v35
	v_fma_f32 v33, v35, v33, v18
	v_fma_f32 v33, v35, v33, v19
	;; [unrolled: 1-line block ×6, first 2 shown]
	v_mul_f32_e32 v33, v35, v33
	v_fmac_f32_e32 v34, v34, v33
	v_sub_f32_e32 v33, 0x3fc90fdb, v34
	v_cndmask_b32_e64 v33, v34, v33, s[10:11]
	v_sub_f32_e32 v34, 0x40490fdb, v33
	v_cmp_gt_f32_e32 vcc, 0, v13
	v_cndmask_b32_e32 v33, v33, v34, vcc
	v_cndmask_b32_e64 v34, 0, v27, s[12:13]
	v_cmp_eq_f32_e64 s[12:13], 0, v14
	v_cndmask_b32_e64 v33, v33, v34, s[12:13]
	v_cmp_class_f32_e64 s[12:13], v13, s51
	v_cndmask_b32_e32 v34, v28, v29, vcc
	s_and_b64 vcc, s[30:31], s[12:13]
	v_cndmask_b32_e32 v33, v33, v34, vcc
.LBB198_63:                             ;   in Loop: Header=BB198_4 Depth=1
	s_or_b64 exec, exec, s[28:29]
                                        ; implicit-def: $vgpr34
.LBB198_64:                             ;   in Loop: Header=BB198_4 Depth=1
	s_andn2_saveexec_b64 s[26:27], s[26:27]
	s_cbranch_execz .LBB198_70
; %bb.65:                               ;   in Loop: Header=BB198_4 Depth=1
	v_cmp_ngt_f32_e32 vcc, s55, v34
                                        ; implicit-def: $vgpr9
                                        ; implicit-def: $vgpr33
	s_and_saveexec_b64 s[12:13], vcc
	s_xor_b64 s[28:29], exec, s[12:13]
	s_cbranch_execz .LBB198_67
; %bb.66:                               ;   in Loop: Header=BB198_4 Depth=1
	v_mul_f32_e32 v9, v34, v34
	v_add_f32_e32 v35, 1.0, v9
	v_cvt_f64_f32_e32 v[33:34], v35
	v_add_f32_e32 v36, -1.0, v35
	v_sub_f32_e32 v37, v36, v35
	v_sub_f32_e32 v36, v9, v36
	v_frexp_exp_i32_f64_e32 v33, v[33:34]
	v_frexp_mant_f32_e32 v34, v35
	v_cmp_gt_f32_e32 vcc, s47, v34
	v_add_f32_e32 v37, 1.0, v37
	v_add_f32_e32 v36, v36, v37
	v_cmp_gt_i32_e64 s[12:13], 0, v13
	v_cmp_class_f32_e64 s[30:31], v14, s51
	v_subbrev_co_u32_e32 v33, vcc, 0, v33, vcc
	v_sub_u32_e32 v34, 0, v33
	v_ldexp_f32 v35, v35, v34
	v_ldexp_f32 v34, v36, v34
	v_add_f32_e32 v36, -1.0, v35
	v_add_f32_e32 v37, 1.0, v35
	v_add_f32_e32 v38, 1.0, v36
	v_add_f32_e32 v40, -1.0, v37
	v_sub_f32_e32 v38, v35, v38
	v_sub_f32_e32 v35, v35, v40
	v_add_f32_e32 v38, v34, v38
	v_add_f32_e32 v34, v34, v35
	;; [unrolled: 1-line block ×3, first 2 shown]
	v_rcp_f32_e32 v40, v35
	v_add_f32_e32 v39, v36, v38
	v_sub_f32_e32 v37, v37, v35
	v_sub_f32_e32 v36, v36, v39
	v_add_f32_e32 v34, v34, v37
	v_mul_f32_e32 v37, v39, v40
	v_add_f32_e32 v36, v38, v36
	v_mul_f32_e32 v38, v35, v37
	v_fma_f32 v41, v37, v35, -v38
	v_fmac_f32_e32 v41, v37, v34
	v_add_f32_e32 v42, v38, v41
	v_sub_f32_e32 v43, v39, v42
	v_sub_f32_e32 v39, v39, v43
	;; [unrolled: 1-line block ×4, first 2 shown]
	v_add_f32_e32 v36, v36, v39
	v_sub_f32_e32 v38, v38, v41
	v_add_f32_e32 v36, v38, v36
	v_add_f32_e32 v38, v43, v36
	v_mul_f32_e32 v39, v40, v38
	v_mul_f32_e32 v41, v35, v39
	v_fma_f32 v35, v39, v35, -v41
	v_fmac_f32_e32 v35, v39, v34
	v_sub_f32_e32 v34, v43, v38
	v_add_f32_e32 v34, v36, v34
	v_add_f32_e32 v36, v41, v35
	v_sub_f32_e32 v42, v38, v36
	v_sub_f32_e32 v38, v38, v42
	;; [unrolled: 1-line block ×4, first 2 shown]
	v_add_f32_e32 v34, v34, v36
	v_sub_f32_e32 v35, v41, v35
	v_cvt_f32_i32_e32 v33, v33
	v_add_f32_e32 v34, v35, v34
	v_add_f32_e32 v35, v37, v39
	;; [unrolled: 1-line block ×3, first 2 shown]
	v_sub_f32_e32 v36, v35, v37
	v_mul_f32_e32 v34, v40, v34
	v_sub_f32_e32 v36, v39, v36
	v_add_f32_e32 v34, v36, v34
	v_mul_f32_e32 v39, 0x3f317218, v33
	v_add_f32_e32 v36, v35, v34
	v_fma_f32 v40, v33, s48, -v39
	v_mul_f32_e32 v37, v36, v36
	v_mov_b32_e32 v38, 0x3ecc95a3
	v_fmac_f32_e32 v40, 0xb102e308, v33
	v_sub_f32_e32 v33, v36, v35
	v_fmac_f32_e32 v38, 0x3e9b6dac, v37
	v_sub_f32_e32 v33, v34, v33
	v_add_f32_e32 v34, v39, v40
	v_fma_f32 v38, v37, v38, v17
	v_sub_f32_e32 v35, v34, v39
	v_ldexp_f32 v39, v36, 1
	v_mul_f32_e32 v36, v36, v37
	v_mul_f32_e32 v36, v36, v38
	v_add_f32_e32 v37, v39, v36
	v_sub_f32_e32 v38, v37, v39
	v_ldexp_f32 v33, v33, 1
	v_sub_f32_e32 v36, v36, v38
	v_add_f32_e32 v33, v33, v36
	v_add_f32_e32 v36, v37, v33
	v_sub_f32_e32 v37, v36, v37
	v_sub_f32_e32 v33, v33, v37
	v_add_f32_e32 v37, v34, v36
	v_sub_f32_e32 v38, v37, v34
	v_sub_f32_e32 v39, v37, v38
	;; [unrolled: 1-line block ×5, first 2 shown]
	v_add_f32_e32 v34, v36, v34
	v_add_f32_e32 v36, v35, v33
	v_sub_f32_e32 v38, v36, v35
	v_sub_f32_e32 v39, v36, v38
	;; [unrolled: 1-line block ×4, first 2 shown]
	v_add_f32_e32 v34, v36, v34
	v_add_f32_e32 v33, v33, v35
	;; [unrolled: 1-line block ×3, first 2 shown]
	v_sub_f32_e32 v36, v35, v37
	v_sub_f32_e32 v34, v34, v36
	v_add_f32_e32 v33, v33, v34
	v_add_f32_e32 v33, v35, v33
	v_cmp_neq_f32_e32 vcc, s49, v9
	v_cndmask_b32_e32 v33, v24, v33, vcc
	v_cmp_lt_f32_e64 vcc, |v9|, s50
	v_cndmask_b32_e32 v9, v33, v9, vcc
	v_max_f32_e64 v33, |v14|, |v14|
	v_max_f32_e64 v34, |v13|, |v13|
	v_min_f32_e32 v35, v34, v33
	v_max_f32_e32 v33, v34, v33
	v_frexp_mant_f32_e32 v34, v33
	v_rcp_f32_e32 v34, v34
	v_frexp_exp_i32_f32_e32 v33, v33
	v_frexp_exp_i32_f32_e32 v36, v35
	v_frexp_mant_f32_e32 v35, v35
	v_mul_f32_e32 v34, v35, v34
	v_sub_u32_e32 v33, v36, v33
	v_ldexp_f32 v33, v34, v33
	v_mul_f32_e32 v34, v33, v33
	v_mov_b32_e32 v35, 0xbc7a590c
	v_fmac_f32_e32 v35, 0x3b2d2a58, v34
	v_fma_f32 v35, v34, v35, v18
	v_fma_f32 v35, v34, v35, v19
	;; [unrolled: 1-line block ×6, first 2 shown]
	v_mul_f32_e32 v34, v34, v35
	v_fmac_f32_e32 v33, v33, v34
	v_sub_f32_e32 v34, 0x3fc90fdb, v33
	v_cndmask_b32_e64 v33, v33, v34, s[10:11]
	v_sub_f32_e32 v34, 0x40490fdb, v33
	v_cmp_gt_f32_e32 vcc, 0, v13
	v_cndmask_b32_e32 v33, v33, v34, vcc
	v_cndmask_b32_e64 v34, 0, v27, s[12:13]
	v_cmp_eq_f32_e64 s[12:13], 0, v14
	v_cndmask_b32_e64 v33, v33, v34, s[12:13]
	v_cmp_class_f32_e64 s[12:13], v13, s51
	v_cndmask_b32_e32 v34, v28, v29, vcc
	s_and_b64 vcc, s[30:31], s[12:13]
	v_mul_f32_e32 v9, 0.5, v9
	v_cndmask_b32_e32 v33, v33, v34, vcc
                                        ; implicit-def: $vgpr34
.LBB198_67:                             ;   in Loop: Header=BB198_4 Depth=1
	s_andn2_saveexec_b64 s[28:29], s[28:29]
	s_cbranch_execz .LBB198_69
; %bb.68:                               ;   in Loop: Header=BB198_4 Depth=1
	v_mul_f32_e32 v9, 0.5, v34
	v_mul_f32_e32 v9, v34, v9
	v_max_f32_e64 v33, |v14|, |v14|
	v_max_f32_e64 v34, |v13|, |v13|
	v_min_f32_e32 v35, v34, v33
	v_max_f32_e32 v33, v34, v33
	v_frexp_mant_f32_e32 v34, v33
	v_rcp_f32_e32 v34, v34
	v_frexp_exp_i32_f32_e32 v33, v33
	v_frexp_exp_i32_f32_e32 v36, v35
	v_frexp_mant_f32_e32 v35, v35
	v_mul_f32_e32 v34, v35, v34
	v_sub_u32_e32 v33, v36, v33
	v_ldexp_f32 v33, v34, v33
	v_mul_f32_e32 v34, v33, v33
	v_mov_b32_e32 v35, 0xbc7a590c
	v_fmac_f32_e32 v35, 0x3b2d2a58, v34
	v_fma_f32 v35, v34, v35, v18
	v_fma_f32 v35, v34, v35, v19
	;; [unrolled: 1-line block ×6, first 2 shown]
	v_mul_f32_e32 v34, v34, v35
	v_fmac_f32_e32 v33, v33, v34
	v_sub_f32_e32 v34, 0x3fc90fdb, v33
	v_cndmask_b32_e64 v33, v33, v34, s[10:11]
	v_sub_f32_e32 v34, 0x40490fdb, v33
	v_cmp_gt_f32_e32 vcc, 0, v13
	v_cmp_gt_i32_e64 s[12:13], 0, v13
	v_cndmask_b32_e32 v33, v33, v34, vcc
	v_cndmask_b32_e64 v34, 0, v27, s[12:13]
	v_cmp_eq_f32_e64 s[12:13], 0, v14
	v_cndmask_b32_e64 v33, v33, v34, s[12:13]
	v_cmp_class_f32_e64 s[12:13], v13, s51
	v_cmp_class_f32_e64 s[30:31], v14, s51
	v_cndmask_b32_e32 v34, v28, v29, vcc
	s_and_b64 vcc, s[30:31], s[12:13]
	v_cndmask_b32_e32 v33, v33, v34, vcc
.LBB198_69:                             ;   in Loop: Header=BB198_4 Depth=1
	s_or_b64 exec, exec, s[28:29]
.LBB198_70:                             ;   in Loop: Header=BB198_4 Depth=1
	s_or_b64 exec, exec, s[26:27]
.LBB198_71:                             ;   in Loop: Header=BB198_4 Depth=1
	s_andn2_saveexec_b64 s[24:25], s[24:25]
	s_cbranch_execz .LBB198_73
; %bb.72:                               ;   in Loop: Header=BB198_4 Depth=1
	v_div_scale_f32 v9, s[12:13], s56, s56, v13
	v_div_scale_f32 v33, s[12:13], s56, s56, v14
	v_div_scale_f32 v34, vcc, v13, s56, v13
	v_div_scale_f32 v35, s[12:13], v14, s56, v14
	v_rcp_f32_e32 v36, v9
	v_rcp_f32_e32 v37, v33
	v_fma_f32 v38, -v9, v36, 1.0
	v_fmac_f32_e32 v36, v38, v36
	v_fma_f32 v39, -v33, v37, 1.0
	v_fmac_f32_e32 v37, v39, v37
	v_mul_f32_e32 v38, v34, v36
	v_mul_f32_e32 v39, v35, v37
	v_fma_f32 v40, -v9, v38, v34
	v_fma_f32 v41, -v33, v39, v35
	v_fmac_f32_e32 v38, v40, v36
	v_fmac_f32_e32 v39, v41, v37
	v_fma_f32 v9, -v9, v38, v34
	v_fma_f32 v33, -v33, v39, v35
	v_div_fmas_f32 v9, v9, v36, v38
	s_mov_b64 vcc, s[12:13]
	v_div_fmas_f32 v33, v33, v37, v39
	v_max_f32_e64 v34, |v14|, |v14|
	v_max_f32_e64 v35, |v13|, |v13|
	v_min_f32_e32 v37, v35, v34
	v_max_f32_e32 v34, v35, v34
	v_frexp_exp_i32_f32_e32 v35, v34
	v_frexp_exp_i32_f32_e32 v38, v37
	v_sub_u32_e32 v35, v38, v35
	v_frexp_mant_f32_e32 v34, v34
	v_rcp_f32_e32 v39, v34
	v_frexp_mant_f32_e32 v37, v37
	v_mov_b32_e32 v36, 0xbc7a590c
	v_cmp_class_f32_e64 s[12:13], v14, s51
	v_mul_f32_e32 v37, v37, v39
	v_div_fixup_f32 v9, v9, s56, v13
	v_ldexp_f32 v35, v37, v35
	v_div_fixup_f32 v38, v33, s56, v14
	v_max_f32_e64 v40, |v9|, |v38|
	v_cvt_f64_f32_e32 v[33:34], v40
	v_mul_f32_e32 v37, v35, v35
	v_fmac_f32_e32 v36, 0x3b2d2a58, v37
	v_cmp_neq_f32_e32 vcc, s49, v40
	v_frexp_exp_i32_f64_e32 v33, v[33:34]
	v_fma_f32 v34, v37, v36, v18
	v_fma_f32 v34, v37, v34, v19
	;; [unrolled: 1-line block ×6, first 2 shown]
	v_mul_f32_e32 v34, v37, v34
	v_sub_u32_e32 v36, 0, v33
	v_ldexp_f32 v9, |v9|, v36
	v_ldexp_f32 v36, |v38|, v36
	v_mul_f32_e32 v36, v36, v36
	v_fmac_f32_e32 v36, v9, v9
	v_sqrt_f32_e32 v9, v36
	v_fmac_f32_e32 v35, v35, v34
	v_sub_f32_e32 v34, 0x3fc90fdb, v35
	v_ldexp_f32 v9, v9, v33
	v_cndmask_b32_e32 v9, v24, v9, vcc
	v_cmp_gt_f32_e32 vcc, s53, v9
	v_cndmask_b32_e64 v33, 0, 32, vcc
	v_ldexp_f32 v9, v9, v33
	v_log_f32_e32 v9, v9
	v_cndmask_b32_e64 v33, v35, v34, s[10:11]
	v_cndmask_b32_e32 v35, 0, v30, vcc
	v_sub_f32_e32 v34, 0x40490fdb, v33
	v_mul_f32_e32 v36, 0x3f317217, v9
	v_fma_f32 v36, v9, s54, -v36
	v_fmac_f32_e32 v36, 0x3377d1cf, v9
	v_fmac_f32_e32 v36, 0x3f317217, v9
	v_cmp_lt_f32_e64 vcc, |v9|, s49
	v_cndmask_b32_e32 v9, v9, v36, vcc
	v_cmp_gt_f32_e32 vcc, 0, v13
	v_cmp_gt_i32_e64 s[10:11], 0, v13
	v_cndmask_b32_e32 v33, v33, v34, vcc
	v_cndmask_b32_e64 v34, 0, v27, s[10:11]
	v_cmp_eq_f32_e64 s[10:11], 0, v14
	v_cndmask_b32_e64 v33, v33, v34, s[10:11]
	v_cmp_class_f32_e64 s[10:11], v13, s51
	v_sub_f32_e32 v9, v9, v35
	v_cndmask_b32_e32 v34, v28, v29, vcc
	s_and_b64 vcc, s[12:13], s[10:11]
	v_add_f32_e32 v9, 1.0, v9
	v_cndmask_b32_e32 v33, v33, v34, vcc
.LBB198_73:                             ;   in Loop: Header=BB198_4 Depth=1
	s_or_b64 exec, exec, s[24:25]
.LBB198_74:                             ;   in Loop: Header=BB198_4 Depth=1
	s_andn2_saveexec_b64 s[10:11], s[22:23]
	s_cbranch_execz .LBB198_80
; %bb.75:                               ;   in Loop: Header=BB198_4 Depth=1
	v_cmp_nlt_f32_e64 s[12:13], |v13|, s57
	v_cmp_nlt_f32_e64 s[22:23], |v14|, s57
	s_or_b64 s[12:13], s[22:23], s[12:13]
                                        ; implicit-def: $vgpr9
	s_and_saveexec_b64 s[22:23], s[12:13]
	s_xor_b64 s[12:13], exec, s[22:23]
; %bb.76:                               ;   in Loop: Header=BB198_4 Depth=1
	v_mul_f32_e32 v9, v13, v13
	v_fmac_f32_e32 v9, v14, v14
; %bb.77:                               ;   in Loop: Header=BB198_4 Depth=1
	s_andn2_saveexec_b64 s[12:13], s[12:13]
; %bb.78:                               ;   in Loop: Header=BB198_4 Depth=1
	v_mul_f32_e32 v9, 4.0, v13
	v_mul_f32_e32 v13, 4.0, v14
	v_mul_f32_e32 v9, v9, v9
	v_fmac_f32_e32 v9, v13, v13
	v_mul_f32_e32 v9, 0x3d800000, v9
; %bb.79:                               ;   in Loop: Header=BB198_4 Depth=1
	s_or_b64 exec, exec, s[12:13]
	v_cmp_gt_f32_e32 vcc, s53, v9
	v_cndmask_b32_e64 v13, 0, 32, vcc
	v_ldexp_f32 v9, v9, v13
	v_log_f32_e32 v9, v9
	v_cndmask_b32_e32 v13, 0, v30, vcc
	v_mul_f32_e32 v33, 0x3f317217, v9
	v_fma_f32 v33, v9, s54, -v33
	v_fmac_f32_e32 v33, 0x3377d1cf, v9
	v_fmac_f32_e32 v33, 0x3f317217, v9
	v_cmp_lt_f32_e64 vcc, |v9|, s49
	v_cndmask_b32_e32 v9, v9, v33, vcc
	v_sub_f32_e32 v9, v9, v13
	v_mov_b32_e32 v33, 0x7fc00000
.LBB198_80:                             ;   in Loop: Header=BB198_4 Depth=1
	s_or_b64 exec, exec, s[10:11]
	v_cmp_o_f32_e32 vcc, v2, v1
                                        ; implicit-def: $vgpr13
                                        ; implicit-def: $vgpr34
	s_and_saveexec_b64 s[10:11], vcc
	s_xor_b64 s[22:23], exec, s[10:11]
	s_cbranch_execz .LBB198_108
; %bb.81:                               ;   in Loop: Header=BB198_4 Depth=1
	v_cmp_lt_f32_e64 s[10:11], |v1|, |v2|
	v_cndmask_b32_e64 v35, |v2|, |v1|, s[10:11]
	v_cmp_nlt_f32_e32 vcc, s44, v35
                                        ; implicit-def: $vgpr13
                                        ; implicit-def: $vgpr34
	s_and_saveexec_b64 s[12:13], vcc
	s_xor_b64 s[24:25], exec, s[12:13]
	s_cbranch_execz .LBB198_105
; %bb.82:                               ;   in Loop: Header=BB198_4 Depth=1
	v_and_b32_e32 v13, 0x7fffffff, v2
	v_cndmask_b32_e64 v36, |v1|, v13, s[10:11]
	v_cmp_neq_f32_e32 vcc, 1.0, v36
                                        ; implicit-def: $vgpr13
                                        ; implicit-def: $vgpr34
	s_and_saveexec_b64 s[12:13], vcc
	s_xor_b64 s[26:27], exec, s[12:13]
	s_cbranch_execz .LBB198_98
; %bb.83:                               ;   in Loop: Header=BB198_4 Depth=1
	v_max_f32_e32 v13, v35, v35
	v_max_f32_e32 v34, v36, v36
	v_min_f32_e32 v37, v34, v13
	v_max_f32_e32 v13, v34, v13
	v_cmp_ngt_f32_e32 vcc, s45, v37
	v_cmp_nlt_f32_e64 s[12:13], s46, v13
	s_and_b64 s[12:13], s[12:13], vcc
                                        ; implicit-def: $vgpr13
                                        ; implicit-def: $vgpr34
	s_and_saveexec_b64 s[28:29], s[12:13]
	s_xor_b64 s[28:29], exec, s[28:29]
	s_cbranch_execz .LBB198_95
; %bb.84:                               ;   in Loop: Header=BB198_4 Depth=1
	v_cmp_le_f32_e32 vcc, 1.0, v36
                                        ; implicit-def: $vgpr13
                                        ; implicit-def: $vgpr34
	s_and_saveexec_b64 s[12:13], vcc
	s_xor_b64 s[30:31], exec, s[12:13]
	s_cbranch_execz .LBB198_86
; %bb.85:                               ;   in Loop: Header=BB198_4 Depth=1
	v_add_f32_e32 v13, -1.0, v36
	v_add_f32_e32 v34, 1.0, v36
	v_mul_f32_e32 v13, v13, v34
	v_fmac_f32_e32 v13, v35, v35
	v_add_f32_e32 v36, 1.0, v13
	v_cvt_f64_f32_e32 v[34:35], v36
	v_add_f32_e32 v37, -1.0, v36
	v_sub_f32_e32 v38, v37, v36
	v_sub_f32_e32 v37, v13, v37
	v_frexp_exp_i32_f64_e32 v34, v[34:35]
	v_frexp_mant_f32_e32 v35, v36
	v_cmp_gt_f32_e32 vcc, s47, v35
	v_add_f32_e32 v38, 1.0, v38
	v_add_f32_e32 v37, v37, v38
	v_cmp_gt_i32_e64 s[12:13], 0, v1
	v_cmp_class_f32_e64 s[34:35], v2, s51
	v_subbrev_co_u32_e32 v34, vcc, 0, v34, vcc
	v_sub_u32_e32 v35, 0, v34
	v_ldexp_f32 v36, v36, v35
	v_ldexp_f32 v35, v37, v35
	v_add_f32_e32 v37, -1.0, v36
	v_add_f32_e32 v40, 1.0, v36
	v_add_f32_e32 v38, 1.0, v37
	v_add_f32_e32 v41, -1.0, v40
	v_sub_f32_e32 v38, v36, v38
	v_sub_f32_e32 v36, v36, v41
	v_add_f32_e32 v38, v35, v38
	v_add_f32_e32 v35, v35, v36
	v_add_f32_e32 v36, v40, v35
	v_rcp_f32_e32 v41, v36
	v_add_f32_e32 v39, v37, v38
	v_sub_f32_e32 v37, v39, v37
	v_sub_f32_e32 v37, v38, v37
	;; [unrolled: 1-line block ×4, first 2 shown]
	v_mul_f32_e32 v38, v39, v41
	v_mul_f32_e32 v40, v36, v38
	v_fma_f32 v42, v38, v36, -v40
	v_fmac_f32_e32 v42, v38, v35
	v_add_f32_e32 v43, v40, v42
	v_sub_f32_e32 v44, v39, v43
	v_sub_f32_e32 v39, v39, v44
	;; [unrolled: 1-line block ×4, first 2 shown]
	v_add_f32_e32 v37, v37, v39
	v_sub_f32_e32 v39, v40, v42
	v_add_f32_e32 v37, v39, v37
	v_add_f32_e32 v39, v44, v37
	v_mul_f32_e32 v40, v41, v39
	v_mul_f32_e32 v42, v36, v40
	v_fma_f32 v36, v40, v36, -v42
	v_fmac_f32_e32 v36, v40, v35
	v_sub_f32_e32 v35, v44, v39
	v_add_f32_e32 v35, v37, v35
	v_add_f32_e32 v37, v42, v36
	v_sub_f32_e32 v43, v39, v37
	v_sub_f32_e32 v39, v39, v43
	;; [unrolled: 1-line block ×4, first 2 shown]
	v_add_f32_e32 v35, v35, v37
	v_sub_f32_e32 v36, v42, v36
	v_cvt_f32_i32_e32 v34, v34
	v_add_f32_e32 v35, v36, v35
	v_add_f32_e32 v36, v38, v40
	;; [unrolled: 1-line block ×3, first 2 shown]
	v_sub_f32_e32 v37, v36, v38
	v_mul_f32_e32 v35, v41, v35
	v_sub_f32_e32 v37, v40, v37
	v_add_f32_e32 v35, v37, v35
	v_mul_f32_e32 v40, 0x3f317218, v34
	v_add_f32_e32 v37, v36, v35
	v_fma_f32 v41, v34, s48, -v40
	v_mul_f32_e32 v38, v37, v37
	v_mov_b32_e32 v39, 0x3ecc95a3
	v_fmac_f32_e32 v41, 0xb102e308, v34
	v_sub_f32_e32 v34, v37, v36
	v_fmac_f32_e32 v39, 0x3e9b6dac, v38
	v_sub_f32_e32 v34, v35, v34
	v_add_f32_e32 v35, v40, v41
	v_fma_f32 v39, v38, v39, v17
	v_sub_f32_e32 v36, v35, v40
	v_ldexp_f32 v40, v37, 1
	v_mul_f32_e32 v37, v37, v38
	v_mul_f32_e32 v37, v37, v39
	v_add_f32_e32 v38, v40, v37
	v_sub_f32_e32 v39, v38, v40
	v_ldexp_f32 v34, v34, 1
	v_sub_f32_e32 v37, v37, v39
	v_add_f32_e32 v34, v34, v37
	v_add_f32_e32 v37, v38, v34
	v_sub_f32_e32 v38, v37, v38
	v_sub_f32_e32 v34, v34, v38
	v_add_f32_e32 v38, v35, v37
	v_sub_f32_e32 v39, v38, v35
	v_sub_f32_e32 v40, v38, v39
	;; [unrolled: 1-line block ×5, first 2 shown]
	v_add_f32_e32 v35, v37, v35
	v_add_f32_e32 v37, v36, v34
	v_sub_f32_e32 v39, v37, v36
	v_sub_f32_e32 v40, v37, v39
	;; [unrolled: 1-line block ×4, first 2 shown]
	v_add_f32_e32 v35, v37, v35
	v_add_f32_e32 v34, v34, v36
	;; [unrolled: 1-line block ×3, first 2 shown]
	v_sub_f32_e32 v37, v36, v38
	v_sub_f32_e32 v35, v35, v37
	v_add_f32_e32 v34, v34, v35
	v_add_f32_e32 v34, v36, v34
	v_cmp_neq_f32_e32 vcc, s49, v13
	v_cndmask_b32_e32 v34, v24, v34, vcc
	v_cmp_ngt_f32_e32 vcc, -1.0, v13
	v_cndmask_b32_e32 v34, v25, v34, vcc
	v_cmp_neq_f32_e32 vcc, -1.0, v13
	v_cndmask_b32_e32 v34, v26, v34, vcc
	v_cmp_lt_f32_e64 vcc, |v13|, s50
	v_cndmask_b32_e32 v13, v34, v13, vcc
	v_max_f32_e64 v34, |v2|, |v2|
	v_max_f32_e64 v35, |v1|, |v1|
	v_min_f32_e32 v36, v35, v34
	v_max_f32_e32 v34, v35, v34
	v_frexp_mant_f32_e32 v35, v34
	v_rcp_f32_e32 v35, v35
	v_frexp_exp_i32_f32_e32 v34, v34
	v_frexp_exp_i32_f32_e32 v37, v36
	v_frexp_mant_f32_e32 v36, v36
	v_mul_f32_e32 v35, v36, v35
	v_sub_u32_e32 v34, v37, v34
	v_ldexp_f32 v34, v35, v34
	v_mul_f32_e32 v35, v34, v34
	v_mov_b32_e32 v36, 0xbc7a590c
	v_fmac_f32_e32 v36, 0x3b2d2a58, v35
	v_fma_f32 v36, v35, v36, v18
	v_fma_f32 v36, v35, v36, v19
	;; [unrolled: 1-line block ×6, first 2 shown]
	v_mul_f32_e32 v35, v35, v36
	v_fmac_f32_e32 v34, v34, v35
	v_sub_f32_e32 v35, 0x3fc90fdb, v34
	v_cndmask_b32_e64 v34, v34, v35, s[10:11]
	v_sub_f32_e32 v35, 0x40490fdb, v34
	v_cmp_gt_f32_e32 vcc, 0, v1
	v_cndmask_b32_e32 v34, v34, v35, vcc
	v_cndmask_b32_e64 v35, 0, v27, s[12:13]
	v_cmp_eq_f32_e64 s[12:13], 0, v2
	v_cndmask_b32_e64 v34, v34, v35, s[12:13]
	v_cmp_class_f32_e64 s[12:13], v1, s51
	v_cndmask_b32_e32 v35, v28, v29, vcc
	s_and_b64 vcc, s[34:35], s[12:13]
	v_mul_f32_e32 v13, 0.5, v13
	v_cndmask_b32_e32 v34, v34, v35, vcc
                                        ; implicit-def: $vgpr35
                                        ; implicit-def: $vgpr36
.LBB198_86:                             ;   in Loop: Header=BB198_4 Depth=1
	s_andn2_saveexec_b64 s[30:31], s[30:31]
	s_cbranch_execz .LBB198_94
; %bb.87:                               ;   in Loop: Header=BB198_4 Depth=1
	v_mul_f32_e32 v37, v35, v35
	v_fmac_f32_e32 v37, v36, v36
	v_cmp_ge_f32_e32 vcc, s52, v37
                                        ; implicit-def: $vgpr13
                                        ; implicit-def: $vgpr34
	s_and_saveexec_b64 s[12:13], vcc
	s_xor_b64 s[34:35], exec, s[12:13]
	s_cbranch_execz .LBB198_89
; %bb.88:                               ;   in Loop: Header=BB198_4 Depth=1
	v_cmp_gt_f32_e32 vcc, s53, v37
	v_cndmask_b32_e64 v13, 0, 32, vcc
	v_ldexp_f32 v13, v37, v13
	v_log_f32_e32 v13, v13
	v_cndmask_b32_e32 v34, 0, v30, vcc
	v_cmp_gt_i32_e64 s[12:13], 0, v1
	v_cmp_class_f32_e64 s[36:37], v2, s51
	v_mul_f32_e32 v35, 0x3f317217, v13
	v_fma_f32 v35, v13, s54, -v35
	v_fmac_f32_e32 v35, 0x3377d1cf, v13
	v_fmac_f32_e32 v35, 0x3f317217, v13
	v_cmp_lt_f32_e64 vcc, |v13|, s49
	v_cndmask_b32_e32 v13, v13, v35, vcc
	v_sub_f32_e32 v13, v13, v34
	v_max_f32_e64 v34, |v2|, |v2|
	v_max_f32_e64 v35, |v1|, |v1|
	v_min_f32_e32 v36, v35, v34
	v_max_f32_e32 v34, v35, v34
	v_frexp_mant_f32_e32 v35, v34
	v_rcp_f32_e32 v35, v35
	v_frexp_exp_i32_f32_e32 v34, v34
	v_frexp_exp_i32_f32_e32 v37, v36
	v_frexp_mant_f32_e32 v36, v36
	v_mul_f32_e32 v35, v36, v35
	v_sub_u32_e32 v34, v37, v34
	v_ldexp_f32 v34, v35, v34
	v_mul_f32_e32 v35, v34, v34
	v_mov_b32_e32 v36, 0xbc7a590c
	v_fmac_f32_e32 v36, 0x3b2d2a58, v35
	v_fma_f32 v36, v35, v36, v18
	v_fma_f32 v36, v35, v36, v19
	;; [unrolled: 1-line block ×6, first 2 shown]
	v_mul_f32_e32 v35, v35, v36
	v_fmac_f32_e32 v34, v34, v35
	v_sub_f32_e32 v35, 0x3fc90fdb, v34
	v_cndmask_b32_e64 v34, v34, v35, s[10:11]
	v_sub_f32_e32 v35, 0x40490fdb, v34
	v_cmp_gt_f32_e32 vcc, 0, v1
	v_cndmask_b32_e32 v34, v34, v35, vcc
	v_cndmask_b32_e64 v35, 0, v27, s[12:13]
	v_cmp_eq_f32_e64 s[12:13], 0, v2
	v_cndmask_b32_e64 v34, v34, v35, s[12:13]
	v_cmp_class_f32_e64 s[12:13], v1, s51
	v_cndmask_b32_e32 v35, v28, v29, vcc
	s_and_b64 vcc, s[36:37], s[12:13]
	v_mul_f32_e32 v13, 0.5, v13
	v_cndmask_b32_e32 v34, v34, v35, vcc
                                        ; implicit-def: $vgpr36
                                        ; implicit-def: $vgpr35
.LBB198_89:                             ;   in Loop: Header=BB198_4 Depth=1
	s_andn2_saveexec_b64 s[34:35], s[34:35]
	s_cbranch_execz .LBB198_93
; %bb.90:                               ;   in Loop: Header=BB198_4 Depth=1
	v_and_b32_e32 v37, 0x7fff0000, v36
	v_sub_f32_e32 v13, v36, v37
	v_and_b32_e32 v41, 0xffff0000, v13
	v_and_b32_e32 v36, 0x7fff0000, v35
	v_sub_f32_e32 v43, v13, v41
	v_sub_f32_e32 v13, v35, v36
	v_and_b32_e32 v42, 0xffff0000, v13
	v_add_f32_e32 v38, v37, v37
	v_add_f32_e32 v45, v36, v36
	v_sub_f32_e32 v44, v13, v42
	v_mul_f32_e32 v13, v37, v37
	v_mul_f32_e32 v34, v36, v36
	v_mul_f32_e32 v37, v38, v41
	v_mul_f32_e32 v36, v45, v42
	v_mul_f32_e32 v40, v41, v41
	v_mul_f32_e32 v35, v42, v42
	v_add_f32_e32 v41, v41, v41
	v_add_f32_e32 v42, v42, v42
	v_mul_f32_e32 v39, v38, v43
	v_mul_f32_e32 v38, v45, v44
	;; [unrolled: 1-line block ×6, first 2 shown]
	s_mov_b64 s[36:37], 0
.LBB198_91:                             ;   Parent Loop BB198_4 Depth=1
                                        ; =>  This Inner Loop Header: Depth=2
	v_cmp_nlt_f32_e32 vcc, v13, v34
	v_mov_b32_e32 v45, v44
	v_cndmask_b32_e32 v44, v13, v34, vcc
	v_cmp_nlt_f32_e64 s[12:13], v44, v37
	v_cndmask_b32_e64 v46, v44, v37, s[12:13]
	v_cndmask_b32_e32 v13, v34, v13, vcc
	s_and_b64 s[58:59], vcc, s[12:13]
	v_cmp_nlt_f32_e32 vcc, v46, v36
	v_cndmask_b32_e64 v34, v37, v44, s[12:13]
	v_cndmask_b32_e32 v44, v46, v36, vcc
	v_cmp_nlt_f32_e64 s[12:13], v44, v40
	v_cndmask_b32_e32 v37, v36, v46, vcc
	v_cndmask_b32_e64 v46, v44, v40, s[12:13]
	s_and_b64 s[60:61], vcc, s[12:13]
	v_cmp_nlt_f32_e32 vcc, v46, v35
	v_cndmask_b32_e64 v36, v40, v44, s[12:13]
	v_cndmask_b32_e32 v44, v46, v35, vcc
	v_cmp_nlt_f32_e64 s[12:13], v44, v39
	v_cndmask_b32_e32 v40, v35, v46, vcc
	v_cndmask_b32_e64 v46, v44, v39, s[12:13]
	v_cndmask_b32_e64 v35, v39, v44, s[12:13]
	s_and_b64 s[12:13], vcc, s[12:13]
	v_cmp_nlt_f32_e32 vcc, v46, v38
	v_cndmask_b32_e32 v44, v46, v38, vcc
	v_cndmask_b32_e32 v39, v38, v46, vcc
	s_and_b64 s[12:13], s[12:13], vcc
	v_cmp_nlt_f32_e32 vcc, v44, v41
	v_cndmask_b32_e32 v46, v44, v41, vcc
	v_cndmask_b32_e32 v38, v41, v44, vcc
	s_and_b64 s[12:13], s[12:13], vcc
	;; [unrolled: 4-line block ×4, first 2 shown]
	v_cmp_nlt_f32_e32 vcc, v46, v45
	s_and_b64 s[12:13], s[12:13], vcc
	s_and_b64 s[12:13], s[12:13], s[60:61]
	s_and_b64 s[12:13], s[12:13], s[58:59]
	s_and_b64 s[12:13], exec, s[12:13]
	v_cndmask_b32_e32 v44, v46, v45, vcc
	s_or_b64 s[36:37], s[12:13], s[36:37]
	v_cndmask_b32_e32 v43, v45, v46, vcc
	s_andn2_b64 exec, exec, s[36:37]
	s_cbranch_execnz .LBB198_91
; %bb.92:                               ;   in Loop: Header=BB198_4 Depth=1
	s_or_b64 exec, exec, s[36:37]
	v_add_f32_e32 v13, -1.0, v13
	v_add_f32_e32 v13, v13, v34
	v_add_f32_e32 v13, v13, v37
	;; [unrolled: 1-line block ×11, first 2 shown]
	v_add_f32_e32 v36, 1.0, v13
	v_cvt_f64_f32_e32 v[34:35], v36
	v_add_f32_e32 v37, -1.0, v36
	v_sub_f32_e32 v38, v37, v36
	v_sub_f32_e32 v37, v13, v37
	v_frexp_exp_i32_f64_e32 v34, v[34:35]
	v_frexp_mant_f32_e32 v35, v36
	v_cmp_gt_f32_e32 vcc, s47, v35
	v_add_f32_e32 v38, 1.0, v38
	v_add_f32_e32 v37, v37, v38
	v_cmp_gt_i32_e64 s[12:13], 0, v1
	v_cmp_class_f32_e64 s[36:37], v2, s51
	v_subbrev_co_u32_e32 v34, vcc, 0, v34, vcc
	v_sub_u32_e32 v35, 0, v34
	v_ldexp_f32 v36, v36, v35
	v_ldexp_f32 v35, v37, v35
	v_add_f32_e32 v37, -1.0, v36
	v_add_f32_e32 v38, 1.0, v36
	v_add_f32_e32 v39, 1.0, v37
	v_add_f32_e32 v41, -1.0, v38
	v_sub_f32_e32 v39, v36, v39
	v_sub_f32_e32 v36, v36, v41
	v_add_f32_e32 v39, v35, v39
	v_add_f32_e32 v35, v35, v36
	;; [unrolled: 1-line block ×3, first 2 shown]
	v_rcp_f32_e32 v41, v36
	v_add_f32_e32 v40, v37, v39
	v_sub_f32_e32 v38, v36, v38
	v_sub_f32_e32 v37, v40, v37
	;; [unrolled: 1-line block ×3, first 2 shown]
	v_mul_f32_e32 v38, v40, v41
	v_sub_f32_e32 v37, v39, v37
	v_mul_f32_e32 v39, v36, v38
	v_fma_f32 v42, v38, v36, -v39
	v_fmac_f32_e32 v42, v38, v35
	v_add_f32_e32 v43, v39, v42
	v_sub_f32_e32 v44, v40, v43
	v_sub_f32_e32 v40, v40, v44
	;; [unrolled: 1-line block ×4, first 2 shown]
	v_add_f32_e32 v37, v37, v40
	v_sub_f32_e32 v39, v39, v42
	v_add_f32_e32 v37, v39, v37
	v_add_f32_e32 v39, v44, v37
	v_mul_f32_e32 v40, v41, v39
	v_mul_f32_e32 v42, v36, v40
	v_fma_f32 v36, v40, v36, -v42
	v_fmac_f32_e32 v36, v40, v35
	v_sub_f32_e32 v35, v44, v39
	v_add_f32_e32 v35, v37, v35
	v_add_f32_e32 v37, v42, v36
	v_sub_f32_e32 v43, v39, v37
	v_sub_f32_e32 v39, v39, v43
	;; [unrolled: 1-line block ×4, first 2 shown]
	v_add_f32_e32 v35, v35, v37
	v_sub_f32_e32 v36, v42, v36
	v_cvt_f32_i32_e32 v34, v34
	v_add_f32_e32 v35, v36, v35
	v_add_f32_e32 v36, v38, v40
	;; [unrolled: 1-line block ×3, first 2 shown]
	v_sub_f32_e32 v37, v36, v38
	v_mul_f32_e32 v35, v41, v35
	v_sub_f32_e32 v37, v40, v37
	v_add_f32_e32 v35, v37, v35
	v_mul_f32_e32 v40, 0x3f317218, v34
	v_add_f32_e32 v37, v36, v35
	v_fma_f32 v41, v34, s48, -v40
	v_mul_f32_e32 v38, v37, v37
	v_mov_b32_e32 v39, 0x3ecc95a3
	v_fmac_f32_e32 v41, 0xb102e308, v34
	v_sub_f32_e32 v34, v37, v36
	v_fmac_f32_e32 v39, 0x3e9b6dac, v38
	v_sub_f32_e32 v34, v35, v34
	v_add_f32_e32 v35, v40, v41
	v_fma_f32 v39, v38, v39, v17
	v_sub_f32_e32 v36, v35, v40
	v_ldexp_f32 v40, v37, 1
	v_mul_f32_e32 v37, v37, v38
	v_mul_f32_e32 v37, v37, v39
	v_add_f32_e32 v38, v40, v37
	v_sub_f32_e32 v39, v38, v40
	v_ldexp_f32 v34, v34, 1
	v_sub_f32_e32 v37, v37, v39
	v_add_f32_e32 v34, v34, v37
	v_add_f32_e32 v37, v38, v34
	v_sub_f32_e32 v38, v37, v38
	v_sub_f32_e32 v34, v34, v38
	v_add_f32_e32 v38, v35, v37
	v_sub_f32_e32 v39, v38, v35
	v_sub_f32_e32 v40, v38, v39
	;; [unrolled: 1-line block ×5, first 2 shown]
	v_add_f32_e32 v35, v37, v35
	v_add_f32_e32 v37, v36, v34
	v_sub_f32_e32 v39, v37, v36
	v_sub_f32_e32 v40, v37, v39
	;; [unrolled: 1-line block ×4, first 2 shown]
	v_add_f32_e32 v35, v37, v35
	v_add_f32_e32 v34, v34, v36
	;; [unrolled: 1-line block ×3, first 2 shown]
	v_sub_f32_e32 v37, v36, v38
	v_sub_f32_e32 v35, v35, v37
	v_add_f32_e32 v34, v34, v35
	v_add_f32_e32 v34, v36, v34
	v_cmp_neq_f32_e32 vcc, s49, v13
	v_cndmask_b32_e32 v34, v24, v34, vcc
	v_cmp_ngt_f32_e32 vcc, -1.0, v13
	v_cndmask_b32_e32 v34, v25, v34, vcc
	v_cmp_neq_f32_e32 vcc, -1.0, v13
	v_cndmask_b32_e32 v34, v26, v34, vcc
	v_cmp_lt_f32_e64 vcc, |v13|, s50
	v_cndmask_b32_e32 v13, v34, v13, vcc
	v_max_f32_e64 v34, |v2|, |v2|
	v_max_f32_e64 v35, |v1|, |v1|
	v_min_f32_e32 v36, v35, v34
	v_max_f32_e32 v34, v35, v34
	v_frexp_mant_f32_e32 v35, v34
	v_rcp_f32_e32 v35, v35
	v_frexp_exp_i32_f32_e32 v34, v34
	v_frexp_exp_i32_f32_e32 v37, v36
	v_frexp_mant_f32_e32 v36, v36
	v_mul_f32_e32 v35, v36, v35
	v_sub_u32_e32 v34, v37, v34
	v_ldexp_f32 v34, v35, v34
	v_mul_f32_e32 v35, v34, v34
	v_mov_b32_e32 v36, 0xbc7a590c
	v_fmac_f32_e32 v36, 0x3b2d2a58, v35
	v_fma_f32 v36, v35, v36, v18
	v_fma_f32 v36, v35, v36, v19
	v_fma_f32 v36, v35, v36, v20
	v_fma_f32 v36, v35, v36, v21
	v_fma_f32 v36, v35, v36, v22
	v_fma_f32 v36, v35, v36, v23
	v_mul_f32_e32 v35, v35, v36
	v_fmac_f32_e32 v34, v34, v35
	v_sub_f32_e32 v35, 0x3fc90fdb, v34
	v_cndmask_b32_e64 v34, v34, v35, s[10:11]
	v_sub_f32_e32 v35, 0x40490fdb, v34
	v_cmp_gt_f32_e32 vcc, 0, v1
	v_cndmask_b32_e32 v34, v34, v35, vcc
	v_cndmask_b32_e64 v35, 0, v27, s[12:13]
	v_cmp_eq_f32_e64 s[12:13], 0, v2
	v_cndmask_b32_e64 v34, v34, v35, s[12:13]
	v_cmp_class_f32_e64 s[12:13], v1, s51
	v_cndmask_b32_e32 v35, v28, v29, vcc
	s_and_b64 vcc, s[36:37], s[12:13]
	v_mul_f32_e32 v13, 0.5, v13
	v_cndmask_b32_e32 v34, v34, v35, vcc
.LBB198_93:                             ;   in Loop: Header=BB198_4 Depth=1
	s_or_b64 exec, exec, s[34:35]
.LBB198_94:                             ;   in Loop: Header=BB198_4 Depth=1
	s_or_b64 exec, exec, s[30:31]
.LBB198_95:                             ;   in Loop: Header=BB198_4 Depth=1
	s_andn2_saveexec_b64 s[28:29], s[28:29]
	s_cbranch_execz .LBB198_97
; %bb.96:                               ;   in Loop: Header=BB198_4 Depth=1
	v_max_f32_e64 v13, |v2|, |v2|
	v_max_f32_e64 v36, |v1|, |v1|
	v_max_f32_e32 v37, v36, v13
	v_cvt_f64_f32_e32 v[34:35], v37
	v_min_f32_e32 v13, v36, v13
	v_frexp_mant_f32_e32 v36, v37
	v_rcp_f32_e32 v36, v36
	v_frexp_exp_i32_f64_e32 v34, v[34:35]
	v_cmp_neq_f32_e32 vcc, s49, v37
	v_frexp_exp_i32_f32_e32 v38, v13
	v_frexp_mant_f32_e32 v13, v13
	v_mul_f32_e32 v13, v13, v36
	v_frexp_exp_i32_f32_e32 v35, v37
	v_sub_u32_e32 v35, v38, v35
	v_ldexp_f32 v35, v13, v35
	v_sub_u32_e32 v39, 0, v34
	v_ldexp_f32 v40, |v1|, v39
	v_ldexp_f32 v39, |v2|, v39
	v_mul_f32_e32 v39, v39, v39
	v_fmac_f32_e32 v39, v40, v40
	v_sqrt_f32_e32 v39, v39
	v_cmp_gt_i32_e64 s[12:13], 0, v1
	v_cmp_class_f32_e64 s[30:31], v2, s51
	v_ldexp_f32 v34, v39, v34
	v_cndmask_b32_e32 v34, v24, v34, vcc
	v_cmp_gt_f32_e32 vcc, s53, v34
	v_cndmask_b32_e64 v36, 0, 32, vcc
	v_ldexp_f32 v34, v34, v36
	v_log_f32_e32 v34, v34
	v_cndmask_b32_e32 v13, 0, v30, vcc
	v_mul_f32_e32 v36, v35, v35
	v_mul_f32_e32 v37, 0x3f317217, v34
	v_fma_f32 v37, v34, s54, -v37
	v_fmac_f32_e32 v37, 0x3377d1cf, v34
	v_fmac_f32_e32 v37, 0x3f317217, v34
	v_cmp_lt_f32_e64 vcc, |v34|, s49
	v_cndmask_b32_e32 v34, v34, v37, vcc
	v_sub_f32_e32 v13, v34, v13
	v_mov_b32_e32 v34, 0xbc7a590c
	v_fmac_f32_e32 v34, 0x3b2d2a58, v36
	v_fma_f32 v34, v36, v34, v18
	v_fma_f32 v34, v36, v34, v19
	;; [unrolled: 1-line block ×6, first 2 shown]
	v_mul_f32_e32 v34, v36, v34
	v_fmac_f32_e32 v35, v35, v34
	v_sub_f32_e32 v34, 0x3fc90fdb, v35
	v_cndmask_b32_e64 v34, v35, v34, s[10:11]
	v_sub_f32_e32 v35, 0x40490fdb, v34
	v_cmp_gt_f32_e32 vcc, 0, v1
	v_cndmask_b32_e32 v34, v34, v35, vcc
	v_cndmask_b32_e64 v35, 0, v27, s[12:13]
	v_cmp_eq_f32_e64 s[12:13], 0, v2
	v_cndmask_b32_e64 v34, v34, v35, s[12:13]
	v_cmp_class_f32_e64 s[12:13], v1, s51
	v_cndmask_b32_e32 v35, v28, v29, vcc
	s_and_b64 vcc, s[30:31], s[12:13]
	v_cndmask_b32_e32 v34, v34, v35, vcc
.LBB198_97:                             ;   in Loop: Header=BB198_4 Depth=1
	s_or_b64 exec, exec, s[28:29]
                                        ; implicit-def: $vgpr35
.LBB198_98:                             ;   in Loop: Header=BB198_4 Depth=1
	s_andn2_saveexec_b64 s[26:27], s[26:27]
	s_cbranch_execz .LBB198_104
; %bb.99:                               ;   in Loop: Header=BB198_4 Depth=1
	v_cmp_ngt_f32_e32 vcc, s55, v35
                                        ; implicit-def: $vgpr13
                                        ; implicit-def: $vgpr34
	s_and_saveexec_b64 s[12:13], vcc
	s_xor_b64 s[28:29], exec, s[12:13]
	s_cbranch_execz .LBB198_101
; %bb.100:                              ;   in Loop: Header=BB198_4 Depth=1
	v_mul_f32_e32 v13, v35, v35
	v_add_f32_e32 v36, 1.0, v13
	v_cvt_f64_f32_e32 v[34:35], v36
	v_add_f32_e32 v37, -1.0, v36
	v_sub_f32_e32 v38, v37, v36
	v_sub_f32_e32 v37, v13, v37
	v_frexp_exp_i32_f64_e32 v34, v[34:35]
	v_frexp_mant_f32_e32 v35, v36
	v_cmp_gt_f32_e32 vcc, s47, v35
	v_add_f32_e32 v38, 1.0, v38
	v_add_f32_e32 v37, v37, v38
	v_cmp_gt_i32_e64 s[12:13], 0, v1
	v_cmp_class_f32_e64 s[30:31], v2, s51
	v_subbrev_co_u32_e32 v34, vcc, 0, v34, vcc
	v_sub_u32_e32 v35, 0, v34
	v_ldexp_f32 v36, v36, v35
	v_ldexp_f32 v35, v37, v35
	v_add_f32_e32 v37, -1.0, v36
	v_add_f32_e32 v38, 1.0, v36
	v_add_f32_e32 v39, 1.0, v37
	v_add_f32_e32 v41, -1.0, v38
	v_sub_f32_e32 v39, v36, v39
	v_sub_f32_e32 v36, v36, v41
	v_add_f32_e32 v39, v35, v39
	v_add_f32_e32 v35, v35, v36
	;; [unrolled: 1-line block ×3, first 2 shown]
	v_rcp_f32_e32 v41, v36
	v_add_f32_e32 v40, v37, v39
	v_sub_f32_e32 v38, v38, v36
	v_sub_f32_e32 v37, v37, v40
	v_add_f32_e32 v35, v35, v38
	v_mul_f32_e32 v38, v40, v41
	v_add_f32_e32 v37, v39, v37
	v_mul_f32_e32 v39, v36, v38
	v_fma_f32 v42, v38, v36, -v39
	v_fmac_f32_e32 v42, v38, v35
	v_add_f32_e32 v43, v39, v42
	v_sub_f32_e32 v44, v40, v43
	v_sub_f32_e32 v40, v40, v44
	;; [unrolled: 1-line block ×4, first 2 shown]
	v_add_f32_e32 v37, v37, v40
	v_sub_f32_e32 v39, v39, v42
	v_add_f32_e32 v37, v39, v37
	v_add_f32_e32 v39, v44, v37
	v_mul_f32_e32 v40, v41, v39
	v_mul_f32_e32 v42, v36, v40
	v_fma_f32 v36, v40, v36, -v42
	v_fmac_f32_e32 v36, v40, v35
	v_sub_f32_e32 v35, v44, v39
	v_add_f32_e32 v35, v37, v35
	v_add_f32_e32 v37, v42, v36
	v_sub_f32_e32 v43, v39, v37
	v_sub_f32_e32 v39, v39, v43
	;; [unrolled: 1-line block ×4, first 2 shown]
	v_add_f32_e32 v35, v35, v37
	v_sub_f32_e32 v36, v42, v36
	v_cvt_f32_i32_e32 v34, v34
	v_add_f32_e32 v35, v36, v35
	v_add_f32_e32 v36, v38, v40
	;; [unrolled: 1-line block ×3, first 2 shown]
	v_sub_f32_e32 v37, v36, v38
	v_mul_f32_e32 v35, v41, v35
	v_sub_f32_e32 v37, v40, v37
	v_add_f32_e32 v35, v37, v35
	v_mul_f32_e32 v40, 0x3f317218, v34
	v_add_f32_e32 v37, v36, v35
	v_fma_f32 v41, v34, s48, -v40
	v_mul_f32_e32 v38, v37, v37
	v_mov_b32_e32 v39, 0x3ecc95a3
	v_fmac_f32_e32 v41, 0xb102e308, v34
	v_sub_f32_e32 v34, v37, v36
	v_fmac_f32_e32 v39, 0x3e9b6dac, v38
	v_sub_f32_e32 v34, v35, v34
	v_add_f32_e32 v35, v40, v41
	v_fma_f32 v39, v38, v39, v17
	v_sub_f32_e32 v36, v35, v40
	v_ldexp_f32 v40, v37, 1
	v_mul_f32_e32 v37, v37, v38
	v_mul_f32_e32 v37, v37, v39
	v_add_f32_e32 v38, v40, v37
	v_sub_f32_e32 v39, v38, v40
	v_ldexp_f32 v34, v34, 1
	v_sub_f32_e32 v37, v37, v39
	v_add_f32_e32 v34, v34, v37
	v_add_f32_e32 v37, v38, v34
	v_sub_f32_e32 v38, v37, v38
	v_sub_f32_e32 v34, v34, v38
	v_add_f32_e32 v38, v35, v37
	v_sub_f32_e32 v39, v38, v35
	v_sub_f32_e32 v40, v38, v39
	;; [unrolled: 1-line block ×5, first 2 shown]
	v_add_f32_e32 v35, v37, v35
	v_add_f32_e32 v37, v36, v34
	v_sub_f32_e32 v39, v37, v36
	v_sub_f32_e32 v40, v37, v39
	;; [unrolled: 1-line block ×4, first 2 shown]
	v_add_f32_e32 v35, v37, v35
	v_add_f32_e32 v34, v34, v36
	;; [unrolled: 1-line block ×3, first 2 shown]
	v_sub_f32_e32 v37, v36, v38
	v_sub_f32_e32 v35, v35, v37
	v_add_f32_e32 v34, v34, v35
	v_add_f32_e32 v34, v36, v34
	v_cmp_neq_f32_e32 vcc, s49, v13
	v_cndmask_b32_e32 v34, v24, v34, vcc
	v_cmp_lt_f32_e64 vcc, |v13|, s50
	v_cndmask_b32_e32 v13, v34, v13, vcc
	v_max_f32_e64 v34, |v2|, |v2|
	v_max_f32_e64 v35, |v1|, |v1|
	v_min_f32_e32 v36, v35, v34
	v_max_f32_e32 v34, v35, v34
	v_frexp_mant_f32_e32 v35, v34
	v_rcp_f32_e32 v35, v35
	v_frexp_exp_i32_f32_e32 v34, v34
	v_frexp_exp_i32_f32_e32 v37, v36
	v_frexp_mant_f32_e32 v36, v36
	v_mul_f32_e32 v35, v36, v35
	v_sub_u32_e32 v34, v37, v34
	v_ldexp_f32 v34, v35, v34
	v_mul_f32_e32 v35, v34, v34
	v_mov_b32_e32 v36, 0xbc7a590c
	v_fmac_f32_e32 v36, 0x3b2d2a58, v35
	v_fma_f32 v36, v35, v36, v18
	v_fma_f32 v36, v35, v36, v19
	;; [unrolled: 1-line block ×6, first 2 shown]
	v_mul_f32_e32 v35, v35, v36
	v_fmac_f32_e32 v34, v34, v35
	v_sub_f32_e32 v35, 0x3fc90fdb, v34
	v_cndmask_b32_e64 v34, v34, v35, s[10:11]
	v_sub_f32_e32 v35, 0x40490fdb, v34
	v_cmp_gt_f32_e32 vcc, 0, v1
	v_cndmask_b32_e32 v34, v34, v35, vcc
	v_cndmask_b32_e64 v35, 0, v27, s[12:13]
	v_cmp_eq_f32_e64 s[12:13], 0, v2
	v_cndmask_b32_e64 v34, v34, v35, s[12:13]
	v_cmp_class_f32_e64 s[12:13], v1, s51
	v_cndmask_b32_e32 v35, v28, v29, vcc
	s_and_b64 vcc, s[30:31], s[12:13]
	v_mul_f32_e32 v13, 0.5, v13
	v_cndmask_b32_e32 v34, v34, v35, vcc
                                        ; implicit-def: $vgpr35
.LBB198_101:                            ;   in Loop: Header=BB198_4 Depth=1
	s_andn2_saveexec_b64 s[28:29], s[28:29]
	s_cbranch_execz .LBB198_103
; %bb.102:                              ;   in Loop: Header=BB198_4 Depth=1
	v_mul_f32_e32 v13, 0.5, v35
	v_mul_f32_e32 v13, v35, v13
	v_max_f32_e64 v34, |v2|, |v2|
	v_max_f32_e64 v35, |v1|, |v1|
	v_min_f32_e32 v36, v35, v34
	v_max_f32_e32 v34, v35, v34
	v_frexp_mant_f32_e32 v35, v34
	v_rcp_f32_e32 v35, v35
	v_frexp_exp_i32_f32_e32 v34, v34
	v_frexp_exp_i32_f32_e32 v37, v36
	v_frexp_mant_f32_e32 v36, v36
	v_mul_f32_e32 v35, v36, v35
	v_sub_u32_e32 v34, v37, v34
	v_ldexp_f32 v34, v35, v34
	v_mul_f32_e32 v35, v34, v34
	v_mov_b32_e32 v36, 0xbc7a590c
	v_fmac_f32_e32 v36, 0x3b2d2a58, v35
	v_fma_f32 v36, v35, v36, v18
	v_fma_f32 v36, v35, v36, v19
	;; [unrolled: 1-line block ×6, first 2 shown]
	v_mul_f32_e32 v35, v35, v36
	v_fmac_f32_e32 v34, v34, v35
	v_sub_f32_e32 v35, 0x3fc90fdb, v34
	v_cndmask_b32_e64 v34, v34, v35, s[10:11]
	v_sub_f32_e32 v35, 0x40490fdb, v34
	v_cmp_gt_f32_e32 vcc, 0, v1
	v_cmp_gt_i32_e64 s[12:13], 0, v1
	v_cndmask_b32_e32 v34, v34, v35, vcc
	v_cndmask_b32_e64 v35, 0, v27, s[12:13]
	v_cmp_eq_f32_e64 s[12:13], 0, v2
	v_cndmask_b32_e64 v34, v34, v35, s[12:13]
	v_cmp_class_f32_e64 s[12:13], v1, s51
	v_cmp_class_f32_e64 s[30:31], v2, s51
	v_cndmask_b32_e32 v35, v28, v29, vcc
	s_and_b64 vcc, s[30:31], s[12:13]
	v_cndmask_b32_e32 v34, v34, v35, vcc
.LBB198_103:                            ;   in Loop: Header=BB198_4 Depth=1
	s_or_b64 exec, exec, s[28:29]
.LBB198_104:                            ;   in Loop: Header=BB198_4 Depth=1
	s_or_b64 exec, exec, s[26:27]
.LBB198_105:                            ;   in Loop: Header=BB198_4 Depth=1
	s_andn2_saveexec_b64 s[24:25], s[24:25]
	s_cbranch_execz .LBB198_107
; %bb.106:                              ;   in Loop: Header=BB198_4 Depth=1
	v_div_scale_f32 v13, s[12:13], s56, s56, v1
	v_div_scale_f32 v34, s[12:13], s56, s56, v2
	v_div_scale_f32 v35, vcc, v1, s56, v1
	v_div_scale_f32 v36, s[12:13], v2, s56, v2
	v_rcp_f32_e32 v37, v13
	v_rcp_f32_e32 v38, v34
	v_fma_f32 v39, -v13, v37, 1.0
	v_fmac_f32_e32 v37, v39, v37
	v_fma_f32 v40, -v34, v38, 1.0
	v_fmac_f32_e32 v38, v40, v38
	v_mul_f32_e32 v39, v35, v37
	v_mul_f32_e32 v40, v36, v38
	v_fma_f32 v41, -v13, v39, v35
	v_fma_f32 v42, -v34, v40, v36
	v_fmac_f32_e32 v39, v41, v37
	v_fmac_f32_e32 v40, v42, v38
	v_fma_f32 v13, -v13, v39, v35
	v_fma_f32 v34, -v34, v40, v36
	v_div_fmas_f32 v13, v13, v37, v39
	s_mov_b64 vcc, s[12:13]
	v_div_fmas_f32 v34, v34, v38, v40
	v_max_f32_e64 v35, |v2|, |v2|
	v_max_f32_e64 v36, |v1|, |v1|
	v_min_f32_e32 v38, v36, v35
	v_max_f32_e32 v35, v36, v35
	v_frexp_exp_i32_f32_e32 v36, v35
	v_frexp_exp_i32_f32_e32 v39, v38
	v_sub_u32_e32 v36, v39, v36
	v_frexp_mant_f32_e32 v35, v35
	v_rcp_f32_e32 v40, v35
	v_frexp_mant_f32_e32 v38, v38
	v_mov_b32_e32 v37, 0xbc7a590c
	v_cmp_class_f32_e64 s[12:13], v2, s51
	v_mul_f32_e32 v38, v38, v40
	v_div_fixup_f32 v13, v13, s56, v1
	v_ldexp_f32 v36, v38, v36
	v_div_fixup_f32 v39, v34, s56, v2
	v_max_f32_e64 v41, |v13|, |v39|
	v_cvt_f64_f32_e32 v[34:35], v41
	v_mul_f32_e32 v38, v36, v36
	v_fmac_f32_e32 v37, 0x3b2d2a58, v38
	v_cmp_neq_f32_e32 vcc, s49, v41
	v_frexp_exp_i32_f64_e32 v34, v[34:35]
	v_fma_f32 v35, v38, v37, v18
	v_fma_f32 v35, v38, v35, v19
	;; [unrolled: 1-line block ×6, first 2 shown]
	v_mul_f32_e32 v35, v38, v35
	v_sub_u32_e32 v37, 0, v34
	v_ldexp_f32 v13, |v13|, v37
	v_ldexp_f32 v37, |v39|, v37
	v_mul_f32_e32 v37, v37, v37
	v_fmac_f32_e32 v37, v13, v13
	v_sqrt_f32_e32 v13, v37
	v_fmac_f32_e32 v36, v36, v35
	v_sub_f32_e32 v35, 0x3fc90fdb, v36
	v_ldexp_f32 v13, v13, v34
	v_cndmask_b32_e32 v13, v24, v13, vcc
	v_cmp_gt_f32_e32 vcc, s53, v13
	v_cndmask_b32_e64 v34, 0, 32, vcc
	v_ldexp_f32 v13, v13, v34
	v_log_f32_e32 v13, v13
	v_cndmask_b32_e64 v34, v36, v35, s[10:11]
	v_cndmask_b32_e32 v36, 0, v30, vcc
	v_sub_f32_e32 v35, 0x40490fdb, v34
	v_mul_f32_e32 v37, 0x3f317217, v13
	v_fma_f32 v37, v13, s54, -v37
	v_fmac_f32_e32 v37, 0x3377d1cf, v13
	v_fmac_f32_e32 v37, 0x3f317217, v13
	v_cmp_lt_f32_e64 vcc, |v13|, s49
	v_cndmask_b32_e32 v13, v13, v37, vcc
	v_cmp_gt_f32_e32 vcc, 0, v1
	v_cmp_gt_i32_e64 s[10:11], 0, v1
	v_cndmask_b32_e32 v34, v34, v35, vcc
	v_cndmask_b32_e64 v35, 0, v27, s[10:11]
	v_cmp_eq_f32_e64 s[10:11], 0, v2
	v_cndmask_b32_e64 v34, v34, v35, s[10:11]
	v_cmp_class_f32_e64 s[10:11], v1, s51
	v_sub_f32_e32 v13, v13, v36
	v_cndmask_b32_e32 v35, v28, v29, vcc
	s_and_b64 vcc, s[12:13], s[10:11]
	v_add_f32_e32 v13, 1.0, v13
	v_cndmask_b32_e32 v34, v34, v35, vcc
.LBB198_107:                            ;   in Loop: Header=BB198_4 Depth=1
	s_or_b64 exec, exec, s[24:25]
.LBB198_108:                            ;   in Loop: Header=BB198_4 Depth=1
	s_andn2_saveexec_b64 s[10:11], s[22:23]
	s_cbranch_execz .LBB198_114
; %bb.109:                              ;   in Loop: Header=BB198_4 Depth=1
	v_cmp_nlt_f32_e64 s[12:13], |v1|, s57
	v_cmp_nlt_f32_e64 s[22:23], |v2|, s57
	s_or_b64 s[12:13], s[22:23], s[12:13]
                                        ; implicit-def: $vgpr13
	s_and_saveexec_b64 s[22:23], s[12:13]
	s_xor_b64 s[12:13], exec, s[22:23]
; %bb.110:                              ;   in Loop: Header=BB198_4 Depth=1
	v_mul_f32_e32 v13, v1, v1
	v_fmac_f32_e32 v13, v2, v2
; %bb.111:                              ;   in Loop: Header=BB198_4 Depth=1
	s_andn2_saveexec_b64 s[12:13], s[12:13]
; %bb.112:                              ;   in Loop: Header=BB198_4 Depth=1
	v_mul_f32_e32 v1, 4.0, v1
	v_mul_f32_e32 v13, 4.0, v2
	v_mul_f32_e32 v1, v1, v1
	v_fmac_f32_e32 v1, v13, v13
	v_mul_f32_e32 v13, 0x3d800000, v1
; %bb.113:                              ;   in Loop: Header=BB198_4 Depth=1
	s_or_b64 exec, exec, s[12:13]
	v_cmp_gt_f32_e32 vcc, s53, v13
	v_cndmask_b32_e64 v1, 0, 32, vcc
	v_ldexp_f32 v1, v13, v1
	v_log_f32_e32 v1, v1
	v_cndmask_b32_e32 v13, 0, v30, vcc
	v_mul_f32_e32 v34, 0x3f317217, v1
	v_fma_f32 v34, v1, s54, -v34
	v_fmac_f32_e32 v34, 0x3377d1cf, v1
	v_fmac_f32_e32 v34, 0x3f317217, v1
	v_cmp_lt_f32_e64 vcc, |v1|, s49
	v_cndmask_b32_e32 v1, v1, v34, vcc
	v_sub_f32_e32 v13, v1, v13
	v_mov_b32_e32 v34, 0x7fc00000
.LBB198_114:                            ;   in Loop: Header=BB198_4 Depth=1
	s_or_b64 exec, exec, s[10:11]
	v_cmp_o_f32_e32 vcc, v16, v15
                                        ; implicit-def: $vgpr1
                                        ; implicit-def: $vgpr35
	s_and_saveexec_b64 s[10:11], vcc
	s_xor_b64 s[22:23], exec, s[10:11]
	s_cbranch_execnz .LBB198_120
; %bb.115:                              ;   in Loop: Header=BB198_4 Depth=1
	s_andn2_saveexec_b64 s[10:11], s[22:23]
	s_cbranch_execnz .LBB198_147
.LBB198_116:                            ;   in Loop: Header=BB198_4 Depth=1
	s_or_b64 exec, exec, s[10:11]
	s_and_saveexec_b64 s[10:11], s[0:1]
	s_xor_b64 s[0:1], exec, s[10:11]
	s_cbranch_execnz .LBB198_152
.LBB198_117:                            ;   in Loop: Header=BB198_4 Depth=1
	s_or_b64 exec, exec, s[0:1]
	s_and_saveexec_b64 s[0:1], s[2:3]
	s_cbranch_execnz .LBB198_153
.LBB198_118:                            ;   in Loop: Header=BB198_4 Depth=1
	s_or_b64 exec, exec, s[0:1]
	s_and_saveexec_b64 s[0:1], s[6:7]
	s_cbranch_execnz .LBB198_154
.LBB198_119:                            ;   in Loop: Header=BB198_4 Depth=1
	s_or_b64 exec, exec, s[0:1]
	s_and_saveexec_b64 s[0:1], s[8:9]
	s_cbranch_execz .LBB198_3
	s_branch .LBB198_155
.LBB198_120:                            ;   in Loop: Header=BB198_4 Depth=1
	v_cmp_lt_f32_e64 s[10:11], |v15|, |v16|
	v_cndmask_b32_e64 v36, |v16|, |v15|, s[10:11]
	v_cmp_nlt_f32_e32 vcc, s44, v36
                                        ; implicit-def: $vgpr1
                                        ; implicit-def: $vgpr35
	s_and_saveexec_b64 s[12:13], vcc
	s_xor_b64 s[24:25], exec, s[12:13]
	s_cbranch_execz .LBB198_144
; %bb.121:                              ;   in Loop: Header=BB198_4 Depth=1
	v_and_b32_e32 v1, 0x7fffffff, v16
	v_cndmask_b32_e64 v37, |v15|, v1, s[10:11]
	v_cmp_neq_f32_e32 vcc, 1.0, v37
                                        ; implicit-def: $vgpr1
                                        ; implicit-def: $vgpr35
	s_and_saveexec_b64 s[12:13], vcc
	s_xor_b64 s[26:27], exec, s[12:13]
	s_cbranch_execz .LBB198_137
; %bb.122:                              ;   in Loop: Header=BB198_4 Depth=1
	v_max_f32_e32 v1, v36, v36
	v_max_f32_e32 v35, v37, v37
	v_min_f32_e32 v38, v35, v1
	v_max_f32_e32 v1, v35, v1
	v_cmp_ngt_f32_e32 vcc, s45, v38
	v_cmp_nlt_f32_e64 s[12:13], s46, v1
	s_and_b64 s[12:13], s[12:13], vcc
                                        ; implicit-def: $vgpr1
                                        ; implicit-def: $vgpr35
	s_and_saveexec_b64 s[28:29], s[12:13]
	s_xor_b64 s[28:29], exec, s[28:29]
	s_cbranch_execz .LBB198_134
; %bb.123:                              ;   in Loop: Header=BB198_4 Depth=1
	v_cmp_le_f32_e32 vcc, 1.0, v37
                                        ; implicit-def: $vgpr1
                                        ; implicit-def: $vgpr35
	s_and_saveexec_b64 s[12:13], vcc
	s_xor_b64 s[30:31], exec, s[12:13]
	s_cbranch_execz .LBB198_125
; %bb.124:                              ;   in Loop: Header=BB198_4 Depth=1
	v_add_f32_e32 v1, -1.0, v37
	v_add_f32_e32 v35, 1.0, v37
	v_mul_f32_e32 v1, v1, v35
	v_fmac_f32_e32 v1, v36, v36
	v_add_f32_e32 v37, 1.0, v1
	v_cvt_f64_f32_e32 v[35:36], v37
	v_add_f32_e32 v38, -1.0, v37
	v_sub_f32_e32 v39, v38, v37
	v_sub_f32_e32 v38, v1, v38
	v_frexp_exp_i32_f64_e32 v35, v[35:36]
	v_frexp_mant_f32_e32 v36, v37
	v_cmp_gt_f32_e32 vcc, s47, v36
	v_add_f32_e32 v39, 1.0, v39
	v_add_f32_e32 v38, v38, v39
	v_cmp_gt_i32_e64 s[12:13], 0, v15
	v_cmp_class_f32_e64 s[34:35], v16, s51
	v_subbrev_co_u32_e32 v35, vcc, 0, v35, vcc
	v_sub_u32_e32 v36, 0, v35
	v_ldexp_f32 v37, v37, v36
	v_ldexp_f32 v36, v38, v36
	v_add_f32_e32 v38, -1.0, v37
	v_add_f32_e32 v41, 1.0, v37
	v_add_f32_e32 v39, 1.0, v38
	v_add_f32_e32 v42, -1.0, v41
	v_sub_f32_e32 v39, v37, v39
	v_sub_f32_e32 v37, v37, v42
	v_add_f32_e32 v39, v36, v39
	v_add_f32_e32 v36, v36, v37
	;; [unrolled: 1-line block ×3, first 2 shown]
	v_rcp_f32_e32 v42, v37
	v_add_f32_e32 v40, v38, v39
	v_sub_f32_e32 v38, v40, v38
	v_sub_f32_e32 v38, v39, v38
	;; [unrolled: 1-line block ×4, first 2 shown]
	v_mul_f32_e32 v39, v40, v42
	v_mul_f32_e32 v41, v37, v39
	v_fma_f32 v43, v39, v37, -v41
	v_fmac_f32_e32 v43, v39, v36
	v_add_f32_e32 v44, v41, v43
	v_sub_f32_e32 v45, v40, v44
	v_sub_f32_e32 v40, v40, v45
	;; [unrolled: 1-line block ×4, first 2 shown]
	v_add_f32_e32 v38, v38, v40
	v_sub_f32_e32 v40, v41, v43
	v_add_f32_e32 v38, v40, v38
	v_add_f32_e32 v40, v45, v38
	v_mul_f32_e32 v41, v42, v40
	v_mul_f32_e32 v43, v37, v41
	v_fma_f32 v37, v41, v37, -v43
	v_fmac_f32_e32 v37, v41, v36
	v_sub_f32_e32 v36, v45, v40
	v_add_f32_e32 v36, v38, v36
	v_add_f32_e32 v38, v43, v37
	v_sub_f32_e32 v44, v40, v38
	v_sub_f32_e32 v40, v40, v44
	;; [unrolled: 1-line block ×4, first 2 shown]
	v_add_f32_e32 v36, v36, v38
	v_sub_f32_e32 v37, v43, v37
	v_cvt_f32_i32_e32 v35, v35
	v_add_f32_e32 v36, v37, v36
	v_add_f32_e32 v37, v39, v41
	;; [unrolled: 1-line block ×3, first 2 shown]
	v_sub_f32_e32 v38, v37, v39
	v_mul_f32_e32 v36, v42, v36
	v_sub_f32_e32 v38, v41, v38
	v_add_f32_e32 v36, v38, v36
	v_mul_f32_e32 v41, 0x3f317218, v35
	v_add_f32_e32 v38, v37, v36
	v_fma_f32 v42, v35, s48, -v41
	v_mul_f32_e32 v39, v38, v38
	v_mov_b32_e32 v40, 0x3ecc95a3
	v_fmac_f32_e32 v42, 0xb102e308, v35
	v_sub_f32_e32 v35, v38, v37
	v_fmac_f32_e32 v40, 0x3e9b6dac, v39
	v_sub_f32_e32 v35, v36, v35
	v_add_f32_e32 v36, v41, v42
	v_fma_f32 v40, v39, v40, v17
	v_sub_f32_e32 v37, v36, v41
	v_ldexp_f32 v41, v38, 1
	v_mul_f32_e32 v38, v38, v39
	v_mul_f32_e32 v38, v38, v40
	v_add_f32_e32 v39, v41, v38
	v_sub_f32_e32 v40, v39, v41
	v_ldexp_f32 v35, v35, 1
	v_sub_f32_e32 v38, v38, v40
	v_add_f32_e32 v35, v35, v38
	v_add_f32_e32 v38, v39, v35
	v_sub_f32_e32 v39, v38, v39
	v_sub_f32_e32 v35, v35, v39
	v_add_f32_e32 v39, v36, v38
	v_sub_f32_e32 v40, v39, v36
	v_sub_f32_e32 v41, v39, v40
	;; [unrolled: 1-line block ×5, first 2 shown]
	v_add_f32_e32 v36, v38, v36
	v_add_f32_e32 v38, v37, v35
	v_sub_f32_e32 v40, v38, v37
	v_sub_f32_e32 v41, v38, v40
	;; [unrolled: 1-line block ×4, first 2 shown]
	v_add_f32_e32 v36, v38, v36
	v_add_f32_e32 v35, v35, v37
	;; [unrolled: 1-line block ×3, first 2 shown]
	v_sub_f32_e32 v38, v37, v39
	v_sub_f32_e32 v36, v36, v38
	v_add_f32_e32 v35, v35, v36
	v_add_f32_e32 v35, v37, v35
	v_cmp_neq_f32_e32 vcc, s49, v1
	v_cndmask_b32_e32 v35, v24, v35, vcc
	v_cmp_ngt_f32_e32 vcc, -1.0, v1
	v_cndmask_b32_e32 v35, v25, v35, vcc
	v_cmp_neq_f32_e32 vcc, -1.0, v1
	v_cndmask_b32_e32 v35, v26, v35, vcc
	v_cmp_lt_f32_e64 vcc, |v1|, s50
	v_cndmask_b32_e32 v1, v35, v1, vcc
	v_max_f32_e64 v35, |v16|, |v16|
	v_max_f32_e64 v36, |v15|, |v15|
	v_min_f32_e32 v37, v36, v35
	v_max_f32_e32 v35, v36, v35
	v_frexp_mant_f32_e32 v36, v35
	v_rcp_f32_e32 v36, v36
	v_frexp_exp_i32_f32_e32 v35, v35
	v_frexp_exp_i32_f32_e32 v38, v37
	v_frexp_mant_f32_e32 v37, v37
	v_mul_f32_e32 v36, v37, v36
	v_sub_u32_e32 v35, v38, v35
	v_ldexp_f32 v35, v36, v35
	v_mul_f32_e32 v36, v35, v35
	v_mov_b32_e32 v37, 0xbc7a590c
	v_fmac_f32_e32 v37, 0x3b2d2a58, v36
	v_fma_f32 v37, v36, v37, v18
	v_fma_f32 v37, v36, v37, v19
	;; [unrolled: 1-line block ×6, first 2 shown]
	v_mul_f32_e32 v36, v36, v37
	v_fmac_f32_e32 v35, v35, v36
	v_sub_f32_e32 v36, 0x3fc90fdb, v35
	v_cndmask_b32_e64 v35, v35, v36, s[10:11]
	v_sub_f32_e32 v36, 0x40490fdb, v35
	v_cmp_gt_f32_e32 vcc, 0, v15
	v_cndmask_b32_e32 v35, v35, v36, vcc
	v_cndmask_b32_e64 v36, 0, v27, s[12:13]
	v_cmp_eq_f32_e64 s[12:13], 0, v16
	v_cndmask_b32_e64 v35, v35, v36, s[12:13]
	v_cmp_class_f32_e64 s[12:13], v15, s51
	v_cndmask_b32_e32 v36, v28, v29, vcc
	s_and_b64 vcc, s[34:35], s[12:13]
	v_mul_f32_e32 v1, 0.5, v1
	v_cndmask_b32_e32 v35, v35, v36, vcc
                                        ; implicit-def: $vgpr36
                                        ; implicit-def: $vgpr37
.LBB198_125:                            ;   in Loop: Header=BB198_4 Depth=1
	s_andn2_saveexec_b64 s[30:31], s[30:31]
	s_cbranch_execz .LBB198_133
; %bb.126:                              ;   in Loop: Header=BB198_4 Depth=1
	v_mul_f32_e32 v38, v36, v36
	v_fmac_f32_e32 v38, v37, v37
	v_cmp_ge_f32_e32 vcc, s52, v38
                                        ; implicit-def: $vgpr1
                                        ; implicit-def: $vgpr35
	s_and_saveexec_b64 s[12:13], vcc
	s_xor_b64 s[34:35], exec, s[12:13]
	s_cbranch_execz .LBB198_128
; %bb.127:                              ;   in Loop: Header=BB198_4 Depth=1
	v_cmp_gt_f32_e32 vcc, s53, v38
	v_cndmask_b32_e64 v1, 0, 32, vcc
	v_ldexp_f32 v1, v38, v1
	v_log_f32_e32 v1, v1
	v_cndmask_b32_e32 v35, 0, v30, vcc
	v_cmp_gt_i32_e64 s[12:13], 0, v15
	v_cmp_class_f32_e64 s[36:37], v16, s51
	v_mul_f32_e32 v36, 0x3f317217, v1
	v_fma_f32 v36, v1, s54, -v36
	v_fmac_f32_e32 v36, 0x3377d1cf, v1
	v_fmac_f32_e32 v36, 0x3f317217, v1
	v_cmp_lt_f32_e64 vcc, |v1|, s49
	v_cndmask_b32_e32 v1, v1, v36, vcc
	v_sub_f32_e32 v1, v1, v35
	v_max_f32_e64 v35, |v16|, |v16|
	v_max_f32_e64 v36, |v15|, |v15|
	v_min_f32_e32 v37, v36, v35
	v_max_f32_e32 v35, v36, v35
	v_frexp_mant_f32_e32 v36, v35
	v_rcp_f32_e32 v36, v36
	v_frexp_exp_i32_f32_e32 v35, v35
	v_frexp_exp_i32_f32_e32 v38, v37
	v_frexp_mant_f32_e32 v37, v37
	v_mul_f32_e32 v36, v37, v36
	v_sub_u32_e32 v35, v38, v35
	v_ldexp_f32 v35, v36, v35
	v_mul_f32_e32 v36, v35, v35
	v_mov_b32_e32 v37, 0xbc7a590c
	v_fmac_f32_e32 v37, 0x3b2d2a58, v36
	v_fma_f32 v37, v36, v37, v18
	v_fma_f32 v37, v36, v37, v19
	;; [unrolled: 1-line block ×6, first 2 shown]
	v_mul_f32_e32 v36, v36, v37
	v_fmac_f32_e32 v35, v35, v36
	v_sub_f32_e32 v36, 0x3fc90fdb, v35
	v_cndmask_b32_e64 v35, v35, v36, s[10:11]
	v_sub_f32_e32 v36, 0x40490fdb, v35
	v_cmp_gt_f32_e32 vcc, 0, v15
	v_cndmask_b32_e32 v35, v35, v36, vcc
	v_cndmask_b32_e64 v36, 0, v27, s[12:13]
	v_cmp_eq_f32_e64 s[12:13], 0, v16
	v_cndmask_b32_e64 v35, v35, v36, s[12:13]
	v_cmp_class_f32_e64 s[12:13], v15, s51
	v_cndmask_b32_e32 v36, v28, v29, vcc
	s_and_b64 vcc, s[36:37], s[12:13]
	v_mul_f32_e32 v1, 0.5, v1
	v_cndmask_b32_e32 v35, v35, v36, vcc
                                        ; implicit-def: $vgpr37
                                        ; implicit-def: $vgpr36
.LBB198_128:                            ;   in Loop: Header=BB198_4 Depth=1
	s_andn2_saveexec_b64 s[34:35], s[34:35]
	s_cbranch_execz .LBB198_132
; %bb.129:                              ;   in Loop: Header=BB198_4 Depth=1
	v_and_b32_e32 v38, 0x7fff0000, v37
	v_sub_f32_e32 v1, v37, v38
	v_and_b32_e32 v42, 0xffff0000, v1
	v_and_b32_e32 v37, 0x7fff0000, v36
	v_sub_f32_e32 v44, v1, v42
	v_sub_f32_e32 v1, v36, v37
	v_and_b32_e32 v43, 0xffff0000, v1
	v_add_f32_e32 v39, v38, v38
	v_add_f32_e32 v46, v37, v37
	v_sub_f32_e32 v45, v1, v43
	v_mul_f32_e32 v1, v38, v38
	v_mul_f32_e32 v35, v37, v37
	;; [unrolled: 1-line block ×6, first 2 shown]
	v_add_f32_e32 v42, v42, v42
	v_add_f32_e32 v43, v43, v43
	v_mul_f32_e32 v40, v39, v44
	v_mul_f32_e32 v39, v46, v45
	;; [unrolled: 1-line block ×6, first 2 shown]
	s_mov_b64 s[36:37], 0
.LBB198_130:                            ;   Parent Loop BB198_4 Depth=1
                                        ; =>  This Inner Loop Header: Depth=2
	v_cmp_nlt_f32_e32 vcc, v1, v35
	v_mov_b32_e32 v46, v45
	v_cndmask_b32_e32 v45, v1, v35, vcc
	v_cmp_nlt_f32_e64 s[12:13], v45, v38
	v_cndmask_b32_e64 v47, v45, v38, s[12:13]
	v_cndmask_b32_e32 v1, v35, v1, vcc
	s_and_b64 s[58:59], vcc, s[12:13]
	v_cmp_nlt_f32_e32 vcc, v47, v37
	v_cndmask_b32_e64 v35, v38, v45, s[12:13]
	v_cndmask_b32_e32 v45, v47, v37, vcc
	v_cmp_nlt_f32_e64 s[12:13], v45, v41
	v_cndmask_b32_e32 v38, v37, v47, vcc
	v_cndmask_b32_e64 v47, v45, v41, s[12:13]
	s_and_b64 s[60:61], vcc, s[12:13]
	v_cmp_nlt_f32_e32 vcc, v47, v36
	v_cndmask_b32_e64 v37, v41, v45, s[12:13]
	v_cndmask_b32_e32 v45, v47, v36, vcc
	v_cmp_nlt_f32_e64 s[12:13], v45, v40
	v_cndmask_b32_e32 v41, v36, v47, vcc
	v_cndmask_b32_e64 v47, v45, v40, s[12:13]
	v_cndmask_b32_e64 v36, v40, v45, s[12:13]
	s_and_b64 s[12:13], vcc, s[12:13]
	v_cmp_nlt_f32_e32 vcc, v47, v39
	v_cndmask_b32_e32 v45, v47, v39, vcc
	v_cndmask_b32_e32 v40, v39, v47, vcc
	s_and_b64 s[12:13], s[12:13], vcc
	v_cmp_nlt_f32_e32 vcc, v45, v42
	v_cndmask_b32_e32 v47, v45, v42, vcc
	v_cndmask_b32_e32 v39, v42, v45, vcc
	s_and_b64 s[12:13], s[12:13], vcc
	v_cmp_nlt_f32_e32 vcc, v47, v43
	v_cndmask_b32_e32 v45, v47, v43, vcc
	v_cndmask_b32_e32 v42, v43, v47, vcc
	s_and_b64 s[12:13], s[12:13], vcc
	v_cmp_nlt_f32_e32 vcc, v45, v44
	v_cndmask_b32_e32 v47, v45, v44, vcc
	v_cndmask_b32_e32 v43, v44, v45, vcc
	s_and_b64 s[12:13], s[12:13], vcc
	v_cmp_nlt_f32_e32 vcc, v47, v46
	s_and_b64 s[12:13], s[12:13], vcc
	s_and_b64 s[12:13], s[12:13], s[60:61]
	s_and_b64 s[12:13], s[12:13], s[58:59]
	s_and_b64 s[12:13], exec, s[12:13]
	v_cndmask_b32_e32 v45, v47, v46, vcc
	s_or_b64 s[36:37], s[12:13], s[36:37]
	v_cndmask_b32_e32 v44, v46, v47, vcc
	s_andn2_b64 exec, exec, s[36:37]
	s_cbranch_execnz .LBB198_130
; %bb.131:                              ;   in Loop: Header=BB198_4 Depth=1
	s_or_b64 exec, exec, s[36:37]
	v_add_f32_e32 v1, -1.0, v1
	v_add_f32_e32 v1, v1, v35
	v_add_f32_e32 v1, v1, v38
	;; [unrolled: 1-line block ×11, first 2 shown]
	v_add_f32_e32 v37, 1.0, v1
	v_cvt_f64_f32_e32 v[35:36], v37
	v_add_f32_e32 v38, -1.0, v37
	v_sub_f32_e32 v39, v38, v37
	v_sub_f32_e32 v38, v1, v38
	v_frexp_exp_i32_f64_e32 v35, v[35:36]
	v_frexp_mant_f32_e32 v36, v37
	v_cmp_gt_f32_e32 vcc, s47, v36
	v_add_f32_e32 v39, 1.0, v39
	v_add_f32_e32 v38, v38, v39
	v_cmp_gt_i32_e64 s[12:13], 0, v15
	v_cmp_class_f32_e64 s[36:37], v16, s51
	v_subbrev_co_u32_e32 v35, vcc, 0, v35, vcc
	v_sub_u32_e32 v36, 0, v35
	v_ldexp_f32 v37, v37, v36
	v_ldexp_f32 v36, v38, v36
	v_add_f32_e32 v38, -1.0, v37
	v_add_f32_e32 v39, 1.0, v37
	v_add_f32_e32 v40, 1.0, v38
	v_add_f32_e32 v42, -1.0, v39
	v_sub_f32_e32 v40, v37, v40
	v_sub_f32_e32 v37, v37, v42
	v_add_f32_e32 v40, v36, v40
	v_add_f32_e32 v36, v36, v37
	;; [unrolled: 1-line block ×3, first 2 shown]
	v_rcp_f32_e32 v42, v37
	v_add_f32_e32 v41, v38, v40
	v_sub_f32_e32 v39, v37, v39
	v_sub_f32_e32 v38, v41, v38
	;; [unrolled: 1-line block ×3, first 2 shown]
	v_mul_f32_e32 v39, v41, v42
	v_sub_f32_e32 v38, v40, v38
	v_mul_f32_e32 v40, v37, v39
	v_fma_f32 v43, v39, v37, -v40
	v_fmac_f32_e32 v43, v39, v36
	v_add_f32_e32 v44, v40, v43
	v_sub_f32_e32 v45, v41, v44
	v_sub_f32_e32 v41, v41, v45
	;; [unrolled: 1-line block ×4, first 2 shown]
	v_add_f32_e32 v38, v38, v41
	v_sub_f32_e32 v40, v40, v43
	v_add_f32_e32 v38, v40, v38
	v_add_f32_e32 v40, v45, v38
	v_mul_f32_e32 v41, v42, v40
	v_mul_f32_e32 v43, v37, v41
	v_fma_f32 v37, v41, v37, -v43
	v_fmac_f32_e32 v37, v41, v36
	v_sub_f32_e32 v36, v45, v40
	v_add_f32_e32 v36, v38, v36
	v_add_f32_e32 v38, v43, v37
	v_sub_f32_e32 v44, v40, v38
	v_sub_f32_e32 v40, v40, v44
	;; [unrolled: 1-line block ×4, first 2 shown]
	v_add_f32_e32 v36, v36, v38
	v_sub_f32_e32 v37, v43, v37
	v_cvt_f32_i32_e32 v35, v35
	v_add_f32_e32 v36, v37, v36
	v_add_f32_e32 v37, v39, v41
	;; [unrolled: 1-line block ×3, first 2 shown]
	v_sub_f32_e32 v38, v37, v39
	v_mul_f32_e32 v36, v42, v36
	v_sub_f32_e32 v38, v41, v38
	v_add_f32_e32 v36, v38, v36
	v_mul_f32_e32 v41, 0x3f317218, v35
	v_add_f32_e32 v38, v37, v36
	v_fma_f32 v42, v35, s48, -v41
	v_mul_f32_e32 v39, v38, v38
	v_mov_b32_e32 v40, 0x3ecc95a3
	v_fmac_f32_e32 v42, 0xb102e308, v35
	v_sub_f32_e32 v35, v38, v37
	v_fmac_f32_e32 v40, 0x3e9b6dac, v39
	v_sub_f32_e32 v35, v36, v35
	v_add_f32_e32 v36, v41, v42
	v_fma_f32 v40, v39, v40, v17
	v_sub_f32_e32 v37, v36, v41
	v_ldexp_f32 v41, v38, 1
	v_mul_f32_e32 v38, v38, v39
	v_mul_f32_e32 v38, v38, v40
	v_add_f32_e32 v39, v41, v38
	v_sub_f32_e32 v40, v39, v41
	v_ldexp_f32 v35, v35, 1
	v_sub_f32_e32 v38, v38, v40
	v_add_f32_e32 v35, v35, v38
	v_add_f32_e32 v38, v39, v35
	v_sub_f32_e32 v39, v38, v39
	v_sub_f32_e32 v35, v35, v39
	v_add_f32_e32 v39, v36, v38
	v_sub_f32_e32 v40, v39, v36
	v_sub_f32_e32 v41, v39, v40
	;; [unrolled: 1-line block ×5, first 2 shown]
	v_add_f32_e32 v36, v38, v36
	v_add_f32_e32 v38, v37, v35
	v_sub_f32_e32 v40, v38, v37
	v_sub_f32_e32 v41, v38, v40
	;; [unrolled: 1-line block ×4, first 2 shown]
	v_add_f32_e32 v36, v38, v36
	v_add_f32_e32 v35, v35, v37
	;; [unrolled: 1-line block ×3, first 2 shown]
	v_sub_f32_e32 v38, v37, v39
	v_sub_f32_e32 v36, v36, v38
	v_add_f32_e32 v35, v35, v36
	v_add_f32_e32 v35, v37, v35
	v_cmp_neq_f32_e32 vcc, s49, v1
	v_cndmask_b32_e32 v35, v24, v35, vcc
	v_cmp_ngt_f32_e32 vcc, -1.0, v1
	v_cndmask_b32_e32 v35, v25, v35, vcc
	v_cmp_neq_f32_e32 vcc, -1.0, v1
	v_cndmask_b32_e32 v35, v26, v35, vcc
	v_cmp_lt_f32_e64 vcc, |v1|, s50
	v_cndmask_b32_e32 v1, v35, v1, vcc
	v_max_f32_e64 v35, |v16|, |v16|
	v_max_f32_e64 v36, |v15|, |v15|
	v_min_f32_e32 v37, v36, v35
	v_max_f32_e32 v35, v36, v35
	v_frexp_mant_f32_e32 v36, v35
	v_rcp_f32_e32 v36, v36
	v_frexp_exp_i32_f32_e32 v35, v35
	v_frexp_exp_i32_f32_e32 v38, v37
	v_frexp_mant_f32_e32 v37, v37
	v_mul_f32_e32 v36, v37, v36
	v_sub_u32_e32 v35, v38, v35
	v_ldexp_f32 v35, v36, v35
	v_mul_f32_e32 v36, v35, v35
	v_mov_b32_e32 v37, 0xbc7a590c
	v_fmac_f32_e32 v37, 0x3b2d2a58, v36
	v_fma_f32 v37, v36, v37, v18
	v_fma_f32 v37, v36, v37, v19
	;; [unrolled: 1-line block ×6, first 2 shown]
	v_mul_f32_e32 v36, v36, v37
	v_fmac_f32_e32 v35, v35, v36
	v_sub_f32_e32 v36, 0x3fc90fdb, v35
	v_cndmask_b32_e64 v35, v35, v36, s[10:11]
	v_sub_f32_e32 v36, 0x40490fdb, v35
	v_cmp_gt_f32_e32 vcc, 0, v15
	v_cndmask_b32_e32 v35, v35, v36, vcc
	v_cndmask_b32_e64 v36, 0, v27, s[12:13]
	v_cmp_eq_f32_e64 s[12:13], 0, v16
	v_cndmask_b32_e64 v35, v35, v36, s[12:13]
	v_cmp_class_f32_e64 s[12:13], v15, s51
	v_cndmask_b32_e32 v36, v28, v29, vcc
	s_and_b64 vcc, s[36:37], s[12:13]
	v_mul_f32_e32 v1, 0.5, v1
	v_cndmask_b32_e32 v35, v35, v36, vcc
.LBB198_132:                            ;   in Loop: Header=BB198_4 Depth=1
	s_or_b64 exec, exec, s[34:35]
.LBB198_133:                            ;   in Loop: Header=BB198_4 Depth=1
	s_or_b64 exec, exec, s[30:31]
.LBB198_134:                            ;   in Loop: Header=BB198_4 Depth=1
	s_andn2_saveexec_b64 s[28:29], s[28:29]
	s_cbranch_execz .LBB198_136
; %bb.135:                              ;   in Loop: Header=BB198_4 Depth=1
	v_max_f32_e64 v1, |v16|, |v16|
	v_max_f32_e64 v37, |v15|, |v15|
	v_max_f32_e32 v38, v37, v1
	v_cvt_f64_f32_e32 v[35:36], v38
	v_min_f32_e32 v1, v37, v1
	v_frexp_mant_f32_e32 v37, v38
	v_rcp_f32_e32 v37, v37
	v_frexp_exp_i32_f64_e32 v35, v[35:36]
	v_cmp_neq_f32_e32 vcc, s49, v38
	v_frexp_exp_i32_f32_e32 v39, v1
	v_frexp_mant_f32_e32 v1, v1
	v_mul_f32_e32 v1, v1, v37
	v_frexp_exp_i32_f32_e32 v36, v38
	v_sub_u32_e32 v36, v39, v36
	v_ldexp_f32 v36, v1, v36
	v_sub_u32_e32 v40, 0, v35
	v_ldexp_f32 v41, |v15|, v40
	v_ldexp_f32 v40, |v16|, v40
	v_mul_f32_e32 v40, v40, v40
	v_fmac_f32_e32 v40, v41, v41
	v_sqrt_f32_e32 v40, v40
	v_cmp_gt_i32_e64 s[12:13], 0, v15
	v_cmp_class_f32_e64 s[30:31], v16, s51
	v_ldexp_f32 v35, v40, v35
	v_cndmask_b32_e32 v35, v24, v35, vcc
	v_cmp_gt_f32_e32 vcc, s53, v35
	v_cndmask_b32_e64 v37, 0, 32, vcc
	v_ldexp_f32 v35, v35, v37
	v_log_f32_e32 v35, v35
	v_cndmask_b32_e32 v1, 0, v30, vcc
	v_mul_f32_e32 v37, v36, v36
	v_mul_f32_e32 v38, 0x3f317217, v35
	v_fma_f32 v38, v35, s54, -v38
	v_fmac_f32_e32 v38, 0x3377d1cf, v35
	v_fmac_f32_e32 v38, 0x3f317217, v35
	v_cmp_lt_f32_e64 vcc, |v35|, s49
	v_cndmask_b32_e32 v35, v35, v38, vcc
	v_sub_f32_e32 v1, v35, v1
	v_mov_b32_e32 v35, 0xbc7a590c
	v_fmac_f32_e32 v35, 0x3b2d2a58, v37
	v_fma_f32 v35, v37, v35, v18
	v_fma_f32 v35, v37, v35, v19
	;; [unrolled: 1-line block ×6, first 2 shown]
	v_mul_f32_e32 v35, v37, v35
	v_fmac_f32_e32 v36, v36, v35
	v_sub_f32_e32 v35, 0x3fc90fdb, v36
	v_cndmask_b32_e64 v35, v36, v35, s[10:11]
	v_sub_f32_e32 v36, 0x40490fdb, v35
	v_cmp_gt_f32_e32 vcc, 0, v15
	v_cndmask_b32_e32 v35, v35, v36, vcc
	v_cndmask_b32_e64 v36, 0, v27, s[12:13]
	v_cmp_eq_f32_e64 s[12:13], 0, v16
	v_cndmask_b32_e64 v35, v35, v36, s[12:13]
	v_cmp_class_f32_e64 s[12:13], v15, s51
	v_cndmask_b32_e32 v36, v28, v29, vcc
	s_and_b64 vcc, s[30:31], s[12:13]
	v_cndmask_b32_e32 v35, v35, v36, vcc
.LBB198_136:                            ;   in Loop: Header=BB198_4 Depth=1
	s_or_b64 exec, exec, s[28:29]
                                        ; implicit-def: $vgpr36
.LBB198_137:                            ;   in Loop: Header=BB198_4 Depth=1
	s_andn2_saveexec_b64 s[26:27], s[26:27]
	s_cbranch_execz .LBB198_143
; %bb.138:                              ;   in Loop: Header=BB198_4 Depth=1
	v_cmp_ngt_f32_e32 vcc, s55, v36
                                        ; implicit-def: $vgpr1
                                        ; implicit-def: $vgpr35
	s_and_saveexec_b64 s[12:13], vcc
	s_xor_b64 s[28:29], exec, s[12:13]
	s_cbranch_execz .LBB198_140
; %bb.139:                              ;   in Loop: Header=BB198_4 Depth=1
	v_mul_f32_e32 v1, v36, v36
	v_add_f32_e32 v37, 1.0, v1
	v_cvt_f64_f32_e32 v[35:36], v37
	v_add_f32_e32 v38, -1.0, v37
	v_sub_f32_e32 v39, v38, v37
	v_sub_f32_e32 v38, v1, v38
	v_frexp_exp_i32_f64_e32 v35, v[35:36]
	v_frexp_mant_f32_e32 v36, v37
	v_cmp_gt_f32_e32 vcc, s47, v36
	v_add_f32_e32 v39, 1.0, v39
	v_add_f32_e32 v38, v38, v39
	v_cmp_gt_i32_e64 s[12:13], 0, v15
	v_cmp_class_f32_e64 s[30:31], v16, s51
	v_subbrev_co_u32_e32 v35, vcc, 0, v35, vcc
	v_sub_u32_e32 v36, 0, v35
	v_ldexp_f32 v37, v37, v36
	v_ldexp_f32 v36, v38, v36
	v_add_f32_e32 v38, -1.0, v37
	v_add_f32_e32 v39, 1.0, v37
	v_add_f32_e32 v40, 1.0, v38
	v_add_f32_e32 v42, -1.0, v39
	v_sub_f32_e32 v40, v37, v40
	v_sub_f32_e32 v37, v37, v42
	v_add_f32_e32 v40, v36, v40
	v_add_f32_e32 v36, v36, v37
	;; [unrolled: 1-line block ×3, first 2 shown]
	v_rcp_f32_e32 v42, v37
	v_add_f32_e32 v41, v38, v40
	v_sub_f32_e32 v39, v39, v37
	v_sub_f32_e32 v38, v38, v41
	v_add_f32_e32 v36, v36, v39
	v_mul_f32_e32 v39, v41, v42
	v_add_f32_e32 v38, v40, v38
	v_mul_f32_e32 v40, v37, v39
	v_fma_f32 v43, v39, v37, -v40
	v_fmac_f32_e32 v43, v39, v36
	v_add_f32_e32 v44, v40, v43
	v_sub_f32_e32 v45, v41, v44
	v_sub_f32_e32 v41, v41, v45
	;; [unrolled: 1-line block ×4, first 2 shown]
	v_add_f32_e32 v38, v38, v41
	v_sub_f32_e32 v40, v40, v43
	v_add_f32_e32 v38, v40, v38
	v_add_f32_e32 v40, v45, v38
	v_mul_f32_e32 v41, v42, v40
	v_mul_f32_e32 v43, v37, v41
	v_fma_f32 v37, v41, v37, -v43
	v_fmac_f32_e32 v37, v41, v36
	v_sub_f32_e32 v36, v45, v40
	v_add_f32_e32 v36, v38, v36
	v_add_f32_e32 v38, v43, v37
	v_sub_f32_e32 v44, v40, v38
	v_sub_f32_e32 v40, v40, v44
	;; [unrolled: 1-line block ×4, first 2 shown]
	v_add_f32_e32 v36, v36, v38
	v_sub_f32_e32 v37, v43, v37
	v_cvt_f32_i32_e32 v35, v35
	v_add_f32_e32 v36, v37, v36
	v_add_f32_e32 v37, v39, v41
	;; [unrolled: 1-line block ×3, first 2 shown]
	v_sub_f32_e32 v38, v37, v39
	v_mul_f32_e32 v36, v42, v36
	v_sub_f32_e32 v38, v41, v38
	v_add_f32_e32 v36, v38, v36
	v_mul_f32_e32 v41, 0x3f317218, v35
	v_add_f32_e32 v38, v37, v36
	v_fma_f32 v42, v35, s48, -v41
	v_mul_f32_e32 v39, v38, v38
	v_mov_b32_e32 v40, 0x3ecc95a3
	v_fmac_f32_e32 v42, 0xb102e308, v35
	v_sub_f32_e32 v35, v38, v37
	v_fmac_f32_e32 v40, 0x3e9b6dac, v39
	v_sub_f32_e32 v35, v36, v35
	v_add_f32_e32 v36, v41, v42
	v_fma_f32 v40, v39, v40, v17
	v_sub_f32_e32 v37, v36, v41
	v_ldexp_f32 v41, v38, 1
	v_mul_f32_e32 v38, v38, v39
	v_mul_f32_e32 v38, v38, v40
	v_add_f32_e32 v39, v41, v38
	v_sub_f32_e32 v40, v39, v41
	v_ldexp_f32 v35, v35, 1
	v_sub_f32_e32 v38, v38, v40
	v_add_f32_e32 v35, v35, v38
	v_add_f32_e32 v38, v39, v35
	v_sub_f32_e32 v39, v38, v39
	v_sub_f32_e32 v35, v35, v39
	v_add_f32_e32 v39, v36, v38
	v_sub_f32_e32 v40, v39, v36
	v_sub_f32_e32 v41, v39, v40
	;; [unrolled: 1-line block ×5, first 2 shown]
	v_add_f32_e32 v36, v38, v36
	v_add_f32_e32 v38, v37, v35
	v_sub_f32_e32 v40, v38, v37
	v_sub_f32_e32 v41, v38, v40
	;; [unrolled: 1-line block ×4, first 2 shown]
	v_add_f32_e32 v36, v38, v36
	v_add_f32_e32 v35, v35, v37
	;; [unrolled: 1-line block ×3, first 2 shown]
	v_sub_f32_e32 v38, v37, v39
	v_sub_f32_e32 v36, v36, v38
	v_add_f32_e32 v35, v35, v36
	v_add_f32_e32 v35, v37, v35
	v_cmp_neq_f32_e32 vcc, s49, v1
	v_cndmask_b32_e32 v35, v24, v35, vcc
	v_cmp_lt_f32_e64 vcc, |v1|, s50
	v_cndmask_b32_e32 v1, v35, v1, vcc
	v_max_f32_e64 v35, |v16|, |v16|
	v_max_f32_e64 v36, |v15|, |v15|
	v_min_f32_e32 v37, v36, v35
	v_max_f32_e32 v35, v36, v35
	v_frexp_mant_f32_e32 v36, v35
	v_rcp_f32_e32 v36, v36
	v_frexp_exp_i32_f32_e32 v35, v35
	v_frexp_exp_i32_f32_e32 v38, v37
	v_frexp_mant_f32_e32 v37, v37
	v_mul_f32_e32 v36, v37, v36
	v_sub_u32_e32 v35, v38, v35
	v_ldexp_f32 v35, v36, v35
	v_mul_f32_e32 v36, v35, v35
	v_mov_b32_e32 v37, 0xbc7a590c
	v_fmac_f32_e32 v37, 0x3b2d2a58, v36
	v_fma_f32 v37, v36, v37, v18
	v_fma_f32 v37, v36, v37, v19
	;; [unrolled: 1-line block ×6, first 2 shown]
	v_mul_f32_e32 v36, v36, v37
	v_fmac_f32_e32 v35, v35, v36
	v_sub_f32_e32 v36, 0x3fc90fdb, v35
	v_cndmask_b32_e64 v35, v35, v36, s[10:11]
	v_sub_f32_e32 v36, 0x40490fdb, v35
	v_cmp_gt_f32_e32 vcc, 0, v15
	v_cndmask_b32_e32 v35, v35, v36, vcc
	v_cndmask_b32_e64 v36, 0, v27, s[12:13]
	v_cmp_eq_f32_e64 s[12:13], 0, v16
	v_cndmask_b32_e64 v35, v35, v36, s[12:13]
	v_cmp_class_f32_e64 s[12:13], v15, s51
	v_cndmask_b32_e32 v36, v28, v29, vcc
	s_and_b64 vcc, s[30:31], s[12:13]
	v_mul_f32_e32 v1, 0.5, v1
	v_cndmask_b32_e32 v35, v35, v36, vcc
                                        ; implicit-def: $vgpr36
.LBB198_140:                            ;   in Loop: Header=BB198_4 Depth=1
	s_andn2_saveexec_b64 s[28:29], s[28:29]
	s_cbranch_execz .LBB198_142
; %bb.141:                              ;   in Loop: Header=BB198_4 Depth=1
	v_mul_f32_e32 v1, 0.5, v36
	v_mul_f32_e32 v1, v36, v1
	v_max_f32_e64 v35, |v16|, |v16|
	v_max_f32_e64 v36, |v15|, |v15|
	v_min_f32_e32 v37, v36, v35
	v_max_f32_e32 v35, v36, v35
	v_frexp_mant_f32_e32 v36, v35
	v_rcp_f32_e32 v36, v36
	v_frexp_exp_i32_f32_e32 v35, v35
	v_frexp_exp_i32_f32_e32 v38, v37
	v_frexp_mant_f32_e32 v37, v37
	v_mul_f32_e32 v36, v37, v36
	v_sub_u32_e32 v35, v38, v35
	v_ldexp_f32 v35, v36, v35
	v_mul_f32_e32 v36, v35, v35
	v_mov_b32_e32 v37, 0xbc7a590c
	v_fmac_f32_e32 v37, 0x3b2d2a58, v36
	v_fma_f32 v37, v36, v37, v18
	v_fma_f32 v37, v36, v37, v19
	;; [unrolled: 1-line block ×6, first 2 shown]
	v_mul_f32_e32 v36, v36, v37
	v_fmac_f32_e32 v35, v35, v36
	v_sub_f32_e32 v36, 0x3fc90fdb, v35
	v_cndmask_b32_e64 v35, v35, v36, s[10:11]
	v_sub_f32_e32 v36, 0x40490fdb, v35
	v_cmp_gt_f32_e32 vcc, 0, v15
	v_cmp_gt_i32_e64 s[12:13], 0, v15
	v_cndmask_b32_e32 v35, v35, v36, vcc
	v_cndmask_b32_e64 v36, 0, v27, s[12:13]
	v_cmp_eq_f32_e64 s[12:13], 0, v16
	v_cndmask_b32_e64 v35, v35, v36, s[12:13]
	v_cmp_class_f32_e64 s[12:13], v15, s51
	v_cmp_class_f32_e64 s[30:31], v16, s51
	v_cndmask_b32_e32 v36, v28, v29, vcc
	s_and_b64 vcc, s[30:31], s[12:13]
	v_cndmask_b32_e32 v35, v35, v36, vcc
.LBB198_142:                            ;   in Loop: Header=BB198_4 Depth=1
	s_or_b64 exec, exec, s[28:29]
.LBB198_143:                            ;   in Loop: Header=BB198_4 Depth=1
	s_or_b64 exec, exec, s[26:27]
.LBB198_144:                            ;   in Loop: Header=BB198_4 Depth=1
	s_andn2_saveexec_b64 s[24:25], s[24:25]
	s_cbranch_execz .LBB198_146
; %bb.145:                              ;   in Loop: Header=BB198_4 Depth=1
	v_div_scale_f32 v1, s[12:13], s56, s56, v15
	v_div_scale_f32 v35, s[12:13], s56, s56, v16
	v_div_scale_f32 v36, vcc, v15, s56, v15
	v_div_scale_f32 v37, s[12:13], v16, s56, v16
	v_rcp_f32_e32 v38, v1
	v_rcp_f32_e32 v39, v35
	v_fma_f32 v40, -v1, v38, 1.0
	v_fmac_f32_e32 v38, v40, v38
	v_fma_f32 v41, -v35, v39, 1.0
	v_fmac_f32_e32 v39, v41, v39
	v_mul_f32_e32 v40, v36, v38
	v_mul_f32_e32 v41, v37, v39
	v_fma_f32 v42, -v1, v40, v36
	v_fma_f32 v43, -v35, v41, v37
	v_fmac_f32_e32 v40, v42, v38
	v_fmac_f32_e32 v41, v43, v39
	v_fma_f32 v1, -v1, v40, v36
	v_fma_f32 v35, -v35, v41, v37
	v_div_fmas_f32 v1, v1, v38, v40
	s_mov_b64 vcc, s[12:13]
	v_div_fmas_f32 v35, v35, v39, v41
	v_max_f32_e64 v36, |v16|, |v16|
	v_max_f32_e64 v37, |v15|, |v15|
	v_min_f32_e32 v39, v37, v36
	v_max_f32_e32 v36, v37, v36
	v_frexp_exp_i32_f32_e32 v37, v36
	v_frexp_exp_i32_f32_e32 v40, v39
	v_sub_u32_e32 v37, v40, v37
	v_frexp_mant_f32_e32 v36, v36
	v_rcp_f32_e32 v41, v36
	v_frexp_mant_f32_e32 v39, v39
	v_mov_b32_e32 v38, 0xbc7a590c
	v_cmp_class_f32_e64 s[12:13], v16, s51
	v_mul_f32_e32 v39, v39, v41
	v_div_fixup_f32 v1, v1, s56, v15
	v_ldexp_f32 v37, v39, v37
	v_div_fixup_f32 v40, v35, s56, v16
	v_max_f32_e64 v42, |v1|, |v40|
	v_cvt_f64_f32_e32 v[35:36], v42
	v_mul_f32_e32 v39, v37, v37
	v_fmac_f32_e32 v38, 0x3b2d2a58, v39
	v_cmp_neq_f32_e32 vcc, s49, v42
	v_frexp_exp_i32_f64_e32 v35, v[35:36]
	v_fma_f32 v36, v39, v38, v18
	v_fma_f32 v36, v39, v36, v19
	;; [unrolled: 1-line block ×6, first 2 shown]
	v_mul_f32_e32 v36, v39, v36
	v_sub_u32_e32 v38, 0, v35
	v_ldexp_f32 v1, |v1|, v38
	v_ldexp_f32 v38, |v40|, v38
	v_mul_f32_e32 v38, v38, v38
	v_fmac_f32_e32 v38, v1, v1
	v_sqrt_f32_e32 v1, v38
	v_fmac_f32_e32 v37, v37, v36
	v_sub_f32_e32 v36, 0x3fc90fdb, v37
	v_ldexp_f32 v1, v1, v35
	v_cndmask_b32_e32 v1, v24, v1, vcc
	v_cmp_gt_f32_e32 vcc, s53, v1
	v_cndmask_b32_e64 v35, 0, 32, vcc
	v_ldexp_f32 v1, v1, v35
	v_log_f32_e32 v1, v1
	v_cndmask_b32_e64 v35, v37, v36, s[10:11]
	v_cndmask_b32_e32 v37, 0, v30, vcc
	v_sub_f32_e32 v36, 0x40490fdb, v35
	v_mul_f32_e32 v38, 0x3f317217, v1
	v_fma_f32 v38, v1, s54, -v38
	v_fmac_f32_e32 v38, 0x3377d1cf, v1
	v_fmac_f32_e32 v38, 0x3f317217, v1
	v_cmp_lt_f32_e64 vcc, |v1|, s49
	v_cndmask_b32_e32 v1, v1, v38, vcc
	v_cmp_gt_f32_e32 vcc, 0, v15
	v_cmp_gt_i32_e64 s[10:11], 0, v15
	v_cndmask_b32_e32 v35, v35, v36, vcc
	v_cndmask_b32_e64 v36, 0, v27, s[10:11]
	v_cmp_eq_f32_e64 s[10:11], 0, v16
	v_cndmask_b32_e64 v35, v35, v36, s[10:11]
	v_cmp_class_f32_e64 s[10:11], v15, s51
	v_sub_f32_e32 v1, v1, v37
	v_cndmask_b32_e32 v36, v28, v29, vcc
	s_and_b64 vcc, s[12:13], s[10:11]
	v_add_f32_e32 v1, 1.0, v1
	v_cndmask_b32_e32 v35, v35, v36, vcc
.LBB198_146:                            ;   in Loop: Header=BB198_4 Depth=1
	s_or_b64 exec, exec, s[24:25]
	s_andn2_saveexec_b64 s[10:11], s[22:23]
	s_cbranch_execz .LBB198_116
.LBB198_147:                            ;   in Loop: Header=BB198_4 Depth=1
	v_cmp_nlt_f32_e64 s[12:13], |v15|, s57
	v_cmp_nlt_f32_e64 s[22:23], |v16|, s57
	s_or_b64 s[12:13], s[22:23], s[12:13]
                                        ; implicit-def: $vgpr1
	s_and_saveexec_b64 s[22:23], s[12:13]
	s_xor_b64 s[12:13], exec, s[22:23]
; %bb.148:                              ;   in Loop: Header=BB198_4 Depth=1
	v_mul_f32_e32 v1, v15, v15
	v_fmac_f32_e32 v1, v16, v16
; %bb.149:                              ;   in Loop: Header=BB198_4 Depth=1
	s_andn2_saveexec_b64 s[12:13], s[12:13]
; %bb.150:                              ;   in Loop: Header=BB198_4 Depth=1
	v_mul_f32_e32 v1, 4.0, v15
	v_mul_f32_e32 v15, 4.0, v16
	v_mul_f32_e32 v1, v1, v1
	v_fmac_f32_e32 v1, v15, v15
	v_mul_f32_e32 v1, 0x3d800000, v1
; %bb.151:                              ;   in Loop: Header=BB198_4 Depth=1
	s_or_b64 exec, exec, s[12:13]
	v_cmp_gt_f32_e32 vcc, s53, v1
	v_cndmask_b32_e64 v15, 0, 32, vcc
	v_ldexp_f32 v1, v1, v15
	v_log_f32_e32 v1, v1
	v_cndmask_b32_e32 v15, 0, v30, vcc
	v_mul_f32_e32 v35, 0x3f317217, v1
	v_fma_f32 v35, v1, s54, -v35
	v_fmac_f32_e32 v35, 0x3377d1cf, v1
	v_fmac_f32_e32 v35, 0x3f317217, v1
	v_cmp_lt_f32_e64 vcc, |v1|, s49
	v_cndmask_b32_e32 v1, v1, v35, vcc
	v_sub_f32_e32 v1, v1, v15
	v_mov_b32_e32 v35, 0x7fc00000
	s_or_b64 exec, exec, s[10:11]
	s_and_saveexec_b64 s[10:11], s[0:1]
	s_xor_b64 s[0:1], exec, s[10:11]
	s_cbranch_execz .LBB198_117
.LBB198_152:                            ;   in Loop: Header=BB198_4 Depth=1
	v_bfi_b32 v10, s43, v32, v10
	v_fma_f32 v15, 0, v10, v31
	v_fmac_f32_e32 v10, 0x80000000, v31
	v_mul_f32_e32 v37, 0x3fb8aa3b, v10
	v_mov_b32_e32 v10, s38
	v_add_co_u32_e32 v3, vcc, s33, v3
	v_mul_f32_e32 v36, 0x3fb8aa3b, v15
	v_addc_co_u32_e32 v4, vcc, v10, v4, vcc
	global_store_dwordx2 v[3:4], v[36:37], off
	s_or_b64 exec, exec, s[0:1]
	s_and_saveexec_b64 s[0:1], s[2:3]
	s_cbranch_execz .LBB198_118
.LBB198_153:                            ;   in Loop: Header=BB198_4 Depth=1
	v_bfi_b32 v4, s43, v33, v14
	v_fma_f32 v3, 0, v4, v9
	v_fmac_f32_e32 v4, 0x80000000, v9
	v_mov_b32_e32 v9, s38
	v_add_co_u32_e32 v5, vcc, s33, v5
	v_mul_f32_e32 v3, 0x3fb8aa3b, v3
	v_mul_f32_e32 v4, 0x3fb8aa3b, v4
	v_addc_co_u32_e32 v6, vcc, v9, v6, vcc
	global_store_dwordx2 v[5:6], v[3:4], off
	s_or_b64 exec, exec, s[0:1]
	s_and_saveexec_b64 s[0:1], s[6:7]
	s_cbranch_execz .LBB198_119
.LBB198_154:                            ;   in Loop: Header=BB198_4 Depth=1
	v_bfi_b32 v3, s43, v34, v2
	v_fma_f32 v2, 0, v3, v13
	v_fmac_f32_e32 v3, 0x80000000, v13
	v_mov_b32_e32 v5, s38
	v_add_co_u32_e32 v4, vcc, s33, v7
	v_mul_f32_e32 v2, 0x3fb8aa3b, v2
	v_mul_f32_e32 v3, 0x3fb8aa3b, v3
	v_addc_co_u32_e32 v5, vcc, v5, v8, vcc
	global_store_dwordx2 v[4:5], v[2:3], off
	s_or_b64 exec, exec, s[0:1]
	s_and_saveexec_b64 s[0:1], s[8:9]
	s_cbranch_execz .LBB198_3
.LBB198_155:                            ;   in Loop: Header=BB198_4 Depth=1
	v_bfi_b32 v3, s43, v35, v16
	v_fma_f32 v2, 0, v3, v1
	v_fmac_f32_e32 v3, 0x80000000, v1
	v_mov_b32_e32 v1, s38
	v_add_co_u32_e32 v4, vcc, s33, v11
	v_mul_f32_e32 v2, 0x3fb8aa3b, v2
	v_mul_f32_e32 v3, 0x3fb8aa3b, v3
	v_addc_co_u32_e32 v5, vcc, v1, v12, vcc
	global_store_dwordx2 v[4:5], v[2:3], off
	s_branch .LBB198_3
.LBB198_156:
	s_cbranch_execz .LBB198_158
	s_branch .LBB198_297
.LBB198_157:
.LBB198_158:
	v_mov_b32_e32 v1, 0x10000
	v_mov_b32_e32 v2, 0
	v_cmp_lt_i64_e32 vcc, s[14:15], v[1:2]
	v_mov_b32_e32 v2, 0
	s_and_b64 s[0:1], vcc, exec
	s_cselect_b32 s7, s15, 0
	s_cselect_b32 s6, s14, 0x10000
	v_lshlrev_b32_e32 v1, 2, v0
	v_cmp_gt_i64_e32 vcc, s[6:7], v[1:2]
	s_and_saveexec_b64 s[0:1], vcc
	s_cbranch_execz .LBB198_297
; %bb.159:
	s_load_dword s0, s[4:5], 0xd3c
	v_mov_b32_e32 v1, v2
	s_mov_b64 s[4:5], 0
	v_mov_b32_e32 v12, s38
	s_brev_b32 s22, -2
	s_waitcnt lgkmcnt(0)
	s_and_b32 s23, s0, 0xffff
	s_mov_b32 s24, 0x77f684df
	s_mov_b32 s25, 0x358637bd
	;; [unrolled: 1-line block ×4, first 2 shown]
	v_mov_b32_e32 v13, 0x3f2aaada
	s_mov_b32 s28, 0x3f317218
	s_mov_b32 s29, 0x7f800000
	s_mov_b32 s30, 0x33800000
	v_mov_b32_e32 v14, 0x3d29fb3f
	v_mov_b32_e32 v15, 0xbd97d4d7
	;; [unrolled: 1-line block ×6, first 2 shown]
	s_movk_i32 s31, 0x204
	s_mov_b32 s34, 0x3f333333
	s_mov_b32 s35, 0x800000
	;; [unrolled: 1-line block ×5, first 2 shown]
	s_brev_b32 s39, 4
	v_mov_b32_e32 v20, 0x7f800000
	v_mov_b32_e32 v21, 0x7fc00000
	;; [unrolled: 1-line block ×7, first 2 shown]
	s_branch .LBB198_162
.LBB198_160:                            ;   in Loop: Header=BB198_162 Depth=1
	s_or_b64 exec, exec, s[2:3]
	v_cmp_gt_f32_e32 vcc, s35, v2
	v_cndmask_b32_e64 v4, 0, 32, vcc
	v_ldexp_f32 v2, v2, v4
	v_log_f32_e32 v2, v2
	v_cndmask_b32_e32 v4, 0, v26, vcc
	v_mul_f32_e32 v31, 0x3f317217, v2
	v_fma_f32 v31, v2, s36, -v31
	v_fmac_f32_e32 v31, 0x3377d1cf, v2
	v_fmac_f32_e32 v31, 0x3f317217, v2
	v_cmp_lt_f32_e64 vcc, |v2|, s29
	v_cndmask_b32_e32 v2, v2, v31, vcc
	v_sub_f32_e32 v2, v2, v4
	v_mov_b32_e32 v31, 0x7fc00000
.LBB198_161:                            ;   in Loop: Header=BB198_162 Depth=1
	s_or_b64 exec, exec, s[0:1]
	v_bfi_b32 v4, s22, v30, v3
	v_fma_f32 v3, 0, v4, v8
	v_fmac_f32_e32 v4, 0x80000000, v8
	v_bfi_b32 v8, s22, v29, v9
	v_fma_f32 v9, 0, v8, v6
	v_fmac_f32_e32 v8, 0x80000000, v6
	v_bfi_b32 v6, s22, v28, v7
	v_add_co_u32_e32 v0, vcc, s23, v0
	v_fma_f32 v7, 0, v6, v27
	v_addc_co_u32_e32 v1, vcc, 0, v1, vcc
	v_mul_f32_e32 v35, 0x3fb8aa3b, v8
	v_mul_f32_e32 v32, 0x3fb8aa3b, v7
	v_lshlrev_b64 v[7:8], 2, v[0:1]
	v_fmac_f32_e32 v6, 0x80000000, v27
	v_mul_f32_e32 v33, 0x3fb8aa3b, v6
	v_bfi_b32 v6, s22, v31, v5
	v_cmp_le_i64_e32 vcc, s[6:7], v[7:8]
	v_fma_f32 v5, 0, v6, v2
	v_fmac_f32_e32 v6, 0x80000000, v2
	v_mul_f32_e32 v3, 0x3fb8aa3b, v3
	v_mul_f32_e32 v4, 0x3fb8aa3b, v4
	;; [unrolled: 1-line block ×5, first 2 shown]
	s_or_b64 s[4:5], vcc, s[4:5]
	global_store_dwordx4 v[10:11], v[32:35], off
	global_store_dwordx4 v[10:11], v[3:6], off offset:16
	s_andn2_b64 exec, exec, s[4:5]
	s_cbranch_execz .LBB198_297
.LBB198_162:                            ; =>This Loop Header: Depth=1
                                        ;     Child Loop BB198_173 Depth 2
                                        ;     Child Loop BB198_207 Depth 2
	;; [unrolled: 1-line block ×4, first 2 shown]
	v_lshlrev_b64 v[2:3], 5, v[0:1]
                                        ; implicit-def: $vgpr27
                                        ; implicit-def: $vgpr28
	v_add_co_u32_e32 v10, vcc, s33, v2
	v_addc_co_u32_e32 v11, vcc, v12, v3, vcc
	global_load_dwordx4 v[6:9], v[10:11], off
	global_load_dwordx4 v[2:5], v[10:11], off offset:16
	s_waitcnt vmcnt(1)
	v_cmp_o_f32_e32 vcc, v7, v6
	s_and_saveexec_b64 s[0:1], vcc
	s_xor_b64 s[8:9], exec, s[0:1]
	s_cbranch_execz .LBB198_190
; %bb.163:                              ;   in Loop: Header=BB198_162 Depth=1
	v_cmp_lt_f32_e64 s[0:1], |v6|, |v7|
	v_cndmask_b32_e64 v29, |v7|, |v6|, s[0:1]
	v_cmp_nlt_f32_e32 vcc, s24, v29
                                        ; implicit-def: $vgpr27
                                        ; implicit-def: $vgpr28
	s_and_saveexec_b64 s[2:3], vcc
	s_xor_b64 s[10:11], exec, s[2:3]
	s_cbranch_execz .LBB198_187
; %bb.164:                              ;   in Loop: Header=BB198_162 Depth=1
	v_and_b32_e32 v27, 0x7fffffff, v7
	v_cndmask_b32_e64 v30, |v6|, v27, s[0:1]
	v_cmp_neq_f32_e32 vcc, 1.0, v30
                                        ; implicit-def: $vgpr27
                                        ; implicit-def: $vgpr28
	s_and_saveexec_b64 s[2:3], vcc
	s_xor_b64 s[12:13], exec, s[2:3]
	s_cbranch_execz .LBB198_180
; %bb.165:                              ;   in Loop: Header=BB198_162 Depth=1
	v_max_f32_e32 v27, v29, v29
	v_max_f32_e32 v28, v30, v30
	v_min_f32_e32 v31, v28, v27
	v_max_f32_e32 v27, v28, v27
	v_cmp_ngt_f32_e32 vcc, s25, v31
	v_cmp_nlt_f32_e64 s[2:3], s26, v27
	s_and_b64 s[2:3], s[2:3], vcc
                                        ; implicit-def: $vgpr27
                                        ; implicit-def: $vgpr28
	s_and_saveexec_b64 s[14:15], s[2:3]
	s_xor_b64 s[14:15], exec, s[14:15]
	s_cbranch_execz .LBB198_177
; %bb.166:                              ;   in Loop: Header=BB198_162 Depth=1
	v_cmp_le_f32_e32 vcc, 1.0, v30
                                        ; implicit-def: $vgpr27
                                        ; implicit-def: $vgpr28
	s_and_saveexec_b64 s[2:3], vcc
	s_xor_b64 s[16:17], exec, s[2:3]
	s_cbranch_execz .LBB198_168
; %bb.167:                              ;   in Loop: Header=BB198_162 Depth=1
	v_add_f32_e32 v27, -1.0, v30
	v_add_f32_e32 v28, 1.0, v30
	v_mul_f32_e32 v30, v27, v28
	v_fmac_f32_e32 v30, v29, v29
	v_add_f32_e32 v29, 1.0, v30
	v_cvt_f64_f32_e32 v[27:28], v29
	v_add_f32_e32 v31, -1.0, v29
	v_sub_f32_e32 v32, v31, v29
	v_sub_f32_e32 v31, v30, v31
	v_frexp_exp_i32_f64_e32 v27, v[27:28]
	v_frexp_mant_f32_e32 v28, v29
	v_cmp_gt_f32_e32 vcc, s27, v28
	v_add_f32_e32 v32, 1.0, v32
	v_add_f32_e32 v31, v31, v32
	v_cmp_gt_i32_e64 s[2:3], 0, v6
	v_cmp_class_f32_e64 s[18:19], v7, s31
	v_subbrev_co_u32_e32 v27, vcc, 0, v27, vcc
	v_sub_u32_e32 v28, 0, v27
	v_ldexp_f32 v29, v29, v28
	v_ldexp_f32 v28, v31, v28
	v_add_f32_e32 v31, -1.0, v29
	v_add_f32_e32 v34, 1.0, v29
	v_add_f32_e32 v32, 1.0, v31
	v_add_f32_e32 v35, -1.0, v34
	v_sub_f32_e32 v32, v29, v32
	v_sub_f32_e32 v29, v29, v35
	v_add_f32_e32 v32, v28, v32
	v_add_f32_e32 v28, v28, v29
	;; [unrolled: 1-line block ×3, first 2 shown]
	v_rcp_f32_e32 v35, v29
	v_add_f32_e32 v33, v31, v32
	v_sub_f32_e32 v31, v33, v31
	v_sub_f32_e32 v31, v32, v31
	;; [unrolled: 1-line block ×4, first 2 shown]
	v_mul_f32_e32 v32, v33, v35
	v_mul_f32_e32 v34, v29, v32
	v_fma_f32 v36, v32, v29, -v34
	v_fmac_f32_e32 v36, v32, v28
	v_add_f32_e32 v37, v34, v36
	v_sub_f32_e32 v38, v33, v37
	v_sub_f32_e32 v33, v33, v38
	;; [unrolled: 1-line block ×4, first 2 shown]
	v_add_f32_e32 v31, v31, v33
	v_sub_f32_e32 v33, v34, v36
	v_add_f32_e32 v31, v33, v31
	v_add_f32_e32 v33, v38, v31
	v_mul_f32_e32 v34, v35, v33
	v_mul_f32_e32 v36, v29, v34
	v_fma_f32 v29, v34, v29, -v36
	v_fmac_f32_e32 v29, v34, v28
	v_sub_f32_e32 v28, v38, v33
	v_add_f32_e32 v28, v31, v28
	v_add_f32_e32 v31, v36, v29
	v_sub_f32_e32 v37, v33, v31
	v_sub_f32_e32 v33, v33, v37
	;; [unrolled: 1-line block ×4, first 2 shown]
	v_add_f32_e32 v28, v28, v31
	v_sub_f32_e32 v29, v36, v29
	v_cvt_f32_i32_e32 v27, v27
	v_add_f32_e32 v28, v29, v28
	v_add_f32_e32 v29, v32, v34
	v_add_f32_e32 v28, v37, v28
	v_sub_f32_e32 v31, v29, v32
	v_mul_f32_e32 v28, v35, v28
	v_sub_f32_e32 v31, v34, v31
	v_add_f32_e32 v28, v31, v28
	v_mul_f32_e32 v34, 0x3f317218, v27
	v_add_f32_e32 v31, v29, v28
	v_fma_f32 v35, v27, s28, -v34
	v_mul_f32_e32 v32, v31, v31
	v_mov_b32_e32 v33, 0x3ecc95a3
	v_fmac_f32_e32 v35, 0xb102e308, v27
	v_sub_f32_e32 v27, v31, v29
	v_fmac_f32_e32 v33, 0x3e9b6dac, v32
	v_sub_f32_e32 v27, v28, v27
	v_add_f32_e32 v28, v34, v35
	v_fma_f32 v33, v32, v33, v13
	v_sub_f32_e32 v29, v28, v34
	v_ldexp_f32 v34, v31, 1
	v_mul_f32_e32 v31, v31, v32
	v_mul_f32_e32 v31, v31, v33
	v_add_f32_e32 v32, v34, v31
	v_sub_f32_e32 v33, v32, v34
	v_ldexp_f32 v27, v27, 1
	v_sub_f32_e32 v31, v31, v33
	v_add_f32_e32 v27, v27, v31
	v_add_f32_e32 v31, v32, v27
	v_sub_f32_e32 v32, v31, v32
	v_sub_f32_e32 v27, v27, v32
	v_add_f32_e32 v32, v28, v31
	v_sub_f32_e32 v33, v32, v28
	v_sub_f32_e32 v34, v32, v33
	;; [unrolled: 1-line block ×5, first 2 shown]
	v_add_f32_e32 v28, v31, v28
	v_add_f32_e32 v31, v29, v27
	v_sub_f32_e32 v33, v31, v29
	v_sub_f32_e32 v34, v31, v33
	v_sub_f32_e32 v29, v29, v34
	v_sub_f32_e32 v27, v27, v33
	v_add_f32_e32 v28, v31, v28
	v_add_f32_e32 v27, v27, v29
	;; [unrolled: 1-line block ×3, first 2 shown]
	v_sub_f32_e32 v31, v29, v32
	v_sub_f32_e32 v28, v28, v31
	v_add_f32_e32 v27, v27, v28
	v_add_f32_e32 v27, v29, v27
	v_cmp_neq_f32_e32 vcc, s29, v30
	v_cndmask_b32_e32 v27, v20, v27, vcc
	v_cmp_ngt_f32_e32 vcc, -1.0, v30
	v_cndmask_b32_e32 v27, v21, v27, vcc
	v_cmp_neq_f32_e32 vcc, -1.0, v30
	v_cndmask_b32_e32 v27, v22, v27, vcc
	v_cmp_lt_f32_e64 vcc, |v30|, s30
	v_max_f32_e64 v28, |v7|, |v7|
	v_max_f32_e64 v29, |v6|, |v6|
	v_cndmask_b32_e32 v27, v27, v30, vcc
	v_min_f32_e32 v30, v29, v28
	v_max_f32_e32 v28, v29, v28
	v_frexp_mant_f32_e32 v29, v28
	v_rcp_f32_e32 v29, v29
	v_frexp_exp_i32_f32_e32 v28, v28
	v_frexp_exp_i32_f32_e32 v31, v30
	v_frexp_mant_f32_e32 v30, v30
	v_mul_f32_e32 v29, v30, v29
	v_sub_u32_e32 v28, v31, v28
	v_ldexp_f32 v28, v29, v28
	v_mul_f32_e32 v29, v28, v28
	v_mov_b32_e32 v30, 0xbc7a590c
	v_fmac_f32_e32 v30, 0x3b2d2a58, v29
	v_fma_f32 v30, v29, v30, v14
	v_fma_f32 v30, v29, v30, v15
	v_fma_f32 v30, v29, v30, v16
	v_fma_f32 v30, v29, v30, v17
	v_fma_f32 v30, v29, v30, v18
	v_fma_f32 v30, v29, v30, v19
	v_mul_f32_e32 v29, v29, v30
	v_fmac_f32_e32 v28, v28, v29
	v_sub_f32_e32 v29, 0x3fc90fdb, v28
	v_cndmask_b32_e64 v28, v28, v29, s[0:1]
	v_sub_f32_e32 v29, 0x40490fdb, v28
	v_cmp_gt_f32_e32 vcc, 0, v6
	v_cndmask_b32_e32 v28, v28, v29, vcc
	v_cndmask_b32_e64 v29, 0, v23, s[2:3]
	v_cmp_eq_f32_e64 s[2:3], 0, v7
	v_cndmask_b32_e64 v28, v28, v29, s[2:3]
	v_cmp_class_f32_e64 s[2:3], v6, s31
	v_cndmask_b32_e32 v29, v24, v25, vcc
	s_and_b64 vcc, s[2:3], s[18:19]
	v_mul_f32_e32 v27, 0.5, v27
	v_cndmask_b32_e32 v28, v28, v29, vcc
                                        ; implicit-def: $vgpr29
                                        ; implicit-def: $vgpr30
.LBB198_168:                            ;   in Loop: Header=BB198_162 Depth=1
	s_andn2_saveexec_b64 s[16:17], s[16:17]
	s_cbranch_execz .LBB198_176
; %bb.169:                              ;   in Loop: Header=BB198_162 Depth=1
	v_mul_f32_e32 v31, v29, v29
	v_fmac_f32_e32 v31, v30, v30
	v_cmp_ge_f32_e32 vcc, s34, v31
                                        ; implicit-def: $vgpr27
                                        ; implicit-def: $vgpr28
	s_and_saveexec_b64 s[2:3], vcc
	s_xor_b64 s[18:19], exec, s[2:3]
	s_cbranch_execz .LBB198_171
; %bb.170:                              ;   in Loop: Header=BB198_162 Depth=1
	v_cmp_gt_f32_e32 vcc, s35, v31
	v_cndmask_b32_e64 v27, 0, 32, vcc
	v_ldexp_f32 v27, v31, v27
	v_log_f32_e32 v27, v27
	v_cndmask_b32_e32 v28, 0, v26, vcc
	v_cmp_gt_i32_e64 s[2:3], 0, v6
	v_cmp_class_f32_e64 s[20:21], v7, s31
	v_mul_f32_e32 v29, 0x3f317217, v27
	v_fma_f32 v29, v27, s36, -v29
	v_fmac_f32_e32 v29, 0x3377d1cf, v27
	v_fmac_f32_e32 v29, 0x3f317217, v27
	v_cmp_lt_f32_e64 vcc, |v27|, s29
	v_cndmask_b32_e32 v27, v27, v29, vcc
	v_sub_f32_e32 v27, v27, v28
	v_max_f32_e64 v28, |v7|, |v7|
	v_max_f32_e64 v29, |v6|, |v6|
	v_min_f32_e32 v30, v29, v28
	v_max_f32_e32 v28, v29, v28
	v_frexp_mant_f32_e32 v29, v28
	v_rcp_f32_e32 v29, v29
	v_frexp_exp_i32_f32_e32 v28, v28
	v_frexp_exp_i32_f32_e32 v31, v30
	v_frexp_mant_f32_e32 v30, v30
	v_mul_f32_e32 v29, v30, v29
	v_sub_u32_e32 v28, v31, v28
	v_ldexp_f32 v28, v29, v28
	v_mul_f32_e32 v29, v28, v28
	v_mov_b32_e32 v30, 0xbc7a590c
	v_fmac_f32_e32 v30, 0x3b2d2a58, v29
	v_fma_f32 v30, v29, v30, v14
	v_fma_f32 v30, v29, v30, v15
	;; [unrolled: 1-line block ×6, first 2 shown]
	v_mul_f32_e32 v29, v29, v30
	v_fmac_f32_e32 v28, v28, v29
	v_sub_f32_e32 v29, 0x3fc90fdb, v28
	v_cndmask_b32_e64 v28, v28, v29, s[0:1]
	v_sub_f32_e32 v29, 0x40490fdb, v28
	v_cmp_gt_f32_e32 vcc, 0, v6
	v_cndmask_b32_e32 v28, v28, v29, vcc
	v_cndmask_b32_e64 v29, 0, v23, s[2:3]
	v_cmp_eq_f32_e64 s[2:3], 0, v7
	v_cndmask_b32_e64 v28, v28, v29, s[2:3]
	v_cmp_class_f32_e64 s[2:3], v6, s31
	v_cndmask_b32_e32 v29, v24, v25, vcc
	s_and_b64 vcc, s[2:3], s[20:21]
	v_mul_f32_e32 v27, 0.5, v27
	v_cndmask_b32_e32 v28, v28, v29, vcc
                                        ; implicit-def: $vgpr30
                                        ; implicit-def: $vgpr29
.LBB198_171:                            ;   in Loop: Header=BB198_162 Depth=1
	s_andn2_saveexec_b64 s[18:19], s[18:19]
	s_cbranch_execz .LBB198_175
; %bb.172:                              ;   in Loop: Header=BB198_162 Depth=1
	v_and_b32_e32 v31, 0x7fff0000, v30
	v_sub_f32_e32 v27, v30, v31
	v_and_b32_e32 v35, 0xffff0000, v27
	v_and_b32_e32 v30, 0x7fff0000, v29
	v_sub_f32_e32 v37, v27, v35
	v_sub_f32_e32 v27, v29, v30
	v_and_b32_e32 v36, 0xffff0000, v27
	v_add_f32_e32 v32, v31, v31
	v_add_f32_e32 v39, v30, v30
	v_sub_f32_e32 v38, v27, v36
	v_mul_f32_e32 v27, v31, v31
	v_mul_f32_e32 v28, v30, v30
	;; [unrolled: 1-line block ×6, first 2 shown]
	v_add_f32_e32 v35, v35, v35
	v_add_f32_e32 v36, v36, v36
	v_mul_f32_e32 v33, v32, v37
	v_mul_f32_e32 v32, v39, v38
	v_mul_f32_e32 v35, v35, v37
	v_mul_f32_e32 v36, v36, v38
	v_mul_f32_e32 v37, v37, v37
	v_mul_f32_e32 v38, v38, v38
	s_mov_b64 s[20:21], 0
.LBB198_173:                            ;   Parent Loop BB198_162 Depth=1
                                        ; =>  This Inner Loop Header: Depth=2
	v_cmp_nlt_f32_e32 vcc, v27, v28
	v_mov_b32_e32 v39, v38
	v_cndmask_b32_e32 v38, v27, v28, vcc
	v_cmp_nlt_f32_e64 s[2:3], v38, v31
	v_cndmask_b32_e64 v40, v38, v31, s[2:3]
	v_cndmask_b32_e32 v27, v28, v27, vcc
	s_and_b64 s[40:41], vcc, s[2:3]
	v_cmp_nlt_f32_e32 vcc, v40, v30
	v_cndmask_b32_e64 v28, v31, v38, s[2:3]
	v_cndmask_b32_e32 v38, v40, v30, vcc
	v_cmp_nlt_f32_e64 s[2:3], v38, v34
	v_cndmask_b32_e32 v31, v30, v40, vcc
	v_cndmask_b32_e64 v40, v38, v34, s[2:3]
	s_and_b64 s[42:43], vcc, s[2:3]
	v_cmp_nlt_f32_e32 vcc, v40, v29
	v_cndmask_b32_e64 v30, v34, v38, s[2:3]
	v_cndmask_b32_e32 v38, v40, v29, vcc
	v_cmp_nlt_f32_e64 s[2:3], v38, v33
	v_cndmask_b32_e32 v34, v29, v40, vcc
	v_cndmask_b32_e64 v40, v38, v33, s[2:3]
	v_cndmask_b32_e64 v29, v33, v38, s[2:3]
	s_and_b64 s[2:3], vcc, s[2:3]
	v_cmp_nlt_f32_e32 vcc, v40, v32
	v_cndmask_b32_e32 v38, v40, v32, vcc
	v_cndmask_b32_e32 v33, v32, v40, vcc
	s_and_b64 s[2:3], s[2:3], vcc
	v_cmp_nlt_f32_e32 vcc, v38, v35
	v_cndmask_b32_e32 v40, v38, v35, vcc
	v_cndmask_b32_e32 v32, v35, v38, vcc
	s_and_b64 s[2:3], s[2:3], vcc
	;; [unrolled: 4-line block ×4, first 2 shown]
	v_cmp_nlt_f32_e32 vcc, v40, v39
	s_and_b64 s[2:3], s[2:3], vcc
	s_and_b64 s[2:3], s[2:3], s[42:43]
	s_and_b64 s[2:3], s[2:3], s[40:41]
	s_and_b64 s[2:3], exec, s[2:3]
	v_cndmask_b32_e32 v38, v40, v39, vcc
	s_or_b64 s[20:21], s[2:3], s[20:21]
	v_cndmask_b32_e32 v37, v39, v40, vcc
	s_andn2_b64 exec, exec, s[20:21]
	s_cbranch_execnz .LBB198_173
; %bb.174:                              ;   in Loop: Header=BB198_162 Depth=1
	s_or_b64 exec, exec, s[20:21]
	v_add_f32_e32 v27, -1.0, v27
	v_add_f32_e32 v27, v27, v28
	v_add_f32_e32 v27, v27, v31
	;; [unrolled: 1-line block ×11, first 2 shown]
	v_add_f32_e32 v30, 1.0, v29
	v_cvt_f64_f32_e32 v[27:28], v30
	v_add_f32_e32 v31, -1.0, v30
	v_sub_f32_e32 v32, v31, v30
	v_sub_f32_e32 v31, v29, v31
	v_frexp_exp_i32_f64_e32 v27, v[27:28]
	v_frexp_mant_f32_e32 v28, v30
	v_cmp_gt_f32_e32 vcc, s27, v28
	v_add_f32_e32 v32, 1.0, v32
	v_add_f32_e32 v31, v31, v32
	v_cmp_gt_i32_e64 s[2:3], 0, v6
	v_cmp_class_f32_e64 s[20:21], v7, s31
	v_subbrev_co_u32_e32 v27, vcc, 0, v27, vcc
	v_sub_u32_e32 v28, 0, v27
	v_ldexp_f32 v30, v30, v28
	v_ldexp_f32 v28, v31, v28
	v_add_f32_e32 v31, -1.0, v30
	v_add_f32_e32 v32, 1.0, v30
	v_add_f32_e32 v33, 1.0, v31
	v_add_f32_e32 v35, -1.0, v32
	v_sub_f32_e32 v33, v30, v33
	v_sub_f32_e32 v30, v30, v35
	v_add_f32_e32 v33, v28, v33
	v_add_f32_e32 v28, v28, v30
	;; [unrolled: 1-line block ×3, first 2 shown]
	v_rcp_f32_e32 v35, v30
	v_add_f32_e32 v34, v31, v33
	v_sub_f32_e32 v32, v30, v32
	v_sub_f32_e32 v31, v34, v31
	;; [unrolled: 1-line block ×3, first 2 shown]
	v_mul_f32_e32 v32, v34, v35
	v_sub_f32_e32 v31, v33, v31
	v_mul_f32_e32 v33, v30, v32
	v_fma_f32 v36, v32, v30, -v33
	v_fmac_f32_e32 v36, v32, v28
	v_add_f32_e32 v37, v33, v36
	v_sub_f32_e32 v38, v34, v37
	v_sub_f32_e32 v34, v34, v38
	;; [unrolled: 1-line block ×4, first 2 shown]
	v_add_f32_e32 v31, v31, v34
	v_sub_f32_e32 v33, v33, v36
	v_add_f32_e32 v31, v33, v31
	v_add_f32_e32 v33, v38, v31
	v_mul_f32_e32 v34, v35, v33
	v_mul_f32_e32 v36, v30, v34
	v_fma_f32 v30, v34, v30, -v36
	v_fmac_f32_e32 v30, v34, v28
	v_sub_f32_e32 v28, v38, v33
	v_add_f32_e32 v28, v31, v28
	v_add_f32_e32 v31, v36, v30
	v_sub_f32_e32 v37, v33, v31
	v_sub_f32_e32 v33, v33, v37
	;; [unrolled: 1-line block ×4, first 2 shown]
	v_add_f32_e32 v28, v28, v31
	v_sub_f32_e32 v30, v36, v30
	v_cvt_f32_i32_e32 v27, v27
	v_add_f32_e32 v28, v30, v28
	v_add_f32_e32 v30, v32, v34
	v_add_f32_e32 v28, v37, v28
	v_sub_f32_e32 v31, v30, v32
	v_mul_f32_e32 v28, v35, v28
	v_sub_f32_e32 v31, v34, v31
	v_add_f32_e32 v28, v31, v28
	v_mul_f32_e32 v34, 0x3f317218, v27
	v_add_f32_e32 v31, v30, v28
	v_fma_f32 v35, v27, s28, -v34
	v_mul_f32_e32 v32, v31, v31
	v_mov_b32_e32 v33, 0x3ecc95a3
	v_fmac_f32_e32 v35, 0xb102e308, v27
	v_sub_f32_e32 v27, v31, v30
	v_fmac_f32_e32 v33, 0x3e9b6dac, v32
	v_sub_f32_e32 v27, v28, v27
	v_add_f32_e32 v28, v34, v35
	v_fma_f32 v33, v32, v33, v13
	v_sub_f32_e32 v30, v28, v34
	v_ldexp_f32 v34, v31, 1
	v_mul_f32_e32 v31, v31, v32
	v_mul_f32_e32 v31, v31, v33
	v_add_f32_e32 v32, v34, v31
	v_sub_f32_e32 v33, v32, v34
	v_ldexp_f32 v27, v27, 1
	v_sub_f32_e32 v31, v31, v33
	v_add_f32_e32 v27, v27, v31
	v_add_f32_e32 v31, v32, v27
	v_sub_f32_e32 v32, v31, v32
	v_sub_f32_e32 v27, v27, v32
	v_add_f32_e32 v32, v28, v31
	v_sub_f32_e32 v33, v32, v28
	v_sub_f32_e32 v34, v32, v33
	;; [unrolled: 1-line block ×5, first 2 shown]
	v_add_f32_e32 v28, v31, v28
	v_add_f32_e32 v31, v30, v27
	v_sub_f32_e32 v33, v31, v30
	v_sub_f32_e32 v34, v31, v33
	;; [unrolled: 1-line block ×4, first 2 shown]
	v_add_f32_e32 v28, v31, v28
	v_add_f32_e32 v27, v27, v30
	;; [unrolled: 1-line block ×3, first 2 shown]
	v_sub_f32_e32 v31, v30, v32
	v_sub_f32_e32 v28, v28, v31
	v_add_f32_e32 v27, v27, v28
	v_add_f32_e32 v27, v30, v27
	v_cmp_neq_f32_e32 vcc, s29, v29
	v_cndmask_b32_e32 v27, v20, v27, vcc
	v_cmp_ngt_f32_e32 vcc, -1.0, v29
	v_cndmask_b32_e32 v27, v21, v27, vcc
	v_cmp_neq_f32_e32 vcc, -1.0, v29
	v_cndmask_b32_e32 v27, v22, v27, vcc
	v_cmp_lt_f32_e64 vcc, |v29|, s30
	v_cndmask_b32_e32 v27, v27, v29, vcc
	v_max_f32_e64 v28, |v7|, |v7|
	v_max_f32_e64 v29, |v6|, |v6|
	v_min_f32_e32 v30, v29, v28
	v_max_f32_e32 v28, v29, v28
	v_frexp_mant_f32_e32 v29, v28
	v_rcp_f32_e32 v29, v29
	v_frexp_exp_i32_f32_e32 v28, v28
	v_frexp_exp_i32_f32_e32 v31, v30
	v_frexp_mant_f32_e32 v30, v30
	v_mul_f32_e32 v29, v30, v29
	v_sub_u32_e32 v28, v31, v28
	v_ldexp_f32 v28, v29, v28
	v_mul_f32_e32 v29, v28, v28
	v_mov_b32_e32 v30, 0xbc7a590c
	v_fmac_f32_e32 v30, 0x3b2d2a58, v29
	v_fma_f32 v30, v29, v30, v14
	v_fma_f32 v30, v29, v30, v15
	;; [unrolled: 1-line block ×6, first 2 shown]
	v_mul_f32_e32 v29, v29, v30
	v_fmac_f32_e32 v28, v28, v29
	v_sub_f32_e32 v29, 0x3fc90fdb, v28
	v_cndmask_b32_e64 v28, v28, v29, s[0:1]
	v_sub_f32_e32 v29, 0x40490fdb, v28
	v_cmp_gt_f32_e32 vcc, 0, v6
	v_cndmask_b32_e32 v28, v28, v29, vcc
	v_cndmask_b32_e64 v29, 0, v23, s[2:3]
	v_cmp_eq_f32_e64 s[2:3], 0, v7
	v_cndmask_b32_e64 v28, v28, v29, s[2:3]
	v_cmp_class_f32_e64 s[2:3], v6, s31
	v_cndmask_b32_e32 v29, v24, v25, vcc
	s_and_b64 vcc, s[2:3], s[20:21]
	v_mul_f32_e32 v27, 0.5, v27
	v_cndmask_b32_e32 v28, v28, v29, vcc
.LBB198_175:                            ;   in Loop: Header=BB198_162 Depth=1
	s_or_b64 exec, exec, s[18:19]
.LBB198_176:                            ;   in Loop: Header=BB198_162 Depth=1
	s_or_b64 exec, exec, s[16:17]
.LBB198_177:                            ;   in Loop: Header=BB198_162 Depth=1
	s_andn2_saveexec_b64 s[14:15], s[14:15]
	s_cbranch_execz .LBB198_179
; %bb.178:                              ;   in Loop: Header=BB198_162 Depth=1
	v_max_f32_e64 v29, |v7|, |v7|
	v_max_f32_e64 v30, |v6|, |v6|
	v_max_f32_e32 v31, v30, v29
	v_cvt_f64_f32_e32 v[27:28], v31
	v_cmp_neq_f32_e32 vcc, s29, v31
	v_cmp_gt_i32_e64 s[2:3], 0, v6
	v_cmp_class_f32_e64 s[16:17], v7, s31
	v_frexp_exp_i32_f64_e32 v27, v[27:28]
	v_min_f32_e32 v28, v30, v29
	v_frexp_mant_f32_e32 v30, v31
	v_rcp_f32_e32 v30, v30
	v_frexp_exp_i32_f32_e32 v32, v28
	v_frexp_mant_f32_e32 v28, v28
	v_frexp_exp_i32_f32_e32 v29, v31
	v_mul_f32_e32 v28, v28, v30
	v_sub_u32_e32 v33, 0, v27
	v_ldexp_f32 v34, |v6|, v33
	v_ldexp_f32 v33, |v7|, v33
	v_mul_f32_e32 v33, v33, v33
	v_fmac_f32_e32 v33, v34, v34
	v_sqrt_f32_e32 v33, v33
	v_sub_u32_e32 v29, v32, v29
	v_ldexp_f32 v28, v28, v29
	v_mul_f32_e32 v29, v28, v28
	v_ldexp_f32 v27, v33, v27
	v_cndmask_b32_e32 v27, v20, v27, vcc
	v_cmp_gt_f32_e32 vcc, s35, v27
	v_cndmask_b32_e64 v30, 0, 32, vcc
	v_ldexp_f32 v27, v27, v30
	v_log_f32_e32 v27, v27
	v_cndmask_b32_e32 v30, 0, v26, vcc
	v_mul_f32_e32 v31, 0x3f317217, v27
	v_fma_f32 v31, v27, s36, -v31
	v_fmac_f32_e32 v31, 0x3377d1cf, v27
	v_fmac_f32_e32 v31, 0x3f317217, v27
	v_cmp_lt_f32_e64 vcc, |v27|, s29
	v_cndmask_b32_e32 v27, v27, v31, vcc
	v_sub_f32_e32 v27, v27, v30
	v_mov_b32_e32 v30, 0xbc7a590c
	v_fmac_f32_e32 v30, 0x3b2d2a58, v29
	v_fma_f32 v30, v29, v30, v14
	v_fma_f32 v30, v29, v30, v15
	;; [unrolled: 1-line block ×6, first 2 shown]
	v_mul_f32_e32 v29, v29, v30
	v_fmac_f32_e32 v28, v28, v29
	v_sub_f32_e32 v29, 0x3fc90fdb, v28
	v_cndmask_b32_e64 v28, v28, v29, s[0:1]
	v_sub_f32_e32 v29, 0x40490fdb, v28
	v_cmp_gt_f32_e32 vcc, 0, v6
	v_cndmask_b32_e32 v28, v28, v29, vcc
	v_cndmask_b32_e64 v29, 0, v23, s[2:3]
	v_cmp_eq_f32_e64 s[2:3], 0, v7
	v_cndmask_b32_e64 v28, v28, v29, s[2:3]
	v_cmp_class_f32_e64 s[2:3], v6, s31
	v_cndmask_b32_e32 v29, v24, v25, vcc
	s_and_b64 vcc, s[2:3], s[16:17]
	v_cndmask_b32_e32 v28, v28, v29, vcc
.LBB198_179:                            ;   in Loop: Header=BB198_162 Depth=1
	s_or_b64 exec, exec, s[14:15]
                                        ; implicit-def: $vgpr29
.LBB198_180:                            ;   in Loop: Header=BB198_162 Depth=1
	s_andn2_saveexec_b64 s[12:13], s[12:13]
	s_cbranch_execz .LBB198_186
; %bb.181:                              ;   in Loop: Header=BB198_162 Depth=1
	v_cmp_ngt_f32_e32 vcc, s37, v29
                                        ; implicit-def: $vgpr27
                                        ; implicit-def: $vgpr28
	s_and_saveexec_b64 s[2:3], vcc
	s_xor_b64 s[14:15], exec, s[2:3]
	s_cbranch_execz .LBB198_183
; %bb.182:                              ;   in Loop: Header=BB198_162 Depth=1
	v_mul_f32_e32 v29, v29, v29
	v_add_f32_e32 v30, 1.0, v29
	v_cvt_f64_f32_e32 v[27:28], v30
	v_add_f32_e32 v31, -1.0, v30
	v_sub_f32_e32 v32, v31, v30
	v_sub_f32_e32 v31, v29, v31
	v_frexp_exp_i32_f64_e32 v27, v[27:28]
	v_frexp_mant_f32_e32 v28, v30
	v_cmp_gt_f32_e32 vcc, s27, v28
	v_add_f32_e32 v32, 1.0, v32
	v_add_f32_e32 v31, v31, v32
	v_cmp_gt_i32_e64 s[2:3], 0, v6
	v_cmp_class_f32_e64 s[16:17], v7, s31
	v_subbrev_co_u32_e32 v27, vcc, 0, v27, vcc
	v_sub_u32_e32 v28, 0, v27
	v_ldexp_f32 v30, v30, v28
	v_ldexp_f32 v28, v31, v28
	v_add_f32_e32 v31, -1.0, v30
	v_add_f32_e32 v32, 1.0, v30
	v_add_f32_e32 v33, 1.0, v31
	v_add_f32_e32 v35, -1.0, v32
	v_sub_f32_e32 v33, v30, v33
	v_sub_f32_e32 v30, v30, v35
	v_add_f32_e32 v33, v28, v33
	v_add_f32_e32 v28, v28, v30
	v_add_f32_e32 v30, v32, v28
	v_rcp_f32_e32 v35, v30
	v_add_f32_e32 v34, v31, v33
	v_sub_f32_e32 v32, v32, v30
	v_sub_f32_e32 v31, v31, v34
	v_add_f32_e32 v28, v28, v32
	v_mul_f32_e32 v32, v34, v35
	v_add_f32_e32 v31, v33, v31
	v_mul_f32_e32 v33, v30, v32
	v_fma_f32 v36, v32, v30, -v33
	v_fmac_f32_e32 v36, v32, v28
	v_add_f32_e32 v37, v33, v36
	v_sub_f32_e32 v38, v34, v37
	v_sub_f32_e32 v34, v34, v38
	v_sub_f32_e32 v33, v37, v33
	v_sub_f32_e32 v34, v34, v37
	v_add_f32_e32 v31, v31, v34
	v_sub_f32_e32 v33, v33, v36
	v_add_f32_e32 v31, v33, v31
	v_add_f32_e32 v33, v38, v31
	v_mul_f32_e32 v34, v35, v33
	v_mul_f32_e32 v36, v30, v34
	v_fma_f32 v30, v34, v30, -v36
	v_fmac_f32_e32 v30, v34, v28
	v_sub_f32_e32 v28, v38, v33
	v_add_f32_e32 v28, v31, v28
	v_add_f32_e32 v31, v36, v30
	v_sub_f32_e32 v37, v33, v31
	v_sub_f32_e32 v33, v33, v37
	;; [unrolled: 1-line block ×4, first 2 shown]
	v_add_f32_e32 v28, v28, v31
	v_sub_f32_e32 v30, v36, v30
	v_cvt_f32_i32_e32 v27, v27
	v_add_f32_e32 v28, v30, v28
	v_add_f32_e32 v30, v32, v34
	;; [unrolled: 1-line block ×3, first 2 shown]
	v_sub_f32_e32 v31, v30, v32
	v_mul_f32_e32 v28, v35, v28
	v_sub_f32_e32 v31, v34, v31
	v_add_f32_e32 v28, v31, v28
	v_mul_f32_e32 v34, 0x3f317218, v27
	v_add_f32_e32 v31, v30, v28
	v_fma_f32 v35, v27, s28, -v34
	v_mul_f32_e32 v32, v31, v31
	v_mov_b32_e32 v33, 0x3ecc95a3
	v_fmac_f32_e32 v35, 0xb102e308, v27
	v_sub_f32_e32 v27, v31, v30
	v_fmac_f32_e32 v33, 0x3e9b6dac, v32
	v_sub_f32_e32 v27, v28, v27
	v_add_f32_e32 v28, v34, v35
	v_fma_f32 v33, v32, v33, v13
	v_sub_f32_e32 v30, v28, v34
	v_ldexp_f32 v34, v31, 1
	v_mul_f32_e32 v31, v31, v32
	v_mul_f32_e32 v31, v31, v33
	v_add_f32_e32 v32, v34, v31
	v_sub_f32_e32 v33, v32, v34
	v_ldexp_f32 v27, v27, 1
	v_sub_f32_e32 v31, v31, v33
	v_add_f32_e32 v27, v27, v31
	v_add_f32_e32 v31, v32, v27
	v_sub_f32_e32 v32, v31, v32
	v_sub_f32_e32 v27, v27, v32
	v_add_f32_e32 v32, v28, v31
	v_sub_f32_e32 v33, v32, v28
	v_sub_f32_e32 v34, v32, v33
	;; [unrolled: 1-line block ×5, first 2 shown]
	v_add_f32_e32 v28, v31, v28
	v_add_f32_e32 v31, v30, v27
	v_sub_f32_e32 v33, v31, v30
	v_sub_f32_e32 v34, v31, v33
	;; [unrolled: 1-line block ×4, first 2 shown]
	v_add_f32_e32 v28, v31, v28
	v_add_f32_e32 v27, v27, v30
	;; [unrolled: 1-line block ×3, first 2 shown]
	v_sub_f32_e32 v31, v30, v32
	v_sub_f32_e32 v28, v28, v31
	v_add_f32_e32 v27, v27, v28
	v_add_f32_e32 v27, v30, v27
	v_cmp_neq_f32_e32 vcc, s29, v29
	v_cndmask_b32_e32 v27, v20, v27, vcc
	v_cmp_lt_f32_e64 vcc, |v29|, s30
	v_cndmask_b32_e32 v27, v27, v29, vcc
	v_max_f32_e64 v28, |v7|, |v7|
	v_max_f32_e64 v29, |v6|, |v6|
	v_min_f32_e32 v30, v29, v28
	v_max_f32_e32 v28, v29, v28
	v_frexp_mant_f32_e32 v29, v28
	v_rcp_f32_e32 v29, v29
	v_frexp_exp_i32_f32_e32 v28, v28
	v_frexp_exp_i32_f32_e32 v31, v30
	v_frexp_mant_f32_e32 v30, v30
	v_mul_f32_e32 v29, v30, v29
	v_sub_u32_e32 v28, v31, v28
	v_ldexp_f32 v28, v29, v28
	v_mul_f32_e32 v29, v28, v28
	v_mov_b32_e32 v30, 0xbc7a590c
	v_fmac_f32_e32 v30, 0x3b2d2a58, v29
	v_fma_f32 v30, v29, v30, v14
	v_fma_f32 v30, v29, v30, v15
	v_fma_f32 v30, v29, v30, v16
	v_fma_f32 v30, v29, v30, v17
	v_fma_f32 v30, v29, v30, v18
	v_fma_f32 v30, v29, v30, v19
	v_mul_f32_e32 v29, v29, v30
	v_fmac_f32_e32 v28, v28, v29
	v_sub_f32_e32 v29, 0x3fc90fdb, v28
	v_cndmask_b32_e64 v28, v28, v29, s[0:1]
	v_sub_f32_e32 v29, 0x40490fdb, v28
	v_cmp_gt_f32_e32 vcc, 0, v6
	v_cndmask_b32_e32 v28, v28, v29, vcc
	v_cndmask_b32_e64 v29, 0, v23, s[2:3]
	v_cmp_eq_f32_e64 s[2:3], 0, v7
	v_cndmask_b32_e64 v28, v28, v29, s[2:3]
	v_cmp_class_f32_e64 s[2:3], v6, s31
	v_cndmask_b32_e32 v29, v24, v25, vcc
	s_and_b64 vcc, s[2:3], s[16:17]
	v_mul_f32_e32 v27, 0.5, v27
	v_cndmask_b32_e32 v28, v28, v29, vcc
                                        ; implicit-def: $vgpr29
.LBB198_183:                            ;   in Loop: Header=BB198_162 Depth=1
	s_andn2_saveexec_b64 s[14:15], s[14:15]
	s_cbranch_execz .LBB198_185
; %bb.184:                              ;   in Loop: Header=BB198_162 Depth=1
	v_mul_f32_e32 v27, 0.5, v29
	v_mul_f32_e32 v27, v29, v27
	v_max_f32_e64 v28, |v7|, |v7|
	v_max_f32_e64 v29, |v6|, |v6|
	v_min_f32_e32 v30, v29, v28
	v_max_f32_e32 v28, v29, v28
	v_frexp_mant_f32_e32 v29, v28
	v_rcp_f32_e32 v29, v29
	v_frexp_exp_i32_f32_e32 v28, v28
	v_frexp_exp_i32_f32_e32 v31, v30
	v_frexp_mant_f32_e32 v30, v30
	v_mul_f32_e32 v29, v30, v29
	v_sub_u32_e32 v28, v31, v28
	v_ldexp_f32 v28, v29, v28
	v_mul_f32_e32 v29, v28, v28
	v_mov_b32_e32 v30, 0xbc7a590c
	v_fmac_f32_e32 v30, 0x3b2d2a58, v29
	v_fma_f32 v30, v29, v30, v14
	v_fma_f32 v30, v29, v30, v15
	;; [unrolled: 1-line block ×6, first 2 shown]
	v_mul_f32_e32 v29, v29, v30
	v_fmac_f32_e32 v28, v28, v29
	v_sub_f32_e32 v29, 0x3fc90fdb, v28
	v_cndmask_b32_e64 v28, v28, v29, s[0:1]
	v_sub_f32_e32 v29, 0x40490fdb, v28
	v_cmp_gt_f32_e32 vcc, 0, v6
	v_cmp_gt_i32_e64 s[2:3], 0, v6
	v_cndmask_b32_e32 v28, v28, v29, vcc
	v_cndmask_b32_e64 v29, 0, v23, s[2:3]
	v_cmp_eq_f32_e64 s[2:3], 0, v7
	v_cndmask_b32_e64 v28, v28, v29, s[2:3]
	v_cmp_class_f32_e64 s[2:3], v6, s31
	v_cmp_class_f32_e64 s[16:17], v7, s31
	v_cndmask_b32_e32 v29, v24, v25, vcc
	s_and_b64 vcc, s[2:3], s[16:17]
	v_cndmask_b32_e32 v28, v28, v29, vcc
.LBB198_185:                            ;   in Loop: Header=BB198_162 Depth=1
	s_or_b64 exec, exec, s[14:15]
.LBB198_186:                            ;   in Loop: Header=BB198_162 Depth=1
	s_or_b64 exec, exec, s[12:13]
.LBB198_187:                            ;   in Loop: Header=BB198_162 Depth=1
	s_andn2_saveexec_b64 s[10:11], s[10:11]
	s_cbranch_execz .LBB198_189
; %bb.188:                              ;   in Loop: Header=BB198_162 Depth=1
	v_div_scale_f32 v27, s[2:3], s38, s38, v6
	v_div_scale_f32 v28, s[2:3], s38, s38, v7
	v_div_scale_f32 v29, vcc, v6, s38, v6
	v_div_scale_f32 v30, s[2:3], v7, s38, v7
	v_rcp_f32_e32 v31, v27
	v_rcp_f32_e32 v32, v28
	v_fma_f32 v33, -v27, v31, 1.0
	v_fmac_f32_e32 v31, v33, v31
	v_fma_f32 v34, -v28, v32, 1.0
	v_fmac_f32_e32 v32, v34, v32
	v_mul_f32_e32 v33, v29, v31
	v_mul_f32_e32 v34, v30, v32
	v_fma_f32 v35, -v27, v33, v29
	v_fma_f32 v36, -v28, v34, v30
	v_fmac_f32_e32 v33, v35, v31
	v_fmac_f32_e32 v34, v36, v32
	v_fma_f32 v27, -v27, v33, v29
	v_fma_f32 v28, -v28, v34, v30
	v_div_fmas_f32 v27, v27, v31, v33
	s_mov_b64 vcc, s[2:3]
	v_div_fmas_f32 v28, v28, v32, v34
	v_max_f32_e64 v29, |v7|, |v7|
	v_max_f32_e64 v30, |v6|, |v6|
	v_min_f32_e32 v32, v30, v29
	v_max_f32_e32 v29, v30, v29
	v_frexp_exp_i32_f32_e32 v30, v29
	v_frexp_exp_i32_f32_e32 v33, v32
	v_sub_u32_e32 v30, v33, v30
	v_frexp_mant_f32_e32 v29, v29
	v_rcp_f32_e32 v29, v29
	v_frexp_mant_f32_e32 v32, v32
	v_mov_b32_e32 v31, 0xbc7a590c
	v_cmp_class_f32_e64 s[2:3], v7, s31
	v_mul_f32_e32 v29, v32, v29
	v_div_fixup_f32 v33, v27, s38, v6
	v_ldexp_f32 v29, v29, v30
	v_div_fixup_f32 v34, v28, s38, v7
	v_max_f32_e64 v35, |v33|, |v34|
	v_cvt_f64_f32_e32 v[27:28], v35
	v_mul_f32_e32 v30, v29, v29
	v_fmac_f32_e32 v31, 0x3b2d2a58, v30
	v_cmp_neq_f32_e32 vcc, s29, v35
	v_frexp_exp_i32_f64_e32 v27, v[27:28]
	v_fma_f32 v28, v30, v31, v14
	v_fma_f32 v28, v30, v28, v15
	;; [unrolled: 1-line block ×6, first 2 shown]
	v_mul_f32_e32 v28, v30, v28
	v_sub_u32_e32 v31, 0, v27
	v_ldexp_f32 v32, |v33|, v31
	v_ldexp_f32 v31, |v34|, v31
	v_mul_f32_e32 v31, v31, v31
	v_fmac_f32_e32 v31, v32, v32
	v_sqrt_f32_e32 v31, v31
	v_fmac_f32_e32 v29, v29, v28
	v_sub_f32_e32 v28, 0x3fc90fdb, v29
	v_cndmask_b32_e64 v28, v29, v28, s[0:1]
	v_ldexp_f32 v27, v31, v27
	v_cndmask_b32_e32 v27, v20, v27, vcc
	v_cmp_gt_f32_e32 vcc, s35, v27
	v_cndmask_b32_e64 v30, 0, 32, vcc
	v_ldexp_f32 v27, v27, v30
	v_log_f32_e32 v27, v27
	v_cndmask_b32_e32 v30, 0, v26, vcc
	v_sub_f32_e32 v29, 0x40490fdb, v28
	v_cmp_gt_i32_e64 s[0:1], 0, v6
	v_mul_f32_e32 v31, 0x3f317217, v27
	v_fma_f32 v31, v27, s36, -v31
	v_fmac_f32_e32 v31, 0x3377d1cf, v27
	v_fmac_f32_e32 v31, 0x3f317217, v27
	v_cmp_lt_f32_e64 vcc, |v27|, s29
	v_cndmask_b32_e32 v27, v27, v31, vcc
	v_cmp_gt_f32_e32 vcc, 0, v6
	v_cndmask_b32_e32 v28, v28, v29, vcc
	v_cndmask_b32_e64 v29, 0, v23, s[0:1]
	v_cmp_eq_f32_e64 s[0:1], 0, v7
	v_cndmask_b32_e64 v28, v28, v29, s[0:1]
	v_cmp_class_f32_e64 s[0:1], v6, s31
	v_sub_f32_e32 v27, v27, v30
	v_cndmask_b32_e32 v29, v24, v25, vcc
	s_and_b64 vcc, s[0:1], s[2:3]
	v_add_f32_e32 v27, 1.0, v27
	v_cndmask_b32_e32 v28, v28, v29, vcc
.LBB198_189:                            ;   in Loop: Header=BB198_162 Depth=1
	s_or_b64 exec, exec, s[10:11]
.LBB198_190:                            ;   in Loop: Header=BB198_162 Depth=1
	s_andn2_saveexec_b64 s[0:1], s[8:9]
	s_cbranch_execz .LBB198_196
; %bb.191:                              ;   in Loop: Header=BB198_162 Depth=1
	v_cmp_nlt_f32_e64 s[2:3], |v6|, s39
	v_cmp_nlt_f32_e64 s[8:9], |v7|, s39
	s_or_b64 s[2:3], s[2:3], s[8:9]
                                        ; implicit-def: $vgpr27
	s_and_saveexec_b64 s[8:9], s[2:3]
	s_xor_b64 s[2:3], exec, s[8:9]
; %bb.192:                              ;   in Loop: Header=BB198_162 Depth=1
	v_mul_f32_e32 v27, v7, v7
	v_fmac_f32_e32 v27, v6, v6
; %bb.193:                              ;   in Loop: Header=BB198_162 Depth=1
	s_andn2_saveexec_b64 s[2:3], s[2:3]
; %bb.194:                              ;   in Loop: Header=BB198_162 Depth=1
	v_mul_f32_e32 v27, 4.0, v7
	v_mul_f32_e32 v6, 4.0, v6
	v_mul_f32_e32 v27, v27, v27
	v_fmac_f32_e32 v27, v6, v6
	v_mul_f32_e32 v27, 0x3d800000, v27
; %bb.195:                              ;   in Loop: Header=BB198_162 Depth=1
	s_or_b64 exec, exec, s[2:3]
	v_cmp_gt_f32_e32 vcc, s35, v27
	v_cndmask_b32_e64 v6, 0, 32, vcc
	v_ldexp_f32 v6, v27, v6
	v_log_f32_e32 v6, v6
	v_cndmask_b32_e32 v27, 0, v26, vcc
	v_mul_f32_e32 v28, 0x3f317217, v6
	v_fma_f32 v28, v6, s36, -v28
	v_fmac_f32_e32 v28, 0x3377d1cf, v6
	v_fmac_f32_e32 v28, 0x3f317217, v6
	v_cmp_lt_f32_e64 vcc, |v6|, s29
	v_cndmask_b32_e32 v6, v6, v28, vcc
	v_sub_f32_e32 v27, v6, v27
	v_mov_b32_e32 v28, 0x7fc00000
.LBB198_196:                            ;   in Loop: Header=BB198_162 Depth=1
	s_or_b64 exec, exec, s[0:1]
	v_cmp_o_f32_e32 vcc, v9, v8
                                        ; implicit-def: $vgpr6
                                        ; implicit-def: $vgpr29
	s_and_saveexec_b64 s[0:1], vcc
	s_xor_b64 s[8:9], exec, s[0:1]
	s_cbranch_execz .LBB198_224
; %bb.197:                              ;   in Loop: Header=BB198_162 Depth=1
	v_cmp_lt_f32_e64 s[0:1], |v8|, |v9|
	v_cndmask_b32_e64 v30, |v9|, |v8|, s[0:1]
	v_cmp_nlt_f32_e32 vcc, s24, v30
                                        ; implicit-def: $vgpr6
                                        ; implicit-def: $vgpr29
	s_and_saveexec_b64 s[2:3], vcc
	s_xor_b64 s[10:11], exec, s[2:3]
	s_cbranch_execz .LBB198_221
; %bb.198:                              ;   in Loop: Header=BB198_162 Depth=1
	v_and_b32_e32 v6, 0x7fffffff, v9
	v_cndmask_b32_e64 v31, |v8|, v6, s[0:1]
	v_cmp_neq_f32_e32 vcc, 1.0, v31
                                        ; implicit-def: $vgpr6
                                        ; implicit-def: $vgpr29
	s_and_saveexec_b64 s[2:3], vcc
	s_xor_b64 s[12:13], exec, s[2:3]
	s_cbranch_execz .LBB198_214
; %bb.199:                              ;   in Loop: Header=BB198_162 Depth=1
	v_max_f32_e32 v6, v30, v30
	v_max_f32_e32 v29, v31, v31
	v_min_f32_e32 v32, v29, v6
	v_max_f32_e32 v6, v29, v6
	v_cmp_ngt_f32_e32 vcc, s25, v32
	v_cmp_nlt_f32_e64 s[2:3], s26, v6
	s_and_b64 s[2:3], s[2:3], vcc
                                        ; implicit-def: $vgpr6
                                        ; implicit-def: $vgpr29
	s_and_saveexec_b64 s[14:15], s[2:3]
	s_xor_b64 s[14:15], exec, s[14:15]
	s_cbranch_execz .LBB198_211
; %bb.200:                              ;   in Loop: Header=BB198_162 Depth=1
	v_cmp_le_f32_e32 vcc, 1.0, v31
                                        ; implicit-def: $vgpr6
                                        ; implicit-def: $vgpr29
	s_and_saveexec_b64 s[2:3], vcc
	s_xor_b64 s[16:17], exec, s[2:3]
	s_cbranch_execz .LBB198_202
; %bb.201:                              ;   in Loop: Header=BB198_162 Depth=1
	v_add_f32_e32 v6, -1.0, v31
	v_add_f32_e32 v29, 1.0, v31
	v_mul_f32_e32 v6, v6, v29
	v_fmac_f32_e32 v6, v30, v30
	v_add_f32_e32 v31, 1.0, v6
	v_cvt_f64_f32_e32 v[29:30], v31
	v_add_f32_e32 v32, -1.0, v31
	v_sub_f32_e32 v33, v32, v31
	v_sub_f32_e32 v32, v6, v32
	v_frexp_exp_i32_f64_e32 v29, v[29:30]
	v_frexp_mant_f32_e32 v30, v31
	v_cmp_gt_f32_e32 vcc, s27, v30
	v_add_f32_e32 v33, 1.0, v33
	v_add_f32_e32 v32, v32, v33
	v_cmp_gt_i32_e64 s[2:3], 0, v8
	v_cmp_class_f32_e64 s[18:19], v9, s31
	v_subbrev_co_u32_e32 v29, vcc, 0, v29, vcc
	v_sub_u32_e32 v30, 0, v29
	v_ldexp_f32 v31, v31, v30
	v_ldexp_f32 v30, v32, v30
	v_add_f32_e32 v32, -1.0, v31
	v_add_f32_e32 v35, 1.0, v31
	v_add_f32_e32 v33, 1.0, v32
	v_add_f32_e32 v36, -1.0, v35
	v_sub_f32_e32 v33, v31, v33
	v_sub_f32_e32 v31, v31, v36
	v_add_f32_e32 v33, v30, v33
	v_add_f32_e32 v30, v30, v31
	;; [unrolled: 1-line block ×3, first 2 shown]
	v_rcp_f32_e32 v36, v31
	v_add_f32_e32 v34, v32, v33
	v_sub_f32_e32 v32, v34, v32
	v_sub_f32_e32 v32, v33, v32
	;; [unrolled: 1-line block ×4, first 2 shown]
	v_mul_f32_e32 v33, v34, v36
	v_mul_f32_e32 v35, v31, v33
	v_fma_f32 v37, v33, v31, -v35
	v_fmac_f32_e32 v37, v33, v30
	v_add_f32_e32 v38, v35, v37
	v_sub_f32_e32 v39, v34, v38
	v_sub_f32_e32 v34, v34, v39
	;; [unrolled: 1-line block ×4, first 2 shown]
	v_add_f32_e32 v32, v32, v34
	v_sub_f32_e32 v34, v35, v37
	v_add_f32_e32 v32, v34, v32
	v_add_f32_e32 v34, v39, v32
	v_mul_f32_e32 v35, v36, v34
	v_mul_f32_e32 v37, v31, v35
	v_fma_f32 v31, v35, v31, -v37
	v_fmac_f32_e32 v31, v35, v30
	v_sub_f32_e32 v30, v39, v34
	v_add_f32_e32 v30, v32, v30
	v_add_f32_e32 v32, v37, v31
	v_sub_f32_e32 v38, v34, v32
	v_sub_f32_e32 v34, v34, v38
	;; [unrolled: 1-line block ×4, first 2 shown]
	v_add_f32_e32 v30, v30, v32
	v_sub_f32_e32 v31, v37, v31
	v_cvt_f32_i32_e32 v29, v29
	v_add_f32_e32 v30, v31, v30
	v_add_f32_e32 v31, v33, v35
	v_add_f32_e32 v30, v38, v30
	v_sub_f32_e32 v32, v31, v33
	v_mul_f32_e32 v30, v36, v30
	v_sub_f32_e32 v32, v35, v32
	v_add_f32_e32 v30, v32, v30
	v_mul_f32_e32 v35, 0x3f317218, v29
	v_add_f32_e32 v32, v31, v30
	v_fma_f32 v36, v29, s28, -v35
	v_mul_f32_e32 v33, v32, v32
	v_mov_b32_e32 v34, 0x3ecc95a3
	v_fmac_f32_e32 v36, 0xb102e308, v29
	v_sub_f32_e32 v29, v32, v31
	v_fmac_f32_e32 v34, 0x3e9b6dac, v33
	v_sub_f32_e32 v29, v30, v29
	v_add_f32_e32 v30, v35, v36
	v_fma_f32 v34, v33, v34, v13
	v_sub_f32_e32 v31, v30, v35
	v_ldexp_f32 v35, v32, 1
	v_mul_f32_e32 v32, v32, v33
	v_mul_f32_e32 v32, v32, v34
	v_add_f32_e32 v33, v35, v32
	v_sub_f32_e32 v34, v33, v35
	v_ldexp_f32 v29, v29, 1
	v_sub_f32_e32 v32, v32, v34
	v_add_f32_e32 v29, v29, v32
	v_add_f32_e32 v32, v33, v29
	v_sub_f32_e32 v33, v32, v33
	v_sub_f32_e32 v29, v29, v33
	v_add_f32_e32 v33, v30, v32
	v_sub_f32_e32 v34, v33, v30
	v_sub_f32_e32 v35, v33, v34
	;; [unrolled: 1-line block ×5, first 2 shown]
	v_add_f32_e32 v30, v32, v30
	v_add_f32_e32 v32, v31, v29
	v_sub_f32_e32 v34, v32, v31
	v_sub_f32_e32 v35, v32, v34
	;; [unrolled: 1-line block ×4, first 2 shown]
	v_add_f32_e32 v30, v32, v30
	v_add_f32_e32 v29, v29, v31
	;; [unrolled: 1-line block ×3, first 2 shown]
	v_sub_f32_e32 v32, v31, v33
	v_sub_f32_e32 v30, v30, v32
	v_add_f32_e32 v29, v29, v30
	v_add_f32_e32 v29, v31, v29
	v_cmp_neq_f32_e32 vcc, s29, v6
	v_cndmask_b32_e32 v29, v20, v29, vcc
	v_cmp_ngt_f32_e32 vcc, -1.0, v6
	v_cndmask_b32_e32 v29, v21, v29, vcc
	v_cmp_neq_f32_e32 vcc, -1.0, v6
	v_cndmask_b32_e32 v29, v22, v29, vcc
	v_cmp_lt_f32_e64 vcc, |v6|, s30
	v_cndmask_b32_e32 v6, v29, v6, vcc
	v_max_f32_e64 v29, |v9|, |v9|
	v_max_f32_e64 v30, |v8|, |v8|
	v_min_f32_e32 v31, v30, v29
	v_max_f32_e32 v29, v30, v29
	v_frexp_mant_f32_e32 v30, v29
	v_rcp_f32_e32 v30, v30
	v_frexp_exp_i32_f32_e32 v29, v29
	v_frexp_exp_i32_f32_e32 v32, v31
	v_frexp_mant_f32_e32 v31, v31
	v_mul_f32_e32 v30, v31, v30
	v_sub_u32_e32 v29, v32, v29
	v_ldexp_f32 v29, v30, v29
	v_mul_f32_e32 v30, v29, v29
	v_mov_b32_e32 v31, 0xbc7a590c
	v_fmac_f32_e32 v31, 0x3b2d2a58, v30
	v_fma_f32 v31, v30, v31, v14
	v_fma_f32 v31, v30, v31, v15
	;; [unrolled: 1-line block ×6, first 2 shown]
	v_mul_f32_e32 v30, v30, v31
	v_fmac_f32_e32 v29, v29, v30
	v_sub_f32_e32 v30, 0x3fc90fdb, v29
	v_cndmask_b32_e64 v29, v29, v30, s[0:1]
	v_sub_f32_e32 v30, 0x40490fdb, v29
	v_cmp_gt_f32_e32 vcc, 0, v8
	v_cndmask_b32_e32 v29, v29, v30, vcc
	v_cndmask_b32_e64 v30, 0, v23, s[2:3]
	v_cmp_eq_f32_e64 s[2:3], 0, v9
	v_cndmask_b32_e64 v29, v29, v30, s[2:3]
	v_cmp_class_f32_e64 s[2:3], v8, s31
	v_cndmask_b32_e32 v30, v24, v25, vcc
	s_and_b64 vcc, s[2:3], s[18:19]
	v_mul_f32_e32 v6, 0.5, v6
	v_cndmask_b32_e32 v29, v29, v30, vcc
                                        ; implicit-def: $vgpr30
                                        ; implicit-def: $vgpr31
.LBB198_202:                            ;   in Loop: Header=BB198_162 Depth=1
	s_andn2_saveexec_b64 s[16:17], s[16:17]
	s_cbranch_execz .LBB198_210
; %bb.203:                              ;   in Loop: Header=BB198_162 Depth=1
	v_mul_f32_e32 v32, v30, v30
	v_fmac_f32_e32 v32, v31, v31
	v_cmp_ge_f32_e32 vcc, s34, v32
                                        ; implicit-def: $vgpr6
                                        ; implicit-def: $vgpr29
	s_and_saveexec_b64 s[2:3], vcc
	s_xor_b64 s[18:19], exec, s[2:3]
	s_cbranch_execz .LBB198_205
; %bb.204:                              ;   in Loop: Header=BB198_162 Depth=1
	v_cmp_gt_f32_e32 vcc, s35, v32
	v_cndmask_b32_e64 v6, 0, 32, vcc
	v_ldexp_f32 v6, v32, v6
	v_log_f32_e32 v6, v6
	v_cndmask_b32_e32 v29, 0, v26, vcc
	v_cmp_gt_i32_e64 s[2:3], 0, v8
	v_cmp_class_f32_e64 s[20:21], v9, s31
	v_mul_f32_e32 v30, 0x3f317217, v6
	v_fma_f32 v30, v6, s36, -v30
	v_fmac_f32_e32 v30, 0x3377d1cf, v6
	v_fmac_f32_e32 v30, 0x3f317217, v6
	v_cmp_lt_f32_e64 vcc, |v6|, s29
	v_cndmask_b32_e32 v6, v6, v30, vcc
	v_sub_f32_e32 v6, v6, v29
	v_max_f32_e64 v29, |v9|, |v9|
	v_max_f32_e64 v30, |v8|, |v8|
	v_min_f32_e32 v31, v30, v29
	v_max_f32_e32 v29, v30, v29
	v_frexp_mant_f32_e32 v30, v29
	v_rcp_f32_e32 v30, v30
	v_frexp_exp_i32_f32_e32 v29, v29
	v_frexp_exp_i32_f32_e32 v32, v31
	v_frexp_mant_f32_e32 v31, v31
	v_mul_f32_e32 v30, v31, v30
	v_sub_u32_e32 v29, v32, v29
	v_ldexp_f32 v29, v30, v29
	v_mul_f32_e32 v30, v29, v29
	v_mov_b32_e32 v31, 0xbc7a590c
	v_fmac_f32_e32 v31, 0x3b2d2a58, v30
	v_fma_f32 v31, v30, v31, v14
	v_fma_f32 v31, v30, v31, v15
	;; [unrolled: 1-line block ×6, first 2 shown]
	v_mul_f32_e32 v30, v30, v31
	v_fmac_f32_e32 v29, v29, v30
	v_sub_f32_e32 v30, 0x3fc90fdb, v29
	v_cndmask_b32_e64 v29, v29, v30, s[0:1]
	v_sub_f32_e32 v30, 0x40490fdb, v29
	v_cmp_gt_f32_e32 vcc, 0, v8
	v_cndmask_b32_e32 v29, v29, v30, vcc
	v_cndmask_b32_e64 v30, 0, v23, s[2:3]
	v_cmp_eq_f32_e64 s[2:3], 0, v9
	v_cndmask_b32_e64 v29, v29, v30, s[2:3]
	v_cmp_class_f32_e64 s[2:3], v8, s31
	v_cndmask_b32_e32 v30, v24, v25, vcc
	s_and_b64 vcc, s[2:3], s[20:21]
	v_mul_f32_e32 v6, 0.5, v6
	v_cndmask_b32_e32 v29, v29, v30, vcc
                                        ; implicit-def: $vgpr31
                                        ; implicit-def: $vgpr30
.LBB198_205:                            ;   in Loop: Header=BB198_162 Depth=1
	s_andn2_saveexec_b64 s[18:19], s[18:19]
	s_cbranch_execz .LBB198_209
; %bb.206:                              ;   in Loop: Header=BB198_162 Depth=1
	v_and_b32_e32 v32, 0x7fff0000, v31
	v_sub_f32_e32 v6, v31, v32
	v_and_b32_e32 v36, 0xffff0000, v6
	v_and_b32_e32 v31, 0x7fff0000, v30
	v_sub_f32_e32 v38, v6, v36
	v_sub_f32_e32 v6, v30, v31
	v_and_b32_e32 v37, 0xffff0000, v6
	v_add_f32_e32 v33, v32, v32
	v_add_f32_e32 v40, v31, v31
	v_sub_f32_e32 v39, v6, v37
	v_mul_f32_e32 v6, v32, v32
	v_mul_f32_e32 v29, v31, v31
	;; [unrolled: 1-line block ×6, first 2 shown]
	v_add_f32_e32 v36, v36, v36
	v_add_f32_e32 v37, v37, v37
	v_mul_f32_e32 v34, v33, v38
	v_mul_f32_e32 v33, v40, v39
	;; [unrolled: 1-line block ×6, first 2 shown]
	s_mov_b64 s[20:21], 0
.LBB198_207:                            ;   Parent Loop BB198_162 Depth=1
                                        ; =>  This Inner Loop Header: Depth=2
	v_cmp_nlt_f32_e32 vcc, v6, v29
	v_mov_b32_e32 v40, v39
	v_cndmask_b32_e32 v39, v6, v29, vcc
	v_cmp_nlt_f32_e64 s[2:3], v39, v32
	v_cndmask_b32_e64 v41, v39, v32, s[2:3]
	v_cndmask_b32_e32 v6, v29, v6, vcc
	s_and_b64 s[40:41], vcc, s[2:3]
	v_cmp_nlt_f32_e32 vcc, v41, v31
	v_cndmask_b32_e64 v29, v32, v39, s[2:3]
	v_cndmask_b32_e32 v39, v41, v31, vcc
	v_cmp_nlt_f32_e64 s[2:3], v39, v35
	v_cndmask_b32_e32 v32, v31, v41, vcc
	v_cndmask_b32_e64 v41, v39, v35, s[2:3]
	s_and_b64 s[42:43], vcc, s[2:3]
	v_cmp_nlt_f32_e32 vcc, v41, v30
	v_cndmask_b32_e64 v31, v35, v39, s[2:3]
	v_cndmask_b32_e32 v39, v41, v30, vcc
	v_cmp_nlt_f32_e64 s[2:3], v39, v34
	v_cndmask_b32_e32 v35, v30, v41, vcc
	v_cndmask_b32_e64 v41, v39, v34, s[2:3]
	v_cndmask_b32_e64 v30, v34, v39, s[2:3]
	s_and_b64 s[2:3], vcc, s[2:3]
	v_cmp_nlt_f32_e32 vcc, v41, v33
	v_cndmask_b32_e32 v39, v41, v33, vcc
	v_cndmask_b32_e32 v34, v33, v41, vcc
	s_and_b64 s[2:3], s[2:3], vcc
	v_cmp_nlt_f32_e32 vcc, v39, v36
	v_cndmask_b32_e32 v41, v39, v36, vcc
	v_cndmask_b32_e32 v33, v36, v39, vcc
	s_and_b64 s[2:3], s[2:3], vcc
	;; [unrolled: 4-line block ×4, first 2 shown]
	v_cmp_nlt_f32_e32 vcc, v41, v40
	s_and_b64 s[2:3], s[2:3], vcc
	s_and_b64 s[2:3], s[2:3], s[42:43]
	s_and_b64 s[2:3], s[2:3], s[40:41]
	s_and_b64 s[2:3], exec, s[2:3]
	v_cndmask_b32_e32 v39, v41, v40, vcc
	s_or_b64 s[20:21], s[2:3], s[20:21]
	v_cndmask_b32_e32 v38, v40, v41, vcc
	s_andn2_b64 exec, exec, s[20:21]
	s_cbranch_execnz .LBB198_207
; %bb.208:                              ;   in Loop: Header=BB198_162 Depth=1
	s_or_b64 exec, exec, s[20:21]
	v_add_f32_e32 v6, -1.0, v6
	v_add_f32_e32 v6, v6, v29
	v_add_f32_e32 v6, v6, v32
	;; [unrolled: 1-line block ×11, first 2 shown]
	v_add_f32_e32 v31, 1.0, v6
	v_cvt_f64_f32_e32 v[29:30], v31
	v_add_f32_e32 v32, -1.0, v31
	v_sub_f32_e32 v33, v32, v31
	v_sub_f32_e32 v32, v6, v32
	v_frexp_exp_i32_f64_e32 v29, v[29:30]
	v_frexp_mant_f32_e32 v30, v31
	v_cmp_gt_f32_e32 vcc, s27, v30
	v_add_f32_e32 v33, 1.0, v33
	v_add_f32_e32 v32, v32, v33
	v_cmp_gt_i32_e64 s[2:3], 0, v8
	v_cmp_class_f32_e64 s[20:21], v9, s31
	v_subbrev_co_u32_e32 v29, vcc, 0, v29, vcc
	v_sub_u32_e32 v30, 0, v29
	v_ldexp_f32 v31, v31, v30
	v_ldexp_f32 v30, v32, v30
	v_add_f32_e32 v32, -1.0, v31
	v_add_f32_e32 v33, 1.0, v31
	v_add_f32_e32 v34, 1.0, v32
	v_add_f32_e32 v36, -1.0, v33
	v_sub_f32_e32 v34, v31, v34
	v_sub_f32_e32 v31, v31, v36
	v_add_f32_e32 v34, v30, v34
	v_add_f32_e32 v30, v30, v31
	;; [unrolled: 1-line block ×3, first 2 shown]
	v_rcp_f32_e32 v36, v31
	v_add_f32_e32 v35, v32, v34
	v_sub_f32_e32 v33, v31, v33
	v_sub_f32_e32 v32, v35, v32
	;; [unrolled: 1-line block ×3, first 2 shown]
	v_mul_f32_e32 v33, v35, v36
	v_sub_f32_e32 v32, v34, v32
	v_mul_f32_e32 v34, v31, v33
	v_fma_f32 v37, v33, v31, -v34
	v_fmac_f32_e32 v37, v33, v30
	v_add_f32_e32 v38, v34, v37
	v_sub_f32_e32 v39, v35, v38
	v_sub_f32_e32 v35, v35, v39
	;; [unrolled: 1-line block ×4, first 2 shown]
	v_add_f32_e32 v32, v32, v35
	v_sub_f32_e32 v34, v34, v37
	v_add_f32_e32 v32, v34, v32
	v_add_f32_e32 v34, v39, v32
	v_mul_f32_e32 v35, v36, v34
	v_mul_f32_e32 v37, v31, v35
	v_fma_f32 v31, v35, v31, -v37
	v_fmac_f32_e32 v31, v35, v30
	v_sub_f32_e32 v30, v39, v34
	v_add_f32_e32 v30, v32, v30
	v_add_f32_e32 v32, v37, v31
	v_sub_f32_e32 v38, v34, v32
	v_sub_f32_e32 v34, v34, v38
	v_sub_f32_e32 v37, v32, v37
	v_sub_f32_e32 v32, v34, v32
	v_add_f32_e32 v30, v30, v32
	v_sub_f32_e32 v31, v37, v31
	v_cvt_f32_i32_e32 v29, v29
	v_add_f32_e32 v30, v31, v30
	v_add_f32_e32 v31, v33, v35
	;; [unrolled: 1-line block ×3, first 2 shown]
	v_sub_f32_e32 v32, v31, v33
	v_mul_f32_e32 v30, v36, v30
	v_sub_f32_e32 v32, v35, v32
	v_add_f32_e32 v30, v32, v30
	v_mul_f32_e32 v35, 0x3f317218, v29
	v_add_f32_e32 v32, v31, v30
	v_fma_f32 v36, v29, s28, -v35
	v_mul_f32_e32 v33, v32, v32
	v_mov_b32_e32 v34, 0x3ecc95a3
	v_fmac_f32_e32 v36, 0xb102e308, v29
	v_sub_f32_e32 v29, v32, v31
	v_fmac_f32_e32 v34, 0x3e9b6dac, v33
	v_sub_f32_e32 v29, v30, v29
	v_add_f32_e32 v30, v35, v36
	v_fma_f32 v34, v33, v34, v13
	v_sub_f32_e32 v31, v30, v35
	v_ldexp_f32 v35, v32, 1
	v_mul_f32_e32 v32, v32, v33
	v_mul_f32_e32 v32, v32, v34
	v_add_f32_e32 v33, v35, v32
	v_sub_f32_e32 v34, v33, v35
	v_ldexp_f32 v29, v29, 1
	v_sub_f32_e32 v32, v32, v34
	v_add_f32_e32 v29, v29, v32
	v_add_f32_e32 v32, v33, v29
	v_sub_f32_e32 v33, v32, v33
	v_sub_f32_e32 v29, v29, v33
	v_add_f32_e32 v33, v30, v32
	v_sub_f32_e32 v34, v33, v30
	v_sub_f32_e32 v35, v33, v34
	;; [unrolled: 1-line block ×5, first 2 shown]
	v_add_f32_e32 v30, v32, v30
	v_add_f32_e32 v32, v31, v29
	v_sub_f32_e32 v34, v32, v31
	v_sub_f32_e32 v35, v32, v34
	;; [unrolled: 1-line block ×4, first 2 shown]
	v_add_f32_e32 v30, v32, v30
	v_add_f32_e32 v29, v29, v31
	v_add_f32_e32 v31, v33, v30
	v_sub_f32_e32 v32, v31, v33
	v_sub_f32_e32 v30, v30, v32
	v_add_f32_e32 v29, v29, v30
	v_add_f32_e32 v29, v31, v29
	v_cmp_neq_f32_e32 vcc, s29, v6
	v_cndmask_b32_e32 v29, v20, v29, vcc
	v_cmp_ngt_f32_e32 vcc, -1.0, v6
	v_cndmask_b32_e32 v29, v21, v29, vcc
	v_cmp_neq_f32_e32 vcc, -1.0, v6
	v_cndmask_b32_e32 v29, v22, v29, vcc
	v_cmp_lt_f32_e64 vcc, |v6|, s30
	v_cndmask_b32_e32 v6, v29, v6, vcc
	v_max_f32_e64 v29, |v9|, |v9|
	v_max_f32_e64 v30, |v8|, |v8|
	v_min_f32_e32 v31, v30, v29
	v_max_f32_e32 v29, v30, v29
	v_frexp_mant_f32_e32 v30, v29
	v_rcp_f32_e32 v30, v30
	v_frexp_exp_i32_f32_e32 v29, v29
	v_frexp_exp_i32_f32_e32 v32, v31
	v_frexp_mant_f32_e32 v31, v31
	v_mul_f32_e32 v30, v31, v30
	v_sub_u32_e32 v29, v32, v29
	v_ldexp_f32 v29, v30, v29
	v_mul_f32_e32 v30, v29, v29
	v_mov_b32_e32 v31, 0xbc7a590c
	v_fmac_f32_e32 v31, 0x3b2d2a58, v30
	v_fma_f32 v31, v30, v31, v14
	v_fma_f32 v31, v30, v31, v15
	;; [unrolled: 1-line block ×6, first 2 shown]
	v_mul_f32_e32 v30, v30, v31
	v_fmac_f32_e32 v29, v29, v30
	v_sub_f32_e32 v30, 0x3fc90fdb, v29
	v_cndmask_b32_e64 v29, v29, v30, s[0:1]
	v_sub_f32_e32 v30, 0x40490fdb, v29
	v_cmp_gt_f32_e32 vcc, 0, v8
	v_cndmask_b32_e32 v29, v29, v30, vcc
	v_cndmask_b32_e64 v30, 0, v23, s[2:3]
	v_cmp_eq_f32_e64 s[2:3], 0, v9
	v_cndmask_b32_e64 v29, v29, v30, s[2:3]
	v_cmp_class_f32_e64 s[2:3], v8, s31
	v_cndmask_b32_e32 v30, v24, v25, vcc
	s_and_b64 vcc, s[2:3], s[20:21]
	v_mul_f32_e32 v6, 0.5, v6
	v_cndmask_b32_e32 v29, v29, v30, vcc
.LBB198_209:                            ;   in Loop: Header=BB198_162 Depth=1
	s_or_b64 exec, exec, s[18:19]
.LBB198_210:                            ;   in Loop: Header=BB198_162 Depth=1
	s_or_b64 exec, exec, s[16:17]
.LBB198_211:                            ;   in Loop: Header=BB198_162 Depth=1
	s_andn2_saveexec_b64 s[14:15], s[14:15]
	s_cbranch_execz .LBB198_213
; %bb.212:                              ;   in Loop: Header=BB198_162 Depth=1
	v_max_f32_e64 v6, |v9|, |v9|
	v_max_f32_e64 v31, |v8|, |v8|
	v_max_f32_e32 v32, v31, v6
	v_cvt_f64_f32_e32 v[29:30], v32
	v_min_f32_e32 v6, v31, v6
	v_frexp_mant_f32_e32 v31, v32
	v_rcp_f32_e32 v31, v31
	v_frexp_exp_i32_f64_e32 v29, v[29:30]
	v_cmp_neq_f32_e32 vcc, s29, v32
	v_frexp_exp_i32_f32_e32 v33, v6
	v_frexp_mant_f32_e32 v6, v6
	v_mul_f32_e32 v6, v6, v31
	v_frexp_exp_i32_f32_e32 v30, v32
	v_sub_u32_e32 v30, v33, v30
	v_ldexp_f32 v30, v6, v30
	v_sub_u32_e32 v34, 0, v29
	v_ldexp_f32 v35, |v8|, v34
	v_ldexp_f32 v34, |v9|, v34
	v_mul_f32_e32 v34, v34, v34
	v_fmac_f32_e32 v34, v35, v35
	v_sqrt_f32_e32 v34, v34
	v_cmp_gt_i32_e64 s[2:3], 0, v8
	v_cmp_class_f32_e64 s[16:17], v9, s31
	v_ldexp_f32 v29, v34, v29
	v_cndmask_b32_e32 v29, v20, v29, vcc
	v_cmp_gt_f32_e32 vcc, s35, v29
	v_cndmask_b32_e64 v31, 0, 32, vcc
	v_ldexp_f32 v29, v29, v31
	v_log_f32_e32 v29, v29
	v_cndmask_b32_e32 v6, 0, v26, vcc
	v_mul_f32_e32 v31, v30, v30
	v_mul_f32_e32 v32, 0x3f317217, v29
	v_fma_f32 v32, v29, s36, -v32
	v_fmac_f32_e32 v32, 0x3377d1cf, v29
	v_fmac_f32_e32 v32, 0x3f317217, v29
	v_cmp_lt_f32_e64 vcc, |v29|, s29
	v_cndmask_b32_e32 v29, v29, v32, vcc
	v_sub_f32_e32 v6, v29, v6
	v_mov_b32_e32 v29, 0xbc7a590c
	v_fmac_f32_e32 v29, 0x3b2d2a58, v31
	v_fma_f32 v29, v31, v29, v14
	v_fma_f32 v29, v31, v29, v15
	;; [unrolled: 1-line block ×6, first 2 shown]
	v_mul_f32_e32 v29, v31, v29
	v_fmac_f32_e32 v30, v30, v29
	v_sub_f32_e32 v29, 0x3fc90fdb, v30
	v_cndmask_b32_e64 v29, v30, v29, s[0:1]
	v_sub_f32_e32 v30, 0x40490fdb, v29
	v_cmp_gt_f32_e32 vcc, 0, v8
	v_cndmask_b32_e32 v29, v29, v30, vcc
	v_cndmask_b32_e64 v30, 0, v23, s[2:3]
	v_cmp_eq_f32_e64 s[2:3], 0, v9
	v_cndmask_b32_e64 v29, v29, v30, s[2:3]
	v_cmp_class_f32_e64 s[2:3], v8, s31
	v_cndmask_b32_e32 v30, v24, v25, vcc
	s_and_b64 vcc, s[2:3], s[16:17]
	v_cndmask_b32_e32 v29, v29, v30, vcc
.LBB198_213:                            ;   in Loop: Header=BB198_162 Depth=1
	s_or_b64 exec, exec, s[14:15]
                                        ; implicit-def: $vgpr30
.LBB198_214:                            ;   in Loop: Header=BB198_162 Depth=1
	s_andn2_saveexec_b64 s[12:13], s[12:13]
	s_cbranch_execz .LBB198_220
; %bb.215:                              ;   in Loop: Header=BB198_162 Depth=1
	v_cmp_ngt_f32_e32 vcc, s37, v30
                                        ; implicit-def: $vgpr6
                                        ; implicit-def: $vgpr29
	s_and_saveexec_b64 s[2:3], vcc
	s_xor_b64 s[14:15], exec, s[2:3]
	s_cbranch_execz .LBB198_217
; %bb.216:                              ;   in Loop: Header=BB198_162 Depth=1
	v_mul_f32_e32 v6, v30, v30
	v_add_f32_e32 v31, 1.0, v6
	v_cvt_f64_f32_e32 v[29:30], v31
	v_add_f32_e32 v32, -1.0, v31
	v_sub_f32_e32 v33, v32, v31
	v_sub_f32_e32 v32, v6, v32
	v_frexp_exp_i32_f64_e32 v29, v[29:30]
	v_frexp_mant_f32_e32 v30, v31
	v_cmp_gt_f32_e32 vcc, s27, v30
	v_add_f32_e32 v33, 1.0, v33
	v_add_f32_e32 v32, v32, v33
	v_cmp_gt_i32_e64 s[2:3], 0, v8
	v_cmp_class_f32_e64 s[16:17], v9, s31
	v_subbrev_co_u32_e32 v29, vcc, 0, v29, vcc
	v_sub_u32_e32 v30, 0, v29
	v_ldexp_f32 v31, v31, v30
	v_ldexp_f32 v30, v32, v30
	v_add_f32_e32 v32, -1.0, v31
	v_add_f32_e32 v33, 1.0, v31
	v_add_f32_e32 v34, 1.0, v32
	v_add_f32_e32 v36, -1.0, v33
	v_sub_f32_e32 v34, v31, v34
	v_sub_f32_e32 v31, v31, v36
	v_add_f32_e32 v34, v30, v34
	v_add_f32_e32 v30, v30, v31
	;; [unrolled: 1-line block ×3, first 2 shown]
	v_rcp_f32_e32 v36, v31
	v_add_f32_e32 v35, v32, v34
	v_sub_f32_e32 v33, v33, v31
	v_sub_f32_e32 v32, v32, v35
	v_add_f32_e32 v30, v30, v33
	v_mul_f32_e32 v33, v35, v36
	v_add_f32_e32 v32, v34, v32
	v_mul_f32_e32 v34, v31, v33
	v_fma_f32 v37, v33, v31, -v34
	v_fmac_f32_e32 v37, v33, v30
	v_add_f32_e32 v38, v34, v37
	v_sub_f32_e32 v39, v35, v38
	v_sub_f32_e32 v35, v35, v39
	;; [unrolled: 1-line block ×4, first 2 shown]
	v_add_f32_e32 v32, v32, v35
	v_sub_f32_e32 v34, v34, v37
	v_add_f32_e32 v32, v34, v32
	v_add_f32_e32 v34, v39, v32
	v_mul_f32_e32 v35, v36, v34
	v_mul_f32_e32 v37, v31, v35
	v_fma_f32 v31, v35, v31, -v37
	v_fmac_f32_e32 v31, v35, v30
	v_sub_f32_e32 v30, v39, v34
	v_add_f32_e32 v30, v32, v30
	v_add_f32_e32 v32, v37, v31
	v_sub_f32_e32 v38, v34, v32
	v_sub_f32_e32 v34, v34, v38
	;; [unrolled: 1-line block ×4, first 2 shown]
	v_add_f32_e32 v30, v30, v32
	v_sub_f32_e32 v31, v37, v31
	v_cvt_f32_i32_e32 v29, v29
	v_add_f32_e32 v30, v31, v30
	v_add_f32_e32 v31, v33, v35
	;; [unrolled: 1-line block ×3, first 2 shown]
	v_sub_f32_e32 v32, v31, v33
	v_mul_f32_e32 v30, v36, v30
	v_sub_f32_e32 v32, v35, v32
	v_add_f32_e32 v30, v32, v30
	v_mul_f32_e32 v35, 0x3f317218, v29
	v_add_f32_e32 v32, v31, v30
	v_fma_f32 v36, v29, s28, -v35
	v_mul_f32_e32 v33, v32, v32
	v_mov_b32_e32 v34, 0x3ecc95a3
	v_fmac_f32_e32 v36, 0xb102e308, v29
	v_sub_f32_e32 v29, v32, v31
	v_fmac_f32_e32 v34, 0x3e9b6dac, v33
	v_sub_f32_e32 v29, v30, v29
	v_add_f32_e32 v30, v35, v36
	v_fma_f32 v34, v33, v34, v13
	v_sub_f32_e32 v31, v30, v35
	v_ldexp_f32 v35, v32, 1
	v_mul_f32_e32 v32, v32, v33
	v_mul_f32_e32 v32, v32, v34
	v_add_f32_e32 v33, v35, v32
	v_sub_f32_e32 v34, v33, v35
	v_ldexp_f32 v29, v29, 1
	v_sub_f32_e32 v32, v32, v34
	v_add_f32_e32 v29, v29, v32
	v_add_f32_e32 v32, v33, v29
	v_sub_f32_e32 v33, v32, v33
	v_sub_f32_e32 v29, v29, v33
	v_add_f32_e32 v33, v30, v32
	v_sub_f32_e32 v34, v33, v30
	v_sub_f32_e32 v35, v33, v34
	;; [unrolled: 1-line block ×5, first 2 shown]
	v_add_f32_e32 v30, v32, v30
	v_add_f32_e32 v32, v31, v29
	v_sub_f32_e32 v34, v32, v31
	v_sub_f32_e32 v35, v32, v34
	;; [unrolled: 1-line block ×4, first 2 shown]
	v_add_f32_e32 v30, v32, v30
	v_add_f32_e32 v29, v29, v31
	;; [unrolled: 1-line block ×3, first 2 shown]
	v_sub_f32_e32 v32, v31, v33
	v_sub_f32_e32 v30, v30, v32
	v_add_f32_e32 v29, v29, v30
	v_add_f32_e32 v29, v31, v29
	v_cmp_neq_f32_e32 vcc, s29, v6
	v_cndmask_b32_e32 v29, v20, v29, vcc
	v_cmp_lt_f32_e64 vcc, |v6|, s30
	v_cndmask_b32_e32 v6, v29, v6, vcc
	v_max_f32_e64 v29, |v9|, |v9|
	v_max_f32_e64 v30, |v8|, |v8|
	v_min_f32_e32 v31, v30, v29
	v_max_f32_e32 v29, v30, v29
	v_frexp_mant_f32_e32 v30, v29
	v_rcp_f32_e32 v30, v30
	v_frexp_exp_i32_f32_e32 v29, v29
	v_frexp_exp_i32_f32_e32 v32, v31
	v_frexp_mant_f32_e32 v31, v31
	v_mul_f32_e32 v30, v31, v30
	v_sub_u32_e32 v29, v32, v29
	v_ldexp_f32 v29, v30, v29
	v_mul_f32_e32 v30, v29, v29
	v_mov_b32_e32 v31, 0xbc7a590c
	v_fmac_f32_e32 v31, 0x3b2d2a58, v30
	v_fma_f32 v31, v30, v31, v14
	v_fma_f32 v31, v30, v31, v15
	;; [unrolled: 1-line block ×6, first 2 shown]
	v_mul_f32_e32 v30, v30, v31
	v_fmac_f32_e32 v29, v29, v30
	v_sub_f32_e32 v30, 0x3fc90fdb, v29
	v_cndmask_b32_e64 v29, v29, v30, s[0:1]
	v_sub_f32_e32 v30, 0x40490fdb, v29
	v_cmp_gt_f32_e32 vcc, 0, v8
	v_cndmask_b32_e32 v29, v29, v30, vcc
	v_cndmask_b32_e64 v30, 0, v23, s[2:3]
	v_cmp_eq_f32_e64 s[2:3], 0, v9
	v_cndmask_b32_e64 v29, v29, v30, s[2:3]
	v_cmp_class_f32_e64 s[2:3], v8, s31
	v_cndmask_b32_e32 v30, v24, v25, vcc
	s_and_b64 vcc, s[2:3], s[16:17]
	v_mul_f32_e32 v6, 0.5, v6
	v_cndmask_b32_e32 v29, v29, v30, vcc
                                        ; implicit-def: $vgpr30
.LBB198_217:                            ;   in Loop: Header=BB198_162 Depth=1
	s_andn2_saveexec_b64 s[14:15], s[14:15]
	s_cbranch_execz .LBB198_219
; %bb.218:                              ;   in Loop: Header=BB198_162 Depth=1
	v_mul_f32_e32 v6, 0.5, v30
	v_mul_f32_e32 v6, v30, v6
	v_max_f32_e64 v29, |v9|, |v9|
	v_max_f32_e64 v30, |v8|, |v8|
	v_min_f32_e32 v31, v30, v29
	v_max_f32_e32 v29, v30, v29
	v_frexp_mant_f32_e32 v30, v29
	v_rcp_f32_e32 v30, v30
	v_frexp_exp_i32_f32_e32 v29, v29
	v_frexp_exp_i32_f32_e32 v32, v31
	v_frexp_mant_f32_e32 v31, v31
	v_mul_f32_e32 v30, v31, v30
	v_sub_u32_e32 v29, v32, v29
	v_ldexp_f32 v29, v30, v29
	v_mul_f32_e32 v30, v29, v29
	v_mov_b32_e32 v31, 0xbc7a590c
	v_fmac_f32_e32 v31, 0x3b2d2a58, v30
	v_fma_f32 v31, v30, v31, v14
	v_fma_f32 v31, v30, v31, v15
	;; [unrolled: 1-line block ×6, first 2 shown]
	v_mul_f32_e32 v30, v30, v31
	v_fmac_f32_e32 v29, v29, v30
	v_sub_f32_e32 v30, 0x3fc90fdb, v29
	v_cndmask_b32_e64 v29, v29, v30, s[0:1]
	v_sub_f32_e32 v30, 0x40490fdb, v29
	v_cmp_gt_f32_e32 vcc, 0, v8
	v_cmp_gt_i32_e64 s[2:3], 0, v8
	v_cndmask_b32_e32 v29, v29, v30, vcc
	v_cndmask_b32_e64 v30, 0, v23, s[2:3]
	v_cmp_eq_f32_e64 s[2:3], 0, v9
	v_cndmask_b32_e64 v29, v29, v30, s[2:3]
	v_cmp_class_f32_e64 s[2:3], v8, s31
	v_cmp_class_f32_e64 s[16:17], v9, s31
	v_cndmask_b32_e32 v30, v24, v25, vcc
	s_and_b64 vcc, s[2:3], s[16:17]
	v_cndmask_b32_e32 v29, v29, v30, vcc
.LBB198_219:                            ;   in Loop: Header=BB198_162 Depth=1
	s_or_b64 exec, exec, s[14:15]
.LBB198_220:                            ;   in Loop: Header=BB198_162 Depth=1
	s_or_b64 exec, exec, s[12:13]
.LBB198_221:                            ;   in Loop: Header=BB198_162 Depth=1
	s_andn2_saveexec_b64 s[10:11], s[10:11]
	s_cbranch_execz .LBB198_223
; %bb.222:                              ;   in Loop: Header=BB198_162 Depth=1
	v_div_scale_f32 v6, s[2:3], s38, s38, v8
	v_div_scale_f32 v29, s[2:3], s38, s38, v9
	v_div_scale_f32 v30, vcc, v8, s38, v8
	v_div_scale_f32 v31, s[2:3], v9, s38, v9
	v_rcp_f32_e32 v32, v6
	v_rcp_f32_e32 v33, v29
	v_fma_f32 v34, -v6, v32, 1.0
	v_fmac_f32_e32 v32, v34, v32
	v_fma_f32 v35, -v29, v33, 1.0
	v_fmac_f32_e32 v33, v35, v33
	v_mul_f32_e32 v34, v30, v32
	v_mul_f32_e32 v35, v31, v33
	v_fma_f32 v36, -v6, v34, v30
	v_fma_f32 v37, -v29, v35, v31
	v_fmac_f32_e32 v34, v36, v32
	v_fmac_f32_e32 v35, v37, v33
	v_fma_f32 v6, -v6, v34, v30
	v_fma_f32 v29, -v29, v35, v31
	v_div_fmas_f32 v6, v6, v32, v34
	s_mov_b64 vcc, s[2:3]
	v_div_fmas_f32 v29, v29, v33, v35
	v_max_f32_e64 v30, |v9|, |v9|
	v_max_f32_e64 v31, |v8|, |v8|
	v_min_f32_e32 v33, v31, v30
	v_max_f32_e32 v30, v31, v30
	v_frexp_exp_i32_f32_e32 v31, v30
	v_frexp_exp_i32_f32_e32 v34, v33
	v_sub_u32_e32 v31, v34, v31
	v_frexp_mant_f32_e32 v30, v30
	v_rcp_f32_e32 v35, v30
	v_frexp_mant_f32_e32 v33, v33
	v_mov_b32_e32 v32, 0xbc7a590c
	v_cmp_class_f32_e64 s[2:3], v9, s31
	v_mul_f32_e32 v33, v33, v35
	v_div_fixup_f32 v6, v6, s38, v8
	v_ldexp_f32 v31, v33, v31
	v_div_fixup_f32 v34, v29, s38, v9
	v_max_f32_e64 v36, |v6|, |v34|
	v_cvt_f64_f32_e32 v[29:30], v36
	v_mul_f32_e32 v33, v31, v31
	v_fmac_f32_e32 v32, 0x3b2d2a58, v33
	v_cmp_neq_f32_e32 vcc, s29, v36
	v_frexp_exp_i32_f64_e32 v29, v[29:30]
	v_fma_f32 v30, v33, v32, v14
	v_fma_f32 v30, v33, v30, v15
	;; [unrolled: 1-line block ×6, first 2 shown]
	v_mul_f32_e32 v30, v33, v30
	v_sub_u32_e32 v32, 0, v29
	v_ldexp_f32 v6, |v6|, v32
	v_ldexp_f32 v32, |v34|, v32
	v_mul_f32_e32 v32, v32, v32
	v_fmac_f32_e32 v32, v6, v6
	v_sqrt_f32_e32 v6, v32
	v_fmac_f32_e32 v31, v31, v30
	v_sub_f32_e32 v30, 0x3fc90fdb, v31
	v_ldexp_f32 v6, v6, v29
	v_cndmask_b32_e32 v6, v20, v6, vcc
	v_cmp_gt_f32_e32 vcc, s35, v6
	v_cndmask_b32_e64 v29, 0, 32, vcc
	v_ldexp_f32 v6, v6, v29
	v_log_f32_e32 v6, v6
	v_cndmask_b32_e64 v29, v31, v30, s[0:1]
	v_cndmask_b32_e32 v31, 0, v26, vcc
	v_sub_f32_e32 v30, 0x40490fdb, v29
	v_mul_f32_e32 v32, 0x3f317217, v6
	v_fma_f32 v32, v6, s36, -v32
	v_fmac_f32_e32 v32, 0x3377d1cf, v6
	v_fmac_f32_e32 v32, 0x3f317217, v6
	v_cmp_lt_f32_e64 vcc, |v6|, s29
	v_cndmask_b32_e32 v6, v6, v32, vcc
	v_cmp_gt_f32_e32 vcc, 0, v8
	v_cmp_gt_i32_e64 s[0:1], 0, v8
	v_cndmask_b32_e32 v29, v29, v30, vcc
	v_cndmask_b32_e64 v30, 0, v23, s[0:1]
	v_cmp_eq_f32_e64 s[0:1], 0, v9
	v_cndmask_b32_e64 v29, v29, v30, s[0:1]
	v_cmp_class_f32_e64 s[0:1], v8, s31
	v_sub_f32_e32 v6, v6, v31
	v_cndmask_b32_e32 v30, v24, v25, vcc
	s_and_b64 vcc, s[0:1], s[2:3]
	v_add_f32_e32 v6, 1.0, v6
	v_cndmask_b32_e32 v29, v29, v30, vcc
.LBB198_223:                            ;   in Loop: Header=BB198_162 Depth=1
	s_or_b64 exec, exec, s[10:11]
.LBB198_224:                            ;   in Loop: Header=BB198_162 Depth=1
	s_andn2_saveexec_b64 s[0:1], s[8:9]
	s_cbranch_execz .LBB198_230
; %bb.225:                              ;   in Loop: Header=BB198_162 Depth=1
	v_cmp_nlt_f32_e64 s[2:3], |v8|, s39
	v_cmp_nlt_f32_e64 s[8:9], |v9|, s39
	s_or_b64 s[2:3], s[2:3], s[8:9]
                                        ; implicit-def: $vgpr6
	s_and_saveexec_b64 s[8:9], s[2:3]
	s_xor_b64 s[2:3], exec, s[8:9]
; %bb.226:                              ;   in Loop: Header=BB198_162 Depth=1
	v_mul_f32_e32 v6, v9, v9
	v_fmac_f32_e32 v6, v8, v8
; %bb.227:                              ;   in Loop: Header=BB198_162 Depth=1
	s_andn2_saveexec_b64 s[2:3], s[2:3]
; %bb.228:                              ;   in Loop: Header=BB198_162 Depth=1
	v_mul_f32_e32 v6, 4.0, v8
	v_mul_f32_e32 v8, 4.0, v9
	v_mul_f32_e32 v8, v8, v8
	v_fmac_f32_e32 v8, v6, v6
	v_mul_f32_e32 v6, 0x3d800000, v8
; %bb.229:                              ;   in Loop: Header=BB198_162 Depth=1
	s_or_b64 exec, exec, s[2:3]
	v_cmp_gt_f32_e32 vcc, s35, v6
	v_cndmask_b32_e64 v8, 0, 32, vcc
	v_ldexp_f32 v6, v6, v8
	v_log_f32_e32 v6, v6
	v_cndmask_b32_e32 v8, 0, v26, vcc
	v_mul_f32_e32 v29, 0x3f317217, v6
	v_fma_f32 v29, v6, s36, -v29
	v_fmac_f32_e32 v29, 0x3377d1cf, v6
	v_fmac_f32_e32 v29, 0x3f317217, v6
	v_cmp_lt_f32_e64 vcc, |v6|, s29
	v_cndmask_b32_e32 v6, v6, v29, vcc
	v_sub_f32_e32 v6, v6, v8
	v_mov_b32_e32 v29, 0x7fc00000
.LBB198_230:                            ;   in Loop: Header=BB198_162 Depth=1
	s_or_b64 exec, exec, s[0:1]
	s_waitcnt vmcnt(0)
	v_cmp_o_f32_e32 vcc, v3, v2
                                        ; implicit-def: $vgpr8
                                        ; implicit-def: $vgpr30
	s_and_saveexec_b64 s[0:1], vcc
	s_xor_b64 s[8:9], exec, s[0:1]
	s_cbranch_execz .LBB198_258
; %bb.231:                              ;   in Loop: Header=BB198_162 Depth=1
	v_cmp_lt_f32_e64 s[0:1], |v2|, |v3|
	v_cndmask_b32_e64 v31, |v3|, |v2|, s[0:1]
	v_cmp_nlt_f32_e32 vcc, s24, v31
                                        ; implicit-def: $vgpr8
                                        ; implicit-def: $vgpr30
	s_and_saveexec_b64 s[2:3], vcc
	s_xor_b64 s[10:11], exec, s[2:3]
	s_cbranch_execz .LBB198_255
; %bb.232:                              ;   in Loop: Header=BB198_162 Depth=1
	v_and_b32_e32 v8, 0x7fffffff, v3
	v_cndmask_b32_e64 v32, |v2|, v8, s[0:1]
	v_cmp_neq_f32_e32 vcc, 1.0, v32
                                        ; implicit-def: $vgpr8
                                        ; implicit-def: $vgpr30
	s_and_saveexec_b64 s[2:3], vcc
	s_xor_b64 s[12:13], exec, s[2:3]
	s_cbranch_execz .LBB198_248
; %bb.233:                              ;   in Loop: Header=BB198_162 Depth=1
	v_max_f32_e32 v8, v31, v31
	v_max_f32_e32 v30, v32, v32
	v_min_f32_e32 v33, v30, v8
	v_max_f32_e32 v8, v30, v8
	v_cmp_ngt_f32_e32 vcc, s25, v33
	v_cmp_nlt_f32_e64 s[2:3], s26, v8
	s_and_b64 s[2:3], s[2:3], vcc
                                        ; implicit-def: $vgpr8
                                        ; implicit-def: $vgpr30
	s_and_saveexec_b64 s[14:15], s[2:3]
	s_xor_b64 s[14:15], exec, s[14:15]
	s_cbranch_execz .LBB198_245
; %bb.234:                              ;   in Loop: Header=BB198_162 Depth=1
	v_cmp_le_f32_e32 vcc, 1.0, v32
                                        ; implicit-def: $vgpr8
                                        ; implicit-def: $vgpr30
	s_and_saveexec_b64 s[2:3], vcc
	s_xor_b64 s[16:17], exec, s[2:3]
	s_cbranch_execz .LBB198_236
; %bb.235:                              ;   in Loop: Header=BB198_162 Depth=1
	v_add_f32_e32 v8, -1.0, v32
	v_add_f32_e32 v30, 1.0, v32
	v_mul_f32_e32 v8, v8, v30
	v_fmac_f32_e32 v8, v31, v31
	v_add_f32_e32 v32, 1.0, v8
	v_cvt_f64_f32_e32 v[30:31], v32
	v_add_f32_e32 v33, -1.0, v32
	v_sub_f32_e32 v34, v33, v32
	v_sub_f32_e32 v33, v8, v33
	v_frexp_exp_i32_f64_e32 v30, v[30:31]
	v_frexp_mant_f32_e32 v31, v32
	v_cmp_gt_f32_e32 vcc, s27, v31
	v_add_f32_e32 v34, 1.0, v34
	v_add_f32_e32 v33, v33, v34
	v_cmp_gt_i32_e64 s[2:3], 0, v2
	v_cmp_class_f32_e64 s[18:19], v3, s31
	v_subbrev_co_u32_e32 v30, vcc, 0, v30, vcc
	v_sub_u32_e32 v31, 0, v30
	v_ldexp_f32 v32, v32, v31
	v_ldexp_f32 v31, v33, v31
	v_add_f32_e32 v33, -1.0, v32
	v_add_f32_e32 v36, 1.0, v32
	v_add_f32_e32 v34, 1.0, v33
	v_add_f32_e32 v37, -1.0, v36
	v_sub_f32_e32 v34, v32, v34
	v_sub_f32_e32 v32, v32, v37
	v_add_f32_e32 v34, v31, v34
	v_add_f32_e32 v31, v31, v32
	;; [unrolled: 1-line block ×3, first 2 shown]
	v_rcp_f32_e32 v37, v32
	v_add_f32_e32 v35, v33, v34
	v_sub_f32_e32 v33, v35, v33
	v_sub_f32_e32 v33, v34, v33
	;; [unrolled: 1-line block ×4, first 2 shown]
	v_mul_f32_e32 v34, v35, v37
	v_mul_f32_e32 v36, v32, v34
	v_fma_f32 v38, v34, v32, -v36
	v_fmac_f32_e32 v38, v34, v31
	v_add_f32_e32 v39, v36, v38
	v_sub_f32_e32 v40, v35, v39
	v_sub_f32_e32 v35, v35, v40
	;; [unrolled: 1-line block ×4, first 2 shown]
	v_add_f32_e32 v33, v33, v35
	v_sub_f32_e32 v35, v36, v38
	v_add_f32_e32 v33, v35, v33
	v_add_f32_e32 v35, v40, v33
	v_mul_f32_e32 v36, v37, v35
	v_mul_f32_e32 v38, v32, v36
	v_fma_f32 v32, v36, v32, -v38
	v_fmac_f32_e32 v32, v36, v31
	v_sub_f32_e32 v31, v40, v35
	v_add_f32_e32 v31, v33, v31
	v_add_f32_e32 v33, v38, v32
	v_sub_f32_e32 v39, v35, v33
	v_sub_f32_e32 v35, v35, v39
	;; [unrolled: 1-line block ×4, first 2 shown]
	v_add_f32_e32 v31, v31, v33
	v_sub_f32_e32 v32, v38, v32
	v_cvt_f32_i32_e32 v30, v30
	v_add_f32_e32 v31, v32, v31
	v_add_f32_e32 v32, v34, v36
	;; [unrolled: 1-line block ×3, first 2 shown]
	v_sub_f32_e32 v33, v32, v34
	v_mul_f32_e32 v31, v37, v31
	v_sub_f32_e32 v33, v36, v33
	v_add_f32_e32 v31, v33, v31
	v_mul_f32_e32 v36, 0x3f317218, v30
	v_add_f32_e32 v33, v32, v31
	v_fma_f32 v37, v30, s28, -v36
	v_mul_f32_e32 v34, v33, v33
	v_mov_b32_e32 v35, 0x3ecc95a3
	v_fmac_f32_e32 v37, 0xb102e308, v30
	v_sub_f32_e32 v30, v33, v32
	v_fmac_f32_e32 v35, 0x3e9b6dac, v34
	v_sub_f32_e32 v30, v31, v30
	v_add_f32_e32 v31, v36, v37
	v_fma_f32 v35, v34, v35, v13
	v_sub_f32_e32 v32, v31, v36
	v_ldexp_f32 v36, v33, 1
	v_mul_f32_e32 v33, v33, v34
	v_mul_f32_e32 v33, v33, v35
	v_add_f32_e32 v34, v36, v33
	v_sub_f32_e32 v35, v34, v36
	v_ldexp_f32 v30, v30, 1
	v_sub_f32_e32 v33, v33, v35
	v_add_f32_e32 v30, v30, v33
	v_add_f32_e32 v33, v34, v30
	v_sub_f32_e32 v34, v33, v34
	v_sub_f32_e32 v30, v30, v34
	v_add_f32_e32 v34, v31, v33
	v_sub_f32_e32 v35, v34, v31
	v_sub_f32_e32 v36, v34, v35
	;; [unrolled: 1-line block ×5, first 2 shown]
	v_add_f32_e32 v31, v33, v31
	v_add_f32_e32 v33, v32, v30
	v_sub_f32_e32 v35, v33, v32
	v_sub_f32_e32 v36, v33, v35
	;; [unrolled: 1-line block ×4, first 2 shown]
	v_add_f32_e32 v31, v33, v31
	v_add_f32_e32 v30, v30, v32
	;; [unrolled: 1-line block ×3, first 2 shown]
	v_sub_f32_e32 v33, v32, v34
	v_sub_f32_e32 v31, v31, v33
	v_add_f32_e32 v30, v30, v31
	v_add_f32_e32 v30, v32, v30
	v_cmp_neq_f32_e32 vcc, s29, v8
	v_cndmask_b32_e32 v30, v20, v30, vcc
	v_cmp_ngt_f32_e32 vcc, -1.0, v8
	v_cndmask_b32_e32 v30, v21, v30, vcc
	v_cmp_neq_f32_e32 vcc, -1.0, v8
	v_cndmask_b32_e32 v30, v22, v30, vcc
	v_cmp_lt_f32_e64 vcc, |v8|, s30
	v_cndmask_b32_e32 v8, v30, v8, vcc
	v_max_f32_e64 v30, |v3|, |v3|
	v_max_f32_e64 v31, |v2|, |v2|
	v_min_f32_e32 v32, v31, v30
	v_max_f32_e32 v30, v31, v30
	v_frexp_mant_f32_e32 v31, v30
	v_rcp_f32_e32 v31, v31
	v_frexp_exp_i32_f32_e32 v30, v30
	v_frexp_exp_i32_f32_e32 v33, v32
	v_frexp_mant_f32_e32 v32, v32
	v_mul_f32_e32 v31, v32, v31
	v_sub_u32_e32 v30, v33, v30
	v_ldexp_f32 v30, v31, v30
	v_mul_f32_e32 v31, v30, v30
	v_mov_b32_e32 v32, 0xbc7a590c
	v_fmac_f32_e32 v32, 0x3b2d2a58, v31
	v_fma_f32 v32, v31, v32, v14
	v_fma_f32 v32, v31, v32, v15
	v_fma_f32 v32, v31, v32, v16
	v_fma_f32 v32, v31, v32, v17
	v_fma_f32 v32, v31, v32, v18
	v_fma_f32 v32, v31, v32, v19
	v_mul_f32_e32 v31, v31, v32
	v_fmac_f32_e32 v30, v30, v31
	v_sub_f32_e32 v31, 0x3fc90fdb, v30
	v_cndmask_b32_e64 v30, v30, v31, s[0:1]
	v_sub_f32_e32 v31, 0x40490fdb, v30
	v_cmp_gt_f32_e32 vcc, 0, v2
	v_cndmask_b32_e32 v30, v30, v31, vcc
	v_cndmask_b32_e64 v31, 0, v23, s[2:3]
	v_cmp_eq_f32_e64 s[2:3], 0, v3
	v_cndmask_b32_e64 v30, v30, v31, s[2:3]
	v_cmp_class_f32_e64 s[2:3], v2, s31
	v_cndmask_b32_e32 v31, v24, v25, vcc
	s_and_b64 vcc, s[2:3], s[18:19]
	v_mul_f32_e32 v8, 0.5, v8
	v_cndmask_b32_e32 v30, v30, v31, vcc
                                        ; implicit-def: $vgpr31
                                        ; implicit-def: $vgpr32
.LBB198_236:                            ;   in Loop: Header=BB198_162 Depth=1
	s_andn2_saveexec_b64 s[16:17], s[16:17]
	s_cbranch_execz .LBB198_244
; %bb.237:                              ;   in Loop: Header=BB198_162 Depth=1
	v_mul_f32_e32 v33, v31, v31
	v_fmac_f32_e32 v33, v32, v32
	v_cmp_ge_f32_e32 vcc, s34, v33
                                        ; implicit-def: $vgpr8
                                        ; implicit-def: $vgpr30
	s_and_saveexec_b64 s[2:3], vcc
	s_xor_b64 s[18:19], exec, s[2:3]
	s_cbranch_execz .LBB198_239
; %bb.238:                              ;   in Loop: Header=BB198_162 Depth=1
	v_cmp_gt_f32_e32 vcc, s35, v33
	v_cndmask_b32_e64 v8, 0, 32, vcc
	v_ldexp_f32 v8, v33, v8
	v_log_f32_e32 v8, v8
	v_cndmask_b32_e32 v30, 0, v26, vcc
	v_cmp_gt_i32_e64 s[2:3], 0, v2
	v_cmp_class_f32_e64 s[20:21], v3, s31
	v_mul_f32_e32 v31, 0x3f317217, v8
	v_fma_f32 v31, v8, s36, -v31
	v_fmac_f32_e32 v31, 0x3377d1cf, v8
	v_fmac_f32_e32 v31, 0x3f317217, v8
	v_cmp_lt_f32_e64 vcc, |v8|, s29
	v_cndmask_b32_e32 v8, v8, v31, vcc
	v_sub_f32_e32 v8, v8, v30
	v_max_f32_e64 v30, |v3|, |v3|
	v_max_f32_e64 v31, |v2|, |v2|
	v_min_f32_e32 v32, v31, v30
	v_max_f32_e32 v30, v31, v30
	v_frexp_mant_f32_e32 v31, v30
	v_rcp_f32_e32 v31, v31
	v_frexp_exp_i32_f32_e32 v30, v30
	v_frexp_exp_i32_f32_e32 v33, v32
	v_frexp_mant_f32_e32 v32, v32
	v_mul_f32_e32 v31, v32, v31
	v_sub_u32_e32 v30, v33, v30
	v_ldexp_f32 v30, v31, v30
	v_mul_f32_e32 v31, v30, v30
	v_mov_b32_e32 v32, 0xbc7a590c
	v_fmac_f32_e32 v32, 0x3b2d2a58, v31
	v_fma_f32 v32, v31, v32, v14
	v_fma_f32 v32, v31, v32, v15
	;; [unrolled: 1-line block ×6, first 2 shown]
	v_mul_f32_e32 v31, v31, v32
	v_fmac_f32_e32 v30, v30, v31
	v_sub_f32_e32 v31, 0x3fc90fdb, v30
	v_cndmask_b32_e64 v30, v30, v31, s[0:1]
	v_sub_f32_e32 v31, 0x40490fdb, v30
	v_cmp_gt_f32_e32 vcc, 0, v2
	v_cndmask_b32_e32 v30, v30, v31, vcc
	v_cndmask_b32_e64 v31, 0, v23, s[2:3]
	v_cmp_eq_f32_e64 s[2:3], 0, v3
	v_cndmask_b32_e64 v30, v30, v31, s[2:3]
	v_cmp_class_f32_e64 s[2:3], v2, s31
	v_cndmask_b32_e32 v31, v24, v25, vcc
	s_and_b64 vcc, s[2:3], s[20:21]
	v_mul_f32_e32 v8, 0.5, v8
	v_cndmask_b32_e32 v30, v30, v31, vcc
                                        ; implicit-def: $vgpr32
                                        ; implicit-def: $vgpr31
.LBB198_239:                            ;   in Loop: Header=BB198_162 Depth=1
	s_andn2_saveexec_b64 s[18:19], s[18:19]
	s_cbranch_execz .LBB198_243
; %bb.240:                              ;   in Loop: Header=BB198_162 Depth=1
	v_and_b32_e32 v33, 0x7fff0000, v32
	v_sub_f32_e32 v8, v32, v33
	v_and_b32_e32 v37, 0xffff0000, v8
	v_and_b32_e32 v32, 0x7fff0000, v31
	v_sub_f32_e32 v39, v8, v37
	v_sub_f32_e32 v8, v31, v32
	v_and_b32_e32 v38, 0xffff0000, v8
	v_add_f32_e32 v34, v33, v33
	v_add_f32_e32 v41, v32, v32
	v_sub_f32_e32 v40, v8, v38
	v_mul_f32_e32 v8, v33, v33
	v_mul_f32_e32 v30, v32, v32
	;; [unrolled: 1-line block ×6, first 2 shown]
	v_add_f32_e32 v37, v37, v37
	v_add_f32_e32 v38, v38, v38
	v_mul_f32_e32 v35, v34, v39
	v_mul_f32_e32 v34, v41, v40
	;; [unrolled: 1-line block ×6, first 2 shown]
	s_mov_b64 s[20:21], 0
.LBB198_241:                            ;   Parent Loop BB198_162 Depth=1
                                        ; =>  This Inner Loop Header: Depth=2
	v_cmp_nlt_f32_e32 vcc, v8, v30
	v_mov_b32_e32 v41, v40
	v_cndmask_b32_e32 v40, v8, v30, vcc
	v_cmp_nlt_f32_e64 s[2:3], v40, v33
	v_cndmask_b32_e64 v42, v40, v33, s[2:3]
	v_cndmask_b32_e32 v8, v30, v8, vcc
	s_and_b64 s[40:41], vcc, s[2:3]
	v_cmp_nlt_f32_e32 vcc, v42, v32
	v_cndmask_b32_e64 v30, v33, v40, s[2:3]
	v_cndmask_b32_e32 v40, v42, v32, vcc
	v_cmp_nlt_f32_e64 s[2:3], v40, v36
	v_cndmask_b32_e32 v33, v32, v42, vcc
	v_cndmask_b32_e64 v42, v40, v36, s[2:3]
	s_and_b64 s[42:43], vcc, s[2:3]
	v_cmp_nlt_f32_e32 vcc, v42, v31
	v_cndmask_b32_e64 v32, v36, v40, s[2:3]
	v_cndmask_b32_e32 v40, v42, v31, vcc
	v_cmp_nlt_f32_e64 s[2:3], v40, v35
	v_cndmask_b32_e32 v36, v31, v42, vcc
	v_cndmask_b32_e64 v42, v40, v35, s[2:3]
	v_cndmask_b32_e64 v31, v35, v40, s[2:3]
	s_and_b64 s[2:3], vcc, s[2:3]
	v_cmp_nlt_f32_e32 vcc, v42, v34
	v_cndmask_b32_e32 v40, v42, v34, vcc
	v_cndmask_b32_e32 v35, v34, v42, vcc
	s_and_b64 s[2:3], s[2:3], vcc
	v_cmp_nlt_f32_e32 vcc, v40, v37
	v_cndmask_b32_e32 v42, v40, v37, vcc
	v_cndmask_b32_e32 v34, v37, v40, vcc
	s_and_b64 s[2:3], s[2:3], vcc
	;; [unrolled: 4-line block ×4, first 2 shown]
	v_cmp_nlt_f32_e32 vcc, v42, v41
	s_and_b64 s[2:3], s[2:3], vcc
	s_and_b64 s[2:3], s[2:3], s[42:43]
	s_and_b64 s[2:3], s[2:3], s[40:41]
	s_and_b64 s[2:3], exec, s[2:3]
	v_cndmask_b32_e32 v40, v42, v41, vcc
	s_or_b64 s[20:21], s[2:3], s[20:21]
	v_cndmask_b32_e32 v39, v41, v42, vcc
	s_andn2_b64 exec, exec, s[20:21]
	s_cbranch_execnz .LBB198_241
; %bb.242:                              ;   in Loop: Header=BB198_162 Depth=1
	s_or_b64 exec, exec, s[20:21]
	v_add_f32_e32 v8, -1.0, v8
	v_add_f32_e32 v8, v8, v30
	v_add_f32_e32 v8, v8, v33
	;; [unrolled: 1-line block ×11, first 2 shown]
	v_add_f32_e32 v32, 1.0, v8
	v_cvt_f64_f32_e32 v[30:31], v32
	v_add_f32_e32 v33, -1.0, v32
	v_sub_f32_e32 v34, v33, v32
	v_sub_f32_e32 v33, v8, v33
	v_frexp_exp_i32_f64_e32 v30, v[30:31]
	v_frexp_mant_f32_e32 v31, v32
	v_cmp_gt_f32_e32 vcc, s27, v31
	v_add_f32_e32 v34, 1.0, v34
	v_add_f32_e32 v33, v33, v34
	v_cmp_gt_i32_e64 s[2:3], 0, v2
	v_cmp_class_f32_e64 s[20:21], v3, s31
	v_subbrev_co_u32_e32 v30, vcc, 0, v30, vcc
	v_sub_u32_e32 v31, 0, v30
	v_ldexp_f32 v32, v32, v31
	v_ldexp_f32 v31, v33, v31
	v_add_f32_e32 v33, -1.0, v32
	v_add_f32_e32 v34, 1.0, v32
	v_add_f32_e32 v35, 1.0, v33
	v_add_f32_e32 v37, -1.0, v34
	v_sub_f32_e32 v35, v32, v35
	v_sub_f32_e32 v32, v32, v37
	v_add_f32_e32 v35, v31, v35
	v_add_f32_e32 v31, v31, v32
	;; [unrolled: 1-line block ×3, first 2 shown]
	v_rcp_f32_e32 v37, v32
	v_add_f32_e32 v36, v33, v35
	v_sub_f32_e32 v34, v32, v34
	v_sub_f32_e32 v33, v36, v33
	;; [unrolled: 1-line block ×3, first 2 shown]
	v_mul_f32_e32 v34, v36, v37
	v_sub_f32_e32 v33, v35, v33
	v_mul_f32_e32 v35, v32, v34
	v_fma_f32 v38, v34, v32, -v35
	v_fmac_f32_e32 v38, v34, v31
	v_add_f32_e32 v39, v35, v38
	v_sub_f32_e32 v40, v36, v39
	v_sub_f32_e32 v36, v36, v40
	;; [unrolled: 1-line block ×4, first 2 shown]
	v_add_f32_e32 v33, v33, v36
	v_sub_f32_e32 v35, v35, v38
	v_add_f32_e32 v33, v35, v33
	v_add_f32_e32 v35, v40, v33
	v_mul_f32_e32 v36, v37, v35
	v_mul_f32_e32 v38, v32, v36
	v_fma_f32 v32, v36, v32, -v38
	v_fmac_f32_e32 v32, v36, v31
	v_sub_f32_e32 v31, v40, v35
	v_add_f32_e32 v31, v33, v31
	v_add_f32_e32 v33, v38, v32
	v_sub_f32_e32 v39, v35, v33
	v_sub_f32_e32 v35, v35, v39
	;; [unrolled: 1-line block ×4, first 2 shown]
	v_add_f32_e32 v31, v31, v33
	v_sub_f32_e32 v32, v38, v32
	v_cvt_f32_i32_e32 v30, v30
	v_add_f32_e32 v31, v32, v31
	v_add_f32_e32 v32, v34, v36
	;; [unrolled: 1-line block ×3, first 2 shown]
	v_sub_f32_e32 v33, v32, v34
	v_mul_f32_e32 v31, v37, v31
	v_sub_f32_e32 v33, v36, v33
	v_add_f32_e32 v31, v33, v31
	v_mul_f32_e32 v36, 0x3f317218, v30
	v_add_f32_e32 v33, v32, v31
	v_fma_f32 v37, v30, s28, -v36
	v_mul_f32_e32 v34, v33, v33
	v_mov_b32_e32 v35, 0x3ecc95a3
	v_fmac_f32_e32 v37, 0xb102e308, v30
	v_sub_f32_e32 v30, v33, v32
	v_fmac_f32_e32 v35, 0x3e9b6dac, v34
	v_sub_f32_e32 v30, v31, v30
	v_add_f32_e32 v31, v36, v37
	v_fma_f32 v35, v34, v35, v13
	v_sub_f32_e32 v32, v31, v36
	v_ldexp_f32 v36, v33, 1
	v_mul_f32_e32 v33, v33, v34
	v_mul_f32_e32 v33, v33, v35
	v_add_f32_e32 v34, v36, v33
	v_sub_f32_e32 v35, v34, v36
	v_ldexp_f32 v30, v30, 1
	v_sub_f32_e32 v33, v33, v35
	v_add_f32_e32 v30, v30, v33
	v_add_f32_e32 v33, v34, v30
	v_sub_f32_e32 v34, v33, v34
	v_sub_f32_e32 v30, v30, v34
	v_add_f32_e32 v34, v31, v33
	v_sub_f32_e32 v35, v34, v31
	v_sub_f32_e32 v36, v34, v35
	;; [unrolled: 1-line block ×5, first 2 shown]
	v_add_f32_e32 v31, v33, v31
	v_add_f32_e32 v33, v32, v30
	v_sub_f32_e32 v35, v33, v32
	v_sub_f32_e32 v36, v33, v35
	v_sub_f32_e32 v32, v32, v36
	v_sub_f32_e32 v30, v30, v35
	v_add_f32_e32 v31, v33, v31
	v_add_f32_e32 v30, v30, v32
	;; [unrolled: 1-line block ×3, first 2 shown]
	v_sub_f32_e32 v33, v32, v34
	v_sub_f32_e32 v31, v31, v33
	v_add_f32_e32 v30, v30, v31
	v_add_f32_e32 v30, v32, v30
	v_cmp_neq_f32_e32 vcc, s29, v8
	v_cndmask_b32_e32 v30, v20, v30, vcc
	v_cmp_ngt_f32_e32 vcc, -1.0, v8
	v_cndmask_b32_e32 v30, v21, v30, vcc
	v_cmp_neq_f32_e32 vcc, -1.0, v8
	v_cndmask_b32_e32 v30, v22, v30, vcc
	v_cmp_lt_f32_e64 vcc, |v8|, s30
	v_cndmask_b32_e32 v8, v30, v8, vcc
	v_max_f32_e64 v30, |v3|, |v3|
	v_max_f32_e64 v31, |v2|, |v2|
	v_min_f32_e32 v32, v31, v30
	v_max_f32_e32 v30, v31, v30
	v_frexp_mant_f32_e32 v31, v30
	v_rcp_f32_e32 v31, v31
	v_frexp_exp_i32_f32_e32 v30, v30
	v_frexp_exp_i32_f32_e32 v33, v32
	v_frexp_mant_f32_e32 v32, v32
	v_mul_f32_e32 v31, v32, v31
	v_sub_u32_e32 v30, v33, v30
	v_ldexp_f32 v30, v31, v30
	v_mul_f32_e32 v31, v30, v30
	v_mov_b32_e32 v32, 0xbc7a590c
	v_fmac_f32_e32 v32, 0x3b2d2a58, v31
	v_fma_f32 v32, v31, v32, v14
	v_fma_f32 v32, v31, v32, v15
	;; [unrolled: 1-line block ×6, first 2 shown]
	v_mul_f32_e32 v31, v31, v32
	v_fmac_f32_e32 v30, v30, v31
	v_sub_f32_e32 v31, 0x3fc90fdb, v30
	v_cndmask_b32_e64 v30, v30, v31, s[0:1]
	v_sub_f32_e32 v31, 0x40490fdb, v30
	v_cmp_gt_f32_e32 vcc, 0, v2
	v_cndmask_b32_e32 v30, v30, v31, vcc
	v_cndmask_b32_e64 v31, 0, v23, s[2:3]
	v_cmp_eq_f32_e64 s[2:3], 0, v3
	v_cndmask_b32_e64 v30, v30, v31, s[2:3]
	v_cmp_class_f32_e64 s[2:3], v2, s31
	v_cndmask_b32_e32 v31, v24, v25, vcc
	s_and_b64 vcc, s[2:3], s[20:21]
	v_mul_f32_e32 v8, 0.5, v8
	v_cndmask_b32_e32 v30, v30, v31, vcc
.LBB198_243:                            ;   in Loop: Header=BB198_162 Depth=1
	s_or_b64 exec, exec, s[18:19]
.LBB198_244:                            ;   in Loop: Header=BB198_162 Depth=1
	s_or_b64 exec, exec, s[16:17]
.LBB198_245:                            ;   in Loop: Header=BB198_162 Depth=1
	s_andn2_saveexec_b64 s[14:15], s[14:15]
	s_cbranch_execz .LBB198_247
; %bb.246:                              ;   in Loop: Header=BB198_162 Depth=1
	v_max_f32_e64 v8, |v3|, |v3|
	v_max_f32_e64 v32, |v2|, |v2|
	v_max_f32_e32 v33, v32, v8
	v_cvt_f64_f32_e32 v[30:31], v33
	v_min_f32_e32 v8, v32, v8
	v_frexp_mant_f32_e32 v32, v33
	v_rcp_f32_e32 v32, v32
	v_frexp_exp_i32_f64_e32 v30, v[30:31]
	v_cmp_neq_f32_e32 vcc, s29, v33
	v_frexp_exp_i32_f32_e32 v34, v8
	v_frexp_mant_f32_e32 v8, v8
	v_mul_f32_e32 v8, v8, v32
	v_frexp_exp_i32_f32_e32 v31, v33
	v_sub_u32_e32 v31, v34, v31
	v_ldexp_f32 v31, v8, v31
	v_sub_u32_e32 v35, 0, v30
	v_ldexp_f32 v36, |v2|, v35
	v_ldexp_f32 v35, |v3|, v35
	v_mul_f32_e32 v35, v35, v35
	v_fmac_f32_e32 v35, v36, v36
	v_sqrt_f32_e32 v35, v35
	v_cmp_gt_i32_e64 s[2:3], 0, v2
	v_cmp_class_f32_e64 s[16:17], v3, s31
	v_ldexp_f32 v30, v35, v30
	v_cndmask_b32_e32 v30, v20, v30, vcc
	v_cmp_gt_f32_e32 vcc, s35, v30
	v_cndmask_b32_e64 v32, 0, 32, vcc
	v_ldexp_f32 v30, v30, v32
	v_log_f32_e32 v30, v30
	v_cndmask_b32_e32 v8, 0, v26, vcc
	v_mul_f32_e32 v32, v31, v31
	v_mul_f32_e32 v33, 0x3f317217, v30
	v_fma_f32 v33, v30, s36, -v33
	v_fmac_f32_e32 v33, 0x3377d1cf, v30
	v_fmac_f32_e32 v33, 0x3f317217, v30
	v_cmp_lt_f32_e64 vcc, |v30|, s29
	v_cndmask_b32_e32 v30, v30, v33, vcc
	v_sub_f32_e32 v8, v30, v8
	v_mov_b32_e32 v30, 0xbc7a590c
	v_fmac_f32_e32 v30, 0x3b2d2a58, v32
	v_fma_f32 v30, v32, v30, v14
	v_fma_f32 v30, v32, v30, v15
	;; [unrolled: 1-line block ×6, first 2 shown]
	v_mul_f32_e32 v30, v32, v30
	v_fmac_f32_e32 v31, v31, v30
	v_sub_f32_e32 v30, 0x3fc90fdb, v31
	v_cndmask_b32_e64 v30, v31, v30, s[0:1]
	v_sub_f32_e32 v31, 0x40490fdb, v30
	v_cmp_gt_f32_e32 vcc, 0, v2
	v_cndmask_b32_e32 v30, v30, v31, vcc
	v_cndmask_b32_e64 v31, 0, v23, s[2:3]
	v_cmp_eq_f32_e64 s[2:3], 0, v3
	v_cndmask_b32_e64 v30, v30, v31, s[2:3]
	v_cmp_class_f32_e64 s[2:3], v2, s31
	v_cndmask_b32_e32 v31, v24, v25, vcc
	s_and_b64 vcc, s[2:3], s[16:17]
	v_cndmask_b32_e32 v30, v30, v31, vcc
.LBB198_247:                            ;   in Loop: Header=BB198_162 Depth=1
	s_or_b64 exec, exec, s[14:15]
                                        ; implicit-def: $vgpr31
.LBB198_248:                            ;   in Loop: Header=BB198_162 Depth=1
	s_andn2_saveexec_b64 s[12:13], s[12:13]
	s_cbranch_execz .LBB198_254
; %bb.249:                              ;   in Loop: Header=BB198_162 Depth=1
	v_cmp_ngt_f32_e32 vcc, s37, v31
                                        ; implicit-def: $vgpr8
                                        ; implicit-def: $vgpr30
	s_and_saveexec_b64 s[2:3], vcc
	s_xor_b64 s[14:15], exec, s[2:3]
	s_cbranch_execz .LBB198_251
; %bb.250:                              ;   in Loop: Header=BB198_162 Depth=1
	v_mul_f32_e32 v8, v31, v31
	v_add_f32_e32 v32, 1.0, v8
	v_cvt_f64_f32_e32 v[30:31], v32
	v_add_f32_e32 v33, -1.0, v32
	v_sub_f32_e32 v34, v33, v32
	v_sub_f32_e32 v33, v8, v33
	v_frexp_exp_i32_f64_e32 v30, v[30:31]
	v_frexp_mant_f32_e32 v31, v32
	v_cmp_gt_f32_e32 vcc, s27, v31
	v_add_f32_e32 v34, 1.0, v34
	v_add_f32_e32 v33, v33, v34
	v_cmp_gt_i32_e64 s[2:3], 0, v2
	v_cmp_class_f32_e64 s[16:17], v3, s31
	v_subbrev_co_u32_e32 v30, vcc, 0, v30, vcc
	v_sub_u32_e32 v31, 0, v30
	v_ldexp_f32 v32, v32, v31
	v_ldexp_f32 v31, v33, v31
	v_add_f32_e32 v33, -1.0, v32
	v_add_f32_e32 v34, 1.0, v32
	v_add_f32_e32 v35, 1.0, v33
	v_add_f32_e32 v37, -1.0, v34
	v_sub_f32_e32 v35, v32, v35
	v_sub_f32_e32 v32, v32, v37
	v_add_f32_e32 v35, v31, v35
	v_add_f32_e32 v31, v31, v32
	;; [unrolled: 1-line block ×3, first 2 shown]
	v_rcp_f32_e32 v37, v32
	v_add_f32_e32 v36, v33, v35
	v_sub_f32_e32 v34, v34, v32
	v_sub_f32_e32 v33, v33, v36
	v_add_f32_e32 v31, v31, v34
	v_mul_f32_e32 v34, v36, v37
	v_add_f32_e32 v33, v35, v33
	v_mul_f32_e32 v35, v32, v34
	v_fma_f32 v38, v34, v32, -v35
	v_fmac_f32_e32 v38, v34, v31
	v_add_f32_e32 v39, v35, v38
	v_sub_f32_e32 v40, v36, v39
	v_sub_f32_e32 v36, v36, v40
	v_sub_f32_e32 v35, v39, v35
	v_sub_f32_e32 v36, v36, v39
	v_add_f32_e32 v33, v33, v36
	v_sub_f32_e32 v35, v35, v38
	v_add_f32_e32 v33, v35, v33
	v_add_f32_e32 v35, v40, v33
	v_mul_f32_e32 v36, v37, v35
	v_mul_f32_e32 v38, v32, v36
	v_fma_f32 v32, v36, v32, -v38
	v_fmac_f32_e32 v32, v36, v31
	v_sub_f32_e32 v31, v40, v35
	v_add_f32_e32 v31, v33, v31
	v_add_f32_e32 v33, v38, v32
	v_sub_f32_e32 v39, v35, v33
	v_sub_f32_e32 v35, v35, v39
	;; [unrolled: 1-line block ×4, first 2 shown]
	v_add_f32_e32 v31, v31, v33
	v_sub_f32_e32 v32, v38, v32
	v_cvt_f32_i32_e32 v30, v30
	v_add_f32_e32 v31, v32, v31
	v_add_f32_e32 v32, v34, v36
	;; [unrolled: 1-line block ×3, first 2 shown]
	v_sub_f32_e32 v33, v32, v34
	v_mul_f32_e32 v31, v37, v31
	v_sub_f32_e32 v33, v36, v33
	v_add_f32_e32 v31, v33, v31
	v_mul_f32_e32 v36, 0x3f317218, v30
	v_add_f32_e32 v33, v32, v31
	v_fma_f32 v37, v30, s28, -v36
	v_mul_f32_e32 v34, v33, v33
	v_mov_b32_e32 v35, 0x3ecc95a3
	v_fmac_f32_e32 v37, 0xb102e308, v30
	v_sub_f32_e32 v30, v33, v32
	v_fmac_f32_e32 v35, 0x3e9b6dac, v34
	v_sub_f32_e32 v30, v31, v30
	v_add_f32_e32 v31, v36, v37
	v_fma_f32 v35, v34, v35, v13
	v_sub_f32_e32 v32, v31, v36
	v_ldexp_f32 v36, v33, 1
	v_mul_f32_e32 v33, v33, v34
	v_mul_f32_e32 v33, v33, v35
	v_add_f32_e32 v34, v36, v33
	v_sub_f32_e32 v35, v34, v36
	v_ldexp_f32 v30, v30, 1
	v_sub_f32_e32 v33, v33, v35
	v_add_f32_e32 v30, v30, v33
	v_add_f32_e32 v33, v34, v30
	v_sub_f32_e32 v34, v33, v34
	v_sub_f32_e32 v30, v30, v34
	v_add_f32_e32 v34, v31, v33
	v_sub_f32_e32 v35, v34, v31
	v_sub_f32_e32 v36, v34, v35
	;; [unrolled: 1-line block ×5, first 2 shown]
	v_add_f32_e32 v31, v33, v31
	v_add_f32_e32 v33, v32, v30
	v_sub_f32_e32 v35, v33, v32
	v_sub_f32_e32 v36, v33, v35
	;; [unrolled: 1-line block ×4, first 2 shown]
	v_add_f32_e32 v31, v33, v31
	v_add_f32_e32 v30, v30, v32
	;; [unrolled: 1-line block ×3, first 2 shown]
	v_sub_f32_e32 v33, v32, v34
	v_sub_f32_e32 v31, v31, v33
	v_add_f32_e32 v30, v30, v31
	v_add_f32_e32 v30, v32, v30
	v_cmp_neq_f32_e32 vcc, s29, v8
	v_cndmask_b32_e32 v30, v20, v30, vcc
	v_cmp_lt_f32_e64 vcc, |v8|, s30
	v_cndmask_b32_e32 v8, v30, v8, vcc
	v_max_f32_e64 v30, |v3|, |v3|
	v_max_f32_e64 v31, |v2|, |v2|
	v_min_f32_e32 v32, v31, v30
	v_max_f32_e32 v30, v31, v30
	v_frexp_mant_f32_e32 v31, v30
	v_rcp_f32_e32 v31, v31
	v_frexp_exp_i32_f32_e32 v30, v30
	v_frexp_exp_i32_f32_e32 v33, v32
	v_frexp_mant_f32_e32 v32, v32
	v_mul_f32_e32 v31, v32, v31
	v_sub_u32_e32 v30, v33, v30
	v_ldexp_f32 v30, v31, v30
	v_mul_f32_e32 v31, v30, v30
	v_mov_b32_e32 v32, 0xbc7a590c
	v_fmac_f32_e32 v32, 0x3b2d2a58, v31
	v_fma_f32 v32, v31, v32, v14
	v_fma_f32 v32, v31, v32, v15
	;; [unrolled: 1-line block ×6, first 2 shown]
	v_mul_f32_e32 v31, v31, v32
	v_fmac_f32_e32 v30, v30, v31
	v_sub_f32_e32 v31, 0x3fc90fdb, v30
	v_cndmask_b32_e64 v30, v30, v31, s[0:1]
	v_sub_f32_e32 v31, 0x40490fdb, v30
	v_cmp_gt_f32_e32 vcc, 0, v2
	v_cndmask_b32_e32 v30, v30, v31, vcc
	v_cndmask_b32_e64 v31, 0, v23, s[2:3]
	v_cmp_eq_f32_e64 s[2:3], 0, v3
	v_cndmask_b32_e64 v30, v30, v31, s[2:3]
	v_cmp_class_f32_e64 s[2:3], v2, s31
	v_cndmask_b32_e32 v31, v24, v25, vcc
	s_and_b64 vcc, s[2:3], s[16:17]
	v_mul_f32_e32 v8, 0.5, v8
	v_cndmask_b32_e32 v30, v30, v31, vcc
                                        ; implicit-def: $vgpr31
.LBB198_251:                            ;   in Loop: Header=BB198_162 Depth=1
	s_andn2_saveexec_b64 s[14:15], s[14:15]
	s_cbranch_execz .LBB198_253
; %bb.252:                              ;   in Loop: Header=BB198_162 Depth=1
	v_mul_f32_e32 v8, 0.5, v31
	v_mul_f32_e32 v8, v31, v8
	v_max_f32_e64 v30, |v3|, |v3|
	v_max_f32_e64 v31, |v2|, |v2|
	v_min_f32_e32 v32, v31, v30
	v_max_f32_e32 v30, v31, v30
	v_frexp_mant_f32_e32 v31, v30
	v_rcp_f32_e32 v31, v31
	v_frexp_exp_i32_f32_e32 v30, v30
	v_frexp_exp_i32_f32_e32 v33, v32
	v_frexp_mant_f32_e32 v32, v32
	v_mul_f32_e32 v31, v32, v31
	v_sub_u32_e32 v30, v33, v30
	v_ldexp_f32 v30, v31, v30
	v_mul_f32_e32 v31, v30, v30
	v_mov_b32_e32 v32, 0xbc7a590c
	v_fmac_f32_e32 v32, 0x3b2d2a58, v31
	v_fma_f32 v32, v31, v32, v14
	v_fma_f32 v32, v31, v32, v15
	;; [unrolled: 1-line block ×6, first 2 shown]
	v_mul_f32_e32 v31, v31, v32
	v_fmac_f32_e32 v30, v30, v31
	v_sub_f32_e32 v31, 0x3fc90fdb, v30
	v_cndmask_b32_e64 v30, v30, v31, s[0:1]
	v_sub_f32_e32 v31, 0x40490fdb, v30
	v_cmp_gt_f32_e32 vcc, 0, v2
	v_cmp_gt_i32_e64 s[2:3], 0, v2
	v_cndmask_b32_e32 v30, v30, v31, vcc
	v_cndmask_b32_e64 v31, 0, v23, s[2:3]
	v_cmp_eq_f32_e64 s[2:3], 0, v3
	v_cndmask_b32_e64 v30, v30, v31, s[2:3]
	v_cmp_class_f32_e64 s[2:3], v2, s31
	v_cmp_class_f32_e64 s[16:17], v3, s31
	v_cndmask_b32_e32 v31, v24, v25, vcc
	s_and_b64 vcc, s[2:3], s[16:17]
	v_cndmask_b32_e32 v30, v30, v31, vcc
.LBB198_253:                            ;   in Loop: Header=BB198_162 Depth=1
	s_or_b64 exec, exec, s[14:15]
.LBB198_254:                            ;   in Loop: Header=BB198_162 Depth=1
	s_or_b64 exec, exec, s[12:13]
.LBB198_255:                            ;   in Loop: Header=BB198_162 Depth=1
	s_andn2_saveexec_b64 s[10:11], s[10:11]
	s_cbranch_execz .LBB198_257
; %bb.256:                              ;   in Loop: Header=BB198_162 Depth=1
	v_div_scale_f32 v8, s[2:3], s38, s38, v2
	v_div_scale_f32 v30, s[2:3], s38, s38, v3
	v_div_scale_f32 v31, vcc, v2, s38, v2
	v_div_scale_f32 v32, s[2:3], v3, s38, v3
	v_rcp_f32_e32 v33, v8
	v_rcp_f32_e32 v34, v30
	v_fma_f32 v35, -v8, v33, 1.0
	v_fmac_f32_e32 v33, v35, v33
	v_fma_f32 v36, -v30, v34, 1.0
	v_fmac_f32_e32 v34, v36, v34
	v_mul_f32_e32 v35, v31, v33
	v_mul_f32_e32 v36, v32, v34
	v_fma_f32 v37, -v8, v35, v31
	v_fma_f32 v38, -v30, v36, v32
	v_fmac_f32_e32 v35, v37, v33
	v_fmac_f32_e32 v36, v38, v34
	v_fma_f32 v8, -v8, v35, v31
	v_fma_f32 v30, -v30, v36, v32
	v_div_fmas_f32 v8, v8, v33, v35
	s_mov_b64 vcc, s[2:3]
	v_div_fmas_f32 v30, v30, v34, v36
	v_max_f32_e64 v31, |v3|, |v3|
	v_max_f32_e64 v32, |v2|, |v2|
	v_min_f32_e32 v34, v32, v31
	v_max_f32_e32 v31, v32, v31
	v_frexp_exp_i32_f32_e32 v32, v31
	v_frexp_exp_i32_f32_e32 v35, v34
	v_sub_u32_e32 v32, v35, v32
	v_frexp_mant_f32_e32 v31, v31
	v_rcp_f32_e32 v36, v31
	v_frexp_mant_f32_e32 v34, v34
	v_mov_b32_e32 v33, 0xbc7a590c
	v_cmp_class_f32_e64 s[2:3], v3, s31
	v_mul_f32_e32 v34, v34, v36
	v_div_fixup_f32 v8, v8, s38, v2
	v_ldexp_f32 v32, v34, v32
	v_div_fixup_f32 v35, v30, s38, v3
	v_max_f32_e64 v37, |v8|, |v35|
	v_cvt_f64_f32_e32 v[30:31], v37
	v_mul_f32_e32 v34, v32, v32
	v_fmac_f32_e32 v33, 0x3b2d2a58, v34
	v_cmp_neq_f32_e32 vcc, s29, v37
	v_frexp_exp_i32_f64_e32 v30, v[30:31]
	v_fma_f32 v31, v34, v33, v14
	v_fma_f32 v31, v34, v31, v15
	;; [unrolled: 1-line block ×6, first 2 shown]
	v_mul_f32_e32 v31, v34, v31
	v_sub_u32_e32 v33, 0, v30
	v_ldexp_f32 v8, |v8|, v33
	v_ldexp_f32 v33, |v35|, v33
	v_mul_f32_e32 v33, v33, v33
	v_fmac_f32_e32 v33, v8, v8
	v_sqrt_f32_e32 v8, v33
	v_fmac_f32_e32 v32, v32, v31
	v_sub_f32_e32 v31, 0x3fc90fdb, v32
	v_ldexp_f32 v8, v8, v30
	v_cndmask_b32_e32 v8, v20, v8, vcc
	v_cmp_gt_f32_e32 vcc, s35, v8
	v_cndmask_b32_e64 v30, 0, 32, vcc
	v_ldexp_f32 v8, v8, v30
	v_log_f32_e32 v8, v8
	v_cndmask_b32_e64 v30, v32, v31, s[0:1]
	v_cndmask_b32_e32 v32, 0, v26, vcc
	v_sub_f32_e32 v31, 0x40490fdb, v30
	v_mul_f32_e32 v33, 0x3f317217, v8
	v_fma_f32 v33, v8, s36, -v33
	v_fmac_f32_e32 v33, 0x3377d1cf, v8
	v_fmac_f32_e32 v33, 0x3f317217, v8
	v_cmp_lt_f32_e64 vcc, |v8|, s29
	v_cndmask_b32_e32 v8, v8, v33, vcc
	v_cmp_gt_f32_e32 vcc, 0, v2
	v_cmp_gt_i32_e64 s[0:1], 0, v2
	v_cndmask_b32_e32 v30, v30, v31, vcc
	v_cndmask_b32_e64 v31, 0, v23, s[0:1]
	v_cmp_eq_f32_e64 s[0:1], 0, v3
	v_cndmask_b32_e64 v30, v30, v31, s[0:1]
	v_cmp_class_f32_e64 s[0:1], v2, s31
	v_sub_f32_e32 v8, v8, v32
	v_cndmask_b32_e32 v31, v24, v25, vcc
	s_and_b64 vcc, s[0:1], s[2:3]
	v_add_f32_e32 v8, 1.0, v8
	v_cndmask_b32_e32 v30, v30, v31, vcc
.LBB198_257:                            ;   in Loop: Header=BB198_162 Depth=1
	s_or_b64 exec, exec, s[10:11]
.LBB198_258:                            ;   in Loop: Header=BB198_162 Depth=1
	s_andn2_saveexec_b64 s[0:1], s[8:9]
	s_cbranch_execz .LBB198_264
; %bb.259:                              ;   in Loop: Header=BB198_162 Depth=1
	v_cmp_nlt_f32_e64 s[2:3], |v2|, s39
	v_cmp_nlt_f32_e64 s[8:9], |v3|, s39
	s_or_b64 s[2:3], s[2:3], s[8:9]
                                        ; implicit-def: $vgpr8
	s_and_saveexec_b64 s[8:9], s[2:3]
	s_xor_b64 s[2:3], exec, s[8:9]
; %bb.260:                              ;   in Loop: Header=BB198_162 Depth=1
	v_mul_f32_e32 v8, v3, v3
	v_fmac_f32_e32 v8, v2, v2
; %bb.261:                              ;   in Loop: Header=BB198_162 Depth=1
	s_andn2_saveexec_b64 s[2:3], s[2:3]
; %bb.262:                              ;   in Loop: Header=BB198_162 Depth=1
	v_mul_f32_e32 v8, 4.0, v3
	v_mul_f32_e32 v2, 4.0, v2
	v_mul_f32_e32 v8, v8, v8
	v_fmac_f32_e32 v8, v2, v2
	v_mul_f32_e32 v8, 0x3d800000, v8
; %bb.263:                              ;   in Loop: Header=BB198_162 Depth=1
	s_or_b64 exec, exec, s[2:3]
	v_cmp_gt_f32_e32 vcc, s35, v8
	v_cndmask_b32_e64 v2, 0, 32, vcc
	v_ldexp_f32 v2, v8, v2
	v_log_f32_e32 v2, v2
	v_cndmask_b32_e32 v8, 0, v26, vcc
	v_mul_f32_e32 v30, 0x3f317217, v2
	v_fma_f32 v30, v2, s36, -v30
	v_fmac_f32_e32 v30, 0x3377d1cf, v2
	v_fmac_f32_e32 v30, 0x3f317217, v2
	v_cmp_lt_f32_e64 vcc, |v2|, s29
	v_cndmask_b32_e32 v2, v2, v30, vcc
	v_sub_f32_e32 v8, v2, v8
	v_mov_b32_e32 v30, 0x7fc00000
.LBB198_264:                            ;   in Loop: Header=BB198_162 Depth=1
	s_or_b64 exec, exec, s[0:1]
	v_cmp_o_f32_e32 vcc, v5, v4
                                        ; implicit-def: $vgpr2
                                        ; implicit-def: $vgpr31
	s_and_saveexec_b64 s[0:1], vcc
	s_xor_b64 s[8:9], exec, s[0:1]
	s_cbranch_execz .LBB198_292
; %bb.265:                              ;   in Loop: Header=BB198_162 Depth=1
	v_cmp_lt_f32_e64 s[0:1], |v4|, |v5|
	v_cndmask_b32_e64 v32, |v5|, |v4|, s[0:1]
	v_cmp_nlt_f32_e32 vcc, s24, v32
                                        ; implicit-def: $vgpr2
                                        ; implicit-def: $vgpr31
	s_and_saveexec_b64 s[2:3], vcc
	s_xor_b64 s[10:11], exec, s[2:3]
	s_cbranch_execz .LBB198_289
; %bb.266:                              ;   in Loop: Header=BB198_162 Depth=1
	v_and_b32_e32 v2, 0x7fffffff, v5
	v_cndmask_b32_e64 v33, |v4|, v2, s[0:1]
	v_cmp_neq_f32_e32 vcc, 1.0, v33
                                        ; implicit-def: $vgpr2
                                        ; implicit-def: $vgpr31
	s_and_saveexec_b64 s[2:3], vcc
	s_xor_b64 s[12:13], exec, s[2:3]
	s_cbranch_execz .LBB198_282
; %bb.267:                              ;   in Loop: Header=BB198_162 Depth=1
	v_max_f32_e32 v2, v32, v32
	v_max_f32_e32 v31, v33, v33
	v_min_f32_e32 v34, v31, v2
	v_max_f32_e32 v2, v31, v2
	v_cmp_ngt_f32_e32 vcc, s25, v34
	v_cmp_nlt_f32_e64 s[2:3], s26, v2
	s_and_b64 s[2:3], s[2:3], vcc
                                        ; implicit-def: $vgpr2
                                        ; implicit-def: $vgpr31
	s_and_saveexec_b64 s[14:15], s[2:3]
	s_xor_b64 s[14:15], exec, s[14:15]
	s_cbranch_execz .LBB198_279
; %bb.268:                              ;   in Loop: Header=BB198_162 Depth=1
	v_cmp_le_f32_e32 vcc, 1.0, v33
                                        ; implicit-def: $vgpr2
                                        ; implicit-def: $vgpr31
	s_and_saveexec_b64 s[2:3], vcc
	s_xor_b64 s[16:17], exec, s[2:3]
	s_cbranch_execz .LBB198_270
; %bb.269:                              ;   in Loop: Header=BB198_162 Depth=1
	v_add_f32_e32 v2, -1.0, v33
	v_add_f32_e32 v31, 1.0, v33
	v_mul_f32_e32 v2, v2, v31
	v_fmac_f32_e32 v2, v32, v32
	v_add_f32_e32 v33, 1.0, v2
	v_cvt_f64_f32_e32 v[31:32], v33
	v_add_f32_e32 v34, -1.0, v33
	v_sub_f32_e32 v35, v34, v33
	v_sub_f32_e32 v34, v2, v34
	v_frexp_exp_i32_f64_e32 v31, v[31:32]
	v_frexp_mant_f32_e32 v32, v33
	v_cmp_gt_f32_e32 vcc, s27, v32
	v_add_f32_e32 v35, 1.0, v35
	v_add_f32_e32 v34, v34, v35
	v_cmp_gt_i32_e64 s[2:3], 0, v4
	v_cmp_class_f32_e64 s[18:19], v5, s31
	v_subbrev_co_u32_e32 v31, vcc, 0, v31, vcc
	v_sub_u32_e32 v32, 0, v31
	v_ldexp_f32 v33, v33, v32
	v_ldexp_f32 v32, v34, v32
	v_add_f32_e32 v34, -1.0, v33
	v_add_f32_e32 v37, 1.0, v33
	v_add_f32_e32 v35, 1.0, v34
	v_add_f32_e32 v38, -1.0, v37
	v_sub_f32_e32 v35, v33, v35
	v_sub_f32_e32 v33, v33, v38
	v_add_f32_e32 v35, v32, v35
	v_add_f32_e32 v32, v32, v33
	;; [unrolled: 1-line block ×3, first 2 shown]
	v_rcp_f32_e32 v38, v33
	v_add_f32_e32 v36, v34, v35
	v_sub_f32_e32 v34, v36, v34
	v_sub_f32_e32 v34, v35, v34
	;; [unrolled: 1-line block ×4, first 2 shown]
	v_mul_f32_e32 v35, v36, v38
	v_mul_f32_e32 v37, v33, v35
	v_fma_f32 v39, v35, v33, -v37
	v_fmac_f32_e32 v39, v35, v32
	v_add_f32_e32 v40, v37, v39
	v_sub_f32_e32 v41, v36, v40
	v_sub_f32_e32 v36, v36, v41
	;; [unrolled: 1-line block ×4, first 2 shown]
	v_add_f32_e32 v34, v34, v36
	v_sub_f32_e32 v36, v37, v39
	v_add_f32_e32 v34, v36, v34
	v_add_f32_e32 v36, v41, v34
	v_mul_f32_e32 v37, v38, v36
	v_mul_f32_e32 v39, v33, v37
	v_fma_f32 v33, v37, v33, -v39
	v_fmac_f32_e32 v33, v37, v32
	v_sub_f32_e32 v32, v41, v36
	v_add_f32_e32 v32, v34, v32
	v_add_f32_e32 v34, v39, v33
	v_sub_f32_e32 v40, v36, v34
	v_sub_f32_e32 v36, v36, v40
	;; [unrolled: 1-line block ×4, first 2 shown]
	v_add_f32_e32 v32, v32, v34
	v_sub_f32_e32 v33, v39, v33
	v_cvt_f32_i32_e32 v31, v31
	v_add_f32_e32 v32, v33, v32
	v_add_f32_e32 v33, v35, v37
	;; [unrolled: 1-line block ×3, first 2 shown]
	v_sub_f32_e32 v34, v33, v35
	v_mul_f32_e32 v32, v38, v32
	v_sub_f32_e32 v34, v37, v34
	v_add_f32_e32 v32, v34, v32
	v_mul_f32_e32 v37, 0x3f317218, v31
	v_add_f32_e32 v34, v33, v32
	v_fma_f32 v38, v31, s28, -v37
	v_mul_f32_e32 v35, v34, v34
	v_mov_b32_e32 v36, 0x3ecc95a3
	v_fmac_f32_e32 v38, 0xb102e308, v31
	v_sub_f32_e32 v31, v34, v33
	v_fmac_f32_e32 v36, 0x3e9b6dac, v35
	v_sub_f32_e32 v31, v32, v31
	v_add_f32_e32 v32, v37, v38
	v_fma_f32 v36, v35, v36, v13
	v_sub_f32_e32 v33, v32, v37
	v_ldexp_f32 v37, v34, 1
	v_mul_f32_e32 v34, v34, v35
	v_mul_f32_e32 v34, v34, v36
	v_add_f32_e32 v35, v37, v34
	v_sub_f32_e32 v36, v35, v37
	v_ldexp_f32 v31, v31, 1
	v_sub_f32_e32 v34, v34, v36
	v_add_f32_e32 v31, v31, v34
	v_add_f32_e32 v34, v35, v31
	v_sub_f32_e32 v35, v34, v35
	v_sub_f32_e32 v31, v31, v35
	v_add_f32_e32 v35, v32, v34
	v_sub_f32_e32 v36, v35, v32
	v_sub_f32_e32 v37, v35, v36
	;; [unrolled: 1-line block ×5, first 2 shown]
	v_add_f32_e32 v32, v34, v32
	v_add_f32_e32 v34, v33, v31
	v_sub_f32_e32 v36, v34, v33
	v_sub_f32_e32 v37, v34, v36
	;; [unrolled: 1-line block ×4, first 2 shown]
	v_add_f32_e32 v32, v34, v32
	v_add_f32_e32 v31, v31, v33
	;; [unrolled: 1-line block ×3, first 2 shown]
	v_sub_f32_e32 v34, v33, v35
	v_sub_f32_e32 v32, v32, v34
	v_add_f32_e32 v31, v31, v32
	v_add_f32_e32 v31, v33, v31
	v_cmp_neq_f32_e32 vcc, s29, v2
	v_cndmask_b32_e32 v31, v20, v31, vcc
	v_cmp_ngt_f32_e32 vcc, -1.0, v2
	v_cndmask_b32_e32 v31, v21, v31, vcc
	v_cmp_neq_f32_e32 vcc, -1.0, v2
	v_cndmask_b32_e32 v31, v22, v31, vcc
	v_cmp_lt_f32_e64 vcc, |v2|, s30
	v_cndmask_b32_e32 v2, v31, v2, vcc
	v_max_f32_e64 v31, |v5|, |v5|
	v_max_f32_e64 v32, |v4|, |v4|
	v_min_f32_e32 v33, v32, v31
	v_max_f32_e32 v31, v32, v31
	v_frexp_mant_f32_e32 v32, v31
	v_rcp_f32_e32 v32, v32
	v_frexp_exp_i32_f32_e32 v31, v31
	v_frexp_exp_i32_f32_e32 v34, v33
	v_frexp_mant_f32_e32 v33, v33
	v_mul_f32_e32 v32, v33, v32
	v_sub_u32_e32 v31, v34, v31
	v_ldexp_f32 v31, v32, v31
	v_mul_f32_e32 v32, v31, v31
	v_mov_b32_e32 v33, 0xbc7a590c
	v_fmac_f32_e32 v33, 0x3b2d2a58, v32
	v_fma_f32 v33, v32, v33, v14
	v_fma_f32 v33, v32, v33, v15
	;; [unrolled: 1-line block ×6, first 2 shown]
	v_mul_f32_e32 v32, v32, v33
	v_fmac_f32_e32 v31, v31, v32
	v_sub_f32_e32 v32, 0x3fc90fdb, v31
	v_cndmask_b32_e64 v31, v31, v32, s[0:1]
	v_sub_f32_e32 v32, 0x40490fdb, v31
	v_cmp_gt_f32_e32 vcc, 0, v4
	v_cndmask_b32_e32 v31, v31, v32, vcc
	v_cndmask_b32_e64 v32, 0, v23, s[2:3]
	v_cmp_eq_f32_e64 s[2:3], 0, v5
	v_cndmask_b32_e64 v31, v31, v32, s[2:3]
	v_cmp_class_f32_e64 s[2:3], v4, s31
	v_cndmask_b32_e32 v32, v24, v25, vcc
	s_and_b64 vcc, s[2:3], s[18:19]
	v_mul_f32_e32 v2, 0.5, v2
	v_cndmask_b32_e32 v31, v31, v32, vcc
                                        ; implicit-def: $vgpr32
                                        ; implicit-def: $vgpr33
.LBB198_270:                            ;   in Loop: Header=BB198_162 Depth=1
	s_andn2_saveexec_b64 s[16:17], s[16:17]
	s_cbranch_execz .LBB198_278
; %bb.271:                              ;   in Loop: Header=BB198_162 Depth=1
	v_mul_f32_e32 v34, v32, v32
	v_fmac_f32_e32 v34, v33, v33
	v_cmp_ge_f32_e32 vcc, s34, v34
                                        ; implicit-def: $vgpr2
                                        ; implicit-def: $vgpr31
	s_and_saveexec_b64 s[2:3], vcc
	s_xor_b64 s[18:19], exec, s[2:3]
	s_cbranch_execz .LBB198_273
; %bb.272:                              ;   in Loop: Header=BB198_162 Depth=1
	v_cmp_gt_f32_e32 vcc, s35, v34
	v_cndmask_b32_e64 v2, 0, 32, vcc
	v_ldexp_f32 v2, v34, v2
	v_log_f32_e32 v2, v2
	v_cndmask_b32_e32 v31, 0, v26, vcc
	v_cmp_gt_i32_e64 s[2:3], 0, v4
	v_cmp_class_f32_e64 s[20:21], v5, s31
	v_mul_f32_e32 v32, 0x3f317217, v2
	v_fma_f32 v32, v2, s36, -v32
	v_fmac_f32_e32 v32, 0x3377d1cf, v2
	v_fmac_f32_e32 v32, 0x3f317217, v2
	v_cmp_lt_f32_e64 vcc, |v2|, s29
	v_cndmask_b32_e32 v2, v2, v32, vcc
	v_sub_f32_e32 v2, v2, v31
	v_max_f32_e64 v31, |v5|, |v5|
	v_max_f32_e64 v32, |v4|, |v4|
	v_min_f32_e32 v33, v32, v31
	v_max_f32_e32 v31, v32, v31
	v_frexp_mant_f32_e32 v32, v31
	v_rcp_f32_e32 v32, v32
	v_frexp_exp_i32_f32_e32 v31, v31
	v_frexp_exp_i32_f32_e32 v34, v33
	v_frexp_mant_f32_e32 v33, v33
	v_mul_f32_e32 v32, v33, v32
	v_sub_u32_e32 v31, v34, v31
	v_ldexp_f32 v31, v32, v31
	v_mul_f32_e32 v32, v31, v31
	v_mov_b32_e32 v33, 0xbc7a590c
	v_fmac_f32_e32 v33, 0x3b2d2a58, v32
	v_fma_f32 v33, v32, v33, v14
	v_fma_f32 v33, v32, v33, v15
	;; [unrolled: 1-line block ×6, first 2 shown]
	v_mul_f32_e32 v32, v32, v33
	v_fmac_f32_e32 v31, v31, v32
	v_sub_f32_e32 v32, 0x3fc90fdb, v31
	v_cndmask_b32_e64 v31, v31, v32, s[0:1]
	v_sub_f32_e32 v32, 0x40490fdb, v31
	v_cmp_gt_f32_e32 vcc, 0, v4
	v_cndmask_b32_e32 v31, v31, v32, vcc
	v_cndmask_b32_e64 v32, 0, v23, s[2:3]
	v_cmp_eq_f32_e64 s[2:3], 0, v5
	v_cndmask_b32_e64 v31, v31, v32, s[2:3]
	v_cmp_class_f32_e64 s[2:3], v4, s31
	v_cndmask_b32_e32 v32, v24, v25, vcc
	s_and_b64 vcc, s[2:3], s[20:21]
	v_mul_f32_e32 v2, 0.5, v2
	v_cndmask_b32_e32 v31, v31, v32, vcc
                                        ; implicit-def: $vgpr33
                                        ; implicit-def: $vgpr32
.LBB198_273:                            ;   in Loop: Header=BB198_162 Depth=1
	s_andn2_saveexec_b64 s[18:19], s[18:19]
	s_cbranch_execz .LBB198_277
; %bb.274:                              ;   in Loop: Header=BB198_162 Depth=1
	v_and_b32_e32 v34, 0x7fff0000, v33
	v_sub_f32_e32 v2, v33, v34
	v_and_b32_e32 v38, 0xffff0000, v2
	v_and_b32_e32 v33, 0x7fff0000, v32
	v_sub_f32_e32 v40, v2, v38
	v_sub_f32_e32 v2, v32, v33
	v_and_b32_e32 v39, 0xffff0000, v2
	v_add_f32_e32 v35, v34, v34
	v_add_f32_e32 v42, v33, v33
	v_sub_f32_e32 v41, v2, v39
	v_mul_f32_e32 v2, v34, v34
	v_mul_f32_e32 v31, v33, v33
	;; [unrolled: 1-line block ×6, first 2 shown]
	v_add_f32_e32 v38, v38, v38
	v_add_f32_e32 v39, v39, v39
	v_mul_f32_e32 v36, v35, v40
	v_mul_f32_e32 v35, v42, v41
	;; [unrolled: 1-line block ×6, first 2 shown]
	s_mov_b64 s[20:21], 0
.LBB198_275:                            ;   Parent Loop BB198_162 Depth=1
                                        ; =>  This Inner Loop Header: Depth=2
	v_cmp_nlt_f32_e32 vcc, v2, v31
	v_mov_b32_e32 v42, v41
	v_cndmask_b32_e32 v41, v2, v31, vcc
	v_cmp_nlt_f32_e64 s[2:3], v41, v34
	v_cndmask_b32_e64 v43, v41, v34, s[2:3]
	v_cndmask_b32_e32 v2, v31, v2, vcc
	s_and_b64 s[40:41], vcc, s[2:3]
	v_cmp_nlt_f32_e32 vcc, v43, v33
	v_cndmask_b32_e64 v31, v34, v41, s[2:3]
	v_cndmask_b32_e32 v41, v43, v33, vcc
	v_cmp_nlt_f32_e64 s[2:3], v41, v37
	v_cndmask_b32_e32 v34, v33, v43, vcc
	v_cndmask_b32_e64 v43, v41, v37, s[2:3]
	s_and_b64 s[42:43], vcc, s[2:3]
	v_cmp_nlt_f32_e32 vcc, v43, v32
	v_cndmask_b32_e64 v33, v37, v41, s[2:3]
	v_cndmask_b32_e32 v41, v43, v32, vcc
	v_cmp_nlt_f32_e64 s[2:3], v41, v36
	v_cndmask_b32_e32 v37, v32, v43, vcc
	v_cndmask_b32_e64 v43, v41, v36, s[2:3]
	v_cndmask_b32_e64 v32, v36, v41, s[2:3]
	s_and_b64 s[2:3], vcc, s[2:3]
	v_cmp_nlt_f32_e32 vcc, v43, v35
	v_cndmask_b32_e32 v41, v43, v35, vcc
	v_cndmask_b32_e32 v36, v35, v43, vcc
	s_and_b64 s[2:3], s[2:3], vcc
	v_cmp_nlt_f32_e32 vcc, v41, v38
	v_cndmask_b32_e32 v43, v41, v38, vcc
	v_cndmask_b32_e32 v35, v38, v41, vcc
	s_and_b64 s[2:3], s[2:3], vcc
	;; [unrolled: 4-line block ×4, first 2 shown]
	v_cmp_nlt_f32_e32 vcc, v43, v42
	s_and_b64 s[2:3], s[2:3], vcc
	s_and_b64 s[2:3], s[2:3], s[42:43]
	s_and_b64 s[2:3], s[2:3], s[40:41]
	s_and_b64 s[2:3], exec, s[2:3]
	v_cndmask_b32_e32 v41, v43, v42, vcc
	s_or_b64 s[20:21], s[2:3], s[20:21]
	v_cndmask_b32_e32 v40, v42, v43, vcc
	s_andn2_b64 exec, exec, s[20:21]
	s_cbranch_execnz .LBB198_275
; %bb.276:                              ;   in Loop: Header=BB198_162 Depth=1
	s_or_b64 exec, exec, s[20:21]
	v_add_f32_e32 v2, -1.0, v2
	v_add_f32_e32 v2, v2, v31
	v_add_f32_e32 v2, v2, v34
	;; [unrolled: 1-line block ×11, first 2 shown]
	v_add_f32_e32 v33, 1.0, v2
	v_cvt_f64_f32_e32 v[31:32], v33
	v_add_f32_e32 v34, -1.0, v33
	v_sub_f32_e32 v35, v34, v33
	v_sub_f32_e32 v34, v2, v34
	v_frexp_exp_i32_f64_e32 v31, v[31:32]
	v_frexp_mant_f32_e32 v32, v33
	v_cmp_gt_f32_e32 vcc, s27, v32
	v_add_f32_e32 v35, 1.0, v35
	v_add_f32_e32 v34, v34, v35
	v_cmp_gt_i32_e64 s[2:3], 0, v4
	v_cmp_class_f32_e64 s[20:21], v5, s31
	v_subbrev_co_u32_e32 v31, vcc, 0, v31, vcc
	v_sub_u32_e32 v32, 0, v31
	v_ldexp_f32 v33, v33, v32
	v_ldexp_f32 v32, v34, v32
	v_add_f32_e32 v34, -1.0, v33
	v_add_f32_e32 v35, 1.0, v33
	v_add_f32_e32 v36, 1.0, v34
	v_add_f32_e32 v38, -1.0, v35
	v_sub_f32_e32 v36, v33, v36
	v_sub_f32_e32 v33, v33, v38
	v_add_f32_e32 v36, v32, v36
	v_add_f32_e32 v32, v32, v33
	;; [unrolled: 1-line block ×3, first 2 shown]
	v_rcp_f32_e32 v38, v33
	v_add_f32_e32 v37, v34, v36
	v_sub_f32_e32 v35, v33, v35
	v_sub_f32_e32 v34, v37, v34
	;; [unrolled: 1-line block ×3, first 2 shown]
	v_mul_f32_e32 v35, v37, v38
	v_sub_f32_e32 v34, v36, v34
	v_mul_f32_e32 v36, v33, v35
	v_fma_f32 v39, v35, v33, -v36
	v_fmac_f32_e32 v39, v35, v32
	v_add_f32_e32 v40, v36, v39
	v_sub_f32_e32 v41, v37, v40
	v_sub_f32_e32 v37, v37, v41
	;; [unrolled: 1-line block ×4, first 2 shown]
	v_add_f32_e32 v34, v34, v37
	v_sub_f32_e32 v36, v36, v39
	v_add_f32_e32 v34, v36, v34
	v_add_f32_e32 v36, v41, v34
	v_mul_f32_e32 v37, v38, v36
	v_mul_f32_e32 v39, v33, v37
	v_fma_f32 v33, v37, v33, -v39
	v_fmac_f32_e32 v33, v37, v32
	v_sub_f32_e32 v32, v41, v36
	v_add_f32_e32 v32, v34, v32
	v_add_f32_e32 v34, v39, v33
	v_sub_f32_e32 v40, v36, v34
	v_sub_f32_e32 v36, v36, v40
	;; [unrolled: 1-line block ×4, first 2 shown]
	v_add_f32_e32 v32, v32, v34
	v_sub_f32_e32 v33, v39, v33
	v_cvt_f32_i32_e32 v31, v31
	v_add_f32_e32 v32, v33, v32
	v_add_f32_e32 v33, v35, v37
	;; [unrolled: 1-line block ×3, first 2 shown]
	v_sub_f32_e32 v34, v33, v35
	v_mul_f32_e32 v32, v38, v32
	v_sub_f32_e32 v34, v37, v34
	v_add_f32_e32 v32, v34, v32
	v_mul_f32_e32 v37, 0x3f317218, v31
	v_add_f32_e32 v34, v33, v32
	v_fma_f32 v38, v31, s28, -v37
	v_mul_f32_e32 v35, v34, v34
	v_mov_b32_e32 v36, 0x3ecc95a3
	v_fmac_f32_e32 v38, 0xb102e308, v31
	v_sub_f32_e32 v31, v34, v33
	v_fmac_f32_e32 v36, 0x3e9b6dac, v35
	v_sub_f32_e32 v31, v32, v31
	v_add_f32_e32 v32, v37, v38
	v_fma_f32 v36, v35, v36, v13
	v_sub_f32_e32 v33, v32, v37
	v_ldexp_f32 v37, v34, 1
	v_mul_f32_e32 v34, v34, v35
	v_mul_f32_e32 v34, v34, v36
	v_add_f32_e32 v35, v37, v34
	v_sub_f32_e32 v36, v35, v37
	v_ldexp_f32 v31, v31, 1
	v_sub_f32_e32 v34, v34, v36
	v_add_f32_e32 v31, v31, v34
	v_add_f32_e32 v34, v35, v31
	v_sub_f32_e32 v35, v34, v35
	v_sub_f32_e32 v31, v31, v35
	v_add_f32_e32 v35, v32, v34
	v_sub_f32_e32 v36, v35, v32
	v_sub_f32_e32 v37, v35, v36
	;; [unrolled: 1-line block ×5, first 2 shown]
	v_add_f32_e32 v32, v34, v32
	v_add_f32_e32 v34, v33, v31
	v_sub_f32_e32 v36, v34, v33
	v_sub_f32_e32 v37, v34, v36
	;; [unrolled: 1-line block ×4, first 2 shown]
	v_add_f32_e32 v32, v34, v32
	v_add_f32_e32 v31, v31, v33
	;; [unrolled: 1-line block ×3, first 2 shown]
	v_sub_f32_e32 v34, v33, v35
	v_sub_f32_e32 v32, v32, v34
	v_add_f32_e32 v31, v31, v32
	v_add_f32_e32 v31, v33, v31
	v_cmp_neq_f32_e32 vcc, s29, v2
	v_cndmask_b32_e32 v31, v20, v31, vcc
	v_cmp_ngt_f32_e32 vcc, -1.0, v2
	v_cndmask_b32_e32 v31, v21, v31, vcc
	v_cmp_neq_f32_e32 vcc, -1.0, v2
	v_cndmask_b32_e32 v31, v22, v31, vcc
	v_cmp_lt_f32_e64 vcc, |v2|, s30
	v_cndmask_b32_e32 v2, v31, v2, vcc
	v_max_f32_e64 v31, |v5|, |v5|
	v_max_f32_e64 v32, |v4|, |v4|
	v_min_f32_e32 v33, v32, v31
	v_max_f32_e32 v31, v32, v31
	v_frexp_mant_f32_e32 v32, v31
	v_rcp_f32_e32 v32, v32
	v_frexp_exp_i32_f32_e32 v31, v31
	v_frexp_exp_i32_f32_e32 v34, v33
	v_frexp_mant_f32_e32 v33, v33
	v_mul_f32_e32 v32, v33, v32
	v_sub_u32_e32 v31, v34, v31
	v_ldexp_f32 v31, v32, v31
	v_mul_f32_e32 v32, v31, v31
	v_mov_b32_e32 v33, 0xbc7a590c
	v_fmac_f32_e32 v33, 0x3b2d2a58, v32
	v_fma_f32 v33, v32, v33, v14
	v_fma_f32 v33, v32, v33, v15
	;; [unrolled: 1-line block ×6, first 2 shown]
	v_mul_f32_e32 v32, v32, v33
	v_fmac_f32_e32 v31, v31, v32
	v_sub_f32_e32 v32, 0x3fc90fdb, v31
	v_cndmask_b32_e64 v31, v31, v32, s[0:1]
	v_sub_f32_e32 v32, 0x40490fdb, v31
	v_cmp_gt_f32_e32 vcc, 0, v4
	v_cndmask_b32_e32 v31, v31, v32, vcc
	v_cndmask_b32_e64 v32, 0, v23, s[2:3]
	v_cmp_eq_f32_e64 s[2:3], 0, v5
	v_cndmask_b32_e64 v31, v31, v32, s[2:3]
	v_cmp_class_f32_e64 s[2:3], v4, s31
	v_cndmask_b32_e32 v32, v24, v25, vcc
	s_and_b64 vcc, s[2:3], s[20:21]
	v_mul_f32_e32 v2, 0.5, v2
	v_cndmask_b32_e32 v31, v31, v32, vcc
.LBB198_277:                            ;   in Loop: Header=BB198_162 Depth=1
	s_or_b64 exec, exec, s[18:19]
.LBB198_278:                            ;   in Loop: Header=BB198_162 Depth=1
	s_or_b64 exec, exec, s[16:17]
.LBB198_279:                            ;   in Loop: Header=BB198_162 Depth=1
	s_andn2_saveexec_b64 s[14:15], s[14:15]
	s_cbranch_execz .LBB198_281
; %bb.280:                              ;   in Loop: Header=BB198_162 Depth=1
	v_max_f32_e64 v2, |v5|, |v5|
	v_max_f32_e64 v33, |v4|, |v4|
	v_max_f32_e32 v34, v33, v2
	v_cvt_f64_f32_e32 v[31:32], v34
	v_min_f32_e32 v2, v33, v2
	v_frexp_mant_f32_e32 v33, v34
	v_rcp_f32_e32 v33, v33
	v_frexp_exp_i32_f64_e32 v31, v[31:32]
	v_cmp_neq_f32_e32 vcc, s29, v34
	v_frexp_exp_i32_f32_e32 v35, v2
	v_frexp_mant_f32_e32 v2, v2
	v_mul_f32_e32 v2, v2, v33
	v_frexp_exp_i32_f32_e32 v32, v34
	v_sub_u32_e32 v32, v35, v32
	v_ldexp_f32 v32, v2, v32
	v_sub_u32_e32 v36, 0, v31
	v_ldexp_f32 v37, |v4|, v36
	v_ldexp_f32 v36, |v5|, v36
	v_mul_f32_e32 v36, v36, v36
	v_fmac_f32_e32 v36, v37, v37
	v_sqrt_f32_e32 v36, v36
	v_cmp_gt_i32_e64 s[2:3], 0, v4
	v_cmp_class_f32_e64 s[16:17], v5, s31
	v_ldexp_f32 v31, v36, v31
	v_cndmask_b32_e32 v31, v20, v31, vcc
	v_cmp_gt_f32_e32 vcc, s35, v31
	v_cndmask_b32_e64 v33, 0, 32, vcc
	v_ldexp_f32 v31, v31, v33
	v_log_f32_e32 v31, v31
	v_cndmask_b32_e32 v2, 0, v26, vcc
	v_mul_f32_e32 v33, v32, v32
	v_mul_f32_e32 v34, 0x3f317217, v31
	v_fma_f32 v34, v31, s36, -v34
	v_fmac_f32_e32 v34, 0x3377d1cf, v31
	v_fmac_f32_e32 v34, 0x3f317217, v31
	v_cmp_lt_f32_e64 vcc, |v31|, s29
	v_cndmask_b32_e32 v31, v31, v34, vcc
	v_sub_f32_e32 v2, v31, v2
	v_mov_b32_e32 v31, 0xbc7a590c
	v_fmac_f32_e32 v31, 0x3b2d2a58, v33
	v_fma_f32 v31, v33, v31, v14
	v_fma_f32 v31, v33, v31, v15
	;; [unrolled: 1-line block ×6, first 2 shown]
	v_mul_f32_e32 v31, v33, v31
	v_fmac_f32_e32 v32, v32, v31
	v_sub_f32_e32 v31, 0x3fc90fdb, v32
	v_cndmask_b32_e64 v31, v32, v31, s[0:1]
	v_sub_f32_e32 v32, 0x40490fdb, v31
	v_cmp_gt_f32_e32 vcc, 0, v4
	v_cndmask_b32_e32 v31, v31, v32, vcc
	v_cndmask_b32_e64 v32, 0, v23, s[2:3]
	v_cmp_eq_f32_e64 s[2:3], 0, v5
	v_cndmask_b32_e64 v31, v31, v32, s[2:3]
	v_cmp_class_f32_e64 s[2:3], v4, s31
	v_cndmask_b32_e32 v32, v24, v25, vcc
	s_and_b64 vcc, s[2:3], s[16:17]
	v_cndmask_b32_e32 v31, v31, v32, vcc
.LBB198_281:                            ;   in Loop: Header=BB198_162 Depth=1
	s_or_b64 exec, exec, s[14:15]
                                        ; implicit-def: $vgpr32
.LBB198_282:                            ;   in Loop: Header=BB198_162 Depth=1
	s_andn2_saveexec_b64 s[12:13], s[12:13]
	s_cbranch_execz .LBB198_288
; %bb.283:                              ;   in Loop: Header=BB198_162 Depth=1
	v_cmp_ngt_f32_e32 vcc, s37, v32
                                        ; implicit-def: $vgpr2
                                        ; implicit-def: $vgpr31
	s_and_saveexec_b64 s[2:3], vcc
	s_xor_b64 s[14:15], exec, s[2:3]
	s_cbranch_execz .LBB198_285
; %bb.284:                              ;   in Loop: Header=BB198_162 Depth=1
	v_mul_f32_e32 v2, v32, v32
	v_add_f32_e32 v33, 1.0, v2
	v_cvt_f64_f32_e32 v[31:32], v33
	v_add_f32_e32 v34, -1.0, v33
	v_sub_f32_e32 v35, v34, v33
	v_sub_f32_e32 v34, v2, v34
	v_frexp_exp_i32_f64_e32 v31, v[31:32]
	v_frexp_mant_f32_e32 v32, v33
	v_cmp_gt_f32_e32 vcc, s27, v32
	v_add_f32_e32 v35, 1.0, v35
	v_add_f32_e32 v34, v34, v35
	v_cmp_gt_i32_e64 s[2:3], 0, v4
	v_cmp_class_f32_e64 s[16:17], v5, s31
	v_subbrev_co_u32_e32 v31, vcc, 0, v31, vcc
	v_sub_u32_e32 v32, 0, v31
	v_ldexp_f32 v33, v33, v32
	v_ldexp_f32 v32, v34, v32
	v_add_f32_e32 v34, -1.0, v33
	v_add_f32_e32 v35, 1.0, v33
	v_add_f32_e32 v36, 1.0, v34
	v_add_f32_e32 v38, -1.0, v35
	v_sub_f32_e32 v36, v33, v36
	v_sub_f32_e32 v33, v33, v38
	v_add_f32_e32 v36, v32, v36
	v_add_f32_e32 v32, v32, v33
	;; [unrolled: 1-line block ×3, first 2 shown]
	v_rcp_f32_e32 v38, v33
	v_add_f32_e32 v37, v34, v36
	v_sub_f32_e32 v35, v35, v33
	v_sub_f32_e32 v34, v34, v37
	v_add_f32_e32 v32, v32, v35
	v_mul_f32_e32 v35, v37, v38
	v_add_f32_e32 v34, v36, v34
	v_mul_f32_e32 v36, v33, v35
	v_fma_f32 v39, v35, v33, -v36
	v_fmac_f32_e32 v39, v35, v32
	v_add_f32_e32 v40, v36, v39
	v_sub_f32_e32 v41, v37, v40
	v_sub_f32_e32 v37, v37, v41
	;; [unrolled: 1-line block ×4, first 2 shown]
	v_add_f32_e32 v34, v34, v37
	v_sub_f32_e32 v36, v36, v39
	v_add_f32_e32 v34, v36, v34
	v_add_f32_e32 v36, v41, v34
	v_mul_f32_e32 v37, v38, v36
	v_mul_f32_e32 v39, v33, v37
	v_fma_f32 v33, v37, v33, -v39
	v_fmac_f32_e32 v33, v37, v32
	v_sub_f32_e32 v32, v41, v36
	v_add_f32_e32 v32, v34, v32
	v_add_f32_e32 v34, v39, v33
	v_sub_f32_e32 v40, v36, v34
	v_sub_f32_e32 v36, v36, v40
	v_sub_f32_e32 v39, v34, v39
	v_sub_f32_e32 v34, v36, v34
	v_add_f32_e32 v32, v32, v34
	v_sub_f32_e32 v33, v39, v33
	v_cvt_f32_i32_e32 v31, v31
	v_add_f32_e32 v32, v33, v32
	v_add_f32_e32 v33, v35, v37
	;; [unrolled: 1-line block ×3, first 2 shown]
	v_sub_f32_e32 v34, v33, v35
	v_mul_f32_e32 v32, v38, v32
	v_sub_f32_e32 v34, v37, v34
	v_add_f32_e32 v32, v34, v32
	v_mul_f32_e32 v37, 0x3f317218, v31
	v_add_f32_e32 v34, v33, v32
	v_fma_f32 v38, v31, s28, -v37
	v_mul_f32_e32 v35, v34, v34
	v_mov_b32_e32 v36, 0x3ecc95a3
	v_fmac_f32_e32 v38, 0xb102e308, v31
	v_sub_f32_e32 v31, v34, v33
	v_fmac_f32_e32 v36, 0x3e9b6dac, v35
	v_sub_f32_e32 v31, v32, v31
	v_add_f32_e32 v32, v37, v38
	v_fma_f32 v36, v35, v36, v13
	v_sub_f32_e32 v33, v32, v37
	v_ldexp_f32 v37, v34, 1
	v_mul_f32_e32 v34, v34, v35
	v_mul_f32_e32 v34, v34, v36
	v_add_f32_e32 v35, v37, v34
	v_sub_f32_e32 v36, v35, v37
	v_ldexp_f32 v31, v31, 1
	v_sub_f32_e32 v34, v34, v36
	v_add_f32_e32 v31, v31, v34
	v_add_f32_e32 v34, v35, v31
	v_sub_f32_e32 v35, v34, v35
	v_sub_f32_e32 v31, v31, v35
	v_add_f32_e32 v35, v32, v34
	v_sub_f32_e32 v36, v35, v32
	v_sub_f32_e32 v37, v35, v36
	;; [unrolled: 1-line block ×5, first 2 shown]
	v_add_f32_e32 v32, v34, v32
	v_add_f32_e32 v34, v33, v31
	v_sub_f32_e32 v36, v34, v33
	v_sub_f32_e32 v37, v34, v36
	v_sub_f32_e32 v33, v33, v37
	v_sub_f32_e32 v31, v31, v36
	v_add_f32_e32 v32, v34, v32
	v_add_f32_e32 v31, v31, v33
	;; [unrolled: 1-line block ×3, first 2 shown]
	v_sub_f32_e32 v34, v33, v35
	v_sub_f32_e32 v32, v32, v34
	v_add_f32_e32 v31, v31, v32
	v_add_f32_e32 v31, v33, v31
	v_cmp_neq_f32_e32 vcc, s29, v2
	v_cndmask_b32_e32 v31, v20, v31, vcc
	v_cmp_lt_f32_e64 vcc, |v2|, s30
	v_cndmask_b32_e32 v2, v31, v2, vcc
	v_max_f32_e64 v31, |v5|, |v5|
	v_max_f32_e64 v32, |v4|, |v4|
	v_min_f32_e32 v33, v32, v31
	v_max_f32_e32 v31, v32, v31
	v_frexp_mant_f32_e32 v32, v31
	v_rcp_f32_e32 v32, v32
	v_frexp_exp_i32_f32_e32 v31, v31
	v_frexp_exp_i32_f32_e32 v34, v33
	v_frexp_mant_f32_e32 v33, v33
	v_mul_f32_e32 v32, v33, v32
	v_sub_u32_e32 v31, v34, v31
	v_ldexp_f32 v31, v32, v31
	v_mul_f32_e32 v32, v31, v31
	v_mov_b32_e32 v33, 0xbc7a590c
	v_fmac_f32_e32 v33, 0x3b2d2a58, v32
	v_fma_f32 v33, v32, v33, v14
	v_fma_f32 v33, v32, v33, v15
	;; [unrolled: 1-line block ×6, first 2 shown]
	v_mul_f32_e32 v32, v32, v33
	v_fmac_f32_e32 v31, v31, v32
	v_sub_f32_e32 v32, 0x3fc90fdb, v31
	v_cndmask_b32_e64 v31, v31, v32, s[0:1]
	v_sub_f32_e32 v32, 0x40490fdb, v31
	v_cmp_gt_f32_e32 vcc, 0, v4
	v_cndmask_b32_e32 v31, v31, v32, vcc
	v_cndmask_b32_e64 v32, 0, v23, s[2:3]
	v_cmp_eq_f32_e64 s[2:3], 0, v5
	v_cndmask_b32_e64 v31, v31, v32, s[2:3]
	v_cmp_class_f32_e64 s[2:3], v4, s31
	v_cndmask_b32_e32 v32, v24, v25, vcc
	s_and_b64 vcc, s[2:3], s[16:17]
	v_mul_f32_e32 v2, 0.5, v2
	v_cndmask_b32_e32 v31, v31, v32, vcc
                                        ; implicit-def: $vgpr32
.LBB198_285:                            ;   in Loop: Header=BB198_162 Depth=1
	s_andn2_saveexec_b64 s[14:15], s[14:15]
	s_cbranch_execz .LBB198_287
; %bb.286:                              ;   in Loop: Header=BB198_162 Depth=1
	v_mul_f32_e32 v2, 0.5, v32
	v_mul_f32_e32 v2, v32, v2
	v_max_f32_e64 v31, |v5|, |v5|
	v_max_f32_e64 v32, |v4|, |v4|
	v_min_f32_e32 v33, v32, v31
	v_max_f32_e32 v31, v32, v31
	v_frexp_mant_f32_e32 v32, v31
	v_rcp_f32_e32 v32, v32
	v_frexp_exp_i32_f32_e32 v31, v31
	v_frexp_exp_i32_f32_e32 v34, v33
	v_frexp_mant_f32_e32 v33, v33
	v_mul_f32_e32 v32, v33, v32
	v_sub_u32_e32 v31, v34, v31
	v_ldexp_f32 v31, v32, v31
	v_mul_f32_e32 v32, v31, v31
	v_mov_b32_e32 v33, 0xbc7a590c
	v_fmac_f32_e32 v33, 0x3b2d2a58, v32
	v_fma_f32 v33, v32, v33, v14
	v_fma_f32 v33, v32, v33, v15
	;; [unrolled: 1-line block ×6, first 2 shown]
	v_mul_f32_e32 v32, v32, v33
	v_fmac_f32_e32 v31, v31, v32
	v_sub_f32_e32 v32, 0x3fc90fdb, v31
	v_cndmask_b32_e64 v31, v31, v32, s[0:1]
	v_sub_f32_e32 v32, 0x40490fdb, v31
	v_cmp_gt_f32_e32 vcc, 0, v4
	v_cmp_gt_i32_e64 s[2:3], 0, v4
	v_cndmask_b32_e32 v31, v31, v32, vcc
	v_cndmask_b32_e64 v32, 0, v23, s[2:3]
	v_cmp_eq_f32_e64 s[2:3], 0, v5
	v_cndmask_b32_e64 v31, v31, v32, s[2:3]
	v_cmp_class_f32_e64 s[2:3], v4, s31
	v_cmp_class_f32_e64 s[16:17], v5, s31
	v_cndmask_b32_e32 v32, v24, v25, vcc
	s_and_b64 vcc, s[2:3], s[16:17]
	v_cndmask_b32_e32 v31, v31, v32, vcc
.LBB198_287:                            ;   in Loop: Header=BB198_162 Depth=1
	s_or_b64 exec, exec, s[14:15]
.LBB198_288:                            ;   in Loop: Header=BB198_162 Depth=1
	s_or_b64 exec, exec, s[12:13]
.LBB198_289:                            ;   in Loop: Header=BB198_162 Depth=1
	s_andn2_saveexec_b64 s[10:11], s[10:11]
	s_cbranch_execz .LBB198_291
; %bb.290:                              ;   in Loop: Header=BB198_162 Depth=1
	v_div_scale_f32 v2, s[2:3], s38, s38, v4
	v_div_scale_f32 v31, s[2:3], s38, s38, v5
	v_div_scale_f32 v32, vcc, v4, s38, v4
	v_div_scale_f32 v33, s[2:3], v5, s38, v5
	v_rcp_f32_e32 v34, v2
	v_rcp_f32_e32 v35, v31
	v_fma_f32 v36, -v2, v34, 1.0
	v_fmac_f32_e32 v34, v36, v34
	v_fma_f32 v37, -v31, v35, 1.0
	v_fmac_f32_e32 v35, v37, v35
	v_mul_f32_e32 v36, v32, v34
	v_mul_f32_e32 v37, v33, v35
	v_fma_f32 v38, -v2, v36, v32
	v_fma_f32 v39, -v31, v37, v33
	v_fmac_f32_e32 v36, v38, v34
	v_fmac_f32_e32 v37, v39, v35
	v_fma_f32 v2, -v2, v36, v32
	v_fma_f32 v31, -v31, v37, v33
	v_div_fmas_f32 v2, v2, v34, v36
	s_mov_b64 vcc, s[2:3]
	v_div_fmas_f32 v31, v31, v35, v37
	v_max_f32_e64 v32, |v5|, |v5|
	v_max_f32_e64 v33, |v4|, |v4|
	v_min_f32_e32 v35, v33, v32
	v_max_f32_e32 v32, v33, v32
	v_frexp_exp_i32_f32_e32 v33, v32
	v_frexp_exp_i32_f32_e32 v36, v35
	v_sub_u32_e32 v33, v36, v33
	v_frexp_mant_f32_e32 v32, v32
	v_rcp_f32_e32 v37, v32
	v_frexp_mant_f32_e32 v35, v35
	v_mov_b32_e32 v34, 0xbc7a590c
	v_cmp_class_f32_e64 s[2:3], v5, s31
	v_mul_f32_e32 v35, v35, v37
	v_div_fixup_f32 v2, v2, s38, v4
	v_ldexp_f32 v33, v35, v33
	v_div_fixup_f32 v36, v31, s38, v5
	v_max_f32_e64 v38, |v2|, |v36|
	v_cvt_f64_f32_e32 v[31:32], v38
	v_mul_f32_e32 v35, v33, v33
	v_fmac_f32_e32 v34, 0x3b2d2a58, v35
	v_cmp_neq_f32_e32 vcc, s29, v38
	v_frexp_exp_i32_f64_e32 v31, v[31:32]
	v_fma_f32 v32, v35, v34, v14
	v_fma_f32 v32, v35, v32, v15
	;; [unrolled: 1-line block ×6, first 2 shown]
	v_mul_f32_e32 v32, v35, v32
	v_sub_u32_e32 v34, 0, v31
	v_ldexp_f32 v2, |v2|, v34
	v_ldexp_f32 v34, |v36|, v34
	v_mul_f32_e32 v34, v34, v34
	v_fmac_f32_e32 v34, v2, v2
	v_sqrt_f32_e32 v2, v34
	v_fmac_f32_e32 v33, v33, v32
	v_sub_f32_e32 v32, 0x3fc90fdb, v33
	v_ldexp_f32 v2, v2, v31
	v_cndmask_b32_e32 v2, v20, v2, vcc
	v_cmp_gt_f32_e32 vcc, s35, v2
	v_cndmask_b32_e64 v31, 0, 32, vcc
	v_ldexp_f32 v2, v2, v31
	v_log_f32_e32 v2, v2
	v_cndmask_b32_e64 v31, v33, v32, s[0:1]
	v_cndmask_b32_e32 v33, 0, v26, vcc
	v_sub_f32_e32 v32, 0x40490fdb, v31
	v_mul_f32_e32 v34, 0x3f317217, v2
	v_fma_f32 v34, v2, s36, -v34
	v_fmac_f32_e32 v34, 0x3377d1cf, v2
	v_fmac_f32_e32 v34, 0x3f317217, v2
	v_cmp_lt_f32_e64 vcc, |v2|, s29
	v_cndmask_b32_e32 v2, v2, v34, vcc
	v_cmp_gt_f32_e32 vcc, 0, v4
	v_cmp_gt_i32_e64 s[0:1], 0, v4
	v_cndmask_b32_e32 v31, v31, v32, vcc
	v_cndmask_b32_e64 v32, 0, v23, s[0:1]
	v_cmp_eq_f32_e64 s[0:1], 0, v5
	v_cndmask_b32_e64 v31, v31, v32, s[0:1]
	v_cmp_class_f32_e64 s[0:1], v4, s31
	v_sub_f32_e32 v2, v2, v33
	v_cndmask_b32_e32 v32, v24, v25, vcc
	s_and_b64 vcc, s[0:1], s[2:3]
	v_add_f32_e32 v2, 1.0, v2
	v_cndmask_b32_e32 v31, v31, v32, vcc
.LBB198_291:                            ;   in Loop: Header=BB198_162 Depth=1
	s_or_b64 exec, exec, s[10:11]
.LBB198_292:                            ;   in Loop: Header=BB198_162 Depth=1
	s_andn2_saveexec_b64 s[0:1], s[8:9]
	s_cbranch_execz .LBB198_161
; %bb.293:                              ;   in Loop: Header=BB198_162 Depth=1
	v_cmp_nlt_f32_e64 s[2:3], |v4|, s39
	v_cmp_nlt_f32_e64 s[8:9], |v5|, s39
	s_or_b64 s[2:3], s[2:3], s[8:9]
                                        ; implicit-def: $vgpr2
	s_and_saveexec_b64 s[8:9], s[2:3]
	s_xor_b64 s[2:3], exec, s[8:9]
; %bb.294:                              ;   in Loop: Header=BB198_162 Depth=1
	v_mul_f32_e32 v2, v5, v5
	v_fmac_f32_e32 v2, v4, v4
; %bb.295:                              ;   in Loop: Header=BB198_162 Depth=1
	s_andn2_saveexec_b64 s[2:3], s[2:3]
	s_cbranch_execz .LBB198_160
; %bb.296:                              ;   in Loop: Header=BB198_162 Depth=1
	v_mul_f32_e32 v2, 4.0, v4
	v_mul_f32_e32 v4, 4.0, v5
	v_mul_f32_e32 v4, v4, v4
	v_fmac_f32_e32 v4, v2, v2
	v_mul_f32_e32 v2, 0x3d800000, v4
	s_branch .LBB198_160
.LBB198_297:
	s_endpgm
	.section	.rodata,"a",@progbits
	.p2align	6, 0x0
	.amdhsa_kernel _ZN2at6native12_GLOBAL__N_125multi_tensor_apply_kernelINS1_18TensorListMetadataILi1EEENS1_14UnaryOpFunctorIN3c107complexIfEELi1ELi1ELi0EEEJNS0_4Log2IS8_EEEEEvT_T0_DpT1_
		.amdhsa_group_segment_fixed_size 0
		.amdhsa_private_segment_fixed_size 0
		.amdhsa_kernarg_size 3632
		.amdhsa_user_sgpr_count 6
		.amdhsa_user_sgpr_private_segment_buffer 1
		.amdhsa_user_sgpr_dispatch_ptr 0
		.amdhsa_user_sgpr_queue_ptr 0
		.amdhsa_user_sgpr_kernarg_segment_ptr 1
		.amdhsa_user_sgpr_dispatch_id 0
		.amdhsa_user_sgpr_flat_scratch_init 0
		.amdhsa_user_sgpr_private_segment_size 0
		.amdhsa_uses_dynamic_stack 0
		.amdhsa_system_sgpr_private_segment_wavefront_offset 0
		.amdhsa_system_sgpr_workgroup_id_x 1
		.amdhsa_system_sgpr_workgroup_id_y 0
		.amdhsa_system_sgpr_workgroup_id_z 0
		.amdhsa_system_sgpr_workgroup_info 0
		.amdhsa_system_vgpr_workitem_id 0
		.amdhsa_next_free_vgpr 48
		.amdhsa_next_free_sgpr 62
		.amdhsa_reserve_vcc 1
		.amdhsa_reserve_flat_scratch 0
		.amdhsa_float_round_mode_32 0
		.amdhsa_float_round_mode_16_64 0
		.amdhsa_float_denorm_mode_32 3
		.amdhsa_float_denorm_mode_16_64 3
		.amdhsa_dx10_clamp 1
		.amdhsa_ieee_mode 1
		.amdhsa_fp16_overflow 0
		.amdhsa_exception_fp_ieee_invalid_op 0
		.amdhsa_exception_fp_denorm_src 0
		.amdhsa_exception_fp_ieee_div_zero 0
		.amdhsa_exception_fp_ieee_overflow 0
		.amdhsa_exception_fp_ieee_underflow 0
		.amdhsa_exception_fp_ieee_inexact 0
		.amdhsa_exception_int_div_zero 0
	.end_amdhsa_kernel
	.section	.text._ZN2at6native12_GLOBAL__N_125multi_tensor_apply_kernelINS1_18TensorListMetadataILi1EEENS1_14UnaryOpFunctorIN3c107complexIfEELi1ELi1ELi0EEEJNS0_4Log2IS8_EEEEEvT_T0_DpT1_,"axG",@progbits,_ZN2at6native12_GLOBAL__N_125multi_tensor_apply_kernelINS1_18TensorListMetadataILi1EEENS1_14UnaryOpFunctorIN3c107complexIfEELi1ELi1ELi0EEEJNS0_4Log2IS8_EEEEEvT_T0_DpT1_,comdat
.Lfunc_end198:
	.size	_ZN2at6native12_GLOBAL__N_125multi_tensor_apply_kernelINS1_18TensorListMetadataILi1EEENS1_14UnaryOpFunctorIN3c107complexIfEELi1ELi1ELi0EEEJNS0_4Log2IS8_EEEEEvT_T0_DpT1_, .Lfunc_end198-_ZN2at6native12_GLOBAL__N_125multi_tensor_apply_kernelINS1_18TensorListMetadataILi1EEENS1_14UnaryOpFunctorIN3c107complexIfEELi1ELi1ELi0EEEJNS0_4Log2IS8_EEEEEvT_T0_DpT1_
                                        ; -- End function
	.set _ZN2at6native12_GLOBAL__N_125multi_tensor_apply_kernelINS1_18TensorListMetadataILi1EEENS1_14UnaryOpFunctorIN3c107complexIfEELi1ELi1ELi0EEEJNS0_4Log2IS8_EEEEEvT_T0_DpT1_.num_vgpr, 48
	.set _ZN2at6native12_GLOBAL__N_125multi_tensor_apply_kernelINS1_18TensorListMetadataILi1EEENS1_14UnaryOpFunctorIN3c107complexIfEELi1ELi1ELi0EEEJNS0_4Log2IS8_EEEEEvT_T0_DpT1_.num_agpr, 0
	.set _ZN2at6native12_GLOBAL__N_125multi_tensor_apply_kernelINS1_18TensorListMetadataILi1EEENS1_14UnaryOpFunctorIN3c107complexIfEELi1ELi1ELi0EEEJNS0_4Log2IS8_EEEEEvT_T0_DpT1_.numbered_sgpr, 62
	.set _ZN2at6native12_GLOBAL__N_125multi_tensor_apply_kernelINS1_18TensorListMetadataILi1EEENS1_14UnaryOpFunctorIN3c107complexIfEELi1ELi1ELi0EEEJNS0_4Log2IS8_EEEEEvT_T0_DpT1_.num_named_barrier, 0
	.set _ZN2at6native12_GLOBAL__N_125multi_tensor_apply_kernelINS1_18TensorListMetadataILi1EEENS1_14UnaryOpFunctorIN3c107complexIfEELi1ELi1ELi0EEEJNS0_4Log2IS8_EEEEEvT_T0_DpT1_.private_seg_size, 0
	.set _ZN2at6native12_GLOBAL__N_125multi_tensor_apply_kernelINS1_18TensorListMetadataILi1EEENS1_14UnaryOpFunctorIN3c107complexIfEELi1ELi1ELi0EEEJNS0_4Log2IS8_EEEEEvT_T0_DpT1_.uses_vcc, 1
	.set _ZN2at6native12_GLOBAL__N_125multi_tensor_apply_kernelINS1_18TensorListMetadataILi1EEENS1_14UnaryOpFunctorIN3c107complexIfEELi1ELi1ELi0EEEJNS0_4Log2IS8_EEEEEvT_T0_DpT1_.uses_flat_scratch, 0
	.set _ZN2at6native12_GLOBAL__N_125multi_tensor_apply_kernelINS1_18TensorListMetadataILi1EEENS1_14UnaryOpFunctorIN3c107complexIfEELi1ELi1ELi0EEEJNS0_4Log2IS8_EEEEEvT_T0_DpT1_.has_dyn_sized_stack, 0
	.set _ZN2at6native12_GLOBAL__N_125multi_tensor_apply_kernelINS1_18TensorListMetadataILi1EEENS1_14UnaryOpFunctorIN3c107complexIfEELi1ELi1ELi0EEEJNS0_4Log2IS8_EEEEEvT_T0_DpT1_.has_recursion, 0
	.set _ZN2at6native12_GLOBAL__N_125multi_tensor_apply_kernelINS1_18TensorListMetadataILi1EEENS1_14UnaryOpFunctorIN3c107complexIfEELi1ELi1ELi0EEEJNS0_4Log2IS8_EEEEEvT_T0_DpT1_.has_indirect_call, 0
	.section	.AMDGPU.csdata,"",@progbits
; Kernel info:
; codeLenInByte = 37268
; TotalNumSgprs: 66
; NumVgprs: 48
; ScratchSize: 0
; MemoryBound: 1
; FloatMode: 240
; IeeeMode: 1
; LDSByteSize: 0 bytes/workgroup (compile time only)
; SGPRBlocks: 8
; VGPRBlocks: 11
; NumSGPRsForWavesPerEU: 66
; NumVGPRsForWavesPerEU: 48
; Occupancy: 5
; WaveLimiterHint : 0
; COMPUTE_PGM_RSRC2:SCRATCH_EN: 0
; COMPUTE_PGM_RSRC2:USER_SGPR: 6
; COMPUTE_PGM_RSRC2:TRAP_HANDLER: 0
; COMPUTE_PGM_RSRC2:TGID_X_EN: 1
; COMPUTE_PGM_RSRC2:TGID_Y_EN: 0
; COMPUTE_PGM_RSRC2:TGID_Z_EN: 0
; COMPUTE_PGM_RSRC2:TIDIG_COMP_CNT: 0
	.section	.text._ZN2at6native12_GLOBAL__N_125multi_tensor_apply_kernelINS1_18TensorListMetadataILi1EEENS1_14UnaryOpFunctorIN3c104HalfELi1ELi1ELi0EEEJNS0_4Log2IfEEEEEvT_T0_DpT1_,"axG",@progbits,_ZN2at6native12_GLOBAL__N_125multi_tensor_apply_kernelINS1_18TensorListMetadataILi1EEENS1_14UnaryOpFunctorIN3c104HalfELi1ELi1ELi0EEEJNS0_4Log2IfEEEEEvT_T0_DpT1_,comdat
	.globl	_ZN2at6native12_GLOBAL__N_125multi_tensor_apply_kernelINS1_18TensorListMetadataILi1EEENS1_14UnaryOpFunctorIN3c104HalfELi1ELi1ELi0EEEJNS0_4Log2IfEEEEEvT_T0_DpT1_ ; -- Begin function _ZN2at6native12_GLOBAL__N_125multi_tensor_apply_kernelINS1_18TensorListMetadataILi1EEENS1_14UnaryOpFunctorIN3c104HalfELi1ELi1ELi0EEEJNS0_4Log2IfEEEEEvT_T0_DpT1_
	.p2align	8
	.type	_ZN2at6native12_GLOBAL__N_125multi_tensor_apply_kernelINS1_18TensorListMetadataILi1EEENS1_14UnaryOpFunctorIN3c104HalfELi1ELi1ELi0EEEJNS0_4Log2IfEEEEEvT_T0_DpT1_,@function
_ZN2at6native12_GLOBAL__N_125multi_tensor_apply_kernelINS1_18TensorListMetadataILi1EEENS1_14UnaryOpFunctorIN3c104HalfELi1ELi1ELi0EEEJNS0_4Log2IfEEEEEvT_T0_DpT1_: ; @_ZN2at6native12_GLOBAL__N_125multi_tensor_apply_kernelINS1_18TensorListMetadataILi1EEENS1_14UnaryOpFunctorIN3c104HalfELi1ELi1ELi0EEEJNS0_4Log2IfEEEEEvT_T0_DpT1_
; %bb.0:
	v_mov_b32_e32 v1, s6
	global_load_ubyte v1, v1, s[4:5] offset:1760
	s_add_u32 s0, s4, s6
	s_mul_hi_u32 s1, s6, 3
	s_mul_i32 s6, s6, 3
	s_addc_u32 s2, s5, 0
	s_add_u32 s0, s0, s6
	s_addc_u32 s1, s2, s1
	s_load_dword s0, s[0:1], 0x820
	s_mov_b32 s7, 0
	s_waitcnt vmcnt(0)
	v_readfirstlane_b32 s1, v1
	s_lshl_b32 s1, s1, 3
	s_load_dwordx2 s[2:3], s[4:5], s1 offset:0x370
	s_load_dwordx2 s[10:11], s[4:5], s1 offset:0x0
	s_waitcnt lgkmcnt(0)
	s_ashr_i32 s1, s0, 31
	s_lshl_b64 s[12:13], s[0:1], 17
	s_lshl_b64 s[0:1], s[0:1], 16
	s_and_b32 s6, s10, 7
	s_sub_u32 s14, s2, s0
	s_subb_u32 s15, s3, s1
	s_and_b32 s0, s2, 3
	s_mov_b32 s1, s7
	s_or_b64 s[0:1], s[6:7], s[0:1]
	s_cmp_eq_u64 s[0:1], 0
	s_cbranch_scc1 .LBB199_21
; %bb.1:
	v_cmp_lt_i64_e64 s[0:1], s[14:15], 1
	s_and_b64 vcc, exec, s[0:1]
	s_cbranch_vccnz .LBB199_20
; %bb.2:
	v_mov_b32_e32 v1, 0x10000
	s_load_dword s2, s[4:5], 0xd3c
	v_mov_b32_e32 v2, 0
	v_cmp_lt_i64_e32 vcc, s[14:15], v[1:2]
	s_mov_b64 s[20:21], 0
	s_and_b64 s[0:1], vcc, exec
	v_cmp_lt_u64_e32 vcc, s[14:15], v[1:2]
	s_cselect_b32 s17, s15, 0
	s_cselect_b32 s16, s14, 0x10000
	s_waitcnt lgkmcnt(0)
	s_and_b32 s2, s2, 0xffff
	s_and_b64 s[0:1], vcc, exec
	s_cselect_b32 s19, s15, 0
	s_cselect_b32 s18, s14, 0x10000
	s_lshl_b32 s3, s2, 1
	s_lshl_b32 s24, s2, 2
	s_add_u32 s6, s10, s12
	v_lshlrev_b32_e32 v1, 1, v0
	s_addc_u32 s7, s11, s13
	v_mov_b32_e32 v2, s7
	v_add_co_u32_e32 v1, vcc, s6, v1
	s_mul_i32 s0, s2, 3
	v_addc_co_u32_e32 v2, vcc, 0, v2, vcc
	v_add_co_u32_e32 v5, vcc, s0, v0
	v_addc_co_u32_e64 v6, s[0:1], 0, 0, vcc
	v_add_co_u32_e32 v7, vcc, s3, v0
	v_addc_co_u32_e64 v8, s[0:1], 0, 0, vcc
	v_add_co_u32_e32 v9, vcc, s2, v0
	v_lshlrev_b32_e32 v3, 1, v9
	v_addc_co_u32_e64 v10, s[0:1], 0, 0, vcc
	v_mov_b32_e32 v4, s7
	v_add_co_u32_e32 v3, vcc, s6, v3
	s_lshl_b32 s25, s2, 3
	s_mul_i32 s26, s2, 6
	v_addc_co_u32_e32 v4, vcc, 0, v4, vcc
	s_mov_b32 s27, 0x800000
	v_mov_b32_e32 v11, 0x42000000
	s_branch .LBB199_4
.LBB199_3:                              ;   in Loop: Header=BB199_4 Depth=1
	s_or_b64 exec, exec, s[0:1]
	s_add_u32 s20, s20, s24
	v_add_co_u32_e32 v1, vcc, s25, v1
	v_mov_b32_e32 v12, s16
	s_addc_u32 s21, s21, 0
	v_addc_co_u32_e32 v2, vcc, 0, v2, vcc
	v_mov_b32_e32 v13, s17
	v_cmp_lt_i64_e32 vcc, s[20:21], v[12:13]
	v_add_co_u32_e64 v3, s[0:1], s25, v3
	v_addc_co_u32_e64 v4, s[0:1], 0, v4, s[0:1]
	s_cbranch_vccz .LBB199_20
.LBB199_4:                              ; =>This Inner Loop Header: Depth=1
	v_mov_b32_e32 v13, s21
	v_add_co_u32_e32 v12, vcc, s20, v0
	v_addc_co_u32_e32 v13, vcc, 0, v13, vcc
	v_cmp_gt_u64_e32 vcc, s[18:19], v[12:13]
	v_mov_b32_e32 v13, 0
	s_and_saveexec_b64 s[0:1], vcc
	s_cbranch_execz .LBB199_6
; %bb.5:                                ;   in Loop: Header=BB199_4 Depth=1
	global_load_ushort v12, v[1:2], off
	s_waitcnt vmcnt(0)
	v_cvt_f32_f16_e32 v13, v12
.LBB199_6:                              ;   in Loop: Header=BB199_4 Depth=1
	s_or_b64 exec, exec, s[0:1]
	v_mov_b32_e32 v12, s21
	v_add_co_u32_e64 v14, s[0:1], s20, v9
	v_addc_co_u32_e64 v15, s[0:1], v10, v12, s[0:1]
	v_cmp_gt_u64_e64 s[0:1], s[18:19], v[14:15]
	v_mov_b32_e32 v12, 0
	v_mov_b32_e32 v14, 0
	s_and_saveexec_b64 s[2:3], s[0:1]
	s_cbranch_execz .LBB199_8
; %bb.7:                                ;   in Loop: Header=BB199_4 Depth=1
	global_load_ushort v14, v[3:4], off
	s_waitcnt vmcnt(0)
	v_cvt_f32_f16_e32 v14, v14
.LBB199_8:                              ;   in Loop: Header=BB199_4 Depth=1
	s_or_b64 exec, exec, s[2:3]
	v_mov_b32_e32 v16, s21
	v_add_co_u32_e64 v15, s[2:3], s20, v7
	v_addc_co_u32_e64 v16, s[2:3], v8, v16, s[2:3]
	v_cmp_gt_u64_e64 s[2:3], s[18:19], v[15:16]
	s_and_saveexec_b64 s[8:9], s[2:3]
	s_cbranch_execz .LBB199_10
; %bb.9:                                ;   in Loop: Header=BB199_4 Depth=1
	v_add_co_u32_e64 v15, s[6:7], s24, v1
	v_addc_co_u32_e64 v16, s[6:7], 0, v2, s[6:7]
	global_load_ushort v12, v[15:16], off
	s_waitcnt vmcnt(0)
	v_cvt_f32_f16_e32 v12, v12
.LBB199_10:                             ;   in Loop: Header=BB199_4 Depth=1
	s_or_b64 exec, exec, s[8:9]
	v_mov_b32_e32 v16, s21
	v_add_co_u32_e64 v15, s[6:7], s20, v5
	v_addc_co_u32_e64 v16, s[6:7], v6, v16, s[6:7]
	v_cmp_gt_u64_e64 s[6:7], s[18:19], v[15:16]
	v_mov_b32_e32 v15, 0
	s_and_saveexec_b64 s[22:23], s[6:7]
	s_cbranch_execnz .LBB199_15
; %bb.11:                               ;   in Loop: Header=BB199_4 Depth=1
	s_or_b64 exec, exec, s[22:23]
	s_and_saveexec_b64 s[8:9], vcc
	s_cbranch_execnz .LBB199_16
.LBB199_12:                             ;   in Loop: Header=BB199_4 Depth=1
	s_or_b64 exec, exec, s[8:9]
	s_and_saveexec_b64 s[8:9], s[0:1]
	s_cbranch_execnz .LBB199_17
.LBB199_13:                             ;   in Loop: Header=BB199_4 Depth=1
	s_or_b64 exec, exec, s[8:9]
	s_and_saveexec_b64 s[0:1], s[2:3]
	s_cbranch_execnz .LBB199_18
.LBB199_14:                             ;   in Loop: Header=BB199_4 Depth=1
	s_or_b64 exec, exec, s[0:1]
	s_and_saveexec_b64 s[0:1], s[6:7]
	s_cbranch_execz .LBB199_3
	s_branch .LBB199_19
.LBB199_15:                             ;   in Loop: Header=BB199_4 Depth=1
	v_add_co_u32_e64 v15, s[8:9], s26, v1
	v_addc_co_u32_e64 v16, s[8:9], 0, v2, s[8:9]
	global_load_ushort v15, v[15:16], off
	s_waitcnt vmcnt(0)
	v_cvt_f32_f16_e32 v15, v15
	s_or_b64 exec, exec, s[22:23]
	s_and_saveexec_b64 s[8:9], vcc
	s_cbranch_execz .LBB199_12
.LBB199_16:                             ;   in Loop: Header=BB199_4 Depth=1
	v_cmp_gt_f32_e32 vcc, s27, v13
	v_cndmask_b32_e64 v17, 0, 32, vcc
	v_ldexp_f32 v13, v13, v17
	v_log_f32_e32 v13, v13
	v_cndmask_b32_e32 v16, 0, v11, vcc
	v_sub_f32_e32 v13, v13, v16
	v_cvt_f16_f32_e32 v13, v13
	global_store_short v[1:2], v13, off
	s_or_b64 exec, exec, s[8:9]
	s_and_saveexec_b64 s[8:9], s[0:1]
	s_cbranch_execz .LBB199_13
.LBB199_17:                             ;   in Loop: Header=BB199_4 Depth=1
	v_cmp_gt_f32_e32 vcc, s27, v14
	v_cndmask_b32_e64 v16, 0, 32, vcc
	v_ldexp_f32 v14, v14, v16
	v_log_f32_e32 v14, v14
	v_cndmask_b32_e32 v13, 0, v11, vcc
	v_sub_f32_e32 v13, v14, v13
	v_cvt_f16_f32_e32 v13, v13
	global_store_short v[3:4], v13, off
	s_or_b64 exec, exec, s[8:9]
	s_and_saveexec_b64 s[0:1], s[2:3]
	s_cbranch_execz .LBB199_14
.LBB199_18:                             ;   in Loop: Header=BB199_4 Depth=1
	v_cmp_gt_f32_e32 vcc, s27, v12
	v_cndmask_b32_e64 v14, 0, 32, vcc
	v_ldexp_f32 v12, v12, v14
	v_log_f32_e32 v12, v12
	v_cndmask_b32_e32 v13, 0, v11, vcc
	v_sub_f32_e32 v12, v12, v13
	v_cvt_f16_f32_e32 v14, v12
	v_add_co_u32_e32 v12, vcc, s24, v1
	v_addc_co_u32_e32 v13, vcc, 0, v2, vcc
	global_store_short v[12:13], v14, off
	s_or_b64 exec, exec, s[0:1]
	s_and_saveexec_b64 s[0:1], s[6:7]
	s_cbranch_execz .LBB199_3
.LBB199_19:                             ;   in Loop: Header=BB199_4 Depth=1
	v_cmp_gt_f32_e32 vcc, s27, v15
	v_cndmask_b32_e64 v13, 0, 32, vcc
	v_ldexp_f32 v13, v15, v13
	v_log_f32_e32 v13, v13
	v_cndmask_b32_e32 v12, 0, v11, vcc
	v_sub_f32_e32 v12, v13, v12
	v_cvt_f16_f32_e32 v14, v12
	v_add_co_u32_e32 v12, vcc, s26, v1
	v_addc_co_u32_e32 v13, vcc, 0, v2, vcc
	global_store_short v[12:13], v14, off
	s_branch .LBB199_3
.LBB199_20:
	s_cbranch_execz .LBB199_22
	s_branch .LBB199_25
.LBB199_21:
.LBB199_22:
	v_mov_b32_e32 v1, 0x10000
	v_mov_b32_e32 v2, 0
	v_cmp_lt_i64_e32 vcc, s[14:15], v[1:2]
	v_mov_b32_e32 v2, 0
	s_and_b64 s[0:1], vcc, exec
	s_cselect_b32 s1, s15, 0
	s_cselect_b32 s0, s14, 0x10000
	v_lshlrev_b32_e32 v1, 2, v0
	v_cmp_gt_i64_e32 vcc, s[0:1], v[1:2]
	s_and_saveexec_b64 s[2:3], vcc
	s_cbranch_execz .LBB199_25
; %bb.23:
	s_load_dword s2, s[4:5], 0xd3c
	v_mov_b32_e32 v1, v2
	v_lshlrev_b32_e32 v2, 3, v0
	s_waitcnt lgkmcnt(0)
	s_and_b32 s4, s2, 0xffff
	s_add_u32 s2, s10, s12
	s_addc_u32 s3, s11, s13
	v_mov_b32_e32 v3, s3
	v_add_co_u32_e32 v2, vcc, s2, v2
	v_addc_co_u32_e32 v3, vcc, 0, v3, vcc
	v_add_co_u32_e32 v2, vcc, 4, v2
	v_addc_co_u32_e32 v3, vcc, 0, v3, vcc
	s_lshl_b32 s5, s4, 3
	s_mov_b64 s[2:3], 0
.LBB199_24:                             ; =>This Inner Loop Header: Depth=1
	global_load_dwordx2 v[4:5], v[2:3], off offset:-4
	v_add_co_u32_e32 v0, vcc, s4, v0
	v_addc_co_u32_e32 v1, vcc, 0, v1, vcc
	v_lshlrev_b64 v[6:7], 2, v[0:1]
	v_cmp_le_i64_e32 vcc, s[0:1], v[6:7]
	s_or_b64 s[2:3], vcc, s[2:3]
	s_waitcnt vmcnt(0)
	v_cvt_f32_f16_e32 v6, v4
	v_cvt_f32_f16_e32 v7, v5
	v_cvt_f32_f16_sdwa v5, v5 dst_sel:DWORD dst_unused:UNUSED_PAD src0_sel:WORD_1
	v_cvt_f32_f16_sdwa v4, v4 dst_sel:DWORD dst_unused:UNUSED_PAD src0_sel:WORD_1
	v_log_f32_e32 v6, v6
	v_log_f32_e32 v7, v7
	;; [unrolled: 1-line block ×4, first 2 shown]
	v_cvt_f16_f32_e32 v6, v6
	v_cvt_f16_f32_e32 v7, v7
	;; [unrolled: 1-line block ×4, first 2 shown]
	v_pack_b32_f16 v5, v7, v5
	v_pack_b32_f16 v4, v6, v4
	global_store_dwordx2 v[2:3], v[4:5], off offset:-4
	v_add_co_u32_e32 v2, vcc, s5, v2
	v_addc_co_u32_e32 v3, vcc, 0, v3, vcc
	s_andn2_b64 exec, exec, s[2:3]
	s_cbranch_execnz .LBB199_24
.LBB199_25:
	s_endpgm
	.section	.rodata,"a",@progbits
	.p2align	6, 0x0
	.amdhsa_kernel _ZN2at6native12_GLOBAL__N_125multi_tensor_apply_kernelINS1_18TensorListMetadataILi1EEENS1_14UnaryOpFunctorIN3c104HalfELi1ELi1ELi0EEEJNS0_4Log2IfEEEEEvT_T0_DpT1_
		.amdhsa_group_segment_fixed_size 0
		.amdhsa_private_segment_fixed_size 0
		.amdhsa_kernarg_size 3632
		.amdhsa_user_sgpr_count 6
		.amdhsa_user_sgpr_private_segment_buffer 1
		.amdhsa_user_sgpr_dispatch_ptr 0
		.amdhsa_user_sgpr_queue_ptr 0
		.amdhsa_user_sgpr_kernarg_segment_ptr 1
		.amdhsa_user_sgpr_dispatch_id 0
		.amdhsa_user_sgpr_flat_scratch_init 0
		.amdhsa_user_sgpr_private_segment_size 0
		.amdhsa_uses_dynamic_stack 0
		.amdhsa_system_sgpr_private_segment_wavefront_offset 0
		.amdhsa_system_sgpr_workgroup_id_x 1
		.amdhsa_system_sgpr_workgroup_id_y 0
		.amdhsa_system_sgpr_workgroup_id_z 0
		.amdhsa_system_sgpr_workgroup_info 0
		.amdhsa_system_vgpr_workitem_id 0
		.amdhsa_next_free_vgpr 18
		.amdhsa_next_free_sgpr 28
		.amdhsa_reserve_vcc 1
		.amdhsa_reserve_flat_scratch 0
		.amdhsa_float_round_mode_32 0
		.amdhsa_float_round_mode_16_64 0
		.amdhsa_float_denorm_mode_32 3
		.amdhsa_float_denorm_mode_16_64 3
		.amdhsa_dx10_clamp 1
		.amdhsa_ieee_mode 1
		.amdhsa_fp16_overflow 0
		.amdhsa_exception_fp_ieee_invalid_op 0
		.amdhsa_exception_fp_denorm_src 0
		.amdhsa_exception_fp_ieee_div_zero 0
		.amdhsa_exception_fp_ieee_overflow 0
		.amdhsa_exception_fp_ieee_underflow 0
		.amdhsa_exception_fp_ieee_inexact 0
		.amdhsa_exception_int_div_zero 0
	.end_amdhsa_kernel
	.section	.text._ZN2at6native12_GLOBAL__N_125multi_tensor_apply_kernelINS1_18TensorListMetadataILi1EEENS1_14UnaryOpFunctorIN3c104HalfELi1ELi1ELi0EEEJNS0_4Log2IfEEEEEvT_T0_DpT1_,"axG",@progbits,_ZN2at6native12_GLOBAL__N_125multi_tensor_apply_kernelINS1_18TensorListMetadataILi1EEENS1_14UnaryOpFunctorIN3c104HalfELi1ELi1ELi0EEEJNS0_4Log2IfEEEEEvT_T0_DpT1_,comdat
.Lfunc_end199:
	.size	_ZN2at6native12_GLOBAL__N_125multi_tensor_apply_kernelINS1_18TensorListMetadataILi1EEENS1_14UnaryOpFunctorIN3c104HalfELi1ELi1ELi0EEEJNS0_4Log2IfEEEEEvT_T0_DpT1_, .Lfunc_end199-_ZN2at6native12_GLOBAL__N_125multi_tensor_apply_kernelINS1_18TensorListMetadataILi1EEENS1_14UnaryOpFunctorIN3c104HalfELi1ELi1ELi0EEEJNS0_4Log2IfEEEEEvT_T0_DpT1_
                                        ; -- End function
	.set _ZN2at6native12_GLOBAL__N_125multi_tensor_apply_kernelINS1_18TensorListMetadataILi1EEENS1_14UnaryOpFunctorIN3c104HalfELi1ELi1ELi0EEEJNS0_4Log2IfEEEEEvT_T0_DpT1_.num_vgpr, 18
	.set _ZN2at6native12_GLOBAL__N_125multi_tensor_apply_kernelINS1_18TensorListMetadataILi1EEENS1_14UnaryOpFunctorIN3c104HalfELi1ELi1ELi0EEEJNS0_4Log2IfEEEEEvT_T0_DpT1_.num_agpr, 0
	.set _ZN2at6native12_GLOBAL__N_125multi_tensor_apply_kernelINS1_18TensorListMetadataILi1EEENS1_14UnaryOpFunctorIN3c104HalfELi1ELi1ELi0EEEJNS0_4Log2IfEEEEEvT_T0_DpT1_.numbered_sgpr, 28
	.set _ZN2at6native12_GLOBAL__N_125multi_tensor_apply_kernelINS1_18TensorListMetadataILi1EEENS1_14UnaryOpFunctorIN3c104HalfELi1ELi1ELi0EEEJNS0_4Log2IfEEEEEvT_T0_DpT1_.num_named_barrier, 0
	.set _ZN2at6native12_GLOBAL__N_125multi_tensor_apply_kernelINS1_18TensorListMetadataILi1EEENS1_14UnaryOpFunctorIN3c104HalfELi1ELi1ELi0EEEJNS0_4Log2IfEEEEEvT_T0_DpT1_.private_seg_size, 0
	.set _ZN2at6native12_GLOBAL__N_125multi_tensor_apply_kernelINS1_18TensorListMetadataILi1EEENS1_14UnaryOpFunctorIN3c104HalfELi1ELi1ELi0EEEJNS0_4Log2IfEEEEEvT_T0_DpT1_.uses_vcc, 1
	.set _ZN2at6native12_GLOBAL__N_125multi_tensor_apply_kernelINS1_18TensorListMetadataILi1EEENS1_14UnaryOpFunctorIN3c104HalfELi1ELi1ELi0EEEJNS0_4Log2IfEEEEEvT_T0_DpT1_.uses_flat_scratch, 0
	.set _ZN2at6native12_GLOBAL__N_125multi_tensor_apply_kernelINS1_18TensorListMetadataILi1EEENS1_14UnaryOpFunctorIN3c104HalfELi1ELi1ELi0EEEJNS0_4Log2IfEEEEEvT_T0_DpT1_.has_dyn_sized_stack, 0
	.set _ZN2at6native12_GLOBAL__N_125multi_tensor_apply_kernelINS1_18TensorListMetadataILi1EEENS1_14UnaryOpFunctorIN3c104HalfELi1ELi1ELi0EEEJNS0_4Log2IfEEEEEvT_T0_DpT1_.has_recursion, 0
	.set _ZN2at6native12_GLOBAL__N_125multi_tensor_apply_kernelINS1_18TensorListMetadataILi1EEENS1_14UnaryOpFunctorIN3c104HalfELi1ELi1ELi0EEEJNS0_4Log2IfEEEEEvT_T0_DpT1_.has_indirect_call, 0
	.section	.AMDGPU.csdata,"",@progbits
; Kernel info:
; codeLenInByte = 1196
; TotalNumSgprs: 32
; NumVgprs: 18
; ScratchSize: 0
; MemoryBound: 0
; FloatMode: 240
; IeeeMode: 1
; LDSByteSize: 0 bytes/workgroup (compile time only)
; SGPRBlocks: 3
; VGPRBlocks: 4
; NumSGPRsForWavesPerEU: 32
; NumVGPRsForWavesPerEU: 18
; Occupancy: 10
; WaveLimiterHint : 0
; COMPUTE_PGM_RSRC2:SCRATCH_EN: 0
; COMPUTE_PGM_RSRC2:USER_SGPR: 6
; COMPUTE_PGM_RSRC2:TRAP_HANDLER: 0
; COMPUTE_PGM_RSRC2:TGID_X_EN: 1
; COMPUTE_PGM_RSRC2:TGID_Y_EN: 0
; COMPUTE_PGM_RSRC2:TGID_Z_EN: 0
; COMPUTE_PGM_RSRC2:TIDIG_COMP_CNT: 0
	.section	.text._ZN2at6native12_GLOBAL__N_125multi_tensor_apply_kernelINS1_18TensorListMetadataILi1EEENS1_14UnaryOpFunctorIN3c108BFloat16ELi1ELi1ELi0EEEJNS0_4Log2IfEEEEEvT_T0_DpT1_,"axG",@progbits,_ZN2at6native12_GLOBAL__N_125multi_tensor_apply_kernelINS1_18TensorListMetadataILi1EEENS1_14UnaryOpFunctorIN3c108BFloat16ELi1ELi1ELi0EEEJNS0_4Log2IfEEEEEvT_T0_DpT1_,comdat
	.globl	_ZN2at6native12_GLOBAL__N_125multi_tensor_apply_kernelINS1_18TensorListMetadataILi1EEENS1_14UnaryOpFunctorIN3c108BFloat16ELi1ELi1ELi0EEEJNS0_4Log2IfEEEEEvT_T0_DpT1_ ; -- Begin function _ZN2at6native12_GLOBAL__N_125multi_tensor_apply_kernelINS1_18TensorListMetadataILi1EEENS1_14UnaryOpFunctorIN3c108BFloat16ELi1ELi1ELi0EEEJNS0_4Log2IfEEEEEvT_T0_DpT1_
	.p2align	8
	.type	_ZN2at6native12_GLOBAL__N_125multi_tensor_apply_kernelINS1_18TensorListMetadataILi1EEENS1_14UnaryOpFunctorIN3c108BFloat16ELi1ELi1ELi0EEEJNS0_4Log2IfEEEEEvT_T0_DpT1_,@function
_ZN2at6native12_GLOBAL__N_125multi_tensor_apply_kernelINS1_18TensorListMetadataILi1EEENS1_14UnaryOpFunctorIN3c108BFloat16ELi1ELi1ELi0EEEJNS0_4Log2IfEEEEEvT_T0_DpT1_: ; @_ZN2at6native12_GLOBAL__N_125multi_tensor_apply_kernelINS1_18TensorListMetadataILi1EEENS1_14UnaryOpFunctorIN3c108BFloat16ELi1ELi1ELi0EEEJNS0_4Log2IfEEEEEvT_T0_DpT1_
; %bb.0:
	v_mov_b32_e32 v1, s6
	global_load_ubyte v1, v1, s[4:5] offset:1760
	s_add_u32 s0, s4, s6
	s_mul_hi_u32 s1, s6, 3
	s_mul_i32 s6, s6, 3
	s_addc_u32 s2, s5, 0
	s_add_u32 s0, s0, s6
	s_addc_u32 s1, s2, s1
	s_load_dword s0, s[0:1], 0x820
	s_mov_b32 s7, 0
	s_waitcnt vmcnt(0)
	v_readfirstlane_b32 s1, v1
	s_lshl_b32 s1, s1, 3
	s_load_dwordx2 s[2:3], s[4:5], s1 offset:0x370
	s_load_dwordx2 s[10:11], s[4:5], s1 offset:0x0
	s_waitcnt lgkmcnt(0)
	s_ashr_i32 s1, s0, 31
	s_lshl_b64 s[12:13], s[0:1], 17
	s_lshl_b64 s[0:1], s[0:1], 16
	s_and_b32 s6, s10, 7
	s_sub_u32 s14, s2, s0
	s_subb_u32 s15, s3, s1
	s_and_b32 s0, s2, 3
	s_mov_b32 s1, s7
	s_or_b64 s[0:1], s[6:7], s[0:1]
	s_cmp_eq_u64 s[0:1], 0
	s_cbranch_scc1 .LBB200_21
; %bb.1:
	v_cmp_lt_i64_e64 s[0:1], s[14:15], 1
	s_and_b64 vcc, exec, s[0:1]
	s_cbranch_vccnz .LBB200_20
; %bb.2:
	v_mov_b32_e32 v1, 0x10000
	s_load_dword s2, s[4:5], 0xd3c
	v_mov_b32_e32 v2, 0
	v_cmp_lt_i64_e32 vcc, s[14:15], v[1:2]
	s_mov_b64 s[20:21], 0
	s_and_b64 s[0:1], vcc, exec
	v_cmp_lt_u64_e32 vcc, s[14:15], v[1:2]
	s_cselect_b32 s17, s15, 0
	s_cselect_b32 s16, s14, 0x10000
	s_waitcnt lgkmcnt(0)
	s_and_b32 s2, s2, 0xffff
	s_and_b64 s[0:1], vcc, exec
	s_cselect_b32 s19, s15, 0
	s_cselect_b32 s18, s14, 0x10000
	s_lshl_b32 s3, s2, 1
	s_lshl_b32 s24, s2, 2
	s_add_u32 s6, s10, s12
	v_lshlrev_b32_e32 v1, 1, v0
	s_addc_u32 s7, s11, s13
	v_mov_b32_e32 v2, s7
	v_add_co_u32_e32 v1, vcc, s6, v1
	s_mul_i32 s0, s2, 3
	v_addc_co_u32_e32 v2, vcc, 0, v2, vcc
	v_add_co_u32_e32 v5, vcc, s0, v0
	v_addc_co_u32_e64 v6, s[0:1], 0, 0, vcc
	v_add_co_u32_e32 v7, vcc, s3, v0
	v_addc_co_u32_e64 v8, s[0:1], 0, 0, vcc
	v_add_co_u32_e32 v9, vcc, s2, v0
	v_lshlrev_b32_e32 v3, 1, v9
	v_addc_co_u32_e64 v10, s[0:1], 0, 0, vcc
	v_mov_b32_e32 v4, s7
	v_add_co_u32_e32 v3, vcc, s6, v3
	s_lshl_b32 s25, s2, 3
	s_mul_i32 s26, s2, 6
	v_addc_co_u32_e32 v4, vcc, 0, v4, vcc
	s_mov_b32 s27, 0x800000
	s_movk_i32 s28, 0x7fff
	v_mov_b32_e32 v11, 0x42000000
	v_mov_b32_e32 v12, 0x7fc0
	s_branch .LBB200_4
.LBB200_3:                              ;   in Loop: Header=BB200_4 Depth=1
	s_or_b64 exec, exec, s[2:3]
	s_add_u32 s20, s20, s24
	v_add_co_u32_e32 v1, vcc, s25, v1
	v_mov_b32_e32 v13, s16
	s_addc_u32 s21, s21, 0
	v_addc_co_u32_e32 v2, vcc, 0, v2, vcc
	v_mov_b32_e32 v14, s17
	v_cmp_lt_i64_e32 vcc, s[20:21], v[13:14]
	v_add_co_u32_e64 v3, s[0:1], s25, v3
	v_addc_co_u32_e64 v4, s[0:1], 0, v4, s[0:1]
	s_cbranch_vccz .LBB200_20
.LBB200_4:                              ; =>This Inner Loop Header: Depth=1
	v_mov_b32_e32 v14, s21
	v_add_co_u32_e32 v13, vcc, s20, v0
	v_addc_co_u32_e32 v14, vcc, 0, v14, vcc
	v_cmp_gt_u64_e32 vcc, s[18:19], v[13:14]
	v_mov_b32_e32 v14, 0
	s_and_saveexec_b64 s[0:1], vcc
	s_cbranch_execz .LBB200_6
; %bb.5:                                ;   in Loop: Header=BB200_4 Depth=1
	global_load_ushort v13, v[1:2], off
	s_waitcnt vmcnt(0)
	v_lshlrev_b32_e32 v14, 16, v13
.LBB200_6:                              ;   in Loop: Header=BB200_4 Depth=1
	s_or_b64 exec, exec, s[0:1]
	v_mov_b32_e32 v13, s21
	v_add_co_u32_e64 v15, s[0:1], s20, v9
	v_addc_co_u32_e64 v16, s[0:1], v10, v13, s[0:1]
	v_cmp_gt_u64_e64 s[2:3], s[18:19], v[15:16]
	v_mov_b32_e32 v13, 0
	v_mov_b32_e32 v15, 0
	s_and_saveexec_b64 s[0:1], s[2:3]
	s_cbranch_execz .LBB200_8
; %bb.7:                                ;   in Loop: Header=BB200_4 Depth=1
	global_load_ushort v15, v[3:4], off
	s_waitcnt vmcnt(0)
	v_lshlrev_b32_e32 v15, 16, v15
.LBB200_8:                              ;   in Loop: Header=BB200_4 Depth=1
	s_or_b64 exec, exec, s[0:1]
	v_mov_b32_e32 v17, s21
	v_add_co_u32_e64 v16, s[0:1], s20, v7
	v_addc_co_u32_e64 v17, s[0:1], v8, v17, s[0:1]
	v_cmp_gt_u64_e64 s[6:7], s[18:19], v[16:17]
	s_and_saveexec_b64 s[8:9], s[6:7]
	s_cbranch_execz .LBB200_10
; %bb.9:                                ;   in Loop: Header=BB200_4 Depth=1
	v_add_co_u32_e64 v16, s[0:1], s24, v1
	v_addc_co_u32_e64 v17, s[0:1], 0, v2, s[0:1]
	global_load_ushort v13, v[16:17], off
	s_waitcnt vmcnt(0)
	v_lshlrev_b32_e32 v13, 16, v13
.LBB200_10:                             ;   in Loop: Header=BB200_4 Depth=1
	s_or_b64 exec, exec, s[8:9]
	v_mov_b32_e32 v17, s21
	v_add_co_u32_e64 v16, s[0:1], s20, v5
	v_addc_co_u32_e64 v17, s[0:1], v6, v17, s[0:1]
	v_cmp_gt_u64_e64 s[0:1], s[18:19], v[16:17]
	v_mov_b32_e32 v16, 0
	s_and_saveexec_b64 s[22:23], s[0:1]
	s_cbranch_execnz .LBB200_15
; %bb.11:                               ;   in Loop: Header=BB200_4 Depth=1
	s_or_b64 exec, exec, s[22:23]
	s_and_saveexec_b64 s[8:9], vcc
	s_cbranch_execnz .LBB200_16
.LBB200_12:                             ;   in Loop: Header=BB200_4 Depth=1
	s_or_b64 exec, exec, s[8:9]
	s_and_saveexec_b64 s[8:9], s[2:3]
	s_cbranch_execnz .LBB200_17
.LBB200_13:                             ;   in Loop: Header=BB200_4 Depth=1
	s_or_b64 exec, exec, s[8:9]
	s_and_saveexec_b64 s[2:3], s[6:7]
	s_cbranch_execnz .LBB200_18
.LBB200_14:                             ;   in Loop: Header=BB200_4 Depth=1
	s_or_b64 exec, exec, s[2:3]
	s_and_saveexec_b64 s[2:3], s[0:1]
	s_cbranch_execz .LBB200_3
	s_branch .LBB200_19
.LBB200_15:                             ;   in Loop: Header=BB200_4 Depth=1
	v_add_co_u32_e64 v16, s[8:9], s26, v1
	v_addc_co_u32_e64 v17, s[8:9], 0, v2, s[8:9]
	global_load_ushort v16, v[16:17], off
	s_waitcnt vmcnt(0)
	v_lshlrev_b32_e32 v16, 16, v16
	s_or_b64 exec, exec, s[22:23]
	s_and_saveexec_b64 s[8:9], vcc
	s_cbranch_execz .LBB200_12
.LBB200_16:                             ;   in Loop: Header=BB200_4 Depth=1
	v_cmp_gt_f32_e32 vcc, s27, v14
	v_cndmask_b32_e64 v18, 0, 32, vcc
	v_ldexp_f32 v14, v14, v18
	v_log_f32_e32 v14, v14
	v_cndmask_b32_e32 v17, 0, v11, vcc
	v_sub_f32_e32 v14, v14, v17
	v_bfe_u32 v17, v14, 16, 1
	v_cmp_o_f32_e32 vcc, v14, v14
	v_add3_u32 v14, v14, v17, s28
	v_cndmask_b32_sdwa v14, v12, v14, vcc dst_sel:DWORD dst_unused:UNUSED_PAD src0_sel:DWORD src1_sel:WORD_1
	global_store_short v[1:2], v14, off
	s_or_b64 exec, exec, s[8:9]
	s_and_saveexec_b64 s[8:9], s[2:3]
	s_cbranch_execz .LBB200_13
.LBB200_17:                             ;   in Loop: Header=BB200_4 Depth=1
	v_cmp_gt_f32_e32 vcc, s27, v15
	v_cndmask_b32_e64 v17, 0, 32, vcc
	v_ldexp_f32 v15, v15, v17
	v_log_f32_e32 v15, v15
	v_cndmask_b32_e32 v14, 0, v11, vcc
	v_sub_f32_e32 v14, v15, v14
	v_bfe_u32 v15, v14, 16, 1
	v_cmp_o_f32_e32 vcc, v14, v14
	v_add3_u32 v14, v14, v15, s28
	v_cndmask_b32_sdwa v14, v12, v14, vcc dst_sel:DWORD dst_unused:UNUSED_PAD src0_sel:DWORD src1_sel:WORD_1
	global_store_short v[3:4], v14, off
	s_or_b64 exec, exec, s[8:9]
	s_and_saveexec_b64 s[2:3], s[6:7]
	s_cbranch_execz .LBB200_14
.LBB200_18:                             ;   in Loop: Header=BB200_4 Depth=1
	v_cmp_gt_f32_e32 vcc, s27, v13
	v_cndmask_b32_e64 v15, 0, 32, vcc
	v_ldexp_f32 v13, v13, v15
	v_log_f32_e32 v13, v13
	v_cndmask_b32_e32 v14, 0, v11, vcc
	v_sub_f32_e32 v13, v13, v14
	v_bfe_u32 v14, v13, 16, 1
	v_cmp_o_f32_e32 vcc, v13, v13
	v_add3_u32 v13, v13, v14, s28
	v_cndmask_b32_sdwa v15, v12, v13, vcc dst_sel:DWORD dst_unused:UNUSED_PAD src0_sel:DWORD src1_sel:WORD_1
	v_add_co_u32_e32 v13, vcc, s24, v1
	v_addc_co_u32_e32 v14, vcc, 0, v2, vcc
	global_store_short v[13:14], v15, off
	s_or_b64 exec, exec, s[2:3]
	s_and_saveexec_b64 s[2:3], s[0:1]
	s_cbranch_execz .LBB200_3
.LBB200_19:                             ;   in Loop: Header=BB200_4 Depth=1
	v_cmp_gt_f32_e32 vcc, s27, v16
	v_cndmask_b32_e64 v14, 0, 32, vcc
	v_ldexp_f32 v14, v16, v14
	v_log_f32_e32 v14, v14
	v_cndmask_b32_e32 v13, 0, v11, vcc
	v_sub_f32_e32 v13, v14, v13
	v_bfe_u32 v14, v13, 16, 1
	v_cmp_o_f32_e32 vcc, v13, v13
	v_add3_u32 v13, v13, v14, s28
	v_cndmask_b32_sdwa v15, v12, v13, vcc dst_sel:DWORD dst_unused:UNUSED_PAD src0_sel:DWORD src1_sel:WORD_1
	v_add_co_u32_e32 v13, vcc, s26, v1
	v_addc_co_u32_e32 v14, vcc, 0, v2, vcc
	global_store_short v[13:14], v15, off
	s_branch .LBB200_3
.LBB200_20:
	s_cbranch_execz .LBB200_22
	s_branch .LBB200_25
.LBB200_21:
.LBB200_22:
	v_mov_b32_e32 v1, 0x10000
	v_mov_b32_e32 v2, 0
	v_cmp_lt_i64_e32 vcc, s[14:15], v[1:2]
	v_mov_b32_e32 v2, 0
	s_and_b64 s[0:1], vcc, exec
	s_cselect_b32 s7, s15, 0
	s_cselect_b32 s6, s14, 0x10000
	v_lshlrev_b32_e32 v1, 2, v0
	v_cmp_gt_i64_e32 vcc, s[6:7], v[1:2]
	s_and_saveexec_b64 s[0:1], vcc
	s_cbranch_execz .LBB200_25
; %bb.23:
	s_load_dword s0, s[4:5], 0xd3c
	v_mov_b32_e32 v1, v2
	v_lshlrev_b32_e32 v2, 3, v0
	s_mov_b64 s[4:5], 0
	v_mov_b32_e32 v4, 0x42000000
	s_waitcnt lgkmcnt(0)
	s_and_b32 s8, s0, 0xffff
	s_add_u32 s0, s10, s12
	s_addc_u32 s1, s11, s13
	v_mov_b32_e32 v3, s1
	v_add_co_u32_e32 v2, vcc, s0, v2
	v_addc_co_u32_e32 v3, vcc, 0, v3, vcc
	s_lshl_b32 s9, s8, 3
	s_mov_b32 s10, 0x800000
	s_movk_i32 s11, 0x7fff
	v_mov_b32_e32 v5, 0x7fc00000
	v_mov_b32_e32 v6, 0x7fc0
.LBB200_24:                             ; =>This Inner Loop Header: Depth=1
	global_load_dwordx2 v[7:8], v[2:3], off
	v_add_co_u32_e32 v0, vcc, s8, v0
	v_addc_co_u32_e32 v1, vcc, 0, v1, vcc
	v_lshlrev_b64 v[9:10], 2, v[0:1]
	v_cmp_le_i64_e32 vcc, s[6:7], v[9:10]
	s_or_b64 s[4:5], vcc, s[4:5]
	s_waitcnt vmcnt(0)
	v_and_b32_e32 v9, 0xffff0000, v7
	v_lshlrev_b32_e32 v10, 16, v7
	v_alignbit_b32 v7, v8, v7, 16
	v_and_b32_e32 v8, 0xffff0000, v8
	v_cmp_gt_f32_e64 s[2:3], s10, v8
	v_cmp_gt_f32_e32 vcc, s10, v10
	v_cmp_gt_f32_e64 s[0:1], s10, v9
	v_cndmask_b32_e64 v13, 0, 32, s[2:3]
	v_cndmask_b32_e64 v11, 0, 32, vcc
	v_cndmask_b32_e64 v12, 0, 32, s[0:1]
	v_and_b32_e32 v7, 0xffff0000, v7
	v_ldexp_f32 v8, v8, v13
	v_ldexp_f32 v10, v10, v11
	v_cndmask_b32_e32 v11, 0, v4, vcc
	v_ldexp_f32 v9, v9, v12
	v_cmp_gt_f32_e32 vcc, s10, v7
	v_log_f32_e32 v8, v8
	v_cndmask_b32_e64 v14, 0, 32, vcc
	v_log_f32_e32 v9, v9
	v_log_f32_e32 v10, v10
	v_ldexp_f32 v7, v7, v14
	v_cndmask_b32_e64 v13, 0, v4, s[2:3]
	v_log_f32_e32 v7, v7
	v_cndmask_b32_e64 v12, 0, v4, s[0:1]
	v_sub_f32_e32 v8, v8, v13
	v_sub_f32_e32 v9, v9, v12
	v_bfe_u32 v13, v8, 16, 1
	v_cndmask_b32_e32 v14, 0, v4, vcc
	v_sub_f32_e32 v10, v10, v11
	v_bfe_u32 v12, v9, 16, 1
	v_add3_u32 v13, v8, v13, s11
	v_bfe_u32 v11, v10, 16, 1
	v_sub_f32_e32 v7, v7, v14
	v_add3_u32 v12, v9, v12, s11
	v_and_b32_e32 v13, 0xffff0000, v13
	v_cmp_o_f32_e32 vcc, v8, v8
	v_add3_u32 v11, v10, v11, s11
	v_bfe_u32 v14, v7, 16, 1
	v_and_b32_e32 v12, 0xffff0000, v12
	v_cndmask_b32_e32 v8, v5, v13, vcc
	v_cmp_o_f32_e32 vcc, v9, v9
	v_lshrrev_b32_e32 v11, 16, v11
	v_add3_u32 v14, v7, v14, s11
	v_cndmask_b32_e32 v9, v5, v12, vcc
	v_cmp_o_f32_e32 vcc, v10, v10
	v_lshrrev_b32_e32 v14, 16, v14
	v_cndmask_b32_e32 v10, v6, v11, vcc
	v_cmp_o_f32_e32 vcc, v7, v7
	v_cndmask_b32_e32 v7, v6, v14, vcc
	v_or_b32_e32 v9, v10, v9
	v_or3_b32 v8, 0, v7, v8
	v_or3_b32 v7, v9, 0, 0
	global_store_dwordx2 v[2:3], v[7:8], off
	v_add_co_u32_e32 v2, vcc, s9, v2
	v_addc_co_u32_e32 v3, vcc, 0, v3, vcc
	s_andn2_b64 exec, exec, s[4:5]
	s_cbranch_execnz .LBB200_24
.LBB200_25:
	s_endpgm
	.section	.rodata,"a",@progbits
	.p2align	6, 0x0
	.amdhsa_kernel _ZN2at6native12_GLOBAL__N_125multi_tensor_apply_kernelINS1_18TensorListMetadataILi1EEENS1_14UnaryOpFunctorIN3c108BFloat16ELi1ELi1ELi0EEEJNS0_4Log2IfEEEEEvT_T0_DpT1_
		.amdhsa_group_segment_fixed_size 0
		.amdhsa_private_segment_fixed_size 0
		.amdhsa_kernarg_size 3632
		.amdhsa_user_sgpr_count 6
		.amdhsa_user_sgpr_private_segment_buffer 1
		.amdhsa_user_sgpr_dispatch_ptr 0
		.amdhsa_user_sgpr_queue_ptr 0
		.amdhsa_user_sgpr_kernarg_segment_ptr 1
		.amdhsa_user_sgpr_dispatch_id 0
		.amdhsa_user_sgpr_flat_scratch_init 0
		.amdhsa_user_sgpr_private_segment_size 0
		.amdhsa_uses_dynamic_stack 0
		.amdhsa_system_sgpr_private_segment_wavefront_offset 0
		.amdhsa_system_sgpr_workgroup_id_x 1
		.amdhsa_system_sgpr_workgroup_id_y 0
		.amdhsa_system_sgpr_workgroup_id_z 0
		.amdhsa_system_sgpr_workgroup_info 0
		.amdhsa_system_vgpr_workitem_id 0
		.amdhsa_next_free_vgpr 19
		.amdhsa_next_free_sgpr 29
		.amdhsa_reserve_vcc 1
		.amdhsa_reserve_flat_scratch 0
		.amdhsa_float_round_mode_32 0
		.amdhsa_float_round_mode_16_64 0
		.amdhsa_float_denorm_mode_32 3
		.amdhsa_float_denorm_mode_16_64 3
		.amdhsa_dx10_clamp 1
		.amdhsa_ieee_mode 1
		.amdhsa_fp16_overflow 0
		.amdhsa_exception_fp_ieee_invalid_op 0
		.amdhsa_exception_fp_denorm_src 0
		.amdhsa_exception_fp_ieee_div_zero 0
		.amdhsa_exception_fp_ieee_overflow 0
		.amdhsa_exception_fp_ieee_underflow 0
		.amdhsa_exception_fp_ieee_inexact 0
		.amdhsa_exception_int_div_zero 0
	.end_amdhsa_kernel
	.section	.text._ZN2at6native12_GLOBAL__N_125multi_tensor_apply_kernelINS1_18TensorListMetadataILi1EEENS1_14UnaryOpFunctorIN3c108BFloat16ELi1ELi1ELi0EEEJNS0_4Log2IfEEEEEvT_T0_DpT1_,"axG",@progbits,_ZN2at6native12_GLOBAL__N_125multi_tensor_apply_kernelINS1_18TensorListMetadataILi1EEENS1_14UnaryOpFunctorIN3c108BFloat16ELi1ELi1ELi0EEEJNS0_4Log2IfEEEEEvT_T0_DpT1_,comdat
.Lfunc_end200:
	.size	_ZN2at6native12_GLOBAL__N_125multi_tensor_apply_kernelINS1_18TensorListMetadataILi1EEENS1_14UnaryOpFunctorIN3c108BFloat16ELi1ELi1ELi0EEEJNS0_4Log2IfEEEEEvT_T0_DpT1_, .Lfunc_end200-_ZN2at6native12_GLOBAL__N_125multi_tensor_apply_kernelINS1_18TensorListMetadataILi1EEENS1_14UnaryOpFunctorIN3c108BFloat16ELi1ELi1ELi0EEEJNS0_4Log2IfEEEEEvT_T0_DpT1_
                                        ; -- End function
	.set _ZN2at6native12_GLOBAL__N_125multi_tensor_apply_kernelINS1_18TensorListMetadataILi1EEENS1_14UnaryOpFunctorIN3c108BFloat16ELi1ELi1ELi0EEEJNS0_4Log2IfEEEEEvT_T0_DpT1_.num_vgpr, 19
	.set _ZN2at6native12_GLOBAL__N_125multi_tensor_apply_kernelINS1_18TensorListMetadataILi1EEENS1_14UnaryOpFunctorIN3c108BFloat16ELi1ELi1ELi0EEEJNS0_4Log2IfEEEEEvT_T0_DpT1_.num_agpr, 0
	.set _ZN2at6native12_GLOBAL__N_125multi_tensor_apply_kernelINS1_18TensorListMetadataILi1EEENS1_14UnaryOpFunctorIN3c108BFloat16ELi1ELi1ELi0EEEJNS0_4Log2IfEEEEEvT_T0_DpT1_.numbered_sgpr, 29
	.set _ZN2at6native12_GLOBAL__N_125multi_tensor_apply_kernelINS1_18TensorListMetadataILi1EEENS1_14UnaryOpFunctorIN3c108BFloat16ELi1ELi1ELi0EEEJNS0_4Log2IfEEEEEvT_T0_DpT1_.num_named_barrier, 0
	.set _ZN2at6native12_GLOBAL__N_125multi_tensor_apply_kernelINS1_18TensorListMetadataILi1EEENS1_14UnaryOpFunctorIN3c108BFloat16ELi1ELi1ELi0EEEJNS0_4Log2IfEEEEEvT_T0_DpT1_.private_seg_size, 0
	.set _ZN2at6native12_GLOBAL__N_125multi_tensor_apply_kernelINS1_18TensorListMetadataILi1EEENS1_14UnaryOpFunctorIN3c108BFloat16ELi1ELi1ELi0EEEJNS0_4Log2IfEEEEEvT_T0_DpT1_.uses_vcc, 1
	.set _ZN2at6native12_GLOBAL__N_125multi_tensor_apply_kernelINS1_18TensorListMetadataILi1EEENS1_14UnaryOpFunctorIN3c108BFloat16ELi1ELi1ELi0EEEJNS0_4Log2IfEEEEEvT_T0_DpT1_.uses_flat_scratch, 0
	.set _ZN2at6native12_GLOBAL__N_125multi_tensor_apply_kernelINS1_18TensorListMetadataILi1EEENS1_14UnaryOpFunctorIN3c108BFloat16ELi1ELi1ELi0EEEJNS0_4Log2IfEEEEEvT_T0_DpT1_.has_dyn_sized_stack, 0
	.set _ZN2at6native12_GLOBAL__N_125multi_tensor_apply_kernelINS1_18TensorListMetadataILi1EEENS1_14UnaryOpFunctorIN3c108BFloat16ELi1ELi1ELi0EEEJNS0_4Log2IfEEEEEvT_T0_DpT1_.has_recursion, 0
	.set _ZN2at6native12_GLOBAL__N_125multi_tensor_apply_kernelINS1_18TensorListMetadataILi1EEENS1_14UnaryOpFunctorIN3c108BFloat16ELi1ELi1ELi0EEEJNS0_4Log2IfEEEEEvT_T0_DpT1_.has_indirect_call, 0
	.section	.AMDGPU.csdata,"",@progbits
; Kernel info:
; codeLenInByte = 1580
; TotalNumSgprs: 33
; NumVgprs: 19
; ScratchSize: 0
; MemoryBound: 0
; FloatMode: 240
; IeeeMode: 1
; LDSByteSize: 0 bytes/workgroup (compile time only)
; SGPRBlocks: 4
; VGPRBlocks: 4
; NumSGPRsForWavesPerEU: 33
; NumVGPRsForWavesPerEU: 19
; Occupancy: 10
; WaveLimiterHint : 0
; COMPUTE_PGM_RSRC2:SCRATCH_EN: 0
; COMPUTE_PGM_RSRC2:USER_SGPR: 6
; COMPUTE_PGM_RSRC2:TRAP_HANDLER: 0
; COMPUTE_PGM_RSRC2:TGID_X_EN: 1
; COMPUTE_PGM_RSRC2:TGID_Y_EN: 0
; COMPUTE_PGM_RSRC2:TGID_Z_EN: 0
; COMPUTE_PGM_RSRC2:TIDIG_COMP_CNT: 0
	.section	.text._ZN2at6native12_GLOBAL__N_125multi_tensor_apply_kernelINS1_18TensorListMetadataILi2EEENS1_14UnaryOpFunctorIdLi2ELi1ELi1EEEJNS0_5Log1pIdEEEEEvT_T0_DpT1_,"axG",@progbits,_ZN2at6native12_GLOBAL__N_125multi_tensor_apply_kernelINS1_18TensorListMetadataILi2EEENS1_14UnaryOpFunctorIdLi2ELi1ELi1EEEJNS0_5Log1pIdEEEEEvT_T0_DpT1_,comdat
	.globl	_ZN2at6native12_GLOBAL__N_125multi_tensor_apply_kernelINS1_18TensorListMetadataILi2EEENS1_14UnaryOpFunctorIdLi2ELi1ELi1EEEJNS0_5Log1pIdEEEEEvT_T0_DpT1_ ; -- Begin function _ZN2at6native12_GLOBAL__N_125multi_tensor_apply_kernelINS1_18TensorListMetadataILi2EEENS1_14UnaryOpFunctorIdLi2ELi1ELi1EEEJNS0_5Log1pIdEEEEEvT_T0_DpT1_
	.p2align	8
	.type	_ZN2at6native12_GLOBAL__N_125multi_tensor_apply_kernelINS1_18TensorListMetadataILi2EEENS1_14UnaryOpFunctorIdLi2ELi1ELi1EEEJNS0_5Log1pIdEEEEEvT_T0_DpT1_,@function
_ZN2at6native12_GLOBAL__N_125multi_tensor_apply_kernelINS1_18TensorListMetadataILi2EEENS1_14UnaryOpFunctorIdLi2ELi1ELi1EEEJNS0_5Log1pIdEEEEEvT_T0_DpT1_: ; @_ZN2at6native12_GLOBAL__N_125multi_tensor_apply_kernelINS1_18TensorListMetadataILi2EEENS1_14UnaryOpFunctorIdLi2ELi1ELi1EEEJNS0_5Log1pIdEEEEEvT_T0_DpT1_
; %bb.0:
	v_mov_b32_e32 v1, s6
	global_load_ubyte v1, v1, s[4:5] offset:1536
	s_add_u32 s0, s4, s6
	s_mul_hi_u32 s3, s6, 3
	s_mul_i32 s6, s6, 3
	s_addc_u32 s7, s5, 0
	s_add_u32 s2, s0, s6
	s_addc_u32 s3, s7, s3
	s_load_dword s8, s[2:3], 0x740
	s_mov_b32 s1, 0
	s_mov_b32 s11, s1
	s_waitcnt lgkmcnt(0)
	s_ashr_i32 s9, s8, 31
	s_lshl_b64 s[14:15], s[8:9], 19
	s_lshl_b64 s[8:9], s[8:9], 16
	s_waitcnt vmcnt(0)
	v_readfirstlane_b32 s0, v1
	s_lshl_b32 s0, s0, 3
	s_load_dwordx2 s[12:13], s[4:5], s0 offset:0x400
	s_load_dwordx2 s[6:7], s[4:5], s0 offset:0x0
	s_load_dwordx2 s[2:3], s[4:5], s0 offset:0x200
	s_waitcnt lgkmcnt(0)
	s_add_u32 s0, s6, s14
	s_and_b32 s10, s2, 31
	s_and_b32 s0, s0, 31
	s_sub_u32 s8, s12, s8
	s_subb_u32 s9, s13, s9
	s_and_b32 s12, s12, 3
	s_mov_b32 s13, s1
	s_or_b64 s[10:11], s[10:11], s[12:13]
	s_or_b64 s[0:1], s[10:11], s[0:1]
	s_cmp_eq_u64 s[0:1], 0
	s_mov_b64 s[0:1], -1
	s_cbranch_scc0 .LBB201_5
; %bb.1:
	v_mov_b32_e32 v1, 0x10000
	v_mov_b32_e32 v2, 0
	v_cmp_lt_i64_e32 vcc, s[8:9], v[1:2]
	v_mov_b32_e32 v2, 0
	s_and_b64 s[0:1], vcc, exec
	s_cselect_b32 s11, s9, 0
	s_cselect_b32 s10, s8, 0x10000
	v_lshlrev_b32_e32 v1, 2, v0
	v_cmp_gt_i64_e32 vcc, s[10:11], v[1:2]
	s_and_saveexec_b64 s[12:13], vcc
	s_cbranch_execz .LBB201_4
; %bb.2:
	s_load_dword s0, s[4:5], 0xc5c
	v_mov_b32_e32 v1, v2
	v_lshlrev_b32_e32 v2, 5, v0
	s_mov_b32 s18, 0x55555555
	v_mov_b32_e32 v3, s15
	s_waitcnt lgkmcnt(0)
	s_and_b32 s33, s0, 0xffff
	s_mov_b32 s0, 0x6b47b09a
	s_mov_b32 s1, 0x3fc38538
	v_add_co_u32_e32 v13, vcc, s14, v2
	s_mov_b32 s19, 0x3fe55555
	s_mov_b32 s20, 0xbf559e2b
	v_mov_b32_e32 v10, s1
	s_mov_b32 s22, 0xd7f4df2e
	s_mov_b32 s24, 0x16291751
	;; [unrolled: 1-line block ×7, first 2 shown]
	v_mov_b32_e32 v12, v1
	v_addc_co_u32_e32 v14, vcc, 0, v3, vcc
	s_lshl_b32 s40, s33, 5
	s_mov_b64 s[16:17], 0
	v_mov_b32_e32 v15, s7
	s_mov_b32 s21, 0x3fc3ab76
	v_mov_b32_e32 v9, s0
	s_mov_b32 s23, 0x3fc7474d
	s_mov_b32 s25, 0x3fcc71c0
	;; [unrolled: 1-line block ×9, first 2 shown]
	v_mov_b32_e32 v16, 0x7ff00000
	v_mov_b32_e32 v17, 0x7ff80000
	;; [unrolled: 1-line block ×5, first 2 shown]
.LBB201_3:                              ; =>This Inner Loop Header: Depth=1
	v_add_co_u32_e32 v5, vcc, s6, v13
	v_addc_co_u32_e32 v6, vcc, v15, v14, vcc
	global_load_dwordx4 v[1:4], v[5:6], off offset:16
	global_load_dwordx4 v[20:23], v[5:6], off
	s_waitcnt vmcnt(0)
	v_add_f64 v[5:6], v[20:21], 1.0
	v_cmp_ngt_f64_e64 s[0:1], -1.0, v[20:21]
	v_add_f64 v[7:8], v[5:6], -1.0
	v_frexp_exp_i32_f64_e32 v26, v[5:6]
	v_add_f64 v[24:25], v[7:8], -v[5:6]
	v_add_f64 v[7:8], v[20:21], -v[7:8]
	v_add_f64 v[24:25], v[24:25], 1.0
	v_add_f64 v[7:8], v[7:8], v[24:25]
	v_frexp_mant_f64_e32 v[24:25], v[5:6]
	v_cmp_gt_f64_e32 vcc, s[18:19], v[24:25]
	v_subbrev_co_u32_e32 v40, vcc, 0, v26, vcc
	v_sub_u32_e32 v24, 0, v40
	v_ldexp_f64 v[5:6], v[5:6], v24
	v_ldexp_f64 v[7:8], v[7:8], v24
	v_cmp_neq_f64_e32 vcc, s[38:39], v[20:21]
	v_add_f64 v[24:25], v[5:6], -1.0
	v_add_f64 v[26:27], v[24:25], 1.0
	v_add_f64 v[26:27], v[5:6], -v[26:27]
	v_add_f64 v[26:27], v[7:8], v[26:27]
	v_add_f64 v[28:29], v[24:25], v[26:27]
	v_add_f64 v[24:25], v[28:29], -v[24:25]
	v_add_f64 v[24:25], v[26:27], -v[24:25]
	v_add_f64 v[26:27], v[5:6], 1.0
	v_add_f64 v[30:31], v[26:27], -1.0
	v_add_f64 v[5:6], v[5:6], -v[30:31]
	v_add_f64 v[5:6], v[7:8], v[5:6]
	v_add_f64 v[7:8], v[26:27], v[5:6]
	v_add_f64 v[26:27], v[7:8], -v[26:27]
	v_add_f64 v[5:6], v[5:6], -v[26:27]
	v_rcp_f64_e32 v[26:27], v[7:8]
	v_fma_f64 v[30:31], -v[7:8], v[26:27], 1.0
	v_fma_f64 v[26:27], v[30:31], v[26:27], v[26:27]
	v_fma_f64 v[30:31], -v[7:8], v[26:27], 1.0
	v_fma_f64 v[26:27], v[30:31], v[26:27], v[26:27]
	v_mul_f64 v[30:31], v[28:29], v[26:27]
	v_mul_f64 v[32:33], v[7:8], v[30:31]
	v_fma_f64 v[34:35], v[30:31], v[7:8], -v[32:33]
	v_fma_f64 v[34:35], v[30:31], v[5:6], v[34:35]
	v_add_f64 v[36:37], v[32:33], v[34:35]
	v_add_f64 v[38:39], v[28:29], -v[36:37]
	v_add_f64 v[32:33], v[36:37], -v[32:33]
	;; [unrolled: 1-line block ×4, first 2 shown]
	v_add_f64 v[24:25], v[24:25], v[28:29]
	v_add_f64 v[28:29], v[32:33], -v[34:35]
	v_add_f64 v[24:25], v[28:29], v[24:25]
	v_add_f64 v[28:29], v[38:39], v[24:25]
	v_add_f64 v[32:33], v[38:39], -v[28:29]
	v_add_f64 v[24:25], v[24:25], v[32:33]
	v_mul_f64 v[32:33], v[26:27], v[28:29]
	v_mul_f64 v[34:35], v[7:8], v[32:33]
	v_fma_f64 v[7:8], v[32:33], v[7:8], -v[34:35]
	v_fma_f64 v[5:6], v[32:33], v[5:6], v[7:8]
	v_add_f64 v[7:8], v[34:35], v[5:6]
	v_add_f64 v[36:37], v[28:29], -v[7:8]
	v_add_f64 v[34:35], v[7:8], -v[34:35]
	;; [unrolled: 1-line block ×5, first 2 shown]
	v_cvt_f64_i32_e32 v[28:29], v40
	v_add_f64 v[7:8], v[24:25], v[7:8]
	v_add_f64 v[5:6], v[5:6], v[7:8]
	;; [unrolled: 1-line block ×4, first 2 shown]
	v_add_f64 v[24:25], v[7:8], -v[30:31]
	v_mul_f64 v[30:31], v[28:29], s[34:35]
	v_mul_f64 v[5:6], v[26:27], v[5:6]
	v_add_f64 v[24:25], v[32:33], -v[24:25]
	v_fma_f64 v[32:33], v[28:29], s[34:35], -v[30:31]
	v_add_f64 v[5:6], v[24:25], v[5:6]
	v_fma_f64 v[28:29], v[28:29], s[36:37], v[32:33]
	v_add_f64 v[24:25], v[7:8], v[5:6]
	v_add_f64 v[32:33], v[30:31], v[28:29]
	v_add_f64 v[7:8], v[24:25], -v[7:8]
	v_add_f64 v[30:31], v[32:33], -v[30:31]
	;; [unrolled: 1-line block ×3, first 2 shown]
	v_mul_f64 v[7:8], v[24:25], v[24:25]
	v_add_f64 v[28:29], v[28:29], -v[30:31]
	v_ldexp_f64 v[30:31], v[24:25], 1
	v_ldexp_f64 v[5:6], v[5:6], 1
	v_fma_f64 v[26:27], v[7:8], s[20:21], v[9:10]
	v_fma_f64 v[26:27], v[7:8], v[26:27], s[22:23]
	;; [unrolled: 1-line block ×6, first 2 shown]
	v_mul_f64 v[7:8], v[24:25], v[7:8]
	v_mul_f64 v[7:8], v[7:8], v[26:27]
	v_add_f64 v[24:25], v[30:31], v[7:8]
	v_add_f64 v[26:27], v[24:25], -v[30:31]
	v_add_f64 v[7:8], v[7:8], -v[26:27]
	v_add_f64 v[5:6], v[5:6], v[7:8]
	v_add_f64 v[7:8], v[24:25], v[5:6]
	v_add_f64 v[24:25], v[7:8], -v[24:25]
	v_add_f64 v[5:6], v[5:6], -v[24:25]
	v_add_f64 v[24:25], v[32:33], v[7:8]
	v_add_f64 v[26:27], v[24:25], -v[32:33]
	v_add_f64 v[30:31], v[24:25], -v[26:27]
	;; [unrolled: 1-line block ×3, first 2 shown]
	v_add_f64 v[26:27], v[28:29], v[5:6]
	v_add_f64 v[30:31], v[32:33], -v[30:31]
	v_add_f64 v[7:8], v[7:8], v[30:31]
	v_add_f64 v[30:31], v[26:27], -v[28:29]
	;; [unrolled: 2-line block ×3, first 2 shown]
	v_add_f64 v[5:6], v[5:6], -v[30:31]
	v_add_f64 v[26:27], v[24:25], v[7:8]
	v_add_f64 v[28:29], v[28:29], -v[32:33]
	v_add_f64 v[24:25], v[26:27], -v[24:25]
	v_add_f64 v[5:6], v[5:6], v[28:29]
	v_add_f64 v[7:8], v[7:8], -v[24:25]
	v_add_f64 v[5:6], v[5:6], v[7:8]
	v_add_f64 v[7:8], v[22:23], 1.0
	v_add_f64 v[5:6], v[26:27], v[5:6]
	v_frexp_exp_i32_f64_e32 v26, v[7:8]
	v_cndmask_b32_e32 v6, v16, v6, vcc
	v_cndmask_b32_e64 v6, v17, v6, s[0:1]
	v_cmp_nge_f64_e64 s[0:1], -1.0, v[20:21]
	s_and_b64 vcc, s[0:1], vcc
	v_cndmask_b32_e32 v5, 0, v5, vcc
	v_cmp_neq_f64_e32 vcc, -1.0, v[20:21]
	v_add_f64 v[20:21], v[7:8], -1.0
	v_cmp_ngt_f64_e64 s[0:1], -1.0, v[22:23]
	v_cndmask_b32_e32 v6, v18, v6, vcc
	v_add_f64 v[24:25], v[20:21], -v[7:8]
	v_add_f64 v[20:21], v[22:23], -v[20:21]
	v_add_f64 v[24:25], v[24:25], 1.0
	v_add_f64 v[20:21], v[20:21], v[24:25]
	v_frexp_mant_f64_e32 v[24:25], v[7:8]
	v_cmp_gt_f64_e32 vcc, s[18:19], v[24:25]
	v_subbrev_co_u32_e32 v40, vcc, 0, v26, vcc
	v_sub_u32_e32 v24, 0, v40
	v_ldexp_f64 v[7:8], v[7:8], v24
	v_ldexp_f64 v[20:21], v[20:21], v24
	v_cmp_neq_f64_e32 vcc, s[38:39], v[22:23]
	v_add_f64 v[24:25], v[7:8], -1.0
	v_add_f64 v[26:27], v[24:25], 1.0
	v_add_f64 v[26:27], v[7:8], -v[26:27]
	v_add_f64 v[26:27], v[20:21], v[26:27]
	v_add_f64 v[28:29], v[24:25], v[26:27]
	v_add_f64 v[24:25], v[28:29], -v[24:25]
	v_add_f64 v[24:25], v[26:27], -v[24:25]
	v_add_f64 v[26:27], v[7:8], 1.0
	v_add_f64 v[30:31], v[26:27], -1.0
	v_add_f64 v[7:8], v[7:8], -v[30:31]
	v_add_f64 v[7:8], v[20:21], v[7:8]
	v_add_f64 v[20:21], v[26:27], v[7:8]
	v_add_f64 v[26:27], v[20:21], -v[26:27]
	v_add_f64 v[7:8], v[7:8], -v[26:27]
	v_rcp_f64_e32 v[26:27], v[20:21]
	v_fma_f64 v[30:31], -v[20:21], v[26:27], 1.0
	v_fma_f64 v[26:27], v[30:31], v[26:27], v[26:27]
	v_fma_f64 v[30:31], -v[20:21], v[26:27], 1.0
	v_fma_f64 v[26:27], v[30:31], v[26:27], v[26:27]
	v_mul_f64 v[30:31], v[28:29], v[26:27]
	v_mul_f64 v[32:33], v[20:21], v[30:31]
	v_fma_f64 v[34:35], v[30:31], v[20:21], -v[32:33]
	v_fma_f64 v[34:35], v[30:31], v[7:8], v[34:35]
	v_add_f64 v[36:37], v[32:33], v[34:35]
	v_add_f64 v[38:39], v[28:29], -v[36:37]
	v_add_f64 v[32:33], v[36:37], -v[32:33]
	;; [unrolled: 1-line block ×4, first 2 shown]
	v_add_f64 v[24:25], v[24:25], v[28:29]
	v_add_f64 v[28:29], v[32:33], -v[34:35]
	v_add_f64 v[24:25], v[28:29], v[24:25]
	v_add_f64 v[28:29], v[38:39], v[24:25]
	v_add_f64 v[32:33], v[38:39], -v[28:29]
	v_add_f64 v[24:25], v[24:25], v[32:33]
	v_mul_f64 v[32:33], v[26:27], v[28:29]
	v_mul_f64 v[34:35], v[20:21], v[32:33]
	v_fma_f64 v[20:21], v[32:33], v[20:21], -v[34:35]
	v_fma_f64 v[7:8], v[32:33], v[7:8], v[20:21]
	v_add_f64 v[20:21], v[34:35], v[7:8]
	v_add_f64 v[36:37], v[28:29], -v[20:21]
	v_add_f64 v[34:35], v[20:21], -v[34:35]
	;; [unrolled: 1-line block ×5, first 2 shown]
	v_cvt_f64_i32_e32 v[28:29], v40
	v_add_f64 v[20:21], v[24:25], v[20:21]
	v_add_f64 v[7:8], v[7:8], v[20:21]
	;; [unrolled: 1-line block ×4, first 2 shown]
	v_add_f64 v[24:25], v[20:21], -v[30:31]
	v_mul_f64 v[30:31], v[28:29], s[34:35]
	v_mul_f64 v[7:8], v[26:27], v[7:8]
	v_add_f64 v[24:25], v[32:33], -v[24:25]
	v_fma_f64 v[32:33], v[28:29], s[34:35], -v[30:31]
	v_add_f64 v[7:8], v[24:25], v[7:8]
	v_fma_f64 v[28:29], v[28:29], s[36:37], v[32:33]
	v_add_f64 v[24:25], v[20:21], v[7:8]
	v_add_f64 v[32:33], v[30:31], v[28:29]
	v_add_f64 v[20:21], v[24:25], -v[20:21]
	v_add_f64 v[30:31], v[32:33], -v[30:31]
	v_add_f64 v[7:8], v[7:8], -v[20:21]
	v_mul_f64 v[20:21], v[24:25], v[24:25]
	v_add_f64 v[28:29], v[28:29], -v[30:31]
	v_ldexp_f64 v[30:31], v[24:25], 1
	v_ldexp_f64 v[7:8], v[7:8], 1
	v_fma_f64 v[26:27], v[20:21], s[20:21], v[9:10]
	v_fma_f64 v[26:27], v[20:21], v[26:27], s[22:23]
	;; [unrolled: 1-line block ×6, first 2 shown]
	v_mul_f64 v[20:21], v[24:25], v[20:21]
	v_mul_f64 v[20:21], v[20:21], v[26:27]
	v_add_f64 v[24:25], v[30:31], v[20:21]
	v_add_f64 v[26:27], v[24:25], -v[30:31]
	v_add_f64 v[20:21], v[20:21], -v[26:27]
	v_add_f64 v[7:8], v[7:8], v[20:21]
	v_add_f64 v[20:21], v[24:25], v[7:8]
	v_add_f64 v[24:25], v[20:21], -v[24:25]
	v_add_f64 v[7:8], v[7:8], -v[24:25]
	v_add_f64 v[24:25], v[32:33], v[20:21]
	v_add_f64 v[26:27], v[24:25], -v[32:33]
	v_add_f64 v[30:31], v[24:25], -v[26:27]
	;; [unrolled: 1-line block ×3, first 2 shown]
	v_add_f64 v[26:27], v[28:29], v[7:8]
	v_add_f64 v[30:31], v[32:33], -v[30:31]
	v_add_f64 v[20:21], v[20:21], v[30:31]
	v_add_f64 v[30:31], v[26:27], -v[28:29]
	v_add_f64 v[20:21], v[26:27], v[20:21]
	v_add_f64 v[32:33], v[26:27], -v[30:31]
	v_add_f64 v[7:8], v[7:8], -v[30:31]
	v_add_f64 v[26:27], v[24:25], v[20:21]
	v_add_f64 v[28:29], v[28:29], -v[32:33]
	v_add_f64 v[24:25], v[26:27], -v[24:25]
	v_add_f64 v[7:8], v[7:8], v[28:29]
	v_add_f64 v[20:21], v[20:21], -v[24:25]
	v_add_f64 v[7:8], v[7:8], v[20:21]
	v_add_f64 v[20:21], v[1:2], 1.0
	v_add_f64 v[7:8], v[26:27], v[7:8]
	v_frexp_exp_i32_f64_e32 v26, v[20:21]
	v_cndmask_b32_e32 v8, v16, v8, vcc
	v_cndmask_b32_e64 v8, v17, v8, s[0:1]
	v_cmp_nge_f64_e64 s[0:1], -1.0, v[22:23]
	s_and_b64 vcc, s[0:1], vcc
	v_cndmask_b32_e32 v7, 0, v7, vcc
	v_cmp_neq_f64_e32 vcc, -1.0, v[22:23]
	v_add_f64 v[22:23], v[20:21], -1.0
	v_cmp_ngt_f64_e64 s[0:1], -1.0, v[1:2]
	v_cndmask_b32_e32 v8, v18, v8, vcc
	v_add_f64 v[24:25], v[22:23], -v[20:21]
	v_add_f64 v[22:23], v[1:2], -v[22:23]
	v_add_f64 v[24:25], v[24:25], 1.0
	v_add_f64 v[22:23], v[22:23], v[24:25]
	v_frexp_mant_f64_e32 v[24:25], v[20:21]
	v_cmp_gt_f64_e32 vcc, s[18:19], v[24:25]
	v_subbrev_co_u32_e32 v40, vcc, 0, v26, vcc
	v_sub_u32_e32 v24, 0, v40
	v_ldexp_f64 v[20:21], v[20:21], v24
	v_ldexp_f64 v[22:23], v[22:23], v24
	v_cmp_neq_f64_e32 vcc, s[38:39], v[1:2]
	v_add_f64 v[24:25], v[20:21], -1.0
	v_add_f64 v[26:27], v[24:25], 1.0
	v_add_f64 v[26:27], v[20:21], -v[26:27]
	v_add_f64 v[26:27], v[22:23], v[26:27]
	v_add_f64 v[28:29], v[24:25], v[26:27]
	v_add_f64 v[24:25], v[28:29], -v[24:25]
	v_add_f64 v[24:25], v[26:27], -v[24:25]
	v_add_f64 v[26:27], v[20:21], 1.0
	v_add_f64 v[30:31], v[26:27], -1.0
	v_add_f64 v[20:21], v[20:21], -v[30:31]
	v_add_f64 v[20:21], v[22:23], v[20:21]
	v_add_f64 v[22:23], v[26:27], v[20:21]
	v_add_f64 v[26:27], v[22:23], -v[26:27]
	v_add_f64 v[20:21], v[20:21], -v[26:27]
	v_rcp_f64_e32 v[26:27], v[22:23]
	v_fma_f64 v[30:31], -v[22:23], v[26:27], 1.0
	v_fma_f64 v[26:27], v[30:31], v[26:27], v[26:27]
	v_fma_f64 v[30:31], -v[22:23], v[26:27], 1.0
	v_fma_f64 v[26:27], v[30:31], v[26:27], v[26:27]
	v_mul_f64 v[30:31], v[28:29], v[26:27]
	v_mul_f64 v[32:33], v[22:23], v[30:31]
	v_fma_f64 v[34:35], v[30:31], v[22:23], -v[32:33]
	v_fma_f64 v[34:35], v[30:31], v[20:21], v[34:35]
	v_add_f64 v[36:37], v[32:33], v[34:35]
	v_add_f64 v[38:39], v[28:29], -v[36:37]
	v_add_f64 v[32:33], v[36:37], -v[32:33]
	;; [unrolled: 1-line block ×4, first 2 shown]
	v_add_f64 v[24:25], v[24:25], v[28:29]
	v_add_f64 v[28:29], v[32:33], -v[34:35]
	v_add_f64 v[24:25], v[28:29], v[24:25]
	v_add_f64 v[28:29], v[38:39], v[24:25]
	v_add_f64 v[32:33], v[38:39], -v[28:29]
	v_add_f64 v[24:25], v[24:25], v[32:33]
	v_mul_f64 v[32:33], v[26:27], v[28:29]
	v_mul_f64 v[34:35], v[22:23], v[32:33]
	v_fma_f64 v[22:23], v[32:33], v[22:23], -v[34:35]
	v_fma_f64 v[20:21], v[32:33], v[20:21], v[22:23]
	v_add_f64 v[22:23], v[34:35], v[20:21]
	v_add_f64 v[36:37], v[28:29], -v[22:23]
	v_add_f64 v[34:35], v[22:23], -v[34:35]
	;; [unrolled: 1-line block ×5, first 2 shown]
	v_cvt_f64_i32_e32 v[28:29], v40
	v_add_f64 v[22:23], v[24:25], v[22:23]
	v_add_f64 v[20:21], v[20:21], v[22:23]
	;; [unrolled: 1-line block ×4, first 2 shown]
	v_add_f64 v[24:25], v[22:23], -v[30:31]
	v_mul_f64 v[30:31], v[28:29], s[34:35]
	v_mul_f64 v[20:21], v[26:27], v[20:21]
	v_add_f64 v[24:25], v[32:33], -v[24:25]
	v_fma_f64 v[32:33], v[28:29], s[34:35], -v[30:31]
	v_add_f64 v[20:21], v[24:25], v[20:21]
	v_fma_f64 v[28:29], v[28:29], s[36:37], v[32:33]
	v_add_f64 v[24:25], v[22:23], v[20:21]
	v_add_f64 v[32:33], v[30:31], v[28:29]
	v_add_f64 v[22:23], v[24:25], -v[22:23]
	v_add_f64 v[30:31], v[32:33], -v[30:31]
	;; [unrolled: 1-line block ×3, first 2 shown]
	v_mul_f64 v[22:23], v[24:25], v[24:25]
	v_add_f64 v[28:29], v[28:29], -v[30:31]
	v_ldexp_f64 v[30:31], v[24:25], 1
	v_ldexp_f64 v[20:21], v[20:21], 1
	v_fma_f64 v[26:27], v[22:23], s[20:21], v[9:10]
	v_fma_f64 v[26:27], v[22:23], v[26:27], s[22:23]
	v_fma_f64 v[26:27], v[22:23], v[26:27], s[24:25]
	v_fma_f64 v[26:27], v[22:23], v[26:27], s[26:27]
	v_fma_f64 v[26:27], v[22:23], v[26:27], s[28:29]
	v_fma_f64 v[26:27], v[22:23], v[26:27], s[30:31]
	v_mul_f64 v[22:23], v[24:25], v[22:23]
	v_mul_f64 v[22:23], v[22:23], v[26:27]
	v_add_f64 v[24:25], v[30:31], v[22:23]
	v_add_f64 v[26:27], v[24:25], -v[30:31]
	v_add_f64 v[22:23], v[22:23], -v[26:27]
	v_add_f64 v[20:21], v[20:21], v[22:23]
	v_add_f64 v[22:23], v[24:25], v[20:21]
	v_add_f64 v[24:25], v[22:23], -v[24:25]
	v_add_f64 v[20:21], v[20:21], -v[24:25]
	v_add_f64 v[24:25], v[32:33], v[22:23]
	v_add_f64 v[26:27], v[24:25], -v[32:33]
	v_add_f64 v[30:31], v[24:25], -v[26:27]
	;; [unrolled: 1-line block ×3, first 2 shown]
	v_add_f64 v[26:27], v[28:29], v[20:21]
	v_add_f64 v[30:31], v[32:33], -v[30:31]
	v_add_f64 v[22:23], v[22:23], v[30:31]
	v_add_f64 v[30:31], v[26:27], -v[28:29]
	;; [unrolled: 2-line block ×3, first 2 shown]
	v_add_f64 v[20:21], v[20:21], -v[30:31]
	v_add_f64 v[26:27], v[24:25], v[22:23]
	v_add_f64 v[28:29], v[28:29], -v[32:33]
	v_add_f64 v[24:25], v[26:27], -v[24:25]
	v_add_f64 v[20:21], v[20:21], v[28:29]
	v_add_f64 v[22:23], v[22:23], -v[24:25]
	v_add_f64 v[20:21], v[20:21], v[22:23]
	v_add_f64 v[20:21], v[26:27], v[20:21]
	v_cndmask_b32_e32 v21, v16, v21, vcc
	v_cndmask_b32_e64 v21, v17, v21, s[0:1]
	v_cmp_nge_f64_e64 s[0:1], -1.0, v[1:2]
	s_and_b64 vcc, s[0:1], vcc
	v_cndmask_b32_e32 v20, 0, v20, vcc
	v_cmp_neq_f64_e32 vcc, -1.0, v[1:2]
	v_add_f64 v[1:2], v[3:4], 1.0
	v_cmp_ngt_f64_e64 s[0:1], -1.0, v[3:4]
	v_cndmask_b32_e32 v21, v18, v21, vcc
	v_add_f64 v[22:23], v[1:2], -1.0
	v_frexp_exp_i32_f64_e32 v26, v[1:2]
	v_add_f64 v[24:25], v[22:23], -v[1:2]
	v_add_f64 v[22:23], v[3:4], -v[22:23]
	v_add_f64 v[24:25], v[24:25], 1.0
	v_add_f64 v[22:23], v[22:23], v[24:25]
	v_frexp_mant_f64_e32 v[24:25], v[1:2]
	v_cmp_gt_f64_e32 vcc, s[18:19], v[24:25]
	v_subbrev_co_u32_e32 v40, vcc, 0, v26, vcc
	v_sub_u32_e32 v24, 0, v40
	v_ldexp_f64 v[1:2], v[1:2], v24
	v_ldexp_f64 v[22:23], v[22:23], v24
	v_cmp_neq_f64_e32 vcc, s[38:39], v[3:4]
	v_add_f64 v[24:25], v[1:2], -1.0
	v_add_f64 v[26:27], v[24:25], 1.0
	v_add_f64 v[26:27], v[1:2], -v[26:27]
	v_add_f64 v[26:27], v[22:23], v[26:27]
	v_add_f64 v[28:29], v[24:25], v[26:27]
	v_add_f64 v[24:25], v[28:29], -v[24:25]
	v_add_f64 v[24:25], v[26:27], -v[24:25]
	v_add_f64 v[26:27], v[1:2], 1.0
	v_add_f64 v[30:31], v[26:27], -1.0
	v_add_f64 v[1:2], v[1:2], -v[30:31]
	v_add_f64 v[1:2], v[22:23], v[1:2]
	v_add_f64 v[22:23], v[26:27], v[1:2]
	v_add_f64 v[26:27], v[22:23], -v[26:27]
	v_add_f64 v[1:2], v[1:2], -v[26:27]
	v_rcp_f64_e32 v[26:27], v[22:23]
	v_fma_f64 v[30:31], -v[22:23], v[26:27], 1.0
	v_fma_f64 v[26:27], v[30:31], v[26:27], v[26:27]
	v_fma_f64 v[30:31], -v[22:23], v[26:27], 1.0
	v_fma_f64 v[26:27], v[30:31], v[26:27], v[26:27]
	v_mul_f64 v[30:31], v[28:29], v[26:27]
	v_mul_f64 v[32:33], v[22:23], v[30:31]
	v_fma_f64 v[34:35], v[30:31], v[22:23], -v[32:33]
	v_fma_f64 v[34:35], v[30:31], v[1:2], v[34:35]
	v_add_f64 v[36:37], v[32:33], v[34:35]
	v_add_f64 v[38:39], v[28:29], -v[36:37]
	v_add_f64 v[32:33], v[36:37], -v[32:33]
	;; [unrolled: 1-line block ×4, first 2 shown]
	v_add_f64 v[24:25], v[24:25], v[28:29]
	v_add_f64 v[28:29], v[32:33], -v[34:35]
	v_add_f64 v[24:25], v[28:29], v[24:25]
	v_add_f64 v[28:29], v[38:39], v[24:25]
	v_add_f64 v[32:33], v[38:39], -v[28:29]
	v_add_f64 v[24:25], v[24:25], v[32:33]
	v_mul_f64 v[32:33], v[26:27], v[28:29]
	v_mul_f64 v[34:35], v[22:23], v[32:33]
	v_fma_f64 v[22:23], v[32:33], v[22:23], -v[34:35]
	v_fma_f64 v[1:2], v[32:33], v[1:2], v[22:23]
	v_add_f64 v[22:23], v[34:35], v[1:2]
	v_add_f64 v[36:37], v[28:29], -v[22:23]
	v_add_f64 v[34:35], v[22:23], -v[34:35]
	;; [unrolled: 1-line block ×5, first 2 shown]
	v_cvt_f64_i32_e32 v[28:29], v40
	v_add_f64 v[22:23], v[24:25], v[22:23]
	v_add_f64 v[1:2], v[1:2], v[22:23]
	;; [unrolled: 1-line block ×4, first 2 shown]
	v_add_f64 v[24:25], v[22:23], -v[30:31]
	v_mul_f64 v[30:31], v[28:29], s[34:35]
	v_mul_f64 v[1:2], v[26:27], v[1:2]
	v_add_f64 v[24:25], v[32:33], -v[24:25]
	v_fma_f64 v[32:33], v[28:29], s[34:35], -v[30:31]
	v_add_f64 v[1:2], v[24:25], v[1:2]
	v_fma_f64 v[28:29], v[28:29], s[36:37], v[32:33]
	v_add_f64 v[24:25], v[22:23], v[1:2]
	v_add_f64 v[32:33], v[30:31], v[28:29]
	v_add_f64 v[22:23], v[24:25], -v[22:23]
	v_add_f64 v[30:31], v[32:33], -v[30:31]
	;; [unrolled: 1-line block ×3, first 2 shown]
	v_mul_f64 v[22:23], v[24:25], v[24:25]
	v_add_f64 v[28:29], v[28:29], -v[30:31]
	v_ldexp_f64 v[30:31], v[24:25], 1
	v_ldexp_f64 v[1:2], v[1:2], 1
	v_fma_f64 v[26:27], v[22:23], s[20:21], v[9:10]
	v_fma_f64 v[26:27], v[22:23], v[26:27], s[22:23]
	;; [unrolled: 1-line block ×6, first 2 shown]
	v_mul_f64 v[22:23], v[24:25], v[22:23]
	v_mul_f64 v[22:23], v[22:23], v[26:27]
	v_add_f64 v[24:25], v[30:31], v[22:23]
	v_add_f64 v[26:27], v[24:25], -v[30:31]
	v_add_f64 v[22:23], v[22:23], -v[26:27]
	v_add_f64 v[1:2], v[1:2], v[22:23]
	v_add_f64 v[22:23], v[24:25], v[1:2]
	v_add_f64 v[24:25], v[22:23], -v[24:25]
	v_add_f64 v[1:2], v[1:2], -v[24:25]
	v_add_f64 v[24:25], v[32:33], v[22:23]
	v_add_f64 v[26:27], v[24:25], -v[32:33]
	v_add_f64 v[30:31], v[24:25], -v[26:27]
	;; [unrolled: 1-line block ×3, first 2 shown]
	v_add_f64 v[26:27], v[28:29], v[1:2]
	v_add_f64 v[30:31], v[32:33], -v[30:31]
	v_add_f64 v[22:23], v[22:23], v[30:31]
	v_add_f64 v[30:31], v[26:27], -v[28:29]
	;; [unrolled: 2-line block ×3, first 2 shown]
	v_add_f64 v[1:2], v[1:2], -v[30:31]
	v_add_f64 v[26:27], v[24:25], v[22:23]
	v_add_f64 v[28:29], v[28:29], -v[32:33]
	v_add_f64 v[24:25], v[26:27], -v[24:25]
	v_add_f64 v[1:2], v[1:2], v[28:29]
	v_add_f64 v[22:23], v[22:23], -v[24:25]
	v_add_f64 v[1:2], v[1:2], v[22:23]
	v_add_f64 v[1:2], v[26:27], v[1:2]
	v_cndmask_b32_e32 v2, v16, v2, vcc
	v_cndmask_b32_e64 v2, v17, v2, s[0:1]
	v_cmp_nge_f64_e64 s[0:1], -1.0, v[3:4]
	s_and_b64 vcc, s[0:1], vcc
	v_cndmask_b32_e32 v22, 0, v1, vcc
	v_cmp_neq_f64_e32 vcc, -1.0, v[3:4]
	v_cndmask_b32_e32 v23, v18, v2, vcc
	v_add_co_u32_e32 v1, vcc, s2, v13
	v_addc_co_u32_e32 v2, vcc, v19, v14, vcc
	v_add_co_u32_e32 v11, vcc, s33, v11
	v_addc_co_u32_e32 v12, vcc, 0, v12, vcc
	global_store_dwordx4 v[1:2], v[5:8], off
	global_store_dwordx4 v[1:2], v[20:23], off offset:16
	v_lshlrev_b64 v[1:2], 2, v[11:12]
	v_add_co_u32_e32 v13, vcc, s40, v13
	v_addc_co_u32_e32 v14, vcc, 0, v14, vcc
	v_cmp_le_i64_e32 vcc, s[10:11], v[1:2]
	s_or_b64 s[16:17], vcc, s[16:17]
	s_andn2_b64 exec, exec, s[16:17]
	s_cbranch_execnz .LBB201_3
.LBB201_4:
	s_or_b64 exec, exec, s[12:13]
	s_mov_b64 s[0:1], 0
.LBB201_5:
	s_andn2_b64 vcc, exec, s[0:1]
	s_cbranch_vccnz .LBB201_25
; %bb.6:
	v_cmp_lt_i64_e64 s[0:1], s[8:9], 1
	s_and_b64 vcc, exec, s[0:1]
	s_cbranch_vccnz .LBB201_25
; %bb.7:
	v_mov_b32_e32 v1, 0x10000
	s_load_dword s4, s[4:5], 0xc5c
	v_mov_b32_e32 v2, 0
	v_cmp_lt_i64_e32 vcc, s[8:9], v[1:2]
	v_mov_b32_e32 v3, 0
	s_and_b64 s[0:1], vcc, exec
	v_cmp_lt_u64_e32 vcc, s[8:9], v[1:2]
	s_cselect_b32 s17, s9, 0
	s_cselect_b32 s16, s8, 0x10000
	s_waitcnt lgkmcnt(0)
	s_and_b32 s4, s4, 0xffff
	v_lshlrev_b32_e32 v2, 3, v0
	s_and_b64 s[0:1], vcc, exec
	v_mov_b32_e32 v1, s7
	v_add_co_u32_e32 v11, vcc, s6, v2
	v_mad_u64_u32 v[3:4], s[0:1], s4, 24, v[2:3]
	v_addc_co_u32_e32 v12, vcc, 0, v1, vcc
	v_mov_b32_e32 v1, s3
	v_add_co_u32_e32 v13, vcc, s2, v2
	v_addc_co_u32_e32 v14, vcc, 0, v1, vcc
	v_mov_b32_e32 v1, s7
	v_add_co_u32_e32 v15, vcc, s6, v3
	;; [unrolled: 3-line block ×3, first 2 shown]
	s_cselect_b32 s19, s9, 0
	s_cselect_b32 s18, s8, 0x10000
	v_addc_co_u32_e32 v18, vcc, v1, v4, vcc
	s_lshl_b32 s0, s4, 4
	v_add_co_u32_e32 v1, vcc, s0, v2
	v_addc_co_u32_e64 v2, s[0:1], 0, 0, vcc
	v_mov_b32_e32 v3, s7
	v_add_co_u32_e32 v19, vcc, s6, v1
	v_addc_co_u32_e32 v20, vcc, v3, v2, vcc
	v_mov_b32_e32 v3, s3
	v_add_co_u32_e32 v21, vcc, s2, v1
	v_addc_co_u32_e32 v22, vcc, v3, v2, vcc
	v_add_co_u32_e32 v23, vcc, s4, v0
	v_lshlrev_b32_e32 v1, 3, v23
	v_addc_co_u32_e64 v24, s[0:1], 0, 0, vcc
	v_mov_b32_e32 v2, s7
	v_add_co_u32_e32 v25, vcc, s6, v1
	v_addc_co_u32_e32 v26, vcc, 0, v2, vcc
	v_mov_b32_e32 v2, s3
	v_add_co_u32_e32 v27, vcc, s2, v1
	s_mul_i32 s8, s4, 3
	v_addc_co_u32_e32 v28, vcc, 0, v2, vcc
	s_lshl_b32 s5, s4, 1
	v_add_co_u32_e32 v29, vcc, s8, v0
	s_mov_b32 s22, 0x55555555
	s_mov_b32 s24, 0xfefa39ef
	;; [unrolled: 1-line block ×9, first 2 shown]
	v_addc_co_u32_e64 v30, s[0:1], 0, 0, vcc
	v_add_co_u32_e32 v31, vcc, s5, v0
	s_lshl_b32 s33, s4, 2
	s_lshl_b32 s46, s4, 5
	s_mov_b64 s[20:21], 0
	s_mov_b32 s23, 0x3fe55555
	s_mov_b32 s25, 0x3fe62e42
	;; [unrolled: 1-line block ×10, first 2 shown]
	v_mov_b32_e32 v1, 0x6b47b09a
	v_mov_b32_e32 v2, 0x3fc38538
	v_addc_co_u32_e64 v32, s[0:1], 0, 0, vcc
	v_mov_b32_e32 v33, 0x7ff00000
	v_mov_b32_e32 v34, 0x7ff80000
	;; [unrolled: 1-line block ×3, first 2 shown]
	s_branch .LBB201_9
.LBB201_8:                              ;   in Loop: Header=BB201_9 Depth=1
	s_or_b64 exec, exec, s[2:3]
	v_add_co_u32_e32 v11, vcc, s46, v11
	v_addc_co_u32_e32 v12, vcc, 0, v12, vcc
	v_add_co_u32_e32 v13, vcc, s46, v13
	v_addc_co_u32_e32 v14, vcc, 0, v14, vcc
	;; [unrolled: 2-line block ×6, first 2 shown]
	s_add_u32 s20, s20, s33
	v_add_co_u32_e32 v25, vcc, s46, v25
	s_waitcnt vmcnt(0)
	v_mov_b32_e32 v3, s16
	s_addc_u32 s21, s21, 0
	v_addc_co_u32_e32 v26, vcc, 0, v26, vcc
	v_mov_b32_e32 v4, s17
	v_cmp_ge_i64_e32 vcc, s[20:21], v[3:4]
	v_add_co_u32_e64 v27, s[0:1], s46, v27
	v_addc_co_u32_e64 v28, s[0:1], 0, v28, s[0:1]
	s_cbranch_vccnz .LBB201_25
.LBB201_9:                              ; =>This Inner Loop Header: Depth=1
	v_mov_b32_e32 v4, s21
	v_add_co_u32_e32 v3, vcc, s20, v0
	v_addc_co_u32_e32 v4, vcc, 0, v4, vcc
	v_cmp_gt_u64_e64 s[4:5], s[18:19], v[3:4]
	v_mov_b32_e32 v7, 0
	v_mov_b32_e32 v9, 0
	;; [unrolled: 1-line block ×4, first 2 shown]
	s_and_saveexec_b64 s[0:1], s[4:5]
	s_cbranch_execz .LBB201_11
; %bb.10:                               ;   in Loop: Header=BB201_9 Depth=1
	v_mov_b32_e32 v4, s15
	v_add_co_u32_e32 v3, vcc, s14, v11
	v_addc_co_u32_e32 v4, vcc, v12, v4, vcc
	global_load_dwordx2 v[9:10], v[3:4], off
.LBB201_11:                             ;   in Loop: Header=BB201_9 Depth=1
	s_or_b64 exec, exec, s[0:1]
	v_mov_b32_e32 v4, s21
	v_add_co_u32_e32 v3, vcc, s20, v23
	v_addc_co_u32_e32 v4, vcc, v24, v4, vcc
	v_cmp_gt_u64_e64 s[2:3], s[18:19], v[3:4]
	s_and_saveexec_b64 s[0:1], s[2:3]
	s_cbranch_execz .LBB201_13
; %bb.12:                               ;   in Loop: Header=BB201_9 Depth=1
	v_mov_b32_e32 v4, s15
	v_add_co_u32_e32 v3, vcc, s14, v25
	v_addc_co_u32_e32 v4, vcc, v26, v4, vcc
	global_load_dwordx2 v[7:8], v[3:4], off
.LBB201_13:                             ;   in Loop: Header=BB201_9 Depth=1
	s_or_b64 exec, exec, s[0:1]
	v_mov_b32_e32 v4, s21
	v_add_co_u32_e32 v3, vcc, s20, v31
	v_addc_co_u32_e32 v4, vcc, v32, v4, vcc
	v_cmp_gt_u64_e64 s[0:1], s[18:19], v[3:4]
	v_mov_b32_e32 v3, 0
	v_mov_b32_e32 v5, 0
	;; [unrolled: 1-line block ×4, first 2 shown]
	s_and_saveexec_b64 s[6:7], s[0:1]
	s_cbranch_execz .LBB201_15
; %bb.14:                               ;   in Loop: Header=BB201_9 Depth=1
	v_mov_b32_e32 v6, s15
	v_add_co_u32_e32 v5, vcc, s14, v19
	v_addc_co_u32_e32 v6, vcc, v20, v6, vcc
	global_load_dwordx2 v[5:6], v[5:6], off
.LBB201_15:                             ;   in Loop: Header=BB201_9 Depth=1
	s_or_b64 exec, exec, s[6:7]
	v_mov_b32_e32 v37, s21
	v_add_co_u32_e32 v36, vcc, s20, v29
	v_addc_co_u32_e32 v37, vcc, v30, v37, vcc
	v_cmp_gt_u64_e32 vcc, s[18:19], v[36:37]
	s_and_saveexec_b64 s[8:9], vcc
	s_cbranch_execnz .LBB201_20
; %bb.16:                               ;   in Loop: Header=BB201_9 Depth=1
	s_or_b64 exec, exec, s[8:9]
	s_and_saveexec_b64 s[44:45], s[4:5]
	s_cbranch_execnz .LBB201_21
.LBB201_17:                             ;   in Loop: Header=BB201_9 Depth=1
	s_or_b64 exec, exec, s[44:45]
	s_and_saveexec_b64 s[6:7], s[2:3]
	s_cbranch_execnz .LBB201_22
.LBB201_18:                             ;   in Loop: Header=BB201_9 Depth=1
	s_or_b64 exec, exec, s[6:7]
	s_and_saveexec_b64 s[4:5], s[0:1]
	s_cbranch_execnz .LBB201_23
.LBB201_19:                             ;   in Loop: Header=BB201_9 Depth=1
	s_or_b64 exec, exec, s[4:5]
	s_and_saveexec_b64 s[2:3], vcc
	s_cbranch_execz .LBB201_8
	s_branch .LBB201_24
.LBB201_20:                             ;   in Loop: Header=BB201_9 Depth=1
	v_mov_b32_e32 v4, s15
	v_add_co_u32_e64 v3, s[6:7], s14, v15
	v_addc_co_u32_e64 v4, s[6:7], v16, v4, s[6:7]
	global_load_dwordx2 v[3:4], v[3:4], off
	s_or_b64 exec, exec, s[8:9]
	s_and_saveexec_b64 s[44:45], s[4:5]
	s_cbranch_execz .LBB201_17
.LBB201_21:                             ;   in Loop: Header=BB201_9 Depth=1
	s_waitcnt vmcnt(0)
	v_add_f64 v[36:37], v[9:10], 1.0
	s_mov_b32 s41, s23
	v_cmp_neq_f64_e64 s[6:7], s[42:43], v[9:10]
	v_cmp_ngt_f64_e64 s[8:9], -1.0, v[9:10]
	v_cmp_neq_f64_e64 s[10:11], -1.0, v[9:10]
	v_frexp_mant_f64_e32 v[38:39], v[36:37]
	v_frexp_exp_i32_f64_e32 v42, v[36:37]
	v_add_f64 v[40:41], v[36:37], -1.0
	v_cmp_gt_f64_e64 s[4:5], s[22:23], v[38:39]
	v_add_f64 v[38:39], v[40:41], -v[36:37]
	v_add_f64 v[40:41], v[9:10], -v[40:41]
	v_subbrev_co_u32_e64 v58, s[4:5], 0, v42, s[4:5]
	v_sub_u32_e32 v44, 0, v58
	v_ldexp_f64 v[36:37], v[36:37], v44
	v_add_f64 v[38:39], v[38:39], 1.0
	v_cmp_nge_f64_e64 s[4:5], -1.0, v[9:10]
	v_mov_b32_e32 v10, s15
	v_add_co_u32_e64 v9, s[12:13], s14, v13
	v_add_f64 v[42:43], v[36:37], 1.0
	v_add_f64 v[38:39], v[40:41], v[38:39]
	v_add_f64 v[48:49], v[36:37], -1.0
	s_and_b64 s[4:5], s[4:5], s[6:7]
	v_add_f64 v[40:41], v[42:43], -1.0
	v_ldexp_f64 v[38:39], v[38:39], v44
	v_add_f64 v[50:51], v[48:49], 1.0
	v_add_f64 v[40:41], v[36:37], -v[40:41]
	v_add_f64 v[36:37], v[36:37], -v[50:51]
	v_add_f64 v[40:41], v[38:39], v[40:41]
	v_add_f64 v[36:37], v[38:39], v[36:37]
	;; [unrolled: 1-line block ×4, first 2 shown]
	v_rcp_f64_e32 v[46:47], v[44:45]
	v_add_f64 v[42:43], v[44:45], -v[42:43]
	v_add_f64 v[48:49], v[50:51], -v[48:49]
	;; [unrolled: 1-line block ×4, first 2 shown]
	v_fma_f64 v[52:53], -v[44:45], v[46:47], 1.0
	v_fma_f64 v[46:47], v[52:53], v[46:47], v[46:47]
	v_fma_f64 v[38:39], -v[44:45], v[46:47], 1.0
	v_fma_f64 v[38:39], v[38:39], v[46:47], v[46:47]
	v_mul_f64 v[46:47], v[50:51], v[38:39]
	v_mul_f64 v[52:53], v[44:45], v[46:47]
	v_fma_f64 v[42:43], v[46:47], v[44:45], -v[52:53]
	v_fma_f64 v[42:43], v[46:47], v[40:41], v[42:43]
	v_add_f64 v[54:55], v[52:53], v[42:43]
	v_add_f64 v[56:57], v[50:51], -v[54:55]
	v_add_f64 v[48:49], v[54:55], -v[52:53]
	;; [unrolled: 1-line block ×5, first 2 shown]
	v_add_f64 v[36:37], v[36:37], v[50:51]
	v_add_f64 v[36:37], v[42:43], v[36:37]
	;; [unrolled: 1-line block ×3, first 2 shown]
	v_mul_f64 v[48:49], v[38:39], v[42:43]
	v_add_f64 v[54:55], v[56:57], -v[42:43]
	v_mul_f64 v[50:51], v[44:45], v[48:49]
	v_add_f64 v[36:37], v[36:37], v[54:55]
	v_fma_f64 v[44:45], v[48:49], v[44:45], -v[50:51]
	v_fma_f64 v[40:41], v[48:49], v[40:41], v[44:45]
	v_add_f64 v[44:45], v[50:51], v[40:41]
	v_add_f64 v[52:53], v[42:43], -v[44:45]
	v_add_f64 v[50:51], v[44:45], -v[50:51]
	;; [unrolled: 1-line block ×5, first 2 shown]
	v_add_f64 v[36:37], v[36:37], v[42:43]
	v_add_f64 v[42:43], v[46:47], v[48:49]
	;; [unrolled: 1-line block ×3, first 2 shown]
	v_add_f64 v[40:41], v[42:43], -v[46:47]
	v_add_f64 v[36:37], v[52:53], v[36:37]
	v_add_f64 v[40:41], v[48:49], -v[40:41]
	v_mul_f64 v[36:37], v[38:39], v[36:37]
	v_add_f64 v[36:37], v[40:41], v[36:37]
	v_add_f64 v[38:39], v[42:43], v[36:37]
	v_mul_f64 v[40:41], v[38:39], v[38:39]
	v_fma_f64 v[44:45], v[40:41], s[28:29], v[1:2]
	v_mul_f64 v[46:47], v[38:39], v[40:41]
	v_fma_f64 v[44:45], v[40:41], v[44:45], s[30:31]
	v_fma_f64 v[44:45], v[40:41], v[44:45], s[34:35]
	;; [unrolled: 1-line block ×5, first 2 shown]
	v_ldexp_f64 v[44:45], v[38:39], 1
	v_add_f64 v[38:39], v[38:39], -v[42:43]
	v_mul_f64 v[40:41], v[46:47], v[40:41]
	v_cvt_f64_i32_e32 v[46:47], v58
	v_add_f64 v[36:37], v[36:37], -v[38:39]
	v_mul_f64 v[48:49], v[46:47], s[24:25]
	v_add_f64 v[42:43], v[44:45], v[40:41]
	v_ldexp_f64 v[36:37], v[36:37], 1
	v_add_f64 v[38:39], v[42:43], -v[44:45]
	v_fma_f64 v[44:45], v[46:47], s[24:25], -v[48:49]
	v_add_f64 v[38:39], v[40:41], -v[38:39]
	v_fma_f64 v[40:41], v[46:47], s[26:27], v[44:45]
	v_add_f64 v[36:37], v[36:37], v[38:39]
	v_add_f64 v[38:39], v[48:49], v[40:41]
	;; [unrolled: 1-line block ×3, first 2 shown]
	v_add_f64 v[48:49], v[38:39], -v[48:49]
	v_add_f64 v[46:47], v[38:39], v[44:45]
	v_add_f64 v[42:43], v[44:45], -v[42:43]
	v_add_f64 v[40:41], v[40:41], -v[48:49]
	;; [unrolled: 1-line block ×6, first 2 shown]
	v_add_f64 v[44:45], v[40:41], v[36:37]
	v_add_f64 v[38:39], v[38:39], -v[52:53]
	v_add_f64 v[38:39], v[42:43], v[38:39]
	v_add_f64 v[42:43], v[44:45], -v[40:41]
	;; [unrolled: 2-line block ×3, first 2 shown]
	v_add_f64 v[36:37], v[36:37], -v[42:43]
	v_add_f64 v[48:49], v[46:47], v[38:39]
	v_add_f64 v[40:41], v[40:41], -v[44:45]
	v_add_f64 v[42:43], v[48:49], -v[46:47]
	v_add_f64 v[36:37], v[36:37], v[40:41]
	v_add_f64 v[38:39], v[38:39], -v[42:43]
	v_add_f64 v[36:37], v[36:37], v[38:39]
	v_add_f64 v[36:37], v[48:49], v[36:37]
	v_cndmask_b32_e64 v37, v33, v37, s[6:7]
	v_cndmask_b32_e64 v37, v34, v37, s[8:9]
	;; [unrolled: 1-line block ×4, first 2 shown]
	v_addc_co_u32_e64 v10, s[4:5], v14, v10, s[12:13]
	global_store_dwordx2 v[9:10], v[36:37], off
	s_or_b64 exec, exec, s[44:45]
	s_and_saveexec_b64 s[6:7], s[2:3]
	s_cbranch_execz .LBB201_18
.LBB201_22:                             ;   in Loop: Header=BB201_9 Depth=1
	s_waitcnt vmcnt(0)
	v_add_f64 v[9:10], v[7:8], 1.0
	s_mov_b32 s41, s23
	v_cmp_neq_f64_e64 s[4:5], s[42:43], v[7:8]
	v_frexp_mant_f64_e32 v[38:39], v[9:10]
	v_frexp_exp_i32_f64_e32 v42, v[9:10]
	v_add_f64 v[36:37], v[9:10], -1.0
	v_cmp_gt_f64_e64 s[2:3], s[22:23], v[38:39]
	v_add_f64 v[40:41], v[36:37], -v[9:10]
	v_add_f64 v[36:37], v[7:8], -v[36:37]
	v_subbrev_co_u32_e64 v56, s[2:3], 0, v42, s[2:3]
	v_sub_u32_e32 v42, 0, v56
	v_ldexp_f64 v[9:10], v[9:10], v42
	v_add_f64 v[38:39], v[40:41], 1.0
	v_cmp_nge_f64_e64 s[2:3], -1.0, v[7:8]
	v_add_f64 v[40:41], v[9:10], 1.0
	v_add_f64 v[36:37], v[36:37], v[38:39]
	v_add_f64 v[46:47], v[9:10], -1.0
	s_and_b64 s[2:3], s[2:3], s[4:5]
	v_add_f64 v[38:39], v[40:41], -1.0
	v_ldexp_f64 v[36:37], v[36:37], v42
	v_add_f64 v[48:49], v[46:47], 1.0
	v_add_f64 v[38:39], v[9:10], -v[38:39]
	v_add_f64 v[9:10], v[9:10], -v[48:49]
	v_add_f64 v[38:39], v[36:37], v[38:39]
	v_add_f64 v[9:10], v[36:37], v[9:10]
	;; [unrolled: 1-line block ×4, first 2 shown]
	v_rcp_f64_e32 v[44:45], v[42:43]
	v_add_f64 v[40:41], v[42:43], -v[40:41]
	v_add_f64 v[46:47], v[48:49], -v[46:47]
	v_add_f64 v[38:39], v[38:39], -v[40:41]
	v_add_f64 v[9:10], v[9:10], -v[46:47]
	v_fma_f64 v[50:51], -v[42:43], v[44:45], 1.0
	v_fma_f64 v[44:45], v[50:51], v[44:45], v[44:45]
	v_fma_f64 v[36:37], -v[42:43], v[44:45], 1.0
	v_fma_f64 v[36:37], v[36:37], v[44:45], v[44:45]
	v_mul_f64 v[44:45], v[48:49], v[36:37]
	v_mul_f64 v[50:51], v[42:43], v[44:45]
	v_fma_f64 v[40:41], v[44:45], v[42:43], -v[50:51]
	v_fma_f64 v[40:41], v[44:45], v[38:39], v[40:41]
	v_add_f64 v[52:53], v[50:51], v[40:41]
	v_add_f64 v[54:55], v[48:49], -v[52:53]
	v_add_f64 v[46:47], v[52:53], -v[50:51]
	;; [unrolled: 1-line block ×5, first 2 shown]
	v_add_f64 v[9:10], v[9:10], v[48:49]
	v_add_f64 v[9:10], v[40:41], v[9:10]
	;; [unrolled: 1-line block ×3, first 2 shown]
	v_mul_f64 v[46:47], v[36:37], v[40:41]
	v_add_f64 v[52:53], v[54:55], -v[40:41]
	v_mul_f64 v[48:49], v[42:43], v[46:47]
	v_add_f64 v[9:10], v[9:10], v[52:53]
	v_fma_f64 v[42:43], v[46:47], v[42:43], -v[48:49]
	v_fma_f64 v[38:39], v[46:47], v[38:39], v[42:43]
	v_add_f64 v[42:43], v[48:49], v[38:39]
	v_add_f64 v[50:51], v[40:41], -v[42:43]
	v_add_f64 v[48:49], v[42:43], -v[48:49]
	;; [unrolled: 1-line block ×5, first 2 shown]
	v_add_f64 v[9:10], v[9:10], v[40:41]
	v_add_f64 v[40:41], v[44:45], v[46:47]
	;; [unrolled: 1-line block ×3, first 2 shown]
	v_add_f64 v[38:39], v[40:41], -v[44:45]
	v_add_f64 v[9:10], v[50:51], v[9:10]
	v_add_f64 v[38:39], v[46:47], -v[38:39]
	v_mul_f64 v[9:10], v[36:37], v[9:10]
	v_add_f64 v[9:10], v[38:39], v[9:10]
	v_add_f64 v[36:37], v[40:41], v[9:10]
	v_mul_f64 v[38:39], v[36:37], v[36:37]
	v_fma_f64 v[42:43], v[38:39], s[28:29], v[1:2]
	v_mul_f64 v[44:45], v[36:37], v[38:39]
	v_fma_f64 v[42:43], v[38:39], v[42:43], s[30:31]
	v_fma_f64 v[42:43], v[38:39], v[42:43], s[34:35]
	;; [unrolled: 1-line block ×5, first 2 shown]
	v_ldexp_f64 v[42:43], v[36:37], 1
	v_add_f64 v[36:37], v[36:37], -v[40:41]
	v_mul_f64 v[38:39], v[44:45], v[38:39]
	v_cvt_f64_i32_e32 v[44:45], v56
	v_add_f64 v[9:10], v[9:10], -v[36:37]
	v_mul_f64 v[46:47], v[44:45], s[24:25]
	v_add_f64 v[40:41], v[42:43], v[38:39]
	v_ldexp_f64 v[9:10], v[9:10], 1
	v_add_f64 v[36:37], v[40:41], -v[42:43]
	v_fma_f64 v[42:43], v[44:45], s[24:25], -v[46:47]
	v_add_f64 v[36:37], v[38:39], -v[36:37]
	v_fma_f64 v[38:39], v[44:45], s[26:27], v[42:43]
	v_add_f64 v[9:10], v[9:10], v[36:37]
	v_add_f64 v[36:37], v[46:47], v[38:39]
	;; [unrolled: 1-line block ×3, first 2 shown]
	v_add_f64 v[46:47], v[36:37], -v[46:47]
	v_add_f64 v[44:45], v[36:37], v[42:43]
	v_add_f64 v[40:41], v[42:43], -v[40:41]
	v_add_f64 v[38:39], v[38:39], -v[46:47]
	;; [unrolled: 1-line block ×6, first 2 shown]
	v_add_f64 v[42:43], v[38:39], v[9:10]
	v_add_f64 v[36:37], v[36:37], -v[50:51]
	v_add_f64 v[36:37], v[40:41], v[36:37]
	v_add_f64 v[40:41], v[42:43], -v[38:39]
	;; [unrolled: 2-line block ×3, first 2 shown]
	v_add_f64 v[9:10], v[9:10], -v[40:41]
	v_add_f64 v[46:47], v[44:45], v[36:37]
	v_add_f64 v[38:39], v[38:39], -v[42:43]
	v_add_f64 v[40:41], v[46:47], -v[44:45]
	v_add_f64 v[9:10], v[9:10], v[38:39]
	v_add_f64 v[36:37], v[36:37], -v[40:41]
	v_add_f64 v[9:10], v[9:10], v[36:37]
	v_mov_b32_e32 v36, s15
	v_add_f64 v[9:10], v[46:47], v[9:10]
	v_cndmask_b32_e64 v9, 0, v9, s[2:3]
	v_cmp_ngt_f64_e64 s[2:3], -1.0, v[7:8]
	v_cndmask_b32_e64 v10, v33, v10, s[4:5]
	v_cndmask_b32_e64 v10, v34, v10, s[2:3]
	v_cmp_neq_f64_e64 s[2:3], -1.0, v[7:8]
	v_cndmask_b32_e64 v10, v35, v10, s[2:3]
	v_add_co_u32_e64 v7, s[2:3], s14, v27
	v_addc_co_u32_e64 v8, s[2:3], v28, v36, s[2:3]
	global_store_dwordx2 v[7:8], v[9:10], off
	s_or_b64 exec, exec, s[6:7]
	s_and_saveexec_b64 s[4:5], s[0:1]
	s_cbranch_execz .LBB201_19
.LBB201_23:                             ;   in Loop: Header=BB201_9 Depth=1
	s_waitcnt vmcnt(0)
	v_add_f64 v[7:8], v[5:6], 1.0
	s_mov_b32 s41, s23
	v_cmp_neq_f64_e64 s[2:3], s[42:43], v[5:6]
	v_frexp_mant_f64_e32 v[36:37], v[7:8]
	v_frexp_exp_i32_f64_e32 v40, v[7:8]
	v_add_f64 v[9:10], v[7:8], -1.0
	v_cmp_gt_f64_e64 s[0:1], s[22:23], v[36:37]
	v_add_f64 v[38:39], v[9:10], -v[7:8]
	v_add_f64 v[9:10], v[5:6], -v[9:10]
	v_subbrev_co_u32_e64 v54, s[0:1], 0, v40, s[0:1]
	v_sub_u32_e32 v40, 0, v54
	v_ldexp_f64 v[7:8], v[7:8], v40
	v_add_f64 v[36:37], v[38:39], 1.0
	v_cmp_nge_f64_e64 s[0:1], -1.0, v[5:6]
	v_add_f64 v[38:39], v[7:8], 1.0
	v_add_f64 v[9:10], v[9:10], v[36:37]
	v_add_f64 v[44:45], v[7:8], -1.0
	s_and_b64 s[0:1], s[0:1], s[2:3]
	v_add_f64 v[36:37], v[38:39], -1.0
	v_ldexp_f64 v[9:10], v[9:10], v40
	v_add_f64 v[46:47], v[44:45], 1.0
	v_add_f64 v[36:37], v[7:8], -v[36:37]
	v_add_f64 v[7:8], v[7:8], -v[46:47]
	v_add_f64 v[36:37], v[9:10], v[36:37]
	v_add_f64 v[7:8], v[9:10], v[7:8]
	;; [unrolled: 1-line block ×4, first 2 shown]
	v_rcp_f64_e32 v[42:43], v[40:41]
	v_add_f64 v[38:39], v[40:41], -v[38:39]
	v_add_f64 v[44:45], v[46:47], -v[44:45]
	;; [unrolled: 1-line block ×4, first 2 shown]
	v_fma_f64 v[48:49], -v[40:41], v[42:43], 1.0
	v_fma_f64 v[42:43], v[48:49], v[42:43], v[42:43]
	v_fma_f64 v[9:10], -v[40:41], v[42:43], 1.0
	v_fma_f64 v[9:10], v[9:10], v[42:43], v[42:43]
	v_mul_f64 v[42:43], v[46:47], v[9:10]
	v_mul_f64 v[48:49], v[40:41], v[42:43]
	v_fma_f64 v[38:39], v[42:43], v[40:41], -v[48:49]
	v_fma_f64 v[38:39], v[42:43], v[36:37], v[38:39]
	v_add_f64 v[50:51], v[48:49], v[38:39]
	v_add_f64 v[52:53], v[46:47], -v[50:51]
	v_add_f64 v[44:45], v[50:51], -v[48:49]
	;; [unrolled: 1-line block ×5, first 2 shown]
	v_add_f64 v[7:8], v[7:8], v[46:47]
	v_add_f64 v[7:8], v[38:39], v[7:8]
	;; [unrolled: 1-line block ×3, first 2 shown]
	v_mul_f64 v[44:45], v[9:10], v[38:39]
	v_add_f64 v[50:51], v[52:53], -v[38:39]
	v_mul_f64 v[46:47], v[40:41], v[44:45]
	v_add_f64 v[7:8], v[7:8], v[50:51]
	v_fma_f64 v[40:41], v[44:45], v[40:41], -v[46:47]
	v_fma_f64 v[36:37], v[44:45], v[36:37], v[40:41]
	v_add_f64 v[40:41], v[46:47], v[36:37]
	v_add_f64 v[48:49], v[38:39], -v[40:41]
	v_add_f64 v[46:47], v[40:41], -v[46:47]
	;; [unrolled: 1-line block ×5, first 2 shown]
	v_add_f64 v[7:8], v[7:8], v[38:39]
	v_add_f64 v[38:39], v[42:43], v[44:45]
	;; [unrolled: 1-line block ×3, first 2 shown]
	v_add_f64 v[36:37], v[38:39], -v[42:43]
	v_add_f64 v[7:8], v[48:49], v[7:8]
	v_add_f64 v[36:37], v[44:45], -v[36:37]
	v_mul_f64 v[7:8], v[9:10], v[7:8]
	v_add_f64 v[7:8], v[36:37], v[7:8]
	v_add_f64 v[9:10], v[38:39], v[7:8]
	v_mul_f64 v[36:37], v[9:10], v[9:10]
	v_fma_f64 v[40:41], v[36:37], s[28:29], v[1:2]
	v_mul_f64 v[42:43], v[9:10], v[36:37]
	v_fma_f64 v[40:41], v[36:37], v[40:41], s[30:31]
	v_fma_f64 v[40:41], v[36:37], v[40:41], s[34:35]
	;; [unrolled: 1-line block ×5, first 2 shown]
	v_ldexp_f64 v[40:41], v[9:10], 1
	v_add_f64 v[9:10], v[9:10], -v[38:39]
	v_mul_f64 v[36:37], v[42:43], v[36:37]
	v_cvt_f64_i32_e32 v[42:43], v54
	v_add_f64 v[7:8], v[7:8], -v[9:10]
	v_mul_f64 v[44:45], v[42:43], s[24:25]
	v_add_f64 v[38:39], v[40:41], v[36:37]
	v_ldexp_f64 v[7:8], v[7:8], 1
	v_add_f64 v[9:10], v[38:39], -v[40:41]
	v_fma_f64 v[40:41], v[42:43], s[24:25], -v[44:45]
	v_add_f64 v[9:10], v[36:37], -v[9:10]
	v_fma_f64 v[36:37], v[42:43], s[26:27], v[40:41]
	v_add_f64 v[7:8], v[7:8], v[9:10]
	v_add_f64 v[9:10], v[44:45], v[36:37]
	v_add_f64 v[40:41], v[38:39], v[7:8]
	v_add_f64 v[44:45], v[9:10], -v[44:45]
	v_add_f64 v[42:43], v[9:10], v[40:41]
	v_add_f64 v[38:39], v[40:41], -v[38:39]
	v_add_f64 v[36:37], v[36:37], -v[44:45]
	;; [unrolled: 1-line block ×6, first 2 shown]
	v_add_f64 v[40:41], v[36:37], v[7:8]
	v_add_f64 v[9:10], v[9:10], -v[48:49]
	v_add_f64 v[9:10], v[38:39], v[9:10]
	v_add_f64 v[38:39], v[40:41], -v[36:37]
	;; [unrolled: 2-line block ×3, first 2 shown]
	v_add_f64 v[7:8], v[7:8], -v[38:39]
	v_add_f64 v[44:45], v[42:43], v[9:10]
	v_add_f64 v[36:37], v[36:37], -v[40:41]
	v_add_f64 v[38:39], v[44:45], -v[42:43]
	v_add_f64 v[7:8], v[7:8], v[36:37]
	v_add_f64 v[9:10], v[9:10], -v[38:39]
	v_add_f64 v[7:8], v[7:8], v[9:10]
	v_mov_b32_e32 v9, s15
	v_add_f64 v[7:8], v[44:45], v[7:8]
	v_cndmask_b32_e64 v7, 0, v7, s[0:1]
	v_cmp_ngt_f64_e64 s[0:1], -1.0, v[5:6]
	v_cndmask_b32_e64 v8, v33, v8, s[2:3]
	v_cndmask_b32_e64 v8, v34, v8, s[0:1]
	v_cmp_neq_f64_e64 s[0:1], -1.0, v[5:6]
	v_cndmask_b32_e64 v8, v35, v8, s[0:1]
	v_add_co_u32_e64 v5, s[0:1], s14, v21
	v_addc_co_u32_e64 v6, s[0:1], v22, v9, s[0:1]
	global_store_dwordx2 v[5:6], v[7:8], off
	s_or_b64 exec, exec, s[4:5]
	s_and_saveexec_b64 s[2:3], vcc
	s_cbranch_execz .LBB201_8
.LBB201_24:                             ;   in Loop: Header=BB201_9 Depth=1
	s_waitcnt vmcnt(0)
	v_add_f64 v[5:6], v[3:4], 1.0
	s_mov_b32 s41, s23
	v_cmp_neq_f64_e64 s[0:1], s[42:43], v[3:4]
	v_frexp_mant_f64_e32 v[9:10], v[5:6]
	v_frexp_exp_i32_f64_e32 v38, v[5:6]
	v_add_f64 v[7:8], v[5:6], -1.0
	v_cmp_gt_f64_e32 vcc, s[22:23], v[9:10]
	v_add_f64 v[36:37], v[7:8], -v[5:6]
	v_add_f64 v[7:8], v[3:4], -v[7:8]
	v_subbrev_co_u32_e32 v52, vcc, 0, v38, vcc
	v_sub_u32_e32 v38, 0, v52
	v_ldexp_f64 v[5:6], v[5:6], v38
	v_add_f64 v[9:10], v[36:37], 1.0
	v_cmp_nge_f64_e32 vcc, -1.0, v[3:4]
	v_add_f64 v[36:37], v[5:6], 1.0
	v_add_f64 v[7:8], v[7:8], v[9:10]
	v_add_f64 v[42:43], v[5:6], -1.0
	s_and_b64 vcc, vcc, s[0:1]
	v_add_f64 v[9:10], v[36:37], -1.0
	v_ldexp_f64 v[7:8], v[7:8], v38
	v_add_f64 v[44:45], v[42:43], 1.0
	v_add_f64 v[9:10], v[5:6], -v[9:10]
	v_add_f64 v[5:6], v[5:6], -v[44:45]
	v_add_f64 v[9:10], v[7:8], v[9:10]
	v_add_f64 v[5:6], v[7:8], v[5:6]
	;; [unrolled: 1-line block ×4, first 2 shown]
	v_rcp_f64_e32 v[40:41], v[38:39]
	v_add_f64 v[36:37], v[38:39], -v[36:37]
	v_add_f64 v[42:43], v[44:45], -v[42:43]
	v_add_f64 v[9:10], v[9:10], -v[36:37]
	v_add_f64 v[5:6], v[5:6], -v[42:43]
	v_fma_f64 v[46:47], -v[38:39], v[40:41], 1.0
	v_fma_f64 v[40:41], v[46:47], v[40:41], v[40:41]
	v_fma_f64 v[7:8], -v[38:39], v[40:41], 1.0
	v_fma_f64 v[7:8], v[7:8], v[40:41], v[40:41]
	v_mul_f64 v[40:41], v[44:45], v[7:8]
	v_mul_f64 v[46:47], v[38:39], v[40:41]
	v_fma_f64 v[36:37], v[40:41], v[38:39], -v[46:47]
	v_fma_f64 v[36:37], v[40:41], v[9:10], v[36:37]
	v_add_f64 v[48:49], v[46:47], v[36:37]
	v_add_f64 v[50:51], v[44:45], -v[48:49]
	v_add_f64 v[42:43], v[48:49], -v[46:47]
	;; [unrolled: 1-line block ×5, first 2 shown]
	v_add_f64 v[5:6], v[5:6], v[44:45]
	v_add_f64 v[5:6], v[36:37], v[5:6]
	;; [unrolled: 1-line block ×3, first 2 shown]
	v_mul_f64 v[42:43], v[7:8], v[36:37]
	v_add_f64 v[48:49], v[50:51], -v[36:37]
	v_mul_f64 v[44:45], v[38:39], v[42:43]
	v_add_f64 v[5:6], v[5:6], v[48:49]
	v_fma_f64 v[38:39], v[42:43], v[38:39], -v[44:45]
	v_fma_f64 v[9:10], v[42:43], v[9:10], v[38:39]
	v_add_f64 v[38:39], v[44:45], v[9:10]
	v_add_f64 v[46:47], v[36:37], -v[38:39]
	v_add_f64 v[44:45], v[38:39], -v[44:45]
	;; [unrolled: 1-line block ×5, first 2 shown]
	v_add_f64 v[5:6], v[5:6], v[36:37]
	v_add_f64 v[36:37], v[40:41], v[42:43]
	;; [unrolled: 1-line block ×3, first 2 shown]
	v_add_f64 v[9:10], v[36:37], -v[40:41]
	v_add_f64 v[5:6], v[46:47], v[5:6]
	v_add_f64 v[9:10], v[42:43], -v[9:10]
	v_mul_f64 v[5:6], v[7:8], v[5:6]
	v_add_f64 v[5:6], v[9:10], v[5:6]
	v_add_f64 v[7:8], v[36:37], v[5:6]
	v_mul_f64 v[9:10], v[7:8], v[7:8]
	v_fma_f64 v[38:39], v[9:10], s[28:29], v[1:2]
	v_mul_f64 v[40:41], v[7:8], v[9:10]
	v_fma_f64 v[38:39], v[9:10], v[38:39], s[30:31]
	v_fma_f64 v[38:39], v[9:10], v[38:39], s[34:35]
	;; [unrolled: 1-line block ×5, first 2 shown]
	v_ldexp_f64 v[38:39], v[7:8], 1
	v_add_f64 v[7:8], v[7:8], -v[36:37]
	v_mul_f64 v[9:10], v[40:41], v[9:10]
	v_cvt_f64_i32_e32 v[40:41], v52
	v_add_f64 v[5:6], v[5:6], -v[7:8]
	v_mul_f64 v[42:43], v[40:41], s[24:25]
	v_add_f64 v[36:37], v[38:39], v[9:10]
	v_ldexp_f64 v[5:6], v[5:6], 1
	v_add_f64 v[7:8], v[36:37], -v[38:39]
	v_fma_f64 v[38:39], v[40:41], s[24:25], -v[42:43]
	v_add_f64 v[7:8], v[9:10], -v[7:8]
	v_fma_f64 v[9:10], v[40:41], s[26:27], v[38:39]
	v_add_f64 v[5:6], v[5:6], v[7:8]
	v_add_f64 v[7:8], v[42:43], v[9:10]
	;; [unrolled: 1-line block ×3, first 2 shown]
	v_add_f64 v[42:43], v[7:8], -v[42:43]
	v_add_f64 v[40:41], v[7:8], v[38:39]
	v_add_f64 v[36:37], v[38:39], -v[36:37]
	v_add_f64 v[9:10], v[9:10], -v[42:43]
	;; [unrolled: 1-line block ×6, first 2 shown]
	v_add_f64 v[38:39], v[9:10], v[5:6]
	v_add_f64 v[7:8], v[7:8], -v[46:47]
	v_add_f64 v[7:8], v[36:37], v[7:8]
	v_add_f64 v[36:37], v[38:39], -v[9:10]
	;; [unrolled: 2-line block ×3, first 2 shown]
	v_add_f64 v[5:6], v[5:6], -v[36:37]
	v_add_f64 v[42:43], v[40:41], v[7:8]
	v_add_f64 v[9:10], v[9:10], -v[38:39]
	v_add_f64 v[36:37], v[42:43], -v[40:41]
	v_add_f64 v[5:6], v[5:6], v[9:10]
	v_add_f64 v[7:8], v[7:8], -v[36:37]
	v_add_f64 v[5:6], v[5:6], v[7:8]
	v_mov_b32_e32 v7, s15
	v_add_f64 v[5:6], v[42:43], v[5:6]
	v_cndmask_b32_e32 v5, 0, v5, vcc
	v_cmp_ngt_f64_e32 vcc, -1.0, v[3:4]
	v_cndmask_b32_e64 v6, v33, v6, s[0:1]
	v_cndmask_b32_e32 v6, v34, v6, vcc
	v_cmp_neq_f64_e32 vcc, -1.0, v[3:4]
	v_cndmask_b32_e32 v6, v35, v6, vcc
	v_add_co_u32_e32 v3, vcc, s14, v17
	v_addc_co_u32_e32 v4, vcc, v18, v7, vcc
	global_store_dwordx2 v[3:4], v[5:6], off
	s_branch .LBB201_8
.LBB201_25:
	s_endpgm
	.section	.rodata,"a",@progbits
	.p2align	6, 0x0
	.amdhsa_kernel _ZN2at6native12_GLOBAL__N_125multi_tensor_apply_kernelINS1_18TensorListMetadataILi2EEENS1_14UnaryOpFunctorIdLi2ELi1ELi1EEEJNS0_5Log1pIdEEEEEvT_T0_DpT1_
		.amdhsa_group_segment_fixed_size 0
		.amdhsa_private_segment_fixed_size 0
		.amdhsa_kernarg_size 3408
		.amdhsa_user_sgpr_count 6
		.amdhsa_user_sgpr_private_segment_buffer 1
		.amdhsa_user_sgpr_dispatch_ptr 0
		.amdhsa_user_sgpr_queue_ptr 0
		.amdhsa_user_sgpr_kernarg_segment_ptr 1
		.amdhsa_user_sgpr_dispatch_id 0
		.amdhsa_user_sgpr_flat_scratch_init 0
		.amdhsa_user_sgpr_private_segment_size 0
		.amdhsa_uses_dynamic_stack 0
		.amdhsa_system_sgpr_private_segment_wavefront_offset 0
		.amdhsa_system_sgpr_workgroup_id_x 1
		.amdhsa_system_sgpr_workgroup_id_y 0
		.amdhsa_system_sgpr_workgroup_id_z 0
		.amdhsa_system_sgpr_workgroup_info 0
		.amdhsa_system_vgpr_workitem_id 0
		.amdhsa_next_free_vgpr 59
		.amdhsa_next_free_sgpr 47
		.amdhsa_reserve_vcc 1
		.amdhsa_reserve_flat_scratch 0
		.amdhsa_float_round_mode_32 0
		.amdhsa_float_round_mode_16_64 0
		.amdhsa_float_denorm_mode_32 3
		.amdhsa_float_denorm_mode_16_64 3
		.amdhsa_dx10_clamp 1
		.amdhsa_ieee_mode 1
		.amdhsa_fp16_overflow 0
		.amdhsa_exception_fp_ieee_invalid_op 0
		.amdhsa_exception_fp_denorm_src 0
		.amdhsa_exception_fp_ieee_div_zero 0
		.amdhsa_exception_fp_ieee_overflow 0
		.amdhsa_exception_fp_ieee_underflow 0
		.amdhsa_exception_fp_ieee_inexact 0
		.amdhsa_exception_int_div_zero 0
	.end_amdhsa_kernel
	.section	.text._ZN2at6native12_GLOBAL__N_125multi_tensor_apply_kernelINS1_18TensorListMetadataILi2EEENS1_14UnaryOpFunctorIdLi2ELi1ELi1EEEJNS0_5Log1pIdEEEEEvT_T0_DpT1_,"axG",@progbits,_ZN2at6native12_GLOBAL__N_125multi_tensor_apply_kernelINS1_18TensorListMetadataILi2EEENS1_14UnaryOpFunctorIdLi2ELi1ELi1EEEJNS0_5Log1pIdEEEEEvT_T0_DpT1_,comdat
.Lfunc_end201:
	.size	_ZN2at6native12_GLOBAL__N_125multi_tensor_apply_kernelINS1_18TensorListMetadataILi2EEENS1_14UnaryOpFunctorIdLi2ELi1ELi1EEEJNS0_5Log1pIdEEEEEvT_T0_DpT1_, .Lfunc_end201-_ZN2at6native12_GLOBAL__N_125multi_tensor_apply_kernelINS1_18TensorListMetadataILi2EEENS1_14UnaryOpFunctorIdLi2ELi1ELi1EEEJNS0_5Log1pIdEEEEEvT_T0_DpT1_
                                        ; -- End function
	.set _ZN2at6native12_GLOBAL__N_125multi_tensor_apply_kernelINS1_18TensorListMetadataILi2EEENS1_14UnaryOpFunctorIdLi2ELi1ELi1EEEJNS0_5Log1pIdEEEEEvT_T0_DpT1_.num_vgpr, 59
	.set _ZN2at6native12_GLOBAL__N_125multi_tensor_apply_kernelINS1_18TensorListMetadataILi2EEENS1_14UnaryOpFunctorIdLi2ELi1ELi1EEEJNS0_5Log1pIdEEEEEvT_T0_DpT1_.num_agpr, 0
	.set _ZN2at6native12_GLOBAL__N_125multi_tensor_apply_kernelINS1_18TensorListMetadataILi2EEENS1_14UnaryOpFunctorIdLi2ELi1ELi1EEEJNS0_5Log1pIdEEEEEvT_T0_DpT1_.numbered_sgpr, 47
	.set _ZN2at6native12_GLOBAL__N_125multi_tensor_apply_kernelINS1_18TensorListMetadataILi2EEENS1_14UnaryOpFunctorIdLi2ELi1ELi1EEEJNS0_5Log1pIdEEEEEvT_T0_DpT1_.num_named_barrier, 0
	.set _ZN2at6native12_GLOBAL__N_125multi_tensor_apply_kernelINS1_18TensorListMetadataILi2EEENS1_14UnaryOpFunctorIdLi2ELi1ELi1EEEJNS0_5Log1pIdEEEEEvT_T0_DpT1_.private_seg_size, 0
	.set _ZN2at6native12_GLOBAL__N_125multi_tensor_apply_kernelINS1_18TensorListMetadataILi2EEENS1_14UnaryOpFunctorIdLi2ELi1ELi1EEEJNS0_5Log1pIdEEEEEvT_T0_DpT1_.uses_vcc, 1
	.set _ZN2at6native12_GLOBAL__N_125multi_tensor_apply_kernelINS1_18TensorListMetadataILi2EEENS1_14UnaryOpFunctorIdLi2ELi1ELi1EEEJNS0_5Log1pIdEEEEEvT_T0_DpT1_.uses_flat_scratch, 0
	.set _ZN2at6native12_GLOBAL__N_125multi_tensor_apply_kernelINS1_18TensorListMetadataILi2EEENS1_14UnaryOpFunctorIdLi2ELi1ELi1EEEJNS0_5Log1pIdEEEEEvT_T0_DpT1_.has_dyn_sized_stack, 0
	.set _ZN2at6native12_GLOBAL__N_125multi_tensor_apply_kernelINS1_18TensorListMetadataILi2EEENS1_14UnaryOpFunctorIdLi2ELi1ELi1EEEJNS0_5Log1pIdEEEEEvT_T0_DpT1_.has_recursion, 0
	.set _ZN2at6native12_GLOBAL__N_125multi_tensor_apply_kernelINS1_18TensorListMetadataILi2EEENS1_14UnaryOpFunctorIdLi2ELi1ELi1EEEJNS0_5Log1pIdEEEEEvT_T0_DpT1_.has_indirect_call, 0
	.section	.AMDGPU.csdata,"",@progbits
; Kernel info:
; codeLenInByte = 8980
; TotalNumSgprs: 51
; NumVgprs: 59
; ScratchSize: 0
; MemoryBound: 0
; FloatMode: 240
; IeeeMode: 1
; LDSByteSize: 0 bytes/workgroup (compile time only)
; SGPRBlocks: 6
; VGPRBlocks: 14
; NumSGPRsForWavesPerEU: 51
; NumVGPRsForWavesPerEU: 59
; Occupancy: 4
; WaveLimiterHint : 0
; COMPUTE_PGM_RSRC2:SCRATCH_EN: 0
; COMPUTE_PGM_RSRC2:USER_SGPR: 6
; COMPUTE_PGM_RSRC2:TRAP_HANDLER: 0
; COMPUTE_PGM_RSRC2:TGID_X_EN: 1
; COMPUTE_PGM_RSRC2:TGID_Y_EN: 0
; COMPUTE_PGM_RSRC2:TGID_Z_EN: 0
; COMPUTE_PGM_RSRC2:TIDIG_COMP_CNT: 0
	.section	.text._ZN2at6native12_GLOBAL__N_125multi_tensor_apply_kernelINS1_18TensorListMetadataILi2EEENS1_14UnaryOpFunctorIfLi2ELi1ELi1EEEJNS0_5Log1pIfEEEEEvT_T0_DpT1_,"axG",@progbits,_ZN2at6native12_GLOBAL__N_125multi_tensor_apply_kernelINS1_18TensorListMetadataILi2EEENS1_14UnaryOpFunctorIfLi2ELi1ELi1EEEJNS0_5Log1pIfEEEEEvT_T0_DpT1_,comdat
	.globl	_ZN2at6native12_GLOBAL__N_125multi_tensor_apply_kernelINS1_18TensorListMetadataILi2EEENS1_14UnaryOpFunctorIfLi2ELi1ELi1EEEJNS0_5Log1pIfEEEEEvT_T0_DpT1_ ; -- Begin function _ZN2at6native12_GLOBAL__N_125multi_tensor_apply_kernelINS1_18TensorListMetadataILi2EEENS1_14UnaryOpFunctorIfLi2ELi1ELi1EEEJNS0_5Log1pIfEEEEEvT_T0_DpT1_
	.p2align	8
	.type	_ZN2at6native12_GLOBAL__N_125multi_tensor_apply_kernelINS1_18TensorListMetadataILi2EEENS1_14UnaryOpFunctorIfLi2ELi1ELi1EEEJNS0_5Log1pIfEEEEEvT_T0_DpT1_,@function
_ZN2at6native12_GLOBAL__N_125multi_tensor_apply_kernelINS1_18TensorListMetadataILi2EEENS1_14UnaryOpFunctorIfLi2ELi1ELi1EEEJNS0_5Log1pIfEEEEEvT_T0_DpT1_: ; @_ZN2at6native12_GLOBAL__N_125multi_tensor_apply_kernelINS1_18TensorListMetadataILi2EEENS1_14UnaryOpFunctorIfLi2ELi1ELi1EEEJNS0_5Log1pIfEEEEEvT_T0_DpT1_
; %bb.0:
	v_mov_b32_e32 v1, s6
	global_load_ubyte v1, v1, s[4:5] offset:1536
	s_add_u32 s0, s4, s6
	s_mul_hi_u32 s1, s6, 3
	s_mul_i32 s6, s6, 3
	s_addc_u32 s2, s5, 0
	s_add_u32 s0, s0, s6
	s_addc_u32 s1, s2, s1
	s_load_dword s6, s[0:1], 0x740
	s_mov_b32 s11, 0
	s_mov_b32 s13, s11
	s_waitcnt vmcnt(0)
	v_readfirstlane_b32 s0, v1
	s_lshl_b32 s7, s0, 3
	s_load_dwordx2 s[14:15], s[4:5], s7 offset:0x400
	s_load_dwordx2 s[2:3], s[4:5], s7 offset:0x0
	;; [unrolled: 1-line block ×3, first 2 shown]
	s_waitcnt lgkmcnt(0)
	s_ashr_i32 s7, s6, 31
	s_lshl_b64 s[8:9], s[6:7], 18
	s_lshl_b64 s[6:7], s[6:7], 16
	s_add_u32 s10, s2, s8
	s_and_b32 s12, s0, 15
	s_and_b32 s10, s10, 15
	s_sub_u32 s6, s14, s6
	s_subb_u32 s7, s15, s7
	s_and_b32 s14, s14, 3
	s_mov_b32 s15, s11
	s_or_b64 s[12:13], s[12:13], s[14:15]
	s_or_b64 s[10:11], s[12:13], s[10:11]
	s_cmp_eq_u64 s[10:11], 0
	s_mov_b64 s[10:11], -1
	s_cbranch_scc0 .LBB202_5
; %bb.1:
	v_mov_b32_e32 v1, 0x10000
	v_mov_b32_e32 v2, 0
	v_cmp_lt_i64_e32 vcc, s[6:7], v[1:2]
	v_mov_b32_e32 v2, 0
	s_and_b64 s[10:11], vcc, exec
	s_cselect_b32 s11, s7, 0
	s_cselect_b32 s10, s6, 0x10000
	v_lshlrev_b32_e32 v1, 2, v0
	v_cmp_gt_i64_e32 vcc, s[10:11], v[1:2]
	s_and_saveexec_b64 s[12:13], vcc
	s_cbranch_execz .LBB202_4
; %bb.2:
	s_load_dword s14, s[4:5], 0xc5c
	v_mov_b32_e32 v1, v2
	v_lshlrev_b32_e32 v2, 4, v0
	v_mov_b32_e32 v3, s9
	v_add_co_u32_e32 v7, vcc, s8, v2
	s_waitcnt lgkmcnt(0)
	s_and_b32 s16, s14, 0xffff
	v_mov_b32_e32 v6, v1
	v_addc_co_u32_e32 v8, vcc, 0, v3, vcc
	s_lshl_b32 s17, s16, 4
	s_mov_b64 s[14:15], 0
	v_mov_b32_e32 v9, s3
	s_mov_b32 s18, 0x3f2aaaab
	v_mov_b32_e32 v10, 0x3f2aaada
	s_mov_b32 s19, 0x3f317218
	s_mov_b32 s20, 0x7f800000
	v_mov_b32_e32 v11, 0x7f800000
	v_mov_b32_e32 v12, 0x7fc00000
	;; [unrolled: 1-line block ×3, first 2 shown]
	s_mov_b32 s21, 0x33800000
	v_mov_b32_e32 v14, s1
	v_mov_b32_e32 v5, v0
.LBB202_3:                              ; =>This Inner Loop Header: Depth=1
	v_add_co_u32_e32 v1, vcc, s2, v7
	v_addc_co_u32_e32 v2, vcc, v9, v8, vcc
	global_load_dwordx4 v[1:4], v[1:2], off
	s_waitcnt vmcnt(0)
	v_add_f32_e32 v17, 1.0, v1
	v_add_f32_e32 v15, -1.0, v17
	v_sub_f32_e32 v16, v15, v17
	v_add_f32_e32 v16, 1.0, v16
	v_sub_f32_e32 v15, v1, v15
	v_add_f32_e32 v18, v15, v16
	v_frexp_mant_f32_e32 v15, v17
	v_cmp_gt_f32_e32 vcc, s18, v15
	v_cvt_f64_f32_e32 v[15:16], v17
	v_frexp_exp_i32_f64_e32 v15, v[15:16]
	v_subbrev_co_u32_e32 v15, vcc, 0, v15, vcc
	v_sub_u32_e32 v16, 0, v15
	v_ldexp_f32 v17, v17, v16
	v_ldexp_f32 v16, v18, v16
	v_add_f32_e32 v18, -1.0, v17
	v_add_f32_e32 v19, 1.0, v18
	v_sub_f32_e32 v19, v17, v19
	v_add_f32_e32 v19, v16, v19
	v_add_f32_e32 v20, v18, v19
	v_sub_f32_e32 v18, v20, v18
	v_sub_f32_e32 v18, v19, v18
	v_add_f32_e32 v19, 1.0, v17
	v_add_f32_e32 v21, -1.0, v19
	v_sub_f32_e32 v17, v17, v21
	v_add_f32_e32 v16, v16, v17
	v_add_f32_e32 v17, v19, v16
	v_sub_f32_e32 v19, v17, v19
	v_sub_f32_e32 v16, v16, v19
	v_rcp_f32_e32 v19, v17
	v_cvt_f32_i32_e32 v15, v15
	v_cmp_neq_f32_e32 vcc, s20, v1
	v_mul_f32_e32 v21, v20, v19
	v_mul_f32_e32 v22, v17, v21
	v_fma_f32 v23, v21, v17, -v22
	v_fmac_f32_e32 v23, v21, v16
	v_add_f32_e32 v24, v22, v23
	v_sub_f32_e32 v25, v20, v24
	v_sub_f32_e32 v20, v20, v25
	;; [unrolled: 1-line block ×4, first 2 shown]
	v_add_f32_e32 v18, v18, v20
	v_sub_f32_e32 v20, v22, v23
	v_add_f32_e32 v18, v20, v18
	v_add_f32_e32 v20, v25, v18
	v_mul_f32_e32 v22, v19, v20
	v_mul_f32_e32 v23, v17, v22
	v_fma_f32 v17, v22, v17, -v23
	v_fmac_f32_e32 v17, v22, v16
	v_sub_f32_e32 v16, v25, v20
	v_add_f32_e32 v16, v18, v16
	v_add_f32_e32 v18, v23, v17
	v_sub_f32_e32 v24, v20, v18
	v_sub_f32_e32 v20, v20, v24
	;; [unrolled: 1-line block ×4, first 2 shown]
	v_add_f32_e32 v16, v16, v18
	v_sub_f32_e32 v17, v23, v17
	v_add_f32_e32 v16, v17, v16
	v_add_f32_e32 v17, v21, v22
	v_add_f32_e32 v16, v24, v16
	v_sub_f32_e32 v18, v17, v21
	v_mul_f32_e32 v16, v19, v16
	v_sub_f32_e32 v18, v22, v18
	v_add_f32_e32 v16, v18, v16
	v_mul_f32_e32 v21, 0x3f317218, v15
	v_add_f32_e32 v18, v17, v16
	v_fma_f32 v22, v15, s19, -v21
	v_mul_f32_e32 v19, v18, v18
	v_mov_b32_e32 v20, 0x3ecc95a3
	v_fmac_f32_e32 v22, 0xb102e308, v15
	v_sub_f32_e32 v15, v18, v17
	v_fmac_f32_e32 v20, 0x3e9b6dac, v19
	v_sub_f32_e32 v15, v16, v15
	v_add_f32_e32 v16, v21, v22
	v_fma_f32 v20, v19, v20, v10
	v_sub_f32_e32 v17, v16, v21
	v_ldexp_f32 v21, v18, 1
	v_mul_f32_e32 v18, v18, v19
	v_mul_f32_e32 v18, v18, v20
	v_add_f32_e32 v19, v21, v18
	v_sub_f32_e32 v20, v19, v21
	v_ldexp_f32 v15, v15, 1
	v_sub_f32_e32 v18, v18, v20
	v_add_f32_e32 v15, v15, v18
	v_add_f32_e32 v18, v19, v15
	v_sub_f32_e32 v19, v18, v19
	v_sub_f32_e32 v15, v15, v19
	v_add_f32_e32 v19, v16, v18
	v_sub_f32_e32 v20, v19, v16
	v_sub_f32_e32 v21, v19, v20
	;; [unrolled: 1-line block ×5, first 2 shown]
	v_add_f32_e32 v16, v18, v16
	v_add_f32_e32 v18, v17, v15
	v_sub_f32_e32 v20, v18, v17
	v_sub_f32_e32 v21, v18, v20
	v_sub_f32_e32 v17, v17, v21
	v_sub_f32_e32 v15, v15, v20
	v_add_f32_e32 v16, v18, v16
	v_add_f32_e32 v15, v15, v17
	;; [unrolled: 1-line block ×3, first 2 shown]
	v_sub_f32_e32 v18, v17, v19
	v_sub_f32_e32 v16, v16, v18
	v_add_f32_e32 v15, v15, v16
	v_add_f32_e32 v15, v17, v15
	v_cndmask_b32_e32 v15, v11, v15, vcc
	v_cmp_ngt_f32_e32 vcc, -1.0, v1
	v_cndmask_b32_e32 v15, v12, v15, vcc
	v_cmp_neq_f32_e32 vcc, -1.0, v1
	v_cndmask_b32_e32 v15, v13, v15, vcc
	v_cmp_lt_f32_e64 vcc, |v1|, s21
	v_add_f32_e32 v17, 1.0, v2
	v_cndmask_b32_e32 v1, v15, v1, vcc
	v_add_f32_e32 v15, -1.0, v17
	v_sub_f32_e32 v16, v15, v17
	v_add_f32_e32 v16, 1.0, v16
	v_sub_f32_e32 v15, v2, v15
	v_add_f32_e32 v18, v15, v16
	v_frexp_mant_f32_e32 v15, v17
	v_cmp_gt_f32_e32 vcc, s18, v15
	v_cvt_f64_f32_e32 v[15:16], v17
	v_frexp_exp_i32_f64_e32 v15, v[15:16]
	v_subbrev_co_u32_e32 v15, vcc, 0, v15, vcc
	v_sub_u32_e32 v16, 0, v15
	v_ldexp_f32 v17, v17, v16
	v_ldexp_f32 v16, v18, v16
	v_add_f32_e32 v18, -1.0, v17
	v_add_f32_e32 v19, 1.0, v18
	v_sub_f32_e32 v19, v17, v19
	v_add_f32_e32 v19, v16, v19
	v_add_f32_e32 v20, v18, v19
	v_sub_f32_e32 v18, v20, v18
	v_sub_f32_e32 v18, v19, v18
	v_add_f32_e32 v19, 1.0, v17
	v_add_f32_e32 v21, -1.0, v19
	v_sub_f32_e32 v17, v17, v21
	v_add_f32_e32 v16, v16, v17
	v_add_f32_e32 v17, v19, v16
	v_sub_f32_e32 v19, v17, v19
	v_sub_f32_e32 v16, v16, v19
	v_rcp_f32_e32 v19, v17
	v_cvt_f32_i32_e32 v15, v15
	v_cmp_neq_f32_e32 vcc, s20, v2
	v_mul_f32_e32 v21, v20, v19
	v_mul_f32_e32 v22, v17, v21
	v_fma_f32 v23, v21, v17, -v22
	v_fmac_f32_e32 v23, v21, v16
	v_add_f32_e32 v24, v22, v23
	v_sub_f32_e32 v25, v20, v24
	v_sub_f32_e32 v20, v20, v25
	;; [unrolled: 1-line block ×4, first 2 shown]
	v_add_f32_e32 v18, v18, v20
	v_sub_f32_e32 v20, v22, v23
	v_add_f32_e32 v18, v20, v18
	v_add_f32_e32 v20, v25, v18
	v_mul_f32_e32 v22, v19, v20
	v_mul_f32_e32 v23, v17, v22
	v_fma_f32 v17, v22, v17, -v23
	v_fmac_f32_e32 v17, v22, v16
	v_sub_f32_e32 v16, v25, v20
	v_add_f32_e32 v16, v18, v16
	v_add_f32_e32 v18, v23, v17
	v_sub_f32_e32 v24, v20, v18
	v_sub_f32_e32 v20, v20, v24
	;; [unrolled: 1-line block ×4, first 2 shown]
	v_add_f32_e32 v16, v16, v18
	v_sub_f32_e32 v17, v23, v17
	v_add_f32_e32 v16, v17, v16
	v_add_f32_e32 v17, v21, v22
	;; [unrolled: 1-line block ×3, first 2 shown]
	v_sub_f32_e32 v18, v17, v21
	v_mul_f32_e32 v16, v19, v16
	v_sub_f32_e32 v18, v22, v18
	v_add_f32_e32 v16, v18, v16
	v_mul_f32_e32 v21, 0x3f317218, v15
	v_add_f32_e32 v18, v17, v16
	v_fma_f32 v22, v15, s19, -v21
	v_mul_f32_e32 v19, v18, v18
	v_mov_b32_e32 v20, 0x3ecc95a3
	v_fmac_f32_e32 v22, 0xb102e308, v15
	v_sub_f32_e32 v15, v18, v17
	v_fmac_f32_e32 v20, 0x3e9b6dac, v19
	v_sub_f32_e32 v15, v16, v15
	v_add_f32_e32 v16, v21, v22
	v_fma_f32 v20, v19, v20, v10
	v_sub_f32_e32 v17, v16, v21
	v_ldexp_f32 v21, v18, 1
	v_mul_f32_e32 v18, v18, v19
	v_mul_f32_e32 v18, v18, v20
	v_add_f32_e32 v19, v21, v18
	v_sub_f32_e32 v20, v19, v21
	v_ldexp_f32 v15, v15, 1
	v_sub_f32_e32 v18, v18, v20
	v_add_f32_e32 v15, v15, v18
	v_add_f32_e32 v18, v19, v15
	v_sub_f32_e32 v19, v18, v19
	v_sub_f32_e32 v15, v15, v19
	v_add_f32_e32 v19, v16, v18
	v_sub_f32_e32 v20, v19, v16
	v_sub_f32_e32 v21, v19, v20
	;; [unrolled: 1-line block ×5, first 2 shown]
	v_add_f32_e32 v16, v18, v16
	v_add_f32_e32 v18, v17, v15
	v_sub_f32_e32 v20, v18, v17
	v_sub_f32_e32 v21, v18, v20
	;; [unrolled: 1-line block ×4, first 2 shown]
	v_add_f32_e32 v16, v18, v16
	v_add_f32_e32 v15, v15, v17
	;; [unrolled: 1-line block ×3, first 2 shown]
	v_sub_f32_e32 v18, v17, v19
	v_sub_f32_e32 v16, v16, v18
	v_add_f32_e32 v15, v15, v16
	v_add_f32_e32 v15, v17, v15
	v_cndmask_b32_e32 v15, v11, v15, vcc
	v_cmp_ngt_f32_e32 vcc, -1.0, v2
	v_cndmask_b32_e32 v15, v12, v15, vcc
	v_cmp_neq_f32_e32 vcc, -1.0, v2
	v_cndmask_b32_e32 v15, v13, v15, vcc
	v_cmp_lt_f32_e64 vcc, |v2|, s21
	v_add_f32_e32 v17, 1.0, v3
	v_cndmask_b32_e32 v2, v15, v2, vcc
	v_add_f32_e32 v15, -1.0, v17
	v_sub_f32_e32 v16, v15, v17
	v_add_f32_e32 v16, 1.0, v16
	v_sub_f32_e32 v15, v3, v15
	v_add_f32_e32 v18, v15, v16
	v_frexp_mant_f32_e32 v15, v17
	v_cmp_gt_f32_e32 vcc, s18, v15
	v_cvt_f64_f32_e32 v[15:16], v17
	v_frexp_exp_i32_f64_e32 v15, v[15:16]
	v_subbrev_co_u32_e32 v15, vcc, 0, v15, vcc
	v_sub_u32_e32 v16, 0, v15
	v_ldexp_f32 v17, v17, v16
	v_ldexp_f32 v16, v18, v16
	v_add_f32_e32 v18, -1.0, v17
	v_add_f32_e32 v19, 1.0, v18
	v_sub_f32_e32 v19, v17, v19
	v_add_f32_e32 v19, v16, v19
	v_add_f32_e32 v20, v18, v19
	v_sub_f32_e32 v18, v20, v18
	v_sub_f32_e32 v18, v19, v18
	v_add_f32_e32 v19, 1.0, v17
	v_add_f32_e32 v21, -1.0, v19
	v_sub_f32_e32 v17, v17, v21
	v_add_f32_e32 v16, v16, v17
	v_add_f32_e32 v17, v19, v16
	v_sub_f32_e32 v19, v17, v19
	v_sub_f32_e32 v16, v16, v19
	v_rcp_f32_e32 v19, v17
	v_cvt_f32_i32_e32 v15, v15
	v_cmp_neq_f32_e32 vcc, s20, v3
	v_mul_f32_e32 v21, v20, v19
	v_mul_f32_e32 v22, v17, v21
	v_fma_f32 v23, v21, v17, -v22
	v_fmac_f32_e32 v23, v21, v16
	v_add_f32_e32 v24, v22, v23
	v_sub_f32_e32 v25, v20, v24
	v_sub_f32_e32 v20, v20, v25
	;; [unrolled: 1-line block ×4, first 2 shown]
	v_add_f32_e32 v18, v18, v20
	v_sub_f32_e32 v20, v22, v23
	v_add_f32_e32 v18, v20, v18
	v_add_f32_e32 v20, v25, v18
	v_mul_f32_e32 v22, v19, v20
	v_mul_f32_e32 v23, v17, v22
	v_fma_f32 v17, v22, v17, -v23
	v_fmac_f32_e32 v17, v22, v16
	v_sub_f32_e32 v16, v25, v20
	v_add_f32_e32 v16, v18, v16
	v_add_f32_e32 v18, v23, v17
	v_sub_f32_e32 v24, v20, v18
	v_sub_f32_e32 v20, v20, v24
	v_sub_f32_e32 v23, v18, v23
	v_sub_f32_e32 v18, v20, v18
	v_add_f32_e32 v16, v16, v18
	v_sub_f32_e32 v17, v23, v17
	v_add_f32_e32 v16, v17, v16
	v_add_f32_e32 v17, v21, v22
	;; [unrolled: 1-line block ×3, first 2 shown]
	v_sub_f32_e32 v18, v17, v21
	v_mul_f32_e32 v16, v19, v16
	v_sub_f32_e32 v18, v22, v18
	v_add_f32_e32 v16, v18, v16
	v_mul_f32_e32 v21, 0x3f317218, v15
	v_add_f32_e32 v18, v17, v16
	v_fma_f32 v22, v15, s19, -v21
	v_mul_f32_e32 v19, v18, v18
	v_mov_b32_e32 v20, 0x3ecc95a3
	v_fmac_f32_e32 v22, 0xb102e308, v15
	v_sub_f32_e32 v15, v18, v17
	v_fmac_f32_e32 v20, 0x3e9b6dac, v19
	v_sub_f32_e32 v15, v16, v15
	v_add_f32_e32 v16, v21, v22
	v_fma_f32 v20, v19, v20, v10
	v_sub_f32_e32 v17, v16, v21
	v_ldexp_f32 v21, v18, 1
	v_mul_f32_e32 v18, v18, v19
	v_mul_f32_e32 v18, v18, v20
	v_add_f32_e32 v19, v21, v18
	v_sub_f32_e32 v20, v19, v21
	v_ldexp_f32 v15, v15, 1
	v_sub_f32_e32 v18, v18, v20
	v_add_f32_e32 v15, v15, v18
	v_add_f32_e32 v18, v19, v15
	v_sub_f32_e32 v19, v18, v19
	v_sub_f32_e32 v15, v15, v19
	v_add_f32_e32 v19, v16, v18
	v_sub_f32_e32 v20, v19, v16
	v_sub_f32_e32 v21, v19, v20
	;; [unrolled: 1-line block ×5, first 2 shown]
	v_add_f32_e32 v16, v18, v16
	v_add_f32_e32 v18, v17, v15
	v_sub_f32_e32 v20, v18, v17
	v_sub_f32_e32 v21, v18, v20
	;; [unrolled: 1-line block ×4, first 2 shown]
	v_add_f32_e32 v16, v18, v16
	v_add_f32_e32 v15, v15, v17
	v_add_f32_e32 v17, v19, v16
	v_sub_f32_e32 v18, v17, v19
	v_sub_f32_e32 v16, v16, v18
	v_add_f32_e32 v15, v15, v16
	v_add_f32_e32 v15, v17, v15
	v_cndmask_b32_e32 v15, v11, v15, vcc
	v_cmp_ngt_f32_e32 vcc, -1.0, v3
	v_cndmask_b32_e32 v15, v12, v15, vcc
	v_cmp_neq_f32_e32 vcc, -1.0, v3
	v_cndmask_b32_e32 v15, v13, v15, vcc
	v_cmp_lt_f32_e64 vcc, |v3|, s21
	v_add_f32_e32 v17, 1.0, v4
	v_cndmask_b32_e32 v3, v15, v3, vcc
	v_add_f32_e32 v15, -1.0, v17
	v_sub_f32_e32 v16, v15, v17
	v_add_f32_e32 v16, 1.0, v16
	v_sub_f32_e32 v15, v4, v15
	v_add_f32_e32 v18, v15, v16
	v_frexp_mant_f32_e32 v15, v17
	v_cmp_gt_f32_e32 vcc, s18, v15
	v_cvt_f64_f32_e32 v[15:16], v17
	v_frexp_exp_i32_f64_e32 v15, v[15:16]
	v_subbrev_co_u32_e32 v15, vcc, 0, v15, vcc
	v_sub_u32_e32 v16, 0, v15
	v_ldexp_f32 v17, v17, v16
	v_ldexp_f32 v16, v18, v16
	v_add_f32_e32 v18, -1.0, v17
	v_add_f32_e32 v19, 1.0, v18
	v_sub_f32_e32 v19, v17, v19
	v_add_f32_e32 v19, v16, v19
	v_add_f32_e32 v20, v18, v19
	v_sub_f32_e32 v18, v20, v18
	v_sub_f32_e32 v18, v19, v18
	v_add_f32_e32 v19, 1.0, v17
	v_add_f32_e32 v21, -1.0, v19
	v_sub_f32_e32 v17, v17, v21
	v_add_f32_e32 v16, v16, v17
	v_add_f32_e32 v17, v19, v16
	v_sub_f32_e32 v19, v17, v19
	v_sub_f32_e32 v16, v16, v19
	v_rcp_f32_e32 v19, v17
	v_cvt_f32_i32_e32 v15, v15
	v_cmp_neq_f32_e32 vcc, s20, v4
	v_mul_f32_e32 v21, v20, v19
	v_mul_f32_e32 v22, v17, v21
	v_fma_f32 v23, v21, v17, -v22
	v_fmac_f32_e32 v23, v21, v16
	v_add_f32_e32 v24, v22, v23
	v_sub_f32_e32 v25, v20, v24
	v_sub_f32_e32 v20, v20, v25
	;; [unrolled: 1-line block ×4, first 2 shown]
	v_add_f32_e32 v18, v18, v20
	v_sub_f32_e32 v20, v22, v23
	v_add_f32_e32 v18, v20, v18
	v_add_f32_e32 v20, v25, v18
	v_mul_f32_e32 v22, v19, v20
	v_mul_f32_e32 v23, v17, v22
	v_fma_f32 v17, v22, v17, -v23
	v_fmac_f32_e32 v17, v22, v16
	v_sub_f32_e32 v16, v25, v20
	v_add_f32_e32 v16, v18, v16
	v_add_f32_e32 v18, v23, v17
	v_sub_f32_e32 v24, v20, v18
	v_sub_f32_e32 v20, v20, v24
	;; [unrolled: 1-line block ×4, first 2 shown]
	v_add_f32_e32 v16, v16, v18
	v_sub_f32_e32 v17, v23, v17
	v_add_f32_e32 v16, v17, v16
	v_add_f32_e32 v17, v21, v22
	;; [unrolled: 1-line block ×3, first 2 shown]
	v_sub_f32_e32 v18, v17, v21
	v_mul_f32_e32 v16, v19, v16
	v_sub_f32_e32 v18, v22, v18
	v_add_f32_e32 v16, v18, v16
	v_mul_f32_e32 v21, 0x3f317218, v15
	v_add_f32_e32 v18, v17, v16
	v_fma_f32 v22, v15, s19, -v21
	v_mul_f32_e32 v19, v18, v18
	v_mov_b32_e32 v20, 0x3ecc95a3
	v_fmac_f32_e32 v22, 0xb102e308, v15
	v_sub_f32_e32 v15, v18, v17
	v_fmac_f32_e32 v20, 0x3e9b6dac, v19
	v_sub_f32_e32 v15, v16, v15
	v_add_f32_e32 v16, v21, v22
	v_fma_f32 v20, v19, v20, v10
	v_sub_f32_e32 v17, v16, v21
	v_ldexp_f32 v21, v18, 1
	v_mul_f32_e32 v18, v18, v19
	v_mul_f32_e32 v18, v18, v20
	v_add_f32_e32 v19, v21, v18
	v_sub_f32_e32 v20, v19, v21
	v_ldexp_f32 v15, v15, 1
	v_sub_f32_e32 v18, v18, v20
	v_add_f32_e32 v15, v15, v18
	v_add_f32_e32 v18, v19, v15
	v_sub_f32_e32 v19, v18, v19
	v_sub_f32_e32 v15, v15, v19
	v_add_f32_e32 v19, v16, v18
	v_sub_f32_e32 v20, v19, v16
	v_sub_f32_e32 v21, v19, v20
	;; [unrolled: 1-line block ×5, first 2 shown]
	v_add_f32_e32 v16, v18, v16
	v_add_f32_e32 v18, v17, v15
	v_sub_f32_e32 v20, v18, v17
	v_sub_f32_e32 v21, v18, v20
	;; [unrolled: 1-line block ×4, first 2 shown]
	v_add_f32_e32 v16, v18, v16
	v_add_f32_e32 v15, v15, v17
	;; [unrolled: 1-line block ×3, first 2 shown]
	v_sub_f32_e32 v18, v17, v19
	v_sub_f32_e32 v16, v16, v18
	v_add_f32_e32 v15, v15, v16
	v_add_f32_e32 v15, v17, v15
	v_cndmask_b32_e32 v15, v11, v15, vcc
	v_cmp_ngt_f32_e32 vcc, -1.0, v4
	v_cndmask_b32_e32 v15, v12, v15, vcc
	v_cmp_neq_f32_e32 vcc, -1.0, v4
	v_cndmask_b32_e32 v15, v13, v15, vcc
	v_cmp_lt_f32_e64 vcc, |v4|, s21
	v_cndmask_b32_e32 v4, v15, v4, vcc
	v_add_co_u32_e32 v15, vcc, s0, v7
	v_addc_co_u32_e32 v16, vcc, v14, v8, vcc
	v_add_co_u32_e32 v5, vcc, s16, v5
	v_addc_co_u32_e32 v6, vcc, 0, v6, vcc
	global_store_dwordx4 v[15:16], v[1:4], off
	v_add_co_u32_e32 v7, vcc, s17, v7
	v_lshlrev_b64 v[1:2], 2, v[5:6]
	v_addc_co_u32_e32 v8, vcc, 0, v8, vcc
	v_cmp_le_i64_e32 vcc, s[10:11], v[1:2]
	s_or_b64 s[14:15], vcc, s[14:15]
	s_andn2_b64 exec, exec, s[14:15]
	s_cbranch_execnz .LBB202_3
.LBB202_4:
	s_or_b64 exec, exec, s[12:13]
	s_mov_b64 s[10:11], 0
.LBB202_5:
	s_andn2_b64 vcc, exec, s[10:11]
	s_cbranch_vccnz .LBB202_25
; %bb.6:
	v_cmp_lt_i64_e64 s[10:11], s[6:7], 1
	s_and_b64 vcc, exec, s[10:11]
	s_cbranch_vccnz .LBB202_25
; %bb.7:
	v_mov_b32_e32 v1, 0x10000
	s_load_dword s12, s[4:5], 0xc5c
	v_mov_b32_e32 v2, 0
	v_cmp_lt_i64_e32 vcc, s[6:7], v[1:2]
	v_mov_b32_e32 v10, 0
	s_and_b64 s[4:5], vcc, exec
	v_cmp_lt_u64_e32 vcc, s[6:7], v[1:2]
	s_cselect_b32 s11, s7, 0
	s_cselect_b32 s10, s6, 0x10000
	s_waitcnt lgkmcnt(0)
	s_and_b32 s14, s12, 0xffff
	v_lshlrev_b32_e32 v9, 2, v0
	s_and_b64 s[4:5], vcc, exec
	v_mov_b32_e32 v2, s3
	v_add_co_u32_e32 v1, vcc, s2, v9
	v_mad_u64_u32 v[7:8], s[4:5], s14, 12, v[9:10]
	v_addc_co_u32_e32 v2, vcc, 0, v2, vcc
	v_mov_b32_e32 v4, s1
	v_add_co_u32_e32 v3, vcc, s0, v9
	v_addc_co_u32_e32 v4, vcc, 0, v4, vcc
	v_mov_b32_e32 v6, s3
	v_add_co_u32_e32 v5, vcc, s2, v7
	;; [unrolled: 3-line block ×3, first 2 shown]
	s_cselect_b32 s13, s7, 0
	s_cselect_b32 s12, s6, 0x10000
	v_addc_co_u32_e32 v8, vcc, v10, v8, vcc
	s_lshl_b32 s4, s14, 3
	v_add_co_u32_e32 v11, vcc, s4, v9
	v_addc_co_u32_e64 v12, s[4:5], 0, 0, vcc
	v_mov_b32_e32 v10, s3
	v_add_co_u32_e32 v9, vcc, s2, v11
	v_addc_co_u32_e32 v10, vcc, v10, v12, vcc
	v_mov_b32_e32 v13, s1
	v_add_co_u32_e32 v11, vcc, s0, v11
	v_addc_co_u32_e32 v12, vcc, v13, v12, vcc
	v_add_co_u32_e32 v13, vcc, s14, v0
	v_lshlrev_b32_e32 v17, 2, v13
	v_addc_co_u32_e64 v14, s[4:5], 0, 0, vcc
	v_mov_b32_e32 v16, s3
	v_add_co_u32_e32 v15, vcc, s2, v17
	v_addc_co_u32_e32 v16, vcc, 0, v16, vcc
	v_mov_b32_e32 v18, s1
	v_add_co_u32_e32 v17, vcc, s0, v17
	s_mul_i32 s7, s14, 3
	v_addc_co_u32_e32 v18, vcc, 0, v18, vcc
	s_lshl_b32 s6, s14, 1
	v_add_co_u32_e32 v19, vcc, s7, v0
	v_addc_co_u32_e64 v20, s[0:1], 0, 0, vcc
	v_add_co_u32_e32 v21, vcc, s6, v0
	s_lshl_b32 s18, s14, 2
	s_lshl_b32 s19, s14, 4
	s_mov_b64 s[14:15], 0
	s_mov_b32 s20, 0x33800000
	s_mov_b32 s21, 0x3f2aaaab
	;; [unrolled: 1-line block ×4, first 2 shown]
	v_addc_co_u32_e64 v22, s[0:1], 0, 0, vcc
	v_mov_b32_e32 v23, 0x3f2aaada
	v_mov_b32_e32 v24, 0x7f800000
	;; [unrolled: 1-line block ×4, first 2 shown]
	s_branch .LBB202_9
.LBB202_8:                              ;   in Loop: Header=BB202_9 Depth=1
	s_or_b64 exec, exec, s[0:1]
	v_add_co_u32_e32 v1, vcc, s19, v1
	v_addc_co_u32_e32 v2, vcc, 0, v2, vcc
	v_add_co_u32_e32 v3, vcc, s19, v3
	v_addc_co_u32_e32 v4, vcc, 0, v4, vcc
	;; [unrolled: 2-line block ×6, first 2 shown]
	s_add_u32 s14, s14, s18
	v_add_co_u32_e32 v15, vcc, s19, v15
	s_waitcnt vmcnt(0)
	v_mov_b32_e32 v28, s11
	s_addc_u32 s15, s15, 0
	v_addc_co_u32_e32 v16, vcc, 0, v16, vcc
	v_mov_b32_e32 v27, s10
	v_cmp_ge_i64_e32 vcc, s[14:15], v[27:28]
	v_add_co_u32_e64 v17, s[0:1], s19, v17
	v_addc_co_u32_e64 v18, s[0:1], 0, v18, s[0:1]
	s_cbranch_vccnz .LBB202_25
.LBB202_9:                              ; =>This Inner Loop Header: Depth=1
	v_mov_b32_e32 v28, s15
	v_add_co_u32_e32 v27, vcc, s14, v0
	v_addc_co_u32_e32 v28, vcc, 0, v28, vcc
	v_cmp_gt_u64_e64 s[4:5], s[12:13], v[27:28]
	v_mov_b32_e32 v30, 0
	s_and_saveexec_b64 s[0:1], s[4:5]
	s_cbranch_execz .LBB202_11
; %bb.10:                               ;   in Loop: Header=BB202_9 Depth=1
	v_mov_b32_e32 v28, s9
	v_add_co_u32_e32 v27, vcc, s8, v1
	v_addc_co_u32_e32 v28, vcc, v2, v28, vcc
	global_load_dword v30, v[27:28], off
.LBB202_11:                             ;   in Loop: Header=BB202_9 Depth=1
	s_or_b64 exec, exec, s[0:1]
	v_mov_b32_e32 v28, s15
	v_add_co_u32_e32 v27, vcc, s14, v13
	v_addc_co_u32_e32 v28, vcc, v14, v28, vcc
	v_cmp_gt_u64_e64 s[2:3], s[12:13], v[27:28]
	v_mov_b32_e32 v28, 0
	v_mov_b32_e32 v29, 0
	s_and_saveexec_b64 s[0:1], s[2:3]
	s_cbranch_execz .LBB202_13
; %bb.12:                               ;   in Loop: Header=BB202_9 Depth=1
	v_mov_b32_e32 v27, s9
	v_add_co_u32_e32 v31, vcc, s8, v15
	v_addc_co_u32_e32 v32, vcc, v16, v27, vcc
	global_load_dword v29, v[31:32], off
.LBB202_13:                             ;   in Loop: Header=BB202_9 Depth=1
	s_or_b64 exec, exec, s[0:1]
	v_mov_b32_e32 v27, s15
	v_add_co_u32_e32 v31, vcc, s14, v21
	v_addc_co_u32_e32 v32, vcc, v22, v27, vcc
	v_cmp_gt_u64_e64 s[0:1], s[12:13], v[31:32]
	s_and_saveexec_b64 s[6:7], s[0:1]
	s_cbranch_execz .LBB202_15
; %bb.14:                               ;   in Loop: Header=BB202_9 Depth=1
	v_mov_b32_e32 v28, s9
	v_add_co_u32_e32 v27, vcc, s8, v9
	v_addc_co_u32_e32 v28, vcc, v10, v28, vcc
	global_load_dword v28, v[27:28], off
.LBB202_15:                             ;   in Loop: Header=BB202_9 Depth=1
	s_or_b64 exec, exec, s[6:7]
	v_mov_b32_e32 v27, s15
	v_add_co_u32_e32 v31, vcc, s14, v19
	v_addc_co_u32_e32 v32, vcc, v20, v27, vcc
	v_cmp_gt_u64_e32 vcc, s[12:13], v[31:32]
	v_mov_b32_e32 v27, 0
	s_and_saveexec_b64 s[16:17], vcc
	s_cbranch_execnz .LBB202_20
; %bb.16:                               ;   in Loop: Header=BB202_9 Depth=1
	s_or_b64 exec, exec, s[16:17]
	s_and_saveexec_b64 s[6:7], s[4:5]
	s_cbranch_execnz .LBB202_21
.LBB202_17:                             ;   in Loop: Header=BB202_9 Depth=1
	s_or_b64 exec, exec, s[6:7]
	s_and_saveexec_b64 s[4:5], s[2:3]
	s_cbranch_execnz .LBB202_22
.LBB202_18:                             ;   in Loop: Header=BB202_9 Depth=1
	s_or_b64 exec, exec, s[4:5]
	s_and_saveexec_b64 s[2:3], s[0:1]
	s_cbranch_execnz .LBB202_23
.LBB202_19:                             ;   in Loop: Header=BB202_9 Depth=1
	s_or_b64 exec, exec, s[2:3]
	s_and_saveexec_b64 s[0:1], vcc
	s_cbranch_execz .LBB202_8
	s_branch .LBB202_24
.LBB202_20:                             ;   in Loop: Header=BB202_9 Depth=1
	v_mov_b32_e32 v27, s9
	v_add_co_u32_e64 v31, s[6:7], s8, v5
	v_addc_co_u32_e64 v32, s[6:7], v6, v27, s[6:7]
	global_load_dword v27, v[31:32], off
	s_or_b64 exec, exec, s[16:17]
	s_and_saveexec_b64 s[6:7], s[4:5]
	s_cbranch_execz .LBB202_17
.LBB202_21:                             ;   in Loop: Header=BB202_9 Depth=1
	s_waitcnt vmcnt(0)
	v_add_f32_e32 v33, 1.0, v30
	v_cvt_f64_f32_e32 v[31:32], v33
	v_frexp_mant_f32_e32 v34, v33
	v_cmp_gt_f32_e64 s[4:5], s21, v34
	v_frexp_exp_i32_f64_e32 v31, v[31:32]
	v_add_f32_e32 v32, -1.0, v33
	v_sub_f32_e32 v35, v30, v32
	v_sub_f32_e32 v32, v32, v33
	v_add_f32_e32 v32, 1.0, v32
	v_add_f32_e32 v32, v35, v32
	v_subbrev_co_u32_e64 v31, s[4:5], 0, v31, s[4:5]
	v_cvt_f32_i32_e32 v34, v31
	v_sub_u32_e32 v31, 0, v31
	v_ldexp_f32 v33, v33, v31
	v_add_f32_e32 v38, 1.0, v33
	v_add_f32_e32 v39, -1.0, v38
	v_ldexp_f32 v31, v32, v31
	v_sub_f32_e32 v39, v33, v39
	v_add_f32_e32 v39, v31, v39
	v_add_f32_e32 v32, -1.0, v33
	v_add_f32_e32 v40, v38, v39
	v_add_f32_e32 v35, 1.0, v32
	v_rcp_f32_e32 v41, v40
	v_sub_f32_e32 v33, v33, v35
	v_add_f32_e32 v31, v31, v33
	v_add_f32_e32 v33, v32, v31
	v_mul_f32_e32 v35, v33, v41
	v_mul_f32_e32 v42, v40, v35
	v_sub_f32_e32 v38, v40, v38
	v_sub_f32_e32 v38, v39, v38
	v_fma_f32 v39, v35, v40, -v42
	v_fmac_f32_e32 v39, v35, v38
	v_add_f32_e32 v43, v42, v39
	v_sub_f32_e32 v44, v33, v43
	v_sub_f32_e32 v32, v33, v32
	;; [unrolled: 1-line block ×7, first 2 shown]
	v_add_f32_e32 v31, v31, v32
	v_add_f32_e32 v31, v39, v31
	;; [unrolled: 1-line block ×3, first 2 shown]
	v_mul_f32_e32 v33, v41, v32
	v_mul_f32_e32 v42, v40, v33
	v_add_f32_e32 v39, v35, v33
	v_fma_f32 v40, v33, v40, -v42
	v_sub_f32_e32 v35, v39, v35
	v_fmac_f32_e32 v40, v33, v38
	v_sub_f32_e32 v35, v33, v35
	v_add_f32_e32 v33, v42, v40
	v_sub_f32_e32 v38, v32, v33
	v_sub_f32_e32 v42, v33, v42
	;; [unrolled: 1-line block ×5, first 2 shown]
	v_add_f32_e32 v31, v31, v42
	v_sub_f32_e32 v32, v32, v33
	v_add_f32_e32 v31, v31, v32
	v_add_f32_e32 v31, v40, v31
	;; [unrolled: 1-line block ×3, first 2 shown]
	v_mul_f32_e32 v31, v41, v31
	v_add_f32_e32 v31, v35, v31
	v_add_f32_e32 v32, v39, v31
	v_mul_f32_e32 v35, v32, v32
	v_mov_b32_e32 v40, 0x3ecc95a3
	v_fmac_f32_e32 v40, 0x3e9b6dac, v35
	v_mul_f32_e32 v38, v32, v35
	v_fma_f32 v35, v35, v40, v23
	v_ldexp_f32 v33, v32, 1
	v_mul_f32_e32 v35, v38, v35
	v_add_f32_e32 v38, v33, v35
	v_sub_f32_e32 v32, v32, v39
	v_mul_f32_e32 v36, 0x3f317218, v34
	v_sub_f32_e32 v31, v31, v32
	v_sub_f32_e32 v32, v38, v33
	v_fma_f32 v37, v34, s22, -v36
	v_ldexp_f32 v31, v31, 1
	v_sub_f32_e32 v32, v35, v32
	v_fmac_f32_e32 v37, 0xb102e308, v34
	v_add_f32_e32 v31, v31, v32
	v_add_f32_e32 v34, v36, v37
	;; [unrolled: 1-line block ×4, first 2 shown]
	v_sub_f32_e32 v35, v34, v36
	v_sub_f32_e32 v35, v37, v35
	v_sub_f32_e32 v37, v33, v34
	v_sub_f32_e32 v36, v32, v38
	v_sub_f32_e32 v32, v32, v37
	v_sub_f32_e32 v37, v33, v37
	v_sub_f32_e32 v31, v31, v36
	v_sub_f32_e32 v34, v34, v37
	v_add_f32_e32 v36, v35, v31
	v_add_f32_e32 v32, v32, v34
	;; [unrolled: 1-line block ×3, first 2 shown]
	v_sub_f32_e32 v37, v36, v35
	v_add_f32_e32 v34, v33, v32
	v_sub_f32_e32 v36, v36, v37
	v_sub_f32_e32 v31, v31, v37
	;; [unrolled: 1-line block ×4, first 2 shown]
	v_add_f32_e32 v31, v31, v35
	v_sub_f32_e32 v32, v32, v33
	v_add_f32_e32 v31, v31, v32
	v_add_f32_e32 v31, v34, v31
	v_cmp_neq_f32_e64 s[4:5], s23, v30
	v_cndmask_b32_e64 v31, v24, v31, s[4:5]
	v_cmp_ngt_f32_e64 s[4:5], -1.0, v30
	v_cndmask_b32_e64 v31, v25, v31, s[4:5]
	v_cmp_neq_f32_e64 s[4:5], -1.0, v30
	v_cndmask_b32_e64 v31, v26, v31, s[4:5]
	v_cmp_lt_f32_e64 s[4:5], |v30|, s20
	v_cndmask_b32_e64 v32, v31, v30, s[4:5]
	v_mov_b32_e32 v31, s9
	v_add_co_u32_e64 v30, s[4:5], s8, v3
	v_addc_co_u32_e64 v31, s[4:5], v4, v31, s[4:5]
	global_store_dword v[30:31], v32, off
	s_or_b64 exec, exec, s[6:7]
	s_and_saveexec_b64 s[4:5], s[2:3]
	s_cbranch_execz .LBB202_18
.LBB202_22:                             ;   in Loop: Header=BB202_9 Depth=1
	s_waitcnt vmcnt(0)
	v_add_f32_e32 v32, 1.0, v29
	v_cvt_f64_f32_e32 v[30:31], v32
	v_add_f32_e32 v33, -1.0, v32
	v_sub_f32_e32 v34, v33, v32
	v_sub_f32_e32 v33, v29, v33
	v_frexp_exp_i32_f64_e32 v30, v[30:31]
	v_frexp_mant_f32_e32 v31, v32
	v_cmp_gt_f32_e64 s[2:3], s21, v31
	v_add_f32_e32 v34, 1.0, v34
	v_add_f32_e32 v33, v33, v34
	v_subbrev_co_u32_e64 v30, s[2:3], 0, v30, s[2:3]
	v_sub_u32_e32 v31, 0, v30
	v_ldexp_f32 v32, v32, v31
	v_ldexp_f32 v31, v33, v31
	v_add_f32_e32 v33, -1.0, v32
	v_add_f32_e32 v34, 1.0, v32
	v_add_f32_e32 v35, 1.0, v33
	v_add_f32_e32 v37, -1.0, v34
	v_sub_f32_e32 v35, v32, v35
	v_sub_f32_e32 v32, v32, v37
	v_add_f32_e32 v35, v31, v35
	v_add_f32_e32 v31, v31, v32
	v_add_f32_e32 v32, v34, v31
	v_rcp_f32_e32 v37, v32
	v_add_f32_e32 v36, v33, v35
	v_sub_f32_e32 v34, v32, v34
	v_sub_f32_e32 v33, v36, v33
	;; [unrolled: 1-line block ×3, first 2 shown]
	v_mul_f32_e32 v34, v36, v37
	v_sub_f32_e32 v33, v35, v33
	v_mul_f32_e32 v35, v32, v34
	v_fma_f32 v38, v34, v32, -v35
	v_fmac_f32_e32 v38, v34, v31
	v_add_f32_e32 v39, v35, v38
	v_sub_f32_e32 v40, v36, v39
	v_sub_f32_e32 v36, v36, v40
	;; [unrolled: 1-line block ×4, first 2 shown]
	v_add_f32_e32 v33, v33, v36
	v_sub_f32_e32 v35, v35, v38
	v_add_f32_e32 v33, v35, v33
	v_add_f32_e32 v35, v40, v33
	v_mul_f32_e32 v36, v37, v35
	v_mul_f32_e32 v38, v32, v36
	v_fma_f32 v32, v36, v32, -v38
	v_fmac_f32_e32 v32, v36, v31
	v_sub_f32_e32 v31, v40, v35
	v_add_f32_e32 v31, v33, v31
	v_add_f32_e32 v33, v38, v32
	v_sub_f32_e32 v39, v35, v33
	v_sub_f32_e32 v35, v35, v39
	;; [unrolled: 1-line block ×4, first 2 shown]
	v_add_f32_e32 v31, v31, v33
	v_sub_f32_e32 v32, v38, v32
	v_cvt_f32_i32_e32 v30, v30
	v_add_f32_e32 v31, v32, v31
	v_add_f32_e32 v32, v34, v36
	;; [unrolled: 1-line block ×3, first 2 shown]
	v_sub_f32_e32 v33, v32, v34
	v_mul_f32_e32 v31, v37, v31
	v_sub_f32_e32 v33, v36, v33
	v_add_f32_e32 v31, v33, v31
	v_mul_f32_e32 v36, 0x3f317218, v30
	v_add_f32_e32 v33, v32, v31
	v_fma_f32 v37, v30, s22, -v36
	v_mul_f32_e32 v34, v33, v33
	v_mov_b32_e32 v35, 0x3ecc95a3
	v_fmac_f32_e32 v37, 0xb102e308, v30
	v_sub_f32_e32 v30, v33, v32
	v_fmac_f32_e32 v35, 0x3e9b6dac, v34
	v_sub_f32_e32 v30, v31, v30
	v_add_f32_e32 v31, v36, v37
	v_fma_f32 v35, v34, v35, v23
	v_sub_f32_e32 v32, v31, v36
	v_ldexp_f32 v36, v33, 1
	v_mul_f32_e32 v33, v33, v34
	v_mul_f32_e32 v33, v33, v35
	v_add_f32_e32 v34, v36, v33
	v_sub_f32_e32 v35, v34, v36
	v_ldexp_f32 v30, v30, 1
	v_sub_f32_e32 v33, v33, v35
	v_add_f32_e32 v30, v30, v33
	v_add_f32_e32 v33, v34, v30
	v_sub_f32_e32 v34, v33, v34
	v_sub_f32_e32 v30, v30, v34
	v_add_f32_e32 v34, v31, v33
	v_sub_f32_e32 v35, v34, v31
	v_sub_f32_e32 v36, v34, v35
	;; [unrolled: 1-line block ×5, first 2 shown]
	v_add_f32_e32 v31, v33, v31
	v_add_f32_e32 v33, v32, v30
	v_sub_f32_e32 v35, v33, v32
	v_sub_f32_e32 v36, v33, v35
	v_sub_f32_e32 v32, v32, v36
	v_sub_f32_e32 v30, v30, v35
	v_add_f32_e32 v31, v33, v31
	v_add_f32_e32 v30, v30, v32
	;; [unrolled: 1-line block ×3, first 2 shown]
	v_sub_f32_e32 v33, v32, v34
	v_sub_f32_e32 v31, v31, v33
	v_add_f32_e32 v30, v30, v31
	v_add_f32_e32 v30, v32, v30
	v_cmp_neq_f32_e64 s[2:3], s23, v29
	v_cndmask_b32_e64 v30, v24, v30, s[2:3]
	v_cmp_ngt_f32_e64 s[2:3], -1.0, v29
	v_cndmask_b32_e64 v30, v25, v30, s[2:3]
	v_cmp_neq_f32_e64 s[2:3], -1.0, v29
	v_cndmask_b32_e64 v30, v26, v30, s[2:3]
	v_cmp_lt_f32_e64 s[2:3], |v29|, s20
	v_cndmask_b32_e64 v31, v30, v29, s[2:3]
	v_mov_b32_e32 v30, s9
	v_add_co_u32_e64 v29, s[2:3], s8, v17
	v_addc_co_u32_e64 v30, s[2:3], v18, v30, s[2:3]
	global_store_dword v[29:30], v31, off
	s_or_b64 exec, exec, s[4:5]
	s_and_saveexec_b64 s[2:3], s[0:1]
	s_cbranch_execz .LBB202_19
.LBB202_23:                             ;   in Loop: Header=BB202_9 Depth=1
	s_waitcnt vmcnt(0)
	v_add_f32_e32 v31, 1.0, v28
	v_cvt_f64_f32_e32 v[29:30], v31
	v_add_f32_e32 v32, -1.0, v31
	v_sub_f32_e32 v33, v32, v31
	v_sub_f32_e32 v32, v28, v32
	v_frexp_exp_i32_f64_e32 v29, v[29:30]
	v_frexp_mant_f32_e32 v30, v31
	v_cmp_gt_f32_e64 s[0:1], s21, v30
	v_add_f32_e32 v33, 1.0, v33
	v_add_f32_e32 v32, v32, v33
	v_subbrev_co_u32_e64 v29, s[0:1], 0, v29, s[0:1]
	v_sub_u32_e32 v30, 0, v29
	v_ldexp_f32 v31, v31, v30
	v_ldexp_f32 v30, v32, v30
	v_add_f32_e32 v32, -1.0, v31
	v_add_f32_e32 v33, 1.0, v31
	v_add_f32_e32 v34, 1.0, v32
	v_add_f32_e32 v36, -1.0, v33
	v_sub_f32_e32 v34, v31, v34
	v_sub_f32_e32 v31, v31, v36
	v_add_f32_e32 v34, v30, v34
	v_add_f32_e32 v30, v30, v31
	;; [unrolled: 1-line block ×3, first 2 shown]
	v_rcp_f32_e32 v36, v31
	v_add_f32_e32 v35, v32, v34
	v_sub_f32_e32 v33, v31, v33
	v_sub_f32_e32 v32, v35, v32
	;; [unrolled: 1-line block ×3, first 2 shown]
	v_mul_f32_e32 v33, v35, v36
	v_sub_f32_e32 v32, v34, v32
	v_mul_f32_e32 v34, v31, v33
	v_fma_f32 v37, v33, v31, -v34
	v_fmac_f32_e32 v37, v33, v30
	v_add_f32_e32 v38, v34, v37
	v_sub_f32_e32 v39, v35, v38
	v_sub_f32_e32 v35, v35, v39
	;; [unrolled: 1-line block ×4, first 2 shown]
	v_add_f32_e32 v32, v32, v35
	v_sub_f32_e32 v34, v34, v37
	v_add_f32_e32 v32, v34, v32
	v_add_f32_e32 v34, v39, v32
	v_mul_f32_e32 v35, v36, v34
	v_mul_f32_e32 v37, v31, v35
	v_fma_f32 v31, v35, v31, -v37
	v_fmac_f32_e32 v31, v35, v30
	v_sub_f32_e32 v30, v39, v34
	v_add_f32_e32 v30, v32, v30
	v_add_f32_e32 v32, v37, v31
	v_sub_f32_e32 v38, v34, v32
	v_sub_f32_e32 v34, v34, v38
	;; [unrolled: 1-line block ×4, first 2 shown]
	v_add_f32_e32 v30, v30, v32
	v_sub_f32_e32 v31, v37, v31
	v_cvt_f32_i32_e32 v29, v29
	v_add_f32_e32 v30, v31, v30
	v_add_f32_e32 v31, v33, v35
	;; [unrolled: 1-line block ×3, first 2 shown]
	v_sub_f32_e32 v32, v31, v33
	v_mul_f32_e32 v30, v36, v30
	v_sub_f32_e32 v32, v35, v32
	v_add_f32_e32 v30, v32, v30
	v_mul_f32_e32 v35, 0x3f317218, v29
	v_add_f32_e32 v32, v31, v30
	v_fma_f32 v36, v29, s22, -v35
	v_mul_f32_e32 v33, v32, v32
	v_mov_b32_e32 v34, 0x3ecc95a3
	v_fmac_f32_e32 v36, 0xb102e308, v29
	v_sub_f32_e32 v29, v32, v31
	v_fmac_f32_e32 v34, 0x3e9b6dac, v33
	v_sub_f32_e32 v29, v30, v29
	v_add_f32_e32 v30, v35, v36
	v_fma_f32 v34, v33, v34, v23
	v_sub_f32_e32 v31, v30, v35
	v_ldexp_f32 v35, v32, 1
	v_mul_f32_e32 v32, v32, v33
	v_mul_f32_e32 v32, v32, v34
	v_add_f32_e32 v33, v35, v32
	v_sub_f32_e32 v34, v33, v35
	v_ldexp_f32 v29, v29, 1
	v_sub_f32_e32 v32, v32, v34
	v_add_f32_e32 v29, v29, v32
	v_add_f32_e32 v32, v33, v29
	v_sub_f32_e32 v33, v32, v33
	v_sub_f32_e32 v29, v29, v33
	v_add_f32_e32 v33, v30, v32
	v_sub_f32_e32 v34, v33, v30
	v_sub_f32_e32 v35, v33, v34
	;; [unrolled: 1-line block ×5, first 2 shown]
	v_add_f32_e32 v30, v32, v30
	v_add_f32_e32 v32, v31, v29
	v_sub_f32_e32 v34, v32, v31
	v_sub_f32_e32 v35, v32, v34
	;; [unrolled: 1-line block ×4, first 2 shown]
	v_add_f32_e32 v30, v32, v30
	v_add_f32_e32 v29, v29, v31
	;; [unrolled: 1-line block ×3, first 2 shown]
	v_sub_f32_e32 v32, v31, v33
	v_sub_f32_e32 v30, v30, v32
	v_add_f32_e32 v29, v29, v30
	v_add_f32_e32 v29, v31, v29
	v_cmp_neq_f32_e64 s[0:1], s23, v28
	v_cndmask_b32_e64 v29, v24, v29, s[0:1]
	v_cmp_ngt_f32_e64 s[0:1], -1.0, v28
	v_cndmask_b32_e64 v29, v25, v29, s[0:1]
	v_cmp_neq_f32_e64 s[0:1], -1.0, v28
	v_cndmask_b32_e64 v29, v26, v29, s[0:1]
	v_cmp_lt_f32_e64 s[0:1], |v28|, s20
	v_cndmask_b32_e64 v30, v29, v28, s[0:1]
	v_mov_b32_e32 v29, s9
	v_add_co_u32_e64 v28, s[0:1], s8, v11
	v_addc_co_u32_e64 v29, s[0:1], v12, v29, s[0:1]
	global_store_dword v[28:29], v30, off
	s_or_b64 exec, exec, s[2:3]
	s_and_saveexec_b64 s[0:1], vcc
	s_cbranch_execz .LBB202_8
.LBB202_24:                             ;   in Loop: Header=BB202_9 Depth=1
	s_waitcnt vmcnt(0)
	v_add_f32_e32 v30, 1.0, v27
	v_cvt_f64_f32_e32 v[28:29], v30
	v_add_f32_e32 v31, -1.0, v30
	v_sub_f32_e32 v32, v31, v30
	v_sub_f32_e32 v31, v27, v31
	v_frexp_exp_i32_f64_e32 v28, v[28:29]
	v_frexp_mant_f32_e32 v29, v30
	v_cmp_gt_f32_e32 vcc, s21, v29
	v_add_f32_e32 v32, 1.0, v32
	v_add_f32_e32 v31, v31, v32
	v_subbrev_co_u32_e32 v28, vcc, 0, v28, vcc
	v_sub_u32_e32 v29, 0, v28
	v_ldexp_f32 v30, v30, v29
	v_ldexp_f32 v29, v31, v29
	v_add_f32_e32 v31, -1.0, v30
	v_add_f32_e32 v32, 1.0, v30
	v_add_f32_e32 v33, 1.0, v31
	v_add_f32_e32 v35, -1.0, v32
	v_sub_f32_e32 v33, v30, v33
	v_sub_f32_e32 v30, v30, v35
	v_add_f32_e32 v33, v29, v33
	v_add_f32_e32 v29, v29, v30
	v_add_f32_e32 v30, v32, v29
	v_rcp_f32_e32 v35, v30
	v_add_f32_e32 v34, v31, v33
	v_sub_f32_e32 v32, v30, v32
	v_sub_f32_e32 v31, v34, v31
	;; [unrolled: 1-line block ×3, first 2 shown]
	v_mul_f32_e32 v32, v34, v35
	v_sub_f32_e32 v31, v33, v31
	v_mul_f32_e32 v33, v30, v32
	v_fma_f32 v36, v32, v30, -v33
	v_fmac_f32_e32 v36, v32, v29
	v_add_f32_e32 v37, v33, v36
	v_sub_f32_e32 v38, v34, v37
	v_sub_f32_e32 v34, v34, v38
	;; [unrolled: 1-line block ×4, first 2 shown]
	v_add_f32_e32 v31, v31, v34
	v_sub_f32_e32 v33, v33, v36
	v_add_f32_e32 v31, v33, v31
	v_add_f32_e32 v33, v38, v31
	v_mul_f32_e32 v34, v35, v33
	v_mul_f32_e32 v36, v30, v34
	v_fma_f32 v30, v34, v30, -v36
	v_fmac_f32_e32 v30, v34, v29
	v_sub_f32_e32 v29, v38, v33
	v_add_f32_e32 v29, v31, v29
	v_add_f32_e32 v31, v36, v30
	v_sub_f32_e32 v37, v33, v31
	v_sub_f32_e32 v33, v33, v37
	v_sub_f32_e32 v36, v31, v36
	v_sub_f32_e32 v31, v33, v31
	v_add_f32_e32 v29, v29, v31
	v_sub_f32_e32 v30, v36, v30
	v_cvt_f32_i32_e32 v28, v28
	v_add_f32_e32 v29, v30, v29
	v_add_f32_e32 v30, v32, v34
	;; [unrolled: 1-line block ×3, first 2 shown]
	v_sub_f32_e32 v31, v30, v32
	v_mul_f32_e32 v29, v35, v29
	v_sub_f32_e32 v31, v34, v31
	v_add_f32_e32 v29, v31, v29
	v_mul_f32_e32 v34, 0x3f317218, v28
	v_add_f32_e32 v31, v30, v29
	v_fma_f32 v35, v28, s22, -v34
	v_mul_f32_e32 v32, v31, v31
	v_mov_b32_e32 v33, 0x3ecc95a3
	v_fmac_f32_e32 v35, 0xb102e308, v28
	v_sub_f32_e32 v28, v31, v30
	v_fmac_f32_e32 v33, 0x3e9b6dac, v32
	v_sub_f32_e32 v28, v29, v28
	v_add_f32_e32 v29, v34, v35
	v_fma_f32 v33, v32, v33, v23
	v_sub_f32_e32 v30, v29, v34
	v_ldexp_f32 v34, v31, 1
	v_mul_f32_e32 v31, v31, v32
	v_mul_f32_e32 v31, v31, v33
	v_add_f32_e32 v32, v34, v31
	v_sub_f32_e32 v33, v32, v34
	v_ldexp_f32 v28, v28, 1
	v_sub_f32_e32 v31, v31, v33
	v_add_f32_e32 v28, v28, v31
	v_add_f32_e32 v31, v32, v28
	v_sub_f32_e32 v32, v31, v32
	v_sub_f32_e32 v28, v28, v32
	v_add_f32_e32 v32, v29, v31
	v_sub_f32_e32 v33, v32, v29
	v_sub_f32_e32 v34, v32, v33
	;; [unrolled: 1-line block ×5, first 2 shown]
	v_add_f32_e32 v29, v31, v29
	v_add_f32_e32 v31, v30, v28
	v_sub_f32_e32 v33, v31, v30
	v_sub_f32_e32 v34, v31, v33
	;; [unrolled: 1-line block ×4, first 2 shown]
	v_add_f32_e32 v29, v31, v29
	v_add_f32_e32 v28, v28, v30
	;; [unrolled: 1-line block ×3, first 2 shown]
	v_sub_f32_e32 v31, v30, v32
	v_sub_f32_e32 v29, v29, v31
	v_add_f32_e32 v28, v28, v29
	v_add_f32_e32 v28, v30, v28
	v_cmp_neq_f32_e32 vcc, s23, v27
	v_cndmask_b32_e32 v28, v24, v28, vcc
	v_cmp_ngt_f32_e32 vcc, -1.0, v27
	v_cndmask_b32_e32 v28, v25, v28, vcc
	v_cmp_neq_f32_e32 vcc, -1.0, v27
	v_cndmask_b32_e32 v28, v26, v28, vcc
	v_cmp_lt_f32_e64 vcc, |v27|, s20
	v_cndmask_b32_e32 v29, v28, v27, vcc
	v_mov_b32_e32 v28, s9
	v_add_co_u32_e32 v27, vcc, s8, v7
	v_addc_co_u32_e32 v28, vcc, v8, v28, vcc
	global_store_dword v[27:28], v29, off
	s_branch .LBB202_8
.LBB202_25:
	s_endpgm
	.section	.rodata,"a",@progbits
	.p2align	6, 0x0
	.amdhsa_kernel _ZN2at6native12_GLOBAL__N_125multi_tensor_apply_kernelINS1_18TensorListMetadataILi2EEENS1_14UnaryOpFunctorIfLi2ELi1ELi1EEEJNS0_5Log1pIfEEEEEvT_T0_DpT1_
		.amdhsa_group_segment_fixed_size 0
		.amdhsa_private_segment_fixed_size 0
		.amdhsa_kernarg_size 3408
		.amdhsa_user_sgpr_count 6
		.amdhsa_user_sgpr_private_segment_buffer 1
		.amdhsa_user_sgpr_dispatch_ptr 0
		.amdhsa_user_sgpr_queue_ptr 0
		.amdhsa_user_sgpr_kernarg_segment_ptr 1
		.amdhsa_user_sgpr_dispatch_id 0
		.amdhsa_user_sgpr_flat_scratch_init 0
		.amdhsa_user_sgpr_private_segment_size 0
		.amdhsa_uses_dynamic_stack 0
		.amdhsa_system_sgpr_private_segment_wavefront_offset 0
		.amdhsa_system_sgpr_workgroup_id_x 1
		.amdhsa_system_sgpr_workgroup_id_y 0
		.amdhsa_system_sgpr_workgroup_id_z 0
		.amdhsa_system_sgpr_workgroup_info 0
		.amdhsa_system_vgpr_workitem_id 0
		.amdhsa_next_free_vgpr 45
		.amdhsa_next_free_sgpr 24
		.amdhsa_reserve_vcc 1
		.amdhsa_reserve_flat_scratch 0
		.amdhsa_float_round_mode_32 0
		.amdhsa_float_round_mode_16_64 0
		.amdhsa_float_denorm_mode_32 3
		.amdhsa_float_denorm_mode_16_64 3
		.amdhsa_dx10_clamp 1
		.amdhsa_ieee_mode 1
		.amdhsa_fp16_overflow 0
		.amdhsa_exception_fp_ieee_invalid_op 0
		.amdhsa_exception_fp_denorm_src 0
		.amdhsa_exception_fp_ieee_div_zero 0
		.amdhsa_exception_fp_ieee_overflow 0
		.amdhsa_exception_fp_ieee_underflow 0
		.amdhsa_exception_fp_ieee_inexact 0
		.amdhsa_exception_int_div_zero 0
	.end_amdhsa_kernel
	.section	.text._ZN2at6native12_GLOBAL__N_125multi_tensor_apply_kernelINS1_18TensorListMetadataILi2EEENS1_14UnaryOpFunctorIfLi2ELi1ELi1EEEJNS0_5Log1pIfEEEEEvT_T0_DpT1_,"axG",@progbits,_ZN2at6native12_GLOBAL__N_125multi_tensor_apply_kernelINS1_18TensorListMetadataILi2EEENS1_14UnaryOpFunctorIfLi2ELi1ELi1EEEJNS0_5Log1pIfEEEEEvT_T0_DpT1_,comdat
.Lfunc_end202:
	.size	_ZN2at6native12_GLOBAL__N_125multi_tensor_apply_kernelINS1_18TensorListMetadataILi2EEENS1_14UnaryOpFunctorIfLi2ELi1ELi1EEEJNS0_5Log1pIfEEEEEvT_T0_DpT1_, .Lfunc_end202-_ZN2at6native12_GLOBAL__N_125multi_tensor_apply_kernelINS1_18TensorListMetadataILi2EEENS1_14UnaryOpFunctorIfLi2ELi1ELi1EEEJNS0_5Log1pIfEEEEEvT_T0_DpT1_
                                        ; -- End function
	.set _ZN2at6native12_GLOBAL__N_125multi_tensor_apply_kernelINS1_18TensorListMetadataILi2EEENS1_14UnaryOpFunctorIfLi2ELi1ELi1EEEJNS0_5Log1pIfEEEEEvT_T0_DpT1_.num_vgpr, 45
	.set _ZN2at6native12_GLOBAL__N_125multi_tensor_apply_kernelINS1_18TensorListMetadataILi2EEENS1_14UnaryOpFunctorIfLi2ELi1ELi1EEEJNS0_5Log1pIfEEEEEvT_T0_DpT1_.num_agpr, 0
	.set _ZN2at6native12_GLOBAL__N_125multi_tensor_apply_kernelINS1_18TensorListMetadataILi2EEENS1_14UnaryOpFunctorIfLi2ELi1ELi1EEEJNS0_5Log1pIfEEEEEvT_T0_DpT1_.numbered_sgpr, 24
	.set _ZN2at6native12_GLOBAL__N_125multi_tensor_apply_kernelINS1_18TensorListMetadataILi2EEENS1_14UnaryOpFunctorIfLi2ELi1ELi1EEEJNS0_5Log1pIfEEEEEvT_T0_DpT1_.num_named_barrier, 0
	.set _ZN2at6native12_GLOBAL__N_125multi_tensor_apply_kernelINS1_18TensorListMetadataILi2EEENS1_14UnaryOpFunctorIfLi2ELi1ELi1EEEJNS0_5Log1pIfEEEEEvT_T0_DpT1_.private_seg_size, 0
	.set _ZN2at6native12_GLOBAL__N_125multi_tensor_apply_kernelINS1_18TensorListMetadataILi2EEENS1_14UnaryOpFunctorIfLi2ELi1ELi1EEEJNS0_5Log1pIfEEEEEvT_T0_DpT1_.uses_vcc, 1
	.set _ZN2at6native12_GLOBAL__N_125multi_tensor_apply_kernelINS1_18TensorListMetadataILi2EEENS1_14UnaryOpFunctorIfLi2ELi1ELi1EEEJNS0_5Log1pIfEEEEEvT_T0_DpT1_.uses_flat_scratch, 0
	.set _ZN2at6native12_GLOBAL__N_125multi_tensor_apply_kernelINS1_18TensorListMetadataILi2EEENS1_14UnaryOpFunctorIfLi2ELi1ELi1EEEJNS0_5Log1pIfEEEEEvT_T0_DpT1_.has_dyn_sized_stack, 0
	.set _ZN2at6native12_GLOBAL__N_125multi_tensor_apply_kernelINS1_18TensorListMetadataILi2EEENS1_14UnaryOpFunctorIfLi2ELi1ELi1EEEJNS0_5Log1pIfEEEEEvT_T0_DpT1_.has_recursion, 0
	.set _ZN2at6native12_GLOBAL__N_125multi_tensor_apply_kernelINS1_18TensorListMetadataILi2EEENS1_14UnaryOpFunctorIfLi2ELi1ELi1EEEJNS0_5Log1pIfEEEEEvT_T0_DpT1_.has_indirect_call, 0
	.section	.AMDGPU.csdata,"",@progbits
; Kernel info:
; codeLenInByte = 5464
; TotalNumSgprs: 28
; NumVgprs: 45
; ScratchSize: 0
; MemoryBound: 0
; FloatMode: 240
; IeeeMode: 1
; LDSByteSize: 0 bytes/workgroup (compile time only)
; SGPRBlocks: 3
; VGPRBlocks: 11
; NumSGPRsForWavesPerEU: 28
; NumVGPRsForWavesPerEU: 45
; Occupancy: 5
; WaveLimiterHint : 0
; COMPUTE_PGM_RSRC2:SCRATCH_EN: 0
; COMPUTE_PGM_RSRC2:USER_SGPR: 6
; COMPUTE_PGM_RSRC2:TRAP_HANDLER: 0
; COMPUTE_PGM_RSRC2:TGID_X_EN: 1
; COMPUTE_PGM_RSRC2:TGID_Y_EN: 0
; COMPUTE_PGM_RSRC2:TGID_Z_EN: 0
; COMPUTE_PGM_RSRC2:TIDIG_COMP_CNT: 0
	.section	.text._ZN2at6native12_GLOBAL__N_125multi_tensor_apply_kernelINS1_18TensorListMetadataILi2EEENS1_14UnaryOpFunctorIN3c107complexIdEELi2ELi1ELi1EEEJNS0_5Log1pIS8_EEEEEvT_T0_DpT1_,"axG",@progbits,_ZN2at6native12_GLOBAL__N_125multi_tensor_apply_kernelINS1_18TensorListMetadataILi2EEENS1_14UnaryOpFunctorIN3c107complexIdEELi2ELi1ELi1EEEJNS0_5Log1pIS8_EEEEEvT_T0_DpT1_,comdat
	.globl	_ZN2at6native12_GLOBAL__N_125multi_tensor_apply_kernelINS1_18TensorListMetadataILi2EEENS1_14UnaryOpFunctorIN3c107complexIdEELi2ELi1ELi1EEEJNS0_5Log1pIS8_EEEEEvT_T0_DpT1_ ; -- Begin function _ZN2at6native12_GLOBAL__N_125multi_tensor_apply_kernelINS1_18TensorListMetadataILi2EEENS1_14UnaryOpFunctorIN3c107complexIdEELi2ELi1ELi1EEEJNS0_5Log1pIS8_EEEEEvT_T0_DpT1_
	.p2align	8
	.type	_ZN2at6native12_GLOBAL__N_125multi_tensor_apply_kernelINS1_18TensorListMetadataILi2EEENS1_14UnaryOpFunctorIN3c107complexIdEELi2ELi1ELi1EEEJNS0_5Log1pIS8_EEEEEvT_T0_DpT1_,@function
_ZN2at6native12_GLOBAL__N_125multi_tensor_apply_kernelINS1_18TensorListMetadataILi2EEENS1_14UnaryOpFunctorIN3c107complexIdEELi2ELi1ELi1EEEJNS0_5Log1pIS8_EEEEEvT_T0_DpT1_: ; @_ZN2at6native12_GLOBAL__N_125multi_tensor_apply_kernelINS1_18TensorListMetadataILi2EEENS1_14UnaryOpFunctorIN3c107complexIdEELi2ELi1ELi1EEEJNS0_5Log1pIS8_EEEEEvT_T0_DpT1_
; %bb.0:
	v_mov_b32_e32 v1, s6
	global_load_ubyte v1, v1, s[4:5] offset:1536
	s_add_u32 s0, s4, s6
	s_mul_hi_u32 s2, s6, 3
	s_mul_i32 s6, s6, 3
	s_addc_u32 s7, s5, 0
	s_add_u32 s6, s0, s6
	s_addc_u32 s7, s7, s2
	s_load_dword s14, s[6:7], 0x740
                                        ; implicit-def: $vgpr81 : SGPR spill to VGPR lane
	s_mov_b32 s1, 0
	s_mov_b32 s3, s1
	s_waitcnt lgkmcnt(0)
	s_ashr_i32 s15, s14, 31
	s_lshl_b64 s[12:13], s[14:15], 20
	s_waitcnt vmcnt(0)
	v_readfirstlane_b32 s0, v1
	s_lshl_b32 s0, s0, 3
	s_load_dwordx2 s[6:7], s[4:5], s0 offset:0x0
	s_load_dwordx2 s[8:9], s[4:5], s0 offset:0x400
	;; [unrolled: 1-line block ×3, first 2 shown]
	s_waitcnt lgkmcnt(0)
	s_add_u32 s46, s6, s12
	s_addc_u32 s47, s7, s13
	s_and_b32 s0, s46, 63
	s_add_u32 s44, s10, s12
	s_addc_u32 s45, s11, s13
	s_lshl_b64 s[6:7], s[14:15], 16
	s_and_b32 s2, s44, 63
	s_sub_u32 s6, s8, s6
	s_subb_u32 s7, s9, s7
	v_writelane_b32 v81, s6, 0
	v_writelane_b32 v81, s7, 1
	s_and_b32 s6, s8, 3
	s_mov_b32 s7, s1
	s_or_b64 s[2:3], s[2:3], s[6:7]
	s_or_b64 s[0:1], s[2:3], s[0:1]
	s_cmp_eq_u64 s[0:1], 0
	s_mov_b64 s[0:1], -1
	s_cbranch_scc0 .LBB203_29
; %bb.1:
	v_writelane_b32 v81, s4, 2
	v_writelane_b32 v81, s5, 3
	v_mov_b32_e32 v1, 0x10000
	v_readlane_b32 s2, v81, 0
	v_mov_b32_e32 v2, 0
	v_readlane_b32 s3, v81, 1
	v_cmp_lt_i64_e32 vcc, s[2:3], v[1:2]
	v_mov_b32_e32 v2, 0
	s_and_b64 s[0:1], vcc, exec
	s_cselect_b32 s1, s3, 0
	s_cselect_b32 s0, s2, 0x10000
	v_lshlrev_b32_e32 v1, 2, v0
	v_writelane_b32 v81, s0, 4
	v_writelane_b32 v81, s1, 5
	v_cmp_gt_i64_e32 vcc, s[0:1], v[1:2]
	s_mov_b64 s[0:1], exec
	v_writelane_b32 v81, s0, 6
	v_writelane_b32 v81, s1, 7
	s_and_b64 s[0:1], s[0:1], vcc
	s_mov_b64 exec, s[0:1]
	s_cbranch_execz .LBB203_28
; %bb.2:
	v_readlane_b32 s0, v81, 2
	v_readlane_b32 s1, v81, 3
	s_load_dword s0, s[0:1], 0xc5c
	v_mov_b32_e32 v1, v2
	s_mov_b32 s4, 0x55555555
	s_mov_b32 s52, 0x998ef7b6
	;; [unrolled: 1-line block ×3, first 2 shown]
	s_waitcnt lgkmcnt(0)
	s_and_b32 s0, s0, 0xffff
	s_mov_b32 s56, 0x3b39803f
	s_mov_b32 s60, 0xb5e68a13
	;; [unrolled: 1-line block ×21, first 2 shown]
	v_mov_b32_e32 v20, v1
	v_lshlrev_b32_e32 v49, 6, v0
	s_mov_b32 s5, 0x3fe55555
	s_mov_b32 s53, 0x3fd99999
	;; [unrolled: 1-line block ×26, first 2 shown]
	v_mov_b32_e32 v50, 0x7ff80000
	v_mov_b32_e32 v51, 0x7ff00000
	;; [unrolled: 1-line block ×10, first 2 shown]
	s_lshl_b32 s33, s0, 6
	s_movk_i32 s50, 0x204
	s_brev_b32 s51, -2
	s_mov_b64 s[38:39], 0
	s_mov_b32 s42, 0x55555780
	s_mov_b64 s[34:35], s[44:45]
	s_mov_b64 s[30:31], s[46:47]
	v_writelane_b32 v81, s0, 8
	s_branch .LBB203_5
.LBB203_3:                              ;   in Loop: Header=BB203_5 Depth=1
	s_or_b64 exec, exec, s[26:27]
.LBB203_4:                              ;   in Loop: Header=BB203_5 Depth=1
	s_or_b64 exec, exec, s[12:13]
	v_max_f64 v[45:46], |v[33:34]|, |v[33:34]|
	v_max_f64 v[47:48], |v[25:26]|, |v[25:26]|
	;; [unrolled: 1-line block ×4, first 2 shown]
	v_cmp_gt_i32_e64 s[26:27], 0, v34
	s_and_b64 s[14:15], s[14:15], s[16:17]
	v_cmp_gt_i32_e64 s[16:17], 0, v26
	v_min_f64 v[39:40], v[45:46], v[39:40]
	v_min_f64 v[31:32], v[47:48], v[31:32]
	v_min_f64 v[27:28], v[57:58], v[27:28]
	v_min_f64 v[43:44], v[61:62], v[43:44]
	v_div_scale_f64 v[47:48], s[10:11], v[35:36], v[35:36], v[39:40]
	v_div_scale_f64 v[45:46], s[10:11], v[29:30], v[29:30], v[31:32]
	v_div_scale_f64 v[63:64], s[10:11], v[23:24], v[23:24], v[27:28]
	v_div_scale_f64 v[67:68], vcc, v[39:40], v[35:36], v[39:40]
	v_rcp_f64_e32 v[59:60], v[47:48]
	v_rcp_f64_e32 v[57:58], v[45:46]
	;; [unrolled: 1-line block ×3, first 2 shown]
	v_fma_f64 v[65:66], -v[47:48], v[59:60], 1.0
	v_fma_f64 v[61:62], -v[45:46], v[57:58], 1.0
	v_fma_f64 v[75:76], -v[63:64], v[69:70], 1.0
	v_fma_f64 v[59:60], v[59:60], v[65:66], v[59:60]
	v_div_scale_f64 v[65:66], s[10:11], v[41:42], v[41:42], v[43:44]
	v_fma_f64 v[57:58], v[57:58], v[61:62], v[57:58]
	v_div_scale_f64 v[71:72], s[10:11], v[31:32], v[29:30], v[31:32]
	v_fma_f64 v[69:70], v[69:70], v[75:76], v[69:70]
	v_fma_f64 v[61:62], -v[47:48], v[59:60], 1.0
	v_fma_f64 v[73:74], -v[45:46], v[57:58], 1.0
	v_fma_f64 v[59:60], v[59:60], v[61:62], v[59:60]
	v_rcp_f64_e32 v[61:62], v[65:66]
	v_fma_f64 v[57:58], v[57:58], v[73:74], v[57:58]
	v_mul_f64 v[73:74], v[67:68], v[59:60]
	v_mul_f64 v[75:76], v[71:72], v[57:58]
	v_fma_f64 v[47:48], -v[47:48], v[73:74], v[67:68]
	v_fma_f64 v[67:68], -v[65:66], v[61:62], 1.0
	v_fma_f64 v[45:46], -v[45:46], v[75:76], v[71:72]
	v_div_fmas_f64 v[47:48], v[47:48], v[59:60], v[73:74]
	v_fma_f64 v[61:62], v[61:62], v[67:68], v[61:62]
	v_div_scale_f64 v[59:60], s[12:13], v[27:28], v[23:24], v[27:28]
	v_fma_f64 v[67:68], -v[63:64], v[69:70], 1.0
	s_mov_b64 vcc, s[10:11]
	v_div_fmas_f64 v[45:46], v[45:46], v[57:58], v[75:76]
	v_div_scale_f64 v[57:58], s[10:11], v[43:44], v[41:42], v[43:44]
	v_fma_f64 v[71:72], -v[65:66], v[61:62], 1.0
	s_mov_b64 vcc, s[12:13]
	s_and_b64 s[12:13], s[22:23], s[24:25]
	v_fma_f64 v[67:68], v[69:70], v[67:68], v[69:70]
	v_cmp_lt_f64_e64 s[22:23], |v[25:26]|, |v[11:12]|
	v_div_fixup_f64 v[35:36], v[47:48], v[35:36], v[39:40]
	v_fma_f64 v[61:62], v[61:62], v[71:72], v[61:62]
	v_mul_f64 v[69:70], v[59:60], v[67:68]
	v_div_fixup_f64 v[29:30], v[45:46], v[29:30], v[31:32]
	v_mul_f64 v[71:72], v[57:58], v[61:62]
	v_fma_f64 v[59:60], -v[63:64], v[69:70], v[59:60]
	v_mul_f64 v[39:40], v[29:30], v[29:30]
	v_fma_f64 v[57:58], -v[65:66], v[71:72], v[57:58]
	v_div_fmas_f64 v[59:60], v[59:60], v[67:68], v[69:70]
	s_mov_b64 vcc, s[10:11]
	s_mov_b32 s10, 0xbd3237f4
	s_mov_b32 s11, 0xbf23e260
	v_div_fmas_f64 v[57:58], v[57:58], v[61:62], v[71:72]
	v_ashrrev_i32_e32 v61, 31, v34
	s_and_b64 vcc, s[28:29], s[48:49]
	v_cmp_lt_f64_e64 s[28:29], |v[37:38]|, |v[7:8]|
	v_cndmask_b32_e64 v37, v55, v56, s[26:27]
	v_div_fixup_f64 v[31:32], v[59:60], v[23:24], v[27:28]
	v_mul_f64 v[23:24], v[35:36], v[35:36]
	v_div_fixup_f64 v[27:28], v[57:58], v[41:42], v[43:44]
	v_mov_b32_e32 v42, s11
	v_mov_b32_e32 v41, s10
	v_mul_f64 v[43:44], v[31:32], v[31:32]
	v_fma_f64 v[45:46], v[23:24], s[60:61], v[41:42]
	v_fma_f64 v[57:58], v[39:40], s[60:61], v[41:42]
	s_and_b64 s[10:11], s[18:19], s[20:21]
	v_cmp_lt_f64_e64 s[20:21], |v[33:34]|, |v[15:16]|
	v_mul_f64 v[47:48], v[27:28], v[27:28]
	v_cmp_eq_f64_e64 s[18:19], 0, v[15:16]
	v_mov_b32_e32 v15, s35
	v_fma_f64 v[59:60], v[43:44], s[60:61], v[41:42]
	v_fma_f64 v[45:46], v[23:24], v[45:46], s[62:63]
	;; [unrolled: 1-line block ×3, first 2 shown]
	s_add_u32 s30, s30, s33
	s_addc_u32 s31, s31, 0
	v_fma_f64 v[41:42], v[47:48], s[60:61], v[41:42]
	v_fma_f64 v[59:60], v[43:44], v[59:60], s[62:63]
	;; [unrolled: 1-line block ×70, first 2 shown]
	v_mul_f64 v[23:24], v[23:24], v[45:46]
	v_fma_f64 v[33:34], v[47:48], v[33:34], s[40:41]
	v_mul_f64 v[39:40], v[39:40], v[41:42]
	v_mul_f64 v[41:42], v[43:44], v[57:58]
	v_fma_f64 v[35:36], v[35:36], v[23:24], v[35:36]
	v_add_co_u32_e64 v23, s[24:25], s34, v49
	v_addc_co_u32_e64 v24, s[24:25], 0, v15, s[24:25]
	v_mul_f64 v[33:34], v[47:48], v[33:34]
	v_fma_f64 v[29:30], v[29:30], v[39:40], v[29:30]
	v_fma_f64 v[31:32], v[31:32], v[41:42], v[31:32]
	v_add_f64 v[39:40], -v[35:36], s[36:37]
	v_readlane_b32 s24, v81, 8
	v_add_co_u32_e64 v19, s[24:25], s24, v19
	v_addc_co_u32_e64 v20, s[24:25], 0, v20, s[24:25]
	v_fma_f64 v[27:28], v[27:28], v[33:34], v[27:28]
	v_add_f64 v[33:34], -v[29:30], s[36:37]
	v_cndmask_b32_e64 v36, v36, v40, s[20:21]
	v_cndmask_b32_e64 v35, v35, v39, s[20:21]
	v_cmp_lt_f64_e64 s[24:25], |v[21:22]|, |v[3:4]|
	v_add_f64 v[41:42], -v[31:32], s[36:37]
	v_cmp_eq_f64_e64 s[20:21], 0, v[11:12]
	v_ashrrev_i32_e32 v11, 31, v26
	v_add_f64 v[39:40], -v[27:28], s[36:37]
	v_cndmask_b32_e64 v30, v30, v34, s[22:23]
	v_cndmask_b32_e64 v29, v29, v33, s[22:23]
	v_add_f64 v[33:34], -v[35:36], s[58:59]
	v_cmp_eq_f64_e64 s[22:23], 0, v[3:4]
	v_cndmask_b32_e64 v32, v32, v42, s[24:25]
	v_cndmask_b32_e64 v31, v31, v41, s[24:25]
	v_cmp_gt_i32_e64 s[24:25], 0, v22
	v_cndmask_b32_e64 v26, v28, v40, s[28:29]
	v_cndmask_b32_e64 v25, v27, v39, s[28:29]
	v_ashrrev_i32_e32 v3, 31, v22
	v_cndmask_b32_e64 v21, v36, v34, s[26:27]
	v_cndmask_b32_e64 v22, v35, v33, s[26:27]
	v_and_b32_e32 v27, 0x400921fb, v61
	v_and_b32_e32 v28, 0x54442d18, v61
	v_cndmask_b32_e64 v35, v22, v28, s[18:19]
	v_cndmask_b32_e64 v36, v21, v27, s[18:19]
	v_add_f64 v[21:22], -v[29:30], s[58:59]
	v_add_f64 v[33:34], -v[31:32], s[58:59]
	v_cmp_eq_f64_e64 s[18:19], 0, v[7:8]
	v_cndmask_b32_e64 v15, v53, v54, s[26:27]
	v_cmp_gt_i32_e64 s[26:27], 0, v38
	v_ashrrev_i32_e32 v7, 31, v38
	v_cndmask_b32_e64 v38, v53, v54, s[16:17]
	v_cndmask_b32_e64 v39, v55, v56, s[16:17]
	;; [unrolled: 1-line block ×4, first 2 shown]
	v_add_f64 v[21:22], -v[25:26], s[58:59]
	v_lshlrev_b64 v[27:28], 2, v[19:20]
	v_readlane_b32 s16, v81, 4
	v_and_b32_e32 v40, 0x400921fb, v11
	v_and_b32_e32 v11, 0x54442d18, v11
	v_readlane_b32 s17, v81, 5
	v_and_b32_e32 v43, 0x400921fb, v3
	v_and_b32_e32 v46, 0x400921fb, v7
	;; [unrolled: 1-line block ×3, first 2 shown]
	v_cmp_le_i64_e64 s[16:17], s[16:17], v[27:28]
	v_cndmask_b32_e64 v27, v36, v37, s[10:11]
	v_cndmask_b32_e64 v11, v29, v11, s[20:21]
	;; [unrolled: 1-line block ×6, first 2 shown]
	v_and_b32_e32 v3, 0x54442d18, v3
	v_cndmask_b32_e64 v45, v55, v56, s[26:27]
	v_cndmask_b32_e64 v15, v35, v15, s[10:11]
	;; [unrolled: 1-line block ×10, first 2 shown]
	s_add_u32 s34, s34, s33
	v_cndmask_b32_e64 v15, v15, 0, s[6:7]
	v_cndmask_b32_e64 v28, v28, v39, s[14:15]
	;; [unrolled: 1-line block ×3, first 2 shown]
	v_bfi_b32 v16, s51, v27, v16
	v_cndmask_b32_e64 v26, v29, v42, s[12:13]
	v_cndmask_b32_e32 v21, v21, v45, vcc
	s_addc_u32 s35, s35, 0
	v_cndmask_b32_e64 v11, v11, v38, s[14:15]
	v_cndmask_b32_e64 v25, v28, v50, s[2:3]
	;; [unrolled: 1-line block ×4, first 2 shown]
	v_cndmask_b32_e32 v7, v7, v44, vcc
	global_store_dwordx4 v[23:24], v[13:16], off offset:32
	v_cndmask_b32_e64 v11, v11, 0, s[2:3]
	v_cndmask_b32_e64 v13, v21, v50, s[8:9]
	v_bfi_b32 v12, s51, v25, v12
	v_cndmask_b32_e64 v3, v3, 0, s[0:1]
	v_bfi_b32 v4, s51, v22, v4
	;; [unrolled: 2-line block ×3, first 2 shown]
	s_or_b64 s[38:39], s[16:17], s[38:39]
	global_store_dwordx4 v[23:24], v[9:12], off offset:16
	global_store_dwordx4 v[23:24], v[1:4], off
	global_store_dwordx4 v[23:24], v[5:8], off offset:48
	s_andn2_b64 exec, exec, s[38:39]
	s_cbranch_execz .LBB203_28
.LBB203_5:                              ; =>This Inner Loop Header: Depth=1
	v_mov_b32_e32 v1, s31
	v_add_co_u32_e32 v13, vcc, s30, v49
	v_addc_co_u32_e32 v14, vcc, 0, v1, vcc
	global_load_dwordx4 v[1:4], v[13:14], off
	s_waitcnt vmcnt(0)
	v_max_f64 v[5:6], |v[1:2]|, |v[1:2]|
	v_max_f64 v[27:28], |v[3:4]|, |v[3:4]|
	v_cmp_class_f64_e64 s[6:7], v[1:2], s50
	v_cmp_class_f64_e64 s[22:23], v[3:4], s50
	v_max_f64 v[5:6], v[5:6], v[27:28]
	s_or_b64 s[6:7], s[6:7], s[22:23]
	v_frexp_exp_i32_f64_e32 v31, v[5:6]
	v_sub_u32_e32 v7, 0, v31
	v_ldexp_f64 v[5:6], |v[3:4]|, v7
	v_ldexp_f64 v[7:8], |v[1:2]|, v7
	v_mul_f64 v[5:6], v[5:6], v[5:6]
	v_fma_f64 v[23:24], v[7:8], v[7:8], v[5:6]
	global_load_dwordx4 v[9:12], v[13:14], off offset:16
	global_load_dwordx4 v[5:8], v[13:14], off offset:48
	s_nop 0
	global_load_dwordx4 v[13:16], v[13:14], off offset:32
	v_rsq_f64_e32 v[21:22], v[23:24]
	v_cmp_eq_f64_e32 vcc, 0, v[23:24]
	v_mul_f64 v[25:26], v[23:24], v[21:22]
	v_mul_f64 v[21:22], v[21:22], 0.5
	v_fma_f64 v[29:30], -v[21:22], v[25:26], 0.5
	v_fma_f64 v[25:26], v[25:26], v[29:30], v[25:26]
	v_fma_f64 v[21:22], v[21:22], v[29:30], v[21:22]
	v_fma_f64 v[29:30], -v[25:26], v[25:26], v[23:24]
	v_fma_f64 v[25:26], v[29:30], v[21:22], v[25:26]
	v_add_f64 v[21:22], v[1:2], 1.0
	v_cndmask_b32_e32 v24, v26, v24, vcc
	v_cndmask_b32_e32 v23, v25, v23, vcc
	v_ldexp_f64 v[25:26], v[23:24], v31
	v_cmp_u_f64_e32 vcc, v[1:2], v[3:4]
	v_max_f64 v[23:24], |v[21:22]|, v[27:28]
	v_cmp_u_f64_e64 s[0:1], v[21:22], v[3:4]
	v_cmp_class_f64_e64 s[24:25], v[21:22], s50
	v_cmp_ngt_f64_e64 s[2:3], 0.5, v[25:26]
	s_or_b64 s[6:7], s[6:7], vcc
	s_or_b64 s[2:3], s[6:7], s[2:3]
	s_and_saveexec_b64 s[6:7], s[2:3]
	s_xor_b64 s[2:3], exec, s[6:7]
	s_cbranch_execz .LBB203_7
; %bb.6:                                ;   in Loop: Header=BB203_5 Depth=1
	v_frexp_exp_i32_f64_e32 v33, v[23:24]
	s_mov_b32 s43, s5
	v_sub_u32_e32 v25, 0, v33
	v_ldexp_f64 v[1:2], |v[3:4]|, v25
	v_ldexp_f64 v[25:26], |v[21:22]|, v25
	v_mul_f64 v[1:2], v[1:2], v[1:2]
	v_fma_f64 v[1:2], v[25:26], v[25:26], v[1:2]
	v_rsq_f64_e32 v[25:26], v[1:2]
	v_cmp_eq_f64_e32 vcc, 0, v[1:2]
	v_mul_f64 v[29:30], v[1:2], v[25:26]
	v_mul_f64 v[25:26], v[25:26], 0.5
	v_fma_f64 v[31:32], -v[25:26], v[29:30], 0.5
	v_fma_f64 v[29:30], v[29:30], v[31:32], v[29:30]
	v_fma_f64 v[25:26], v[25:26], v[31:32], v[25:26]
	v_fma_f64 v[31:32], -v[29:30], v[29:30], v[1:2]
	v_fma_f64 v[25:26], v[31:32], v[25:26], v[29:30]
	v_cndmask_b32_e32 v2, v26, v2, vcc
	v_cndmask_b32_e32 v1, v25, v1, vcc
	v_ldexp_f64 v[1:2], v[1:2], v33
	s_or_b64 vcc, s[24:25], s[22:23]
	s_or_b64 s[6:7], vcc, s[0:1]
	v_cndmask_b32_e64 v2, v2, v50, s[0:1]
	v_cndmask_b32_e32 v26, v2, v51, vcc
	v_cndmask_b32_e64 v25, v1, 0, s[6:7]
	v_frexp_mant_f64_e32 v[1:2], v[25:26]
	s_mov_b32 s6, 0xbf559e2b
	s_mov_b32 s7, 0x3fc3ab76
	v_cmp_gt_f64_e32 vcc, s[4:5], v[1:2]
	v_cndmask_b32_e64 v29, 0, 1, vcc
	v_ldexp_f64 v[1:2], v[1:2], v29
	v_add_f64 v[29:30], v[1:2], 1.0
	v_add_f64 v[35:36], v[1:2], -1.0
	v_rcp_f64_e32 v[31:32], v[29:30]
	v_add_f64 v[37:38], v[29:30], -1.0
	v_add_f64 v[1:2], v[1:2], -v[37:38]
	v_fma_f64 v[33:34], -v[29:30], v[31:32], 1.0
	v_fma_f64 v[31:32], v[33:34], v[31:32], v[31:32]
	v_fma_f64 v[33:34], -v[29:30], v[31:32], 1.0
	v_fma_f64 v[31:32], v[33:34], v[31:32], v[31:32]
	v_mul_f64 v[33:34], v[35:36], v[31:32]
	v_mul_f64 v[39:40], v[29:30], v[33:34]
	v_fma_f64 v[29:30], v[33:34], v[29:30], -v[39:40]
	v_fma_f64 v[1:2], v[33:34], v[1:2], v[29:30]
	v_add_f64 v[29:30], v[39:40], v[1:2]
	v_add_f64 v[37:38], v[35:36], -v[29:30]
	v_add_f64 v[39:40], v[29:30], -v[39:40]
	;; [unrolled: 1-line block ×5, first 2 shown]
	v_add_f64 v[1:2], v[1:2], v[29:30]
	v_add_f64 v[1:2], v[37:38], v[1:2]
	v_mul_f64 v[1:2], v[31:32], v[1:2]
	v_add_f64 v[29:30], v[33:34], v[1:2]
	v_mul_f64 v[31:32], v[29:30], v[29:30]
	v_fma_f64 v[35:36], v[31:32], s[6:7], v[17:18]
	s_mov_b32 s6, 0xd7f4df2e
	s_mov_b32 s7, 0x3fc7474d
	v_mul_f64 v[37:38], v[29:30], v[31:32]
	v_fma_f64 v[35:36], v[31:32], v[35:36], s[6:7]
	s_mov_b32 s6, 0x16291751
	s_mov_b32 s7, 0x3fcc71c0
	v_fma_f64 v[35:36], v[31:32], v[35:36], s[6:7]
	s_mov_b32 s6, 0x9b27acf1
	s_mov_b32 s7, 0x3fd24924
	v_fma_f64 v[35:36], v[31:32], v[35:36], s[6:7]
	v_fma_f64 v[35:36], v[31:32], v[35:36], s[52:53]
	v_fma_f64 v[31:32], v[31:32], v[35:36], s[42:43]
	v_ldexp_f64 v[35:36], v[29:30], 1
	v_add_f64 v[29:30], v[29:30], -v[33:34]
	v_mul_f64 v[31:32], v[37:38], v[31:32]
	v_frexp_exp_i32_f64_e32 v37, v[25:26]
	v_add_f64 v[1:2], v[1:2], -v[29:30]
	v_add_f64 v[33:34], v[35:36], v[31:32]
	v_subbrev_co_u32_e32 v37, vcc, 0, v37, vcc
	v_cvt_f64_i32_e32 v[37:38], v37
	v_ldexp_f64 v[1:2], v[1:2], 1
	v_cmp_class_f64_e64 vcc, v[25:26], s50
	v_mul_f64 v[39:40], v[37:38], s[54:55]
	v_add_f64 v[29:30], v[33:34], -v[35:36]
	v_fma_f64 v[35:36], v[37:38], s[54:55], -v[39:40]
	v_add_f64 v[29:30], v[31:32], -v[29:30]
	v_fma_f64 v[31:32], v[37:38], s[56:57], v[35:36]
	v_add_f64 v[1:2], v[1:2], v[29:30]
	v_add_f64 v[29:30], v[39:40], v[31:32]
	;; [unrolled: 1-line block ×3, first 2 shown]
	v_add_f64 v[39:40], v[29:30], -v[39:40]
	v_add_f64 v[37:38], v[29:30], v[35:36]
	v_add_f64 v[33:34], v[35:36], -v[33:34]
	v_add_f64 v[31:32], v[31:32], -v[39:40]
	;; [unrolled: 1-line block ×6, first 2 shown]
	v_add_f64 v[35:36], v[31:32], v[1:2]
	v_add_f64 v[29:30], v[29:30], -v[43:44]
	v_add_f64 v[29:30], v[33:34], v[29:30]
	v_add_f64 v[33:34], v[35:36], -v[31:32]
	;; [unrolled: 2-line block ×3, first 2 shown]
	v_add_f64 v[1:2], v[1:2], -v[33:34]
	v_add_f64 v[39:40], v[37:38], v[29:30]
	v_add_f64 v[31:32], v[31:32], -v[35:36]
	v_add_f64 v[33:34], v[39:40], -v[37:38]
	v_add_f64 v[1:2], v[1:2], v[31:32]
	v_add_f64 v[29:30], v[29:30], -v[33:34]
	v_add_f64 v[1:2], v[1:2], v[29:30]
	v_add_f64 v[1:2], v[39:40], v[1:2]
	v_cndmask_b32_e32 v1, v1, v25, vcc
	v_cndmask_b32_e32 v2, v2, v26, vcc
	v_cmp_ngt_f64_e32 vcc, 0, v[25:26]
	v_cndmask_b32_e32 v2, v50, v2, vcc
	v_cmp_nge_f64_e32 vcc, 0, v[25:26]
	v_cndmask_b32_e32 v1, 0, v1, vcc
	v_cmp_neq_f64_e32 vcc, 0, v[25:26]
	v_cndmask_b32_e32 v2, v52, v2, vcc
.LBB203_7:                              ;   in Loop: Header=BB203_5 Depth=1
	s_andn2_saveexec_b64 s[6:7], s[2:3]
	s_cbranch_execz .LBB203_11
; %bb.8:                                ;   in Loop: Header=BB203_5 Depth=1
	v_add_f64 v[25:26], v[1:2], 2.0
	v_mul_f64 v[29:30], v[3:4], v[3:4]
	v_fma_f64 v[25:26], v[1:2], v[25:26], v[29:30]
	v_cmp_neq_f64_e32 vcc, 0, v[25:26]
	s_and_saveexec_b64 s[8:9], vcc
	s_cbranch_execz .LBB203_10
; %bb.9:                                ;   in Loop: Header=BB203_5 Depth=1
	v_add_f64 v[1:2], v[25:26], 1.0
	s_mov_b32 s2, 0xbf559e2b
	s_mov_b32 s3, 0x3fc3ab76
	s_mov_b32 s43, s5
	v_frexp_mant_f64_e32 v[31:32], v[1:2]
	v_frexp_exp_i32_f64_e32 v35, v[1:2]
	v_add_f64 v[29:30], v[1:2], -1.0
	v_cmp_gt_f64_e32 vcc, s[4:5], v[31:32]
	v_add_f64 v[33:34], v[29:30], -v[1:2]
	v_add_f64 v[29:30], v[25:26], -v[29:30]
	v_subbrev_co_u32_e32 v57, vcc, 0, v35, vcc
	v_sub_u32_e32 v35, 0, v57
	v_ldexp_f64 v[1:2], v[1:2], v35
	v_add_f64 v[31:32], v[33:34], 1.0
	v_cmp_nge_f64_e32 vcc, -1.0, v[25:26]
	v_add_f64 v[33:34], v[1:2], 1.0
	v_add_f64 v[29:30], v[29:30], v[31:32]
	v_add_f64 v[39:40], v[1:2], -1.0
	v_add_f64 v[31:32], v[33:34], -1.0
	v_ldexp_f64 v[29:30], v[29:30], v35
	v_add_f64 v[41:42], v[39:40], 1.0
	v_add_f64 v[31:32], v[1:2], -v[31:32]
	v_add_f64 v[1:2], v[1:2], -v[41:42]
	v_add_f64 v[31:32], v[29:30], v[31:32]
	v_add_f64 v[1:2], v[29:30], v[1:2]
	v_add_f64 v[35:36], v[33:34], v[31:32]
	v_add_f64 v[41:42], v[39:40], v[1:2]
	v_rcp_f64_e32 v[37:38], v[35:36]
	v_add_f64 v[33:34], v[35:36], -v[33:34]
	v_add_f64 v[39:40], v[41:42], -v[39:40]
	;; [unrolled: 1-line block ×4, first 2 shown]
	v_fma_f64 v[43:44], -v[35:36], v[37:38], 1.0
	v_fma_f64 v[37:38], v[43:44], v[37:38], v[37:38]
	v_fma_f64 v[29:30], -v[35:36], v[37:38], 1.0
	v_fma_f64 v[29:30], v[29:30], v[37:38], v[37:38]
	v_mul_f64 v[37:38], v[41:42], v[29:30]
	v_mul_f64 v[43:44], v[35:36], v[37:38]
	v_fma_f64 v[33:34], v[37:38], v[35:36], -v[43:44]
	v_fma_f64 v[33:34], v[37:38], v[31:32], v[33:34]
	v_add_f64 v[45:46], v[43:44], v[33:34]
	v_add_f64 v[47:48], v[41:42], -v[45:46]
	v_add_f64 v[39:40], v[45:46], -v[43:44]
	;; [unrolled: 1-line block ×5, first 2 shown]
	v_add_f64 v[1:2], v[1:2], v[41:42]
	v_add_f64 v[1:2], v[33:34], v[1:2]
	;; [unrolled: 1-line block ×3, first 2 shown]
	v_mul_f64 v[39:40], v[29:30], v[33:34]
	v_add_f64 v[45:46], v[47:48], -v[33:34]
	v_mul_f64 v[41:42], v[35:36], v[39:40]
	v_add_f64 v[1:2], v[1:2], v[45:46]
	v_fma_f64 v[35:36], v[39:40], v[35:36], -v[41:42]
	v_fma_f64 v[31:32], v[39:40], v[31:32], v[35:36]
	v_add_f64 v[35:36], v[41:42], v[31:32]
	v_add_f64 v[43:44], v[33:34], -v[35:36]
	v_add_f64 v[41:42], v[35:36], -v[41:42]
	;; [unrolled: 1-line block ×5, first 2 shown]
	v_add_f64 v[1:2], v[1:2], v[33:34]
	v_add_f64 v[33:34], v[37:38], v[39:40]
	;; [unrolled: 1-line block ×3, first 2 shown]
	v_add_f64 v[31:32], v[33:34], -v[37:38]
	v_add_f64 v[1:2], v[43:44], v[1:2]
	v_add_f64 v[31:32], v[39:40], -v[31:32]
	v_mul_f64 v[1:2], v[29:30], v[1:2]
	v_add_f64 v[1:2], v[31:32], v[1:2]
	v_add_f64 v[29:30], v[33:34], v[1:2]
	v_mul_f64 v[31:32], v[29:30], v[29:30]
	v_fma_f64 v[35:36], v[31:32], s[2:3], v[17:18]
	s_mov_b32 s2, 0xd7f4df2e
	s_mov_b32 s3, 0x3fc7474d
	v_mul_f64 v[37:38], v[29:30], v[31:32]
	v_fma_f64 v[35:36], v[31:32], v[35:36], s[2:3]
	s_mov_b32 s2, 0x16291751
	s_mov_b32 s3, 0x3fcc71c0
	v_fma_f64 v[35:36], v[31:32], v[35:36], s[2:3]
	s_mov_b32 s2, 0x9b27acf1
	s_mov_b32 s3, 0x3fd24924
	;; [unrolled: 3-line block ×3, first 2 shown]
	v_cmp_neq_f64_e64 s[2:3], s[2:3], v[25:26]
	v_fma_f64 v[35:36], v[31:32], v[35:36], s[52:53]
	s_and_b64 vcc, vcc, s[2:3]
	v_fma_f64 v[31:32], v[31:32], v[35:36], s[42:43]
	v_ldexp_f64 v[35:36], v[29:30], 1
	v_add_f64 v[29:30], v[29:30], -v[33:34]
	v_mul_f64 v[31:32], v[37:38], v[31:32]
	v_cvt_f64_i32_e32 v[37:38], v57
	v_add_f64 v[1:2], v[1:2], -v[29:30]
	v_mul_f64 v[39:40], v[37:38], s[54:55]
	v_add_f64 v[33:34], v[35:36], v[31:32]
	v_ldexp_f64 v[1:2], v[1:2], 1
	v_add_f64 v[29:30], v[33:34], -v[35:36]
	v_fma_f64 v[35:36], v[37:38], s[54:55], -v[39:40]
	v_add_f64 v[29:30], v[31:32], -v[29:30]
	v_fma_f64 v[31:32], v[37:38], s[56:57], v[35:36]
	v_add_f64 v[1:2], v[1:2], v[29:30]
	v_add_f64 v[29:30], v[39:40], v[31:32]
	;; [unrolled: 1-line block ×3, first 2 shown]
	v_add_f64 v[39:40], v[29:30], -v[39:40]
	v_add_f64 v[37:38], v[29:30], v[35:36]
	v_add_f64 v[33:34], v[35:36], -v[33:34]
	v_add_f64 v[31:32], v[31:32], -v[39:40]
	;; [unrolled: 1-line block ×6, first 2 shown]
	v_add_f64 v[35:36], v[31:32], v[1:2]
	v_add_f64 v[29:30], v[29:30], -v[43:44]
	v_add_f64 v[29:30], v[33:34], v[29:30]
	v_add_f64 v[33:34], v[35:36], -v[31:32]
	;; [unrolled: 2-line block ×3, first 2 shown]
	v_add_f64 v[1:2], v[1:2], -v[33:34]
	v_add_f64 v[39:40], v[37:38], v[29:30]
	v_add_f64 v[31:32], v[31:32], -v[35:36]
	v_add_f64 v[33:34], v[39:40], -v[37:38]
	v_add_f64 v[1:2], v[1:2], v[31:32]
	v_add_f64 v[29:30], v[29:30], -v[33:34]
	v_add_f64 v[1:2], v[1:2], v[29:30]
	v_add_f64 v[1:2], v[39:40], v[1:2]
	v_mul_f64 v[1:2], v[1:2], 0.5
	v_cndmask_b32_e32 v1, 0, v1, vcc
	v_cmp_ngt_f64_e32 vcc, -1.0, v[25:26]
	v_cndmask_b32_e64 v2, v51, v2, s[2:3]
	v_cndmask_b32_e32 v2, v50, v2, vcc
	v_cmp_neq_f64_e32 vcc, -1.0, v[25:26]
	v_cndmask_b32_e32 v2, v52, v2, vcc
.LBB203_10:                             ;   in Loop: Header=BB203_5 Depth=1
	s_or_b64 exec, exec, s[8:9]
.LBB203_11:                             ;   in Loop: Header=BB203_5 Depth=1
	s_or_b64 exec, exec, s[6:7]
	s_waitcnt vmcnt(2)
	v_max_f64 v[25:26], |v[9:10]|, |v[9:10]|
	v_max_f64 v[31:32], |v[11:12]|, |v[11:12]|
	v_cmp_class_f64_e64 s[8:9], v[9:10], s50
	v_cmp_class_f64_e64 s[14:15], v[11:12], s50
	v_max_f64 v[25:26], v[25:26], v[31:32]
	s_or_b64 s[8:9], s[8:9], s[14:15]
	v_frexp_exp_i32_f64_e32 v37, v[25:26]
	v_sub_u32_e32 v29, 0, v37
	v_ldexp_f64 v[25:26], |v[11:12]|, v29
	v_ldexp_f64 v[29:30], |v[9:10]|, v29
	v_mul_f64 v[25:26], v[25:26], v[25:26]
	v_fma_f64 v[29:30], v[29:30], v[29:30], v[25:26]
	v_rsq_f64_e32 v[25:26], v[29:30]
	v_cmp_eq_f64_e32 vcc, 0, v[29:30]
	v_mul_f64 v[33:34], v[29:30], v[25:26]
	v_mul_f64 v[25:26], v[25:26], 0.5
	v_fma_f64 v[35:36], -v[25:26], v[33:34], 0.5
	v_fma_f64 v[33:34], v[33:34], v[35:36], v[33:34]
	v_fma_f64 v[25:26], v[25:26], v[35:36], v[25:26]
	v_fma_f64 v[35:36], -v[33:34], v[33:34], v[29:30]
	v_fma_f64 v[33:34], v[35:36], v[25:26], v[33:34]
	v_add_f64 v[25:26], v[9:10], 1.0
	v_cndmask_b32_e32 v30, v34, v30, vcc
	v_cndmask_b32_e32 v29, v33, v29, vcc
	v_ldexp_f64 v[33:34], v[29:30], v37
	v_cmp_u_f64_e32 vcc, v[9:10], v[11:12]
	v_max_f64 v[29:30], |v[25:26]|, v[31:32]
	v_cmp_u_f64_e64 s[2:3], v[25:26], v[11:12]
	v_cmp_class_f64_e64 s[16:17], v[25:26], s50
	v_cmp_ngt_f64_e64 s[6:7], 0.5, v[33:34]
	s_or_b64 s[8:9], s[8:9], vcc
	s_or_b64 s[6:7], s[8:9], s[6:7]
	s_and_saveexec_b64 s[8:9], s[6:7]
	s_xor_b64 s[6:7], exec, s[8:9]
	s_cbranch_execz .LBB203_13
; %bb.12:                               ;   in Loop: Header=BB203_5 Depth=1
	v_frexp_exp_i32_f64_e32 v39, v[29:30]
	s_mov_b32 s43, s5
	v_sub_u32_e32 v33, 0, v39
	v_ldexp_f64 v[9:10], |v[11:12]|, v33
	v_ldexp_f64 v[33:34], |v[25:26]|, v33
	v_mul_f64 v[9:10], v[9:10], v[9:10]
	v_fma_f64 v[9:10], v[33:34], v[33:34], v[9:10]
	v_rsq_f64_e32 v[33:34], v[9:10]
	v_cmp_eq_f64_e32 vcc, 0, v[9:10]
	v_mul_f64 v[35:36], v[9:10], v[33:34]
	v_mul_f64 v[33:34], v[33:34], 0.5
	v_fma_f64 v[37:38], -v[33:34], v[35:36], 0.5
	v_fma_f64 v[35:36], v[35:36], v[37:38], v[35:36]
	v_fma_f64 v[33:34], v[33:34], v[37:38], v[33:34]
	v_fma_f64 v[37:38], -v[35:36], v[35:36], v[9:10]
	v_fma_f64 v[33:34], v[37:38], v[33:34], v[35:36]
	v_cndmask_b32_e32 v10, v34, v10, vcc
	v_cndmask_b32_e32 v9, v33, v9, vcc
	v_ldexp_f64 v[9:10], v[9:10], v39
	s_or_b64 vcc, s[16:17], s[14:15]
	s_or_b64 s[8:9], vcc, s[2:3]
	v_cndmask_b32_e64 v10, v10, v50, s[2:3]
	v_cndmask_b32_e32 v34, v10, v51, vcc
	v_cndmask_b32_e64 v33, v9, 0, s[8:9]
	v_frexp_mant_f64_e32 v[9:10], v[33:34]
	s_mov_b32 s8, 0xbf559e2b
	s_mov_b32 s9, 0x3fc3ab76
	v_cmp_gt_f64_e32 vcc, s[4:5], v[9:10]
	v_cndmask_b32_e64 v35, 0, 1, vcc
	v_ldexp_f64 v[9:10], v[9:10], v35
	v_add_f64 v[35:36], v[9:10], 1.0
	v_add_f64 v[41:42], v[9:10], -1.0
	v_rcp_f64_e32 v[37:38], v[35:36]
	v_add_f64 v[43:44], v[35:36], -1.0
	v_add_f64 v[9:10], v[9:10], -v[43:44]
	v_fma_f64 v[39:40], -v[35:36], v[37:38], 1.0
	v_fma_f64 v[37:38], v[39:40], v[37:38], v[37:38]
	v_fma_f64 v[39:40], -v[35:36], v[37:38], 1.0
	v_fma_f64 v[37:38], v[39:40], v[37:38], v[37:38]
	v_mul_f64 v[39:40], v[41:42], v[37:38]
	v_mul_f64 v[45:46], v[35:36], v[39:40]
	v_fma_f64 v[35:36], v[39:40], v[35:36], -v[45:46]
	v_fma_f64 v[9:10], v[39:40], v[9:10], v[35:36]
	v_add_f64 v[35:36], v[45:46], v[9:10]
	v_add_f64 v[43:44], v[41:42], -v[35:36]
	v_add_f64 v[45:46], v[35:36], -v[45:46]
	;; [unrolled: 1-line block ×5, first 2 shown]
	v_add_f64 v[9:10], v[9:10], v[35:36]
	v_add_f64 v[9:10], v[43:44], v[9:10]
	v_mul_f64 v[9:10], v[37:38], v[9:10]
	v_add_f64 v[35:36], v[39:40], v[9:10]
	v_mul_f64 v[37:38], v[35:36], v[35:36]
	v_fma_f64 v[41:42], v[37:38], s[8:9], v[17:18]
	s_mov_b32 s8, 0xd7f4df2e
	s_mov_b32 s9, 0x3fc7474d
	v_mul_f64 v[43:44], v[35:36], v[37:38]
	v_fma_f64 v[41:42], v[37:38], v[41:42], s[8:9]
	s_mov_b32 s8, 0x16291751
	s_mov_b32 s9, 0x3fcc71c0
	v_fma_f64 v[41:42], v[37:38], v[41:42], s[8:9]
	s_mov_b32 s8, 0x9b27acf1
	s_mov_b32 s9, 0x3fd24924
	v_fma_f64 v[41:42], v[37:38], v[41:42], s[8:9]
	v_fma_f64 v[41:42], v[37:38], v[41:42], s[52:53]
	;; [unrolled: 1-line block ×3, first 2 shown]
	v_ldexp_f64 v[41:42], v[35:36], 1
	v_add_f64 v[35:36], v[35:36], -v[39:40]
	v_mul_f64 v[37:38], v[43:44], v[37:38]
	v_frexp_exp_i32_f64_e32 v43, v[33:34]
	v_add_f64 v[9:10], v[9:10], -v[35:36]
	v_add_f64 v[39:40], v[41:42], v[37:38]
	v_subbrev_co_u32_e32 v43, vcc, 0, v43, vcc
	v_cvt_f64_i32_e32 v[43:44], v43
	v_ldexp_f64 v[9:10], v[9:10], 1
	v_cmp_class_f64_e64 vcc, v[33:34], s50
	v_mul_f64 v[45:46], v[43:44], s[54:55]
	v_add_f64 v[35:36], v[39:40], -v[41:42]
	v_fma_f64 v[41:42], v[43:44], s[54:55], -v[45:46]
	v_add_f64 v[35:36], v[37:38], -v[35:36]
	v_fma_f64 v[37:38], v[43:44], s[56:57], v[41:42]
	v_add_f64 v[9:10], v[9:10], v[35:36]
	v_add_f64 v[35:36], v[45:46], v[37:38]
	;; [unrolled: 1-line block ×3, first 2 shown]
	v_add_f64 v[45:46], v[35:36], -v[45:46]
	v_add_f64 v[43:44], v[35:36], v[41:42]
	v_add_f64 v[39:40], v[41:42], -v[39:40]
	v_add_f64 v[37:38], v[37:38], -v[45:46]
	;; [unrolled: 1-line block ×6, first 2 shown]
	v_add_f64 v[41:42], v[37:38], v[9:10]
	v_add_f64 v[35:36], v[35:36], -v[57:58]
	v_add_f64 v[35:36], v[39:40], v[35:36]
	v_add_f64 v[39:40], v[41:42], -v[37:38]
	;; [unrolled: 2-line block ×3, first 2 shown]
	v_add_f64 v[9:10], v[9:10], -v[39:40]
	v_add_f64 v[45:46], v[43:44], v[35:36]
	v_add_f64 v[37:38], v[37:38], -v[41:42]
	v_add_f64 v[39:40], v[45:46], -v[43:44]
	v_add_f64 v[9:10], v[9:10], v[37:38]
	v_add_f64 v[35:36], v[35:36], -v[39:40]
	v_add_f64 v[9:10], v[9:10], v[35:36]
	v_add_f64 v[9:10], v[45:46], v[9:10]
	v_cndmask_b32_e32 v9, v9, v33, vcc
	v_cndmask_b32_e32 v10, v10, v34, vcc
	v_cmp_ngt_f64_e32 vcc, 0, v[33:34]
	v_cndmask_b32_e32 v10, v50, v10, vcc
	v_cmp_nge_f64_e32 vcc, 0, v[33:34]
	v_cndmask_b32_e32 v9, 0, v9, vcc
	v_cmp_neq_f64_e32 vcc, 0, v[33:34]
	v_cndmask_b32_e32 v10, v52, v10, vcc
.LBB203_13:                             ;   in Loop: Header=BB203_5 Depth=1
	s_andn2_saveexec_b64 s[8:9], s[6:7]
	s_cbranch_execz .LBB203_17
; %bb.14:                               ;   in Loop: Header=BB203_5 Depth=1
	v_add_f64 v[33:34], v[9:10], 2.0
	v_mul_f64 v[35:36], v[11:12], v[11:12]
	v_fma_f64 v[33:34], v[9:10], v[33:34], v[35:36]
	v_cmp_neq_f64_e32 vcc, 0, v[33:34]
	s_and_saveexec_b64 s[10:11], vcc
	s_cbranch_execz .LBB203_16
; %bb.15:                               ;   in Loop: Header=BB203_5 Depth=1
	v_add_f64 v[9:10], v[33:34], 1.0
	s_mov_b32 s6, 0xbf559e2b
	s_mov_b32 s7, 0x3fc3ab76
	s_mov_b32 s43, s5
	v_frexp_mant_f64_e32 v[37:38], v[9:10]
	v_frexp_exp_i32_f64_e32 v41, v[9:10]
	v_add_f64 v[35:36], v[9:10], -1.0
	v_cmp_gt_f64_e32 vcc, s[4:5], v[37:38]
	v_add_f64 v[39:40], v[35:36], -v[9:10]
	v_add_f64 v[35:36], v[33:34], -v[35:36]
	v_subbrev_co_u32_e32 v63, vcc, 0, v41, vcc
	v_sub_u32_e32 v41, 0, v63
	v_ldexp_f64 v[9:10], v[9:10], v41
	v_add_f64 v[37:38], v[39:40], 1.0
	v_cmp_nge_f64_e32 vcc, -1.0, v[33:34]
	v_add_f64 v[39:40], v[9:10], 1.0
	v_add_f64 v[35:36], v[35:36], v[37:38]
	v_add_f64 v[45:46], v[9:10], -1.0
	v_add_f64 v[37:38], v[39:40], -1.0
	v_ldexp_f64 v[35:36], v[35:36], v41
	v_add_f64 v[47:48], v[45:46], 1.0
	v_add_f64 v[37:38], v[9:10], -v[37:38]
	v_add_f64 v[9:10], v[9:10], -v[47:48]
	v_add_f64 v[37:38], v[35:36], v[37:38]
	v_add_f64 v[9:10], v[35:36], v[9:10]
	;; [unrolled: 1-line block ×4, first 2 shown]
	v_rcp_f64_e32 v[43:44], v[41:42]
	v_add_f64 v[39:40], v[41:42], -v[39:40]
	v_add_f64 v[45:46], v[47:48], -v[45:46]
	;; [unrolled: 1-line block ×4, first 2 shown]
	v_fma_f64 v[57:58], -v[41:42], v[43:44], 1.0
	v_fma_f64 v[43:44], v[57:58], v[43:44], v[43:44]
	v_fma_f64 v[35:36], -v[41:42], v[43:44], 1.0
	v_fma_f64 v[35:36], v[35:36], v[43:44], v[43:44]
	v_mul_f64 v[43:44], v[47:48], v[35:36]
	v_mul_f64 v[57:58], v[41:42], v[43:44]
	v_fma_f64 v[39:40], v[43:44], v[41:42], -v[57:58]
	v_fma_f64 v[39:40], v[43:44], v[37:38], v[39:40]
	v_add_f64 v[59:60], v[57:58], v[39:40]
	v_add_f64 v[61:62], v[47:48], -v[59:60]
	v_add_f64 v[45:46], v[59:60], -v[57:58]
	v_add_f64 v[47:48], v[47:48], -v[61:62]
	v_add_f64 v[39:40], v[45:46], -v[39:40]
	v_add_f64 v[47:48], v[47:48], -v[59:60]
	v_add_f64 v[9:10], v[9:10], v[47:48]
	v_add_f64 v[9:10], v[39:40], v[9:10]
	;; [unrolled: 1-line block ×3, first 2 shown]
	v_mul_f64 v[45:46], v[35:36], v[39:40]
	v_add_f64 v[59:60], v[61:62], -v[39:40]
	v_mul_f64 v[47:48], v[41:42], v[45:46]
	v_add_f64 v[9:10], v[9:10], v[59:60]
	v_fma_f64 v[41:42], v[45:46], v[41:42], -v[47:48]
	v_fma_f64 v[37:38], v[45:46], v[37:38], v[41:42]
	v_add_f64 v[41:42], v[47:48], v[37:38]
	v_add_f64 v[57:58], v[39:40], -v[41:42]
	v_add_f64 v[47:48], v[41:42], -v[47:48]
	;; [unrolled: 1-line block ×5, first 2 shown]
	v_add_f64 v[9:10], v[9:10], v[39:40]
	v_add_f64 v[39:40], v[43:44], v[45:46]
	;; [unrolled: 1-line block ×3, first 2 shown]
	v_add_f64 v[37:38], v[39:40], -v[43:44]
	v_add_f64 v[9:10], v[57:58], v[9:10]
	v_add_f64 v[37:38], v[45:46], -v[37:38]
	v_mul_f64 v[9:10], v[35:36], v[9:10]
	v_add_f64 v[9:10], v[37:38], v[9:10]
	v_add_f64 v[35:36], v[39:40], v[9:10]
	v_mul_f64 v[37:38], v[35:36], v[35:36]
	v_fma_f64 v[41:42], v[37:38], s[6:7], v[17:18]
	s_mov_b32 s6, 0xd7f4df2e
	s_mov_b32 s7, 0x3fc7474d
	v_mul_f64 v[43:44], v[35:36], v[37:38]
	v_fma_f64 v[41:42], v[37:38], v[41:42], s[6:7]
	s_mov_b32 s6, 0x16291751
	s_mov_b32 s7, 0x3fcc71c0
	v_fma_f64 v[41:42], v[37:38], v[41:42], s[6:7]
	s_mov_b32 s6, 0x9b27acf1
	s_mov_b32 s7, 0x3fd24924
	;; [unrolled: 3-line block ×3, first 2 shown]
	v_cmp_neq_f64_e64 s[6:7], s[6:7], v[33:34]
	v_fma_f64 v[41:42], v[37:38], v[41:42], s[52:53]
	s_and_b64 vcc, vcc, s[6:7]
	v_fma_f64 v[37:38], v[37:38], v[41:42], s[42:43]
	v_ldexp_f64 v[41:42], v[35:36], 1
	v_add_f64 v[35:36], v[35:36], -v[39:40]
	v_mul_f64 v[37:38], v[43:44], v[37:38]
	v_cvt_f64_i32_e32 v[43:44], v63
	v_add_f64 v[9:10], v[9:10], -v[35:36]
	v_mul_f64 v[45:46], v[43:44], s[54:55]
	v_add_f64 v[39:40], v[41:42], v[37:38]
	v_ldexp_f64 v[9:10], v[9:10], 1
	v_add_f64 v[35:36], v[39:40], -v[41:42]
	v_fma_f64 v[41:42], v[43:44], s[54:55], -v[45:46]
	v_add_f64 v[35:36], v[37:38], -v[35:36]
	v_fma_f64 v[37:38], v[43:44], s[56:57], v[41:42]
	v_add_f64 v[9:10], v[9:10], v[35:36]
	v_add_f64 v[35:36], v[45:46], v[37:38]
	v_add_f64 v[41:42], v[39:40], v[9:10]
	v_add_f64 v[45:46], v[35:36], -v[45:46]
	v_add_f64 v[43:44], v[35:36], v[41:42]
	v_add_f64 v[39:40], v[41:42], -v[39:40]
	v_add_f64 v[37:38], v[37:38], -v[45:46]
	;; [unrolled: 1-line block ×6, first 2 shown]
	v_add_f64 v[41:42], v[37:38], v[9:10]
	v_add_f64 v[35:36], v[35:36], -v[57:58]
	v_add_f64 v[35:36], v[39:40], v[35:36]
	v_add_f64 v[39:40], v[41:42], -v[37:38]
	;; [unrolled: 2-line block ×3, first 2 shown]
	v_add_f64 v[9:10], v[9:10], -v[39:40]
	v_add_f64 v[45:46], v[43:44], v[35:36]
	v_add_f64 v[37:38], v[37:38], -v[41:42]
	v_add_f64 v[39:40], v[45:46], -v[43:44]
	v_add_f64 v[9:10], v[9:10], v[37:38]
	v_add_f64 v[35:36], v[35:36], -v[39:40]
	v_add_f64 v[9:10], v[9:10], v[35:36]
	v_add_f64 v[9:10], v[45:46], v[9:10]
	v_mul_f64 v[9:10], v[9:10], 0.5
	v_cndmask_b32_e32 v9, 0, v9, vcc
	v_cmp_ngt_f64_e32 vcc, -1.0, v[33:34]
	v_cndmask_b32_e64 v10, v51, v10, s[6:7]
	v_cndmask_b32_e32 v10, v50, v10, vcc
	v_cmp_neq_f64_e32 vcc, -1.0, v[33:34]
	v_cndmask_b32_e32 v10, v52, v10, vcc
.LBB203_16:                             ;   in Loop: Header=BB203_5 Depth=1
	s_or_b64 exec, exec, s[10:11]
.LBB203_17:                             ;   in Loop: Header=BB203_5 Depth=1
	s_or_b64 exec, exec, s[8:9]
	s_waitcnt vmcnt(0)
	v_max_f64 v[33:34], |v[13:14]|, |v[13:14]|
	v_max_f64 v[39:40], |v[15:16]|, |v[15:16]|
	v_cmp_class_f64_e64 s[10:11], v[13:14], s50
	v_cmp_class_f64_e64 s[18:19], v[15:16], s50
	v_max_f64 v[33:34], v[33:34], v[39:40]
	s_or_b64 s[10:11], s[10:11], s[18:19]
	v_frexp_exp_i32_f64_e32 v43, v[33:34]
	v_sub_u32_e32 v35, 0, v43
	v_ldexp_f64 v[33:34], |v[15:16]|, v35
	v_ldexp_f64 v[35:36], |v[13:14]|, v35
	v_mul_f64 v[33:34], v[33:34], v[33:34]
	v_fma_f64 v[35:36], v[35:36], v[35:36], v[33:34]
	v_rsq_f64_e32 v[33:34], v[35:36]
	v_cmp_eq_f64_e32 vcc, 0, v[35:36]
	v_mul_f64 v[37:38], v[35:36], v[33:34]
	v_mul_f64 v[33:34], v[33:34], 0.5
	v_fma_f64 v[41:42], -v[33:34], v[37:38], 0.5
	v_fma_f64 v[37:38], v[37:38], v[41:42], v[37:38]
	v_fma_f64 v[33:34], v[33:34], v[41:42], v[33:34]
	v_fma_f64 v[41:42], -v[37:38], v[37:38], v[35:36]
	v_fma_f64 v[37:38], v[41:42], v[33:34], v[37:38]
	v_add_f64 v[33:34], v[13:14], 1.0
	v_cndmask_b32_e32 v36, v38, v36, vcc
	v_cndmask_b32_e32 v35, v37, v35, vcc
	v_ldexp_f64 v[37:38], v[35:36], v43
	v_cmp_u_f64_e32 vcc, v[13:14], v[15:16]
	v_max_f64 v[35:36], |v[33:34]|, v[39:40]
	v_cmp_u_f64_e64 s[6:7], v[33:34], v[15:16]
	v_cmp_class_f64_e64 s[20:21], v[33:34], s50
	v_cmp_ngt_f64_e64 s[8:9], 0.5, v[37:38]
	s_or_b64 s[10:11], s[10:11], vcc
	s_or_b64 s[8:9], s[10:11], s[8:9]
	s_and_saveexec_b64 s[10:11], s[8:9]
	s_xor_b64 s[8:9], exec, s[10:11]
	s_cbranch_execz .LBB203_19
; %bb.18:                               ;   in Loop: Header=BB203_5 Depth=1
	v_frexp_exp_i32_f64_e32 v45, v[35:36]
	s_mov_b32 s43, s5
	v_sub_u32_e32 v37, 0, v45
	v_ldexp_f64 v[13:14], |v[15:16]|, v37
	v_ldexp_f64 v[37:38], |v[33:34]|, v37
	v_mul_f64 v[13:14], v[13:14], v[13:14]
	v_fma_f64 v[13:14], v[37:38], v[37:38], v[13:14]
	v_rsq_f64_e32 v[37:38], v[13:14]
	v_cmp_eq_f64_e32 vcc, 0, v[13:14]
	v_mul_f64 v[41:42], v[13:14], v[37:38]
	v_mul_f64 v[37:38], v[37:38], 0.5
	v_fma_f64 v[43:44], -v[37:38], v[41:42], 0.5
	v_fma_f64 v[41:42], v[41:42], v[43:44], v[41:42]
	v_fma_f64 v[37:38], v[37:38], v[43:44], v[37:38]
	v_fma_f64 v[43:44], -v[41:42], v[41:42], v[13:14]
	v_fma_f64 v[37:38], v[43:44], v[37:38], v[41:42]
	v_cndmask_b32_e32 v14, v38, v14, vcc
	v_cndmask_b32_e32 v13, v37, v13, vcc
	v_ldexp_f64 v[13:14], v[13:14], v45
	s_or_b64 vcc, s[20:21], s[18:19]
	s_or_b64 s[10:11], vcc, s[6:7]
	v_cndmask_b32_e64 v14, v14, v50, s[6:7]
	v_cndmask_b32_e32 v38, v14, v51, vcc
	v_cndmask_b32_e64 v37, v13, 0, s[10:11]
	v_frexp_mant_f64_e32 v[13:14], v[37:38]
	s_mov_b32 s10, 0xbf559e2b
	s_mov_b32 s11, 0x3fc3ab76
	v_cmp_gt_f64_e32 vcc, s[4:5], v[13:14]
	v_cndmask_b32_e64 v41, 0, 1, vcc
	v_ldexp_f64 v[13:14], v[13:14], v41
	v_add_f64 v[41:42], v[13:14], 1.0
	v_add_f64 v[47:48], v[13:14], -1.0
	v_rcp_f64_e32 v[43:44], v[41:42]
	v_add_f64 v[57:58], v[41:42], -1.0
	v_add_f64 v[13:14], v[13:14], -v[57:58]
	v_fma_f64 v[45:46], -v[41:42], v[43:44], 1.0
	v_fma_f64 v[43:44], v[45:46], v[43:44], v[43:44]
	v_fma_f64 v[45:46], -v[41:42], v[43:44], 1.0
	v_fma_f64 v[43:44], v[45:46], v[43:44], v[43:44]
	v_mul_f64 v[45:46], v[47:48], v[43:44]
	v_mul_f64 v[59:60], v[41:42], v[45:46]
	v_fma_f64 v[41:42], v[45:46], v[41:42], -v[59:60]
	v_fma_f64 v[13:14], v[45:46], v[13:14], v[41:42]
	v_add_f64 v[41:42], v[59:60], v[13:14]
	v_add_f64 v[57:58], v[47:48], -v[41:42]
	v_add_f64 v[59:60], v[41:42], -v[59:60]
	;; [unrolled: 1-line block ×5, first 2 shown]
	v_add_f64 v[13:14], v[13:14], v[41:42]
	v_add_f64 v[13:14], v[57:58], v[13:14]
	v_mul_f64 v[13:14], v[43:44], v[13:14]
	v_add_f64 v[41:42], v[45:46], v[13:14]
	v_mul_f64 v[43:44], v[41:42], v[41:42]
	v_fma_f64 v[47:48], v[43:44], s[10:11], v[17:18]
	s_mov_b32 s10, 0xd7f4df2e
	s_mov_b32 s11, 0x3fc7474d
	v_mul_f64 v[57:58], v[41:42], v[43:44]
	v_fma_f64 v[47:48], v[43:44], v[47:48], s[10:11]
	s_mov_b32 s10, 0x16291751
	s_mov_b32 s11, 0x3fcc71c0
	v_fma_f64 v[47:48], v[43:44], v[47:48], s[10:11]
	s_mov_b32 s10, 0x9b27acf1
	s_mov_b32 s11, 0x3fd24924
	v_fma_f64 v[47:48], v[43:44], v[47:48], s[10:11]
	v_fma_f64 v[47:48], v[43:44], v[47:48], s[52:53]
	;; [unrolled: 1-line block ×3, first 2 shown]
	v_ldexp_f64 v[47:48], v[41:42], 1
	v_add_f64 v[41:42], v[41:42], -v[45:46]
	v_mul_f64 v[43:44], v[57:58], v[43:44]
	v_frexp_exp_i32_f64_e32 v57, v[37:38]
	v_add_f64 v[13:14], v[13:14], -v[41:42]
	v_add_f64 v[45:46], v[47:48], v[43:44]
	v_subbrev_co_u32_e32 v57, vcc, 0, v57, vcc
	v_cvt_f64_i32_e32 v[57:58], v57
	v_ldexp_f64 v[13:14], v[13:14], 1
	v_cmp_class_f64_e64 vcc, v[37:38], s50
	v_mul_f64 v[59:60], v[57:58], s[54:55]
	v_add_f64 v[41:42], v[45:46], -v[47:48]
	v_fma_f64 v[47:48], v[57:58], s[54:55], -v[59:60]
	v_add_f64 v[41:42], v[43:44], -v[41:42]
	v_fma_f64 v[43:44], v[57:58], s[56:57], v[47:48]
	v_add_f64 v[13:14], v[13:14], v[41:42]
	v_add_f64 v[41:42], v[59:60], v[43:44]
	;; [unrolled: 1-line block ×3, first 2 shown]
	v_add_f64 v[59:60], v[41:42], -v[59:60]
	v_add_f64 v[57:58], v[41:42], v[47:48]
	v_add_f64 v[45:46], v[47:48], -v[45:46]
	v_add_f64 v[43:44], v[43:44], -v[59:60]
	;; [unrolled: 1-line block ×6, first 2 shown]
	v_add_f64 v[47:48], v[43:44], v[13:14]
	v_add_f64 v[41:42], v[41:42], -v[63:64]
	v_add_f64 v[41:42], v[45:46], v[41:42]
	v_add_f64 v[45:46], v[47:48], -v[43:44]
	;; [unrolled: 2-line block ×3, first 2 shown]
	v_add_f64 v[13:14], v[13:14], -v[45:46]
	v_add_f64 v[59:60], v[57:58], v[41:42]
	v_add_f64 v[43:44], v[43:44], -v[47:48]
	v_add_f64 v[45:46], v[59:60], -v[57:58]
	v_add_f64 v[13:14], v[13:14], v[43:44]
	v_add_f64 v[41:42], v[41:42], -v[45:46]
	v_add_f64 v[13:14], v[13:14], v[41:42]
	v_add_f64 v[13:14], v[59:60], v[13:14]
	v_cndmask_b32_e32 v13, v13, v37, vcc
	v_cndmask_b32_e32 v14, v14, v38, vcc
	v_cmp_ngt_f64_e32 vcc, 0, v[37:38]
	v_cndmask_b32_e32 v14, v50, v14, vcc
	v_cmp_nge_f64_e32 vcc, 0, v[37:38]
	v_cndmask_b32_e32 v13, 0, v13, vcc
	v_cmp_neq_f64_e32 vcc, 0, v[37:38]
	v_cndmask_b32_e32 v14, v52, v14, vcc
.LBB203_19:                             ;   in Loop: Header=BB203_5 Depth=1
	s_andn2_saveexec_b64 s[10:11], s[8:9]
	s_cbranch_execz .LBB203_23
; %bb.20:                               ;   in Loop: Header=BB203_5 Depth=1
	v_add_f64 v[37:38], v[13:14], 2.0
	v_mul_f64 v[41:42], v[15:16], v[15:16]
	v_fma_f64 v[37:38], v[13:14], v[37:38], v[41:42]
	v_cmp_neq_f64_e32 vcc, 0, v[37:38]
	s_and_saveexec_b64 s[12:13], vcc
	s_cbranch_execz .LBB203_22
; %bb.21:                               ;   in Loop: Header=BB203_5 Depth=1
	v_add_f64 v[13:14], v[37:38], 1.0
	s_mov_b32 s8, 0xbf559e2b
	s_mov_b32 s9, 0x3fc3ab76
	;; [unrolled: 1-line block ×3, first 2 shown]
	v_frexp_mant_f64_e32 v[43:44], v[13:14]
	v_frexp_exp_i32_f64_e32 v47, v[13:14]
	v_add_f64 v[41:42], v[13:14], -1.0
	v_cmp_gt_f64_e32 vcc, s[4:5], v[43:44]
	v_add_f64 v[45:46], v[41:42], -v[13:14]
	v_add_f64 v[41:42], v[37:38], -v[41:42]
	v_subbrev_co_u32_e32 v69, vcc, 0, v47, vcc
	v_sub_u32_e32 v47, 0, v69
	v_ldexp_f64 v[13:14], v[13:14], v47
	v_add_f64 v[43:44], v[45:46], 1.0
	v_cmp_nge_f64_e32 vcc, -1.0, v[37:38]
	v_add_f64 v[45:46], v[13:14], 1.0
	v_add_f64 v[41:42], v[41:42], v[43:44]
	v_add_f64 v[59:60], v[13:14], -1.0
	v_add_f64 v[43:44], v[45:46], -1.0
	v_ldexp_f64 v[41:42], v[41:42], v47
	v_add_f64 v[61:62], v[59:60], 1.0
	v_add_f64 v[43:44], v[13:14], -v[43:44]
	v_add_f64 v[13:14], v[13:14], -v[61:62]
	v_add_f64 v[43:44], v[41:42], v[43:44]
	v_add_f64 v[13:14], v[41:42], v[13:14]
	;; [unrolled: 1-line block ×4, first 2 shown]
	v_rcp_f64_e32 v[57:58], v[47:48]
	v_add_f64 v[45:46], v[47:48], -v[45:46]
	v_add_f64 v[59:60], v[61:62], -v[59:60]
	;; [unrolled: 1-line block ×4, first 2 shown]
	v_fma_f64 v[63:64], -v[47:48], v[57:58], 1.0
	v_fma_f64 v[57:58], v[63:64], v[57:58], v[57:58]
	v_fma_f64 v[41:42], -v[47:48], v[57:58], 1.0
	v_fma_f64 v[41:42], v[41:42], v[57:58], v[57:58]
	v_mul_f64 v[57:58], v[61:62], v[41:42]
	v_mul_f64 v[63:64], v[47:48], v[57:58]
	v_fma_f64 v[45:46], v[57:58], v[47:48], -v[63:64]
	v_fma_f64 v[45:46], v[57:58], v[43:44], v[45:46]
	v_add_f64 v[65:66], v[63:64], v[45:46]
	v_add_f64 v[67:68], v[61:62], -v[65:66]
	v_add_f64 v[59:60], v[65:66], -v[63:64]
	;; [unrolled: 1-line block ×5, first 2 shown]
	v_add_f64 v[13:14], v[13:14], v[61:62]
	v_add_f64 v[13:14], v[45:46], v[13:14]
	;; [unrolled: 1-line block ×3, first 2 shown]
	v_mul_f64 v[59:60], v[41:42], v[45:46]
	v_add_f64 v[65:66], v[67:68], -v[45:46]
	v_mul_f64 v[61:62], v[47:48], v[59:60]
	v_add_f64 v[13:14], v[13:14], v[65:66]
	v_fma_f64 v[47:48], v[59:60], v[47:48], -v[61:62]
	v_fma_f64 v[43:44], v[59:60], v[43:44], v[47:48]
	v_add_f64 v[47:48], v[61:62], v[43:44]
	v_add_f64 v[63:64], v[45:46], -v[47:48]
	v_add_f64 v[61:62], v[47:48], -v[61:62]
	;; [unrolled: 1-line block ×5, first 2 shown]
	v_add_f64 v[13:14], v[13:14], v[45:46]
	v_add_f64 v[45:46], v[57:58], v[59:60]
	;; [unrolled: 1-line block ×3, first 2 shown]
	v_add_f64 v[43:44], v[45:46], -v[57:58]
	v_add_f64 v[13:14], v[63:64], v[13:14]
	v_add_f64 v[43:44], v[59:60], -v[43:44]
	v_mul_f64 v[13:14], v[41:42], v[13:14]
	v_add_f64 v[13:14], v[43:44], v[13:14]
	v_add_f64 v[41:42], v[45:46], v[13:14]
	v_mul_f64 v[43:44], v[41:42], v[41:42]
	v_fma_f64 v[47:48], v[43:44], s[8:9], v[17:18]
	s_mov_b32 s8, 0xd7f4df2e
	s_mov_b32 s9, 0x3fc7474d
	v_mul_f64 v[57:58], v[41:42], v[43:44]
	v_fma_f64 v[47:48], v[43:44], v[47:48], s[8:9]
	s_mov_b32 s8, 0x16291751
	s_mov_b32 s9, 0x3fcc71c0
	v_fma_f64 v[47:48], v[43:44], v[47:48], s[8:9]
	s_mov_b32 s8, 0x9b27acf1
	s_mov_b32 s9, 0x3fd24924
	;; [unrolled: 3-line block ×3, first 2 shown]
	v_cmp_neq_f64_e64 s[8:9], s[8:9], v[37:38]
	v_fma_f64 v[47:48], v[43:44], v[47:48], s[52:53]
	s_and_b64 vcc, vcc, s[8:9]
	v_fma_f64 v[43:44], v[43:44], v[47:48], s[42:43]
	v_ldexp_f64 v[47:48], v[41:42], 1
	v_add_f64 v[41:42], v[41:42], -v[45:46]
	v_mul_f64 v[43:44], v[57:58], v[43:44]
	v_cvt_f64_i32_e32 v[57:58], v69
	v_add_f64 v[13:14], v[13:14], -v[41:42]
	v_mul_f64 v[59:60], v[57:58], s[54:55]
	v_add_f64 v[45:46], v[47:48], v[43:44]
	v_ldexp_f64 v[13:14], v[13:14], 1
	v_add_f64 v[41:42], v[45:46], -v[47:48]
	v_fma_f64 v[47:48], v[57:58], s[54:55], -v[59:60]
	v_add_f64 v[41:42], v[43:44], -v[41:42]
	v_fma_f64 v[43:44], v[57:58], s[56:57], v[47:48]
	v_add_f64 v[13:14], v[13:14], v[41:42]
	v_add_f64 v[41:42], v[59:60], v[43:44]
	;; [unrolled: 1-line block ×3, first 2 shown]
	v_add_f64 v[59:60], v[41:42], -v[59:60]
	v_add_f64 v[57:58], v[41:42], v[47:48]
	v_add_f64 v[45:46], v[47:48], -v[45:46]
	v_add_f64 v[43:44], v[43:44], -v[59:60]
	;; [unrolled: 1-line block ×6, first 2 shown]
	v_add_f64 v[47:48], v[43:44], v[13:14]
	v_add_f64 v[41:42], v[41:42], -v[63:64]
	v_add_f64 v[41:42], v[45:46], v[41:42]
	v_add_f64 v[45:46], v[47:48], -v[43:44]
	;; [unrolled: 2-line block ×3, first 2 shown]
	v_add_f64 v[13:14], v[13:14], -v[45:46]
	v_add_f64 v[59:60], v[57:58], v[41:42]
	v_add_f64 v[43:44], v[43:44], -v[47:48]
	v_add_f64 v[45:46], v[59:60], -v[57:58]
	v_add_f64 v[13:14], v[13:14], v[43:44]
	v_add_f64 v[41:42], v[41:42], -v[45:46]
	v_add_f64 v[13:14], v[13:14], v[41:42]
	v_add_f64 v[13:14], v[59:60], v[13:14]
	v_mul_f64 v[13:14], v[13:14], 0.5
	v_cndmask_b32_e32 v13, 0, v13, vcc
	v_cmp_ngt_f64_e32 vcc, -1.0, v[37:38]
	v_cndmask_b32_e64 v14, v51, v14, s[8:9]
	v_cndmask_b32_e32 v14, v50, v14, vcc
	v_cmp_neq_f64_e32 vcc, -1.0, v[37:38]
	v_cndmask_b32_e32 v14, v52, v14, vcc
.LBB203_22:                             ;   in Loop: Header=BB203_5 Depth=1
	s_or_b64 exec, exec, s[12:13]
.LBB203_23:                             ;   in Loop: Header=BB203_5 Depth=1
	s_or_b64 exec, exec, s[10:11]
	v_max_f64 v[37:38], |v[5:6]|, |v[5:6]|
	v_max_f64 v[43:44], |v[7:8]|, |v[7:8]|
	v_cmp_class_f64_e64 s[12:13], v[5:6], s50
	v_cmp_class_f64_e64 s[28:29], v[7:8], s50
	v_max_f64 v[37:38], v[37:38], v[43:44]
	s_or_b64 s[12:13], s[12:13], s[28:29]
	v_frexp_exp_i32_f64_e32 v57, v[37:38]
	v_sub_u32_e32 v41, 0, v57
	v_ldexp_f64 v[37:38], |v[7:8]|, v41
	v_ldexp_f64 v[41:42], |v[5:6]|, v41
	v_mul_f64 v[37:38], v[37:38], v[37:38]
	v_fma_f64 v[41:42], v[41:42], v[41:42], v[37:38]
	v_rsq_f64_e32 v[37:38], v[41:42]
	v_cmp_eq_f64_e32 vcc, 0, v[41:42]
	v_mul_f64 v[45:46], v[41:42], v[37:38]
	v_mul_f64 v[37:38], v[37:38], 0.5
	v_fma_f64 v[47:48], -v[37:38], v[45:46], 0.5
	v_fma_f64 v[45:46], v[45:46], v[47:48], v[45:46]
	v_fma_f64 v[37:38], v[37:38], v[47:48], v[37:38]
	v_fma_f64 v[47:48], -v[45:46], v[45:46], v[41:42]
	v_fma_f64 v[45:46], v[47:48], v[37:38], v[45:46]
	v_add_f64 v[37:38], v[5:6], 1.0
	v_cndmask_b32_e32 v42, v46, v42, vcc
	v_cndmask_b32_e32 v41, v45, v41, vcc
	v_ldexp_f64 v[45:46], v[41:42], v57
	v_cmp_u_f64_e32 vcc, v[5:6], v[7:8]
	v_max_f64 v[41:42], |v[37:38]|, v[43:44]
	v_cmp_u_f64_e64 s[8:9], v[37:38], v[7:8]
	v_cmp_class_f64_e64 s[48:49], v[37:38], s50
	v_cmp_ngt_f64_e64 s[10:11], 0.5, v[45:46]
	s_or_b64 s[12:13], s[12:13], vcc
	s_or_b64 s[10:11], s[12:13], s[10:11]
	s_and_saveexec_b64 s[12:13], s[10:11]
	s_xor_b64 s[10:11], exec, s[12:13]
	s_cbranch_execz .LBB203_25
; %bb.24:                               ;   in Loop: Header=BB203_5 Depth=1
	v_frexp_exp_i32_f64_e32 v59, v[41:42]
	s_mov_b32 s43, s5
	v_sub_u32_e32 v45, 0, v59
	v_ldexp_f64 v[5:6], |v[7:8]|, v45
	v_ldexp_f64 v[45:46], |v[37:38]|, v45
	v_mul_f64 v[5:6], v[5:6], v[5:6]
	v_fma_f64 v[5:6], v[45:46], v[45:46], v[5:6]
	v_rsq_f64_e32 v[45:46], v[5:6]
	v_cmp_eq_f64_e32 vcc, 0, v[5:6]
	v_mul_f64 v[47:48], v[5:6], v[45:46]
	v_mul_f64 v[45:46], v[45:46], 0.5
	v_fma_f64 v[57:58], -v[45:46], v[47:48], 0.5
	v_fma_f64 v[47:48], v[47:48], v[57:58], v[47:48]
	v_fma_f64 v[45:46], v[45:46], v[57:58], v[45:46]
	v_fma_f64 v[57:58], -v[47:48], v[47:48], v[5:6]
	v_fma_f64 v[45:46], v[57:58], v[45:46], v[47:48]
	v_cndmask_b32_e32 v6, v46, v6, vcc
	v_cndmask_b32_e32 v5, v45, v5, vcc
	v_ldexp_f64 v[5:6], v[5:6], v59
	s_or_b64 vcc, s[48:49], s[28:29]
	s_or_b64 s[12:13], vcc, s[8:9]
	v_cndmask_b32_e64 v6, v6, v50, s[8:9]
	v_cndmask_b32_e32 v46, v6, v51, vcc
	v_cndmask_b32_e64 v45, v5, 0, s[12:13]
	v_frexp_mant_f64_e32 v[5:6], v[45:46]
	s_mov_b32 s12, 0xbf559e2b
	s_mov_b32 s13, 0x3fc3ab76
	v_cmp_gt_f64_e32 vcc, s[4:5], v[5:6]
	v_cndmask_b32_e64 v47, 0, 1, vcc
	v_ldexp_f64 v[5:6], v[5:6], v47
	v_add_f64 v[47:48], v[5:6], 1.0
	v_add_f64 v[61:62], v[5:6], -1.0
	v_rcp_f64_e32 v[57:58], v[47:48]
	v_add_f64 v[63:64], v[47:48], -1.0
	v_add_f64 v[5:6], v[5:6], -v[63:64]
	v_fma_f64 v[59:60], -v[47:48], v[57:58], 1.0
	v_fma_f64 v[57:58], v[59:60], v[57:58], v[57:58]
	v_fma_f64 v[59:60], -v[47:48], v[57:58], 1.0
	v_fma_f64 v[57:58], v[59:60], v[57:58], v[57:58]
	v_mul_f64 v[59:60], v[61:62], v[57:58]
	v_mul_f64 v[65:66], v[47:48], v[59:60]
	v_fma_f64 v[47:48], v[59:60], v[47:48], -v[65:66]
	v_fma_f64 v[5:6], v[59:60], v[5:6], v[47:48]
	v_add_f64 v[47:48], v[65:66], v[5:6]
	v_add_f64 v[63:64], v[61:62], -v[47:48]
	v_add_f64 v[65:66], v[47:48], -v[65:66]
	v_add_f64 v[61:62], v[61:62], -v[63:64]
	v_add_f64 v[5:6], v[65:66], -v[5:6]
	v_add_f64 v[47:48], v[61:62], -v[47:48]
	v_add_f64 v[5:6], v[5:6], v[47:48]
	v_add_f64 v[5:6], v[63:64], v[5:6]
	v_mul_f64 v[5:6], v[57:58], v[5:6]
	v_add_f64 v[47:48], v[59:60], v[5:6]
	v_mul_f64 v[57:58], v[47:48], v[47:48]
	v_fma_f64 v[61:62], v[57:58], s[12:13], v[17:18]
	s_mov_b32 s12, 0xd7f4df2e
	s_mov_b32 s13, 0x3fc7474d
	v_mul_f64 v[63:64], v[47:48], v[57:58]
	v_fma_f64 v[61:62], v[57:58], v[61:62], s[12:13]
	s_mov_b32 s12, 0x16291751
	s_mov_b32 s13, 0x3fcc71c0
	v_fma_f64 v[61:62], v[57:58], v[61:62], s[12:13]
	s_mov_b32 s12, 0x9b27acf1
	s_mov_b32 s13, 0x3fd24924
	v_fma_f64 v[61:62], v[57:58], v[61:62], s[12:13]
	v_fma_f64 v[61:62], v[57:58], v[61:62], s[52:53]
	;; [unrolled: 1-line block ×3, first 2 shown]
	v_ldexp_f64 v[61:62], v[47:48], 1
	v_add_f64 v[47:48], v[47:48], -v[59:60]
	v_mul_f64 v[57:58], v[63:64], v[57:58]
	v_frexp_exp_i32_f64_e32 v63, v[45:46]
	v_add_f64 v[5:6], v[5:6], -v[47:48]
	v_add_f64 v[59:60], v[61:62], v[57:58]
	v_subbrev_co_u32_e32 v63, vcc, 0, v63, vcc
	v_cvt_f64_i32_e32 v[63:64], v63
	v_ldexp_f64 v[5:6], v[5:6], 1
	v_cmp_class_f64_e64 vcc, v[45:46], s50
	v_mul_f64 v[65:66], v[63:64], s[54:55]
	v_add_f64 v[47:48], v[59:60], -v[61:62]
	v_fma_f64 v[61:62], v[63:64], s[54:55], -v[65:66]
	v_add_f64 v[47:48], v[57:58], -v[47:48]
	v_fma_f64 v[57:58], v[63:64], s[56:57], v[61:62]
	v_add_f64 v[5:6], v[5:6], v[47:48]
	v_add_f64 v[47:48], v[65:66], v[57:58]
	;; [unrolled: 1-line block ×3, first 2 shown]
	v_add_f64 v[65:66], v[47:48], -v[65:66]
	v_add_f64 v[63:64], v[47:48], v[61:62]
	v_add_f64 v[59:60], v[61:62], -v[59:60]
	v_add_f64 v[57:58], v[57:58], -v[65:66]
	;; [unrolled: 1-line block ×6, first 2 shown]
	v_add_f64 v[61:62], v[57:58], v[5:6]
	v_add_f64 v[47:48], v[47:48], -v[69:70]
	v_add_f64 v[47:48], v[59:60], v[47:48]
	v_add_f64 v[59:60], v[61:62], -v[57:58]
	;; [unrolled: 2-line block ×3, first 2 shown]
	v_add_f64 v[5:6], v[5:6], -v[59:60]
	v_add_f64 v[65:66], v[63:64], v[47:48]
	v_add_f64 v[57:58], v[57:58], -v[61:62]
	v_add_f64 v[59:60], v[65:66], -v[63:64]
	v_add_f64 v[5:6], v[5:6], v[57:58]
	v_add_f64 v[47:48], v[47:48], -v[59:60]
	v_add_f64 v[5:6], v[5:6], v[47:48]
	v_add_f64 v[5:6], v[65:66], v[5:6]
	v_cndmask_b32_e32 v5, v5, v45, vcc
	v_cndmask_b32_e32 v6, v6, v46, vcc
	v_cmp_ngt_f64_e32 vcc, 0, v[45:46]
	v_cndmask_b32_e32 v6, v50, v6, vcc
	v_cmp_nge_f64_e32 vcc, 0, v[45:46]
	v_cndmask_b32_e32 v5, 0, v5, vcc
	v_cmp_neq_f64_e32 vcc, 0, v[45:46]
	v_cndmask_b32_e32 v6, v52, v6, vcc
.LBB203_25:                             ;   in Loop: Header=BB203_5 Depth=1
	s_andn2_saveexec_b64 s[12:13], s[10:11]
	s_cbranch_execz .LBB203_4
; %bb.26:                               ;   in Loop: Header=BB203_5 Depth=1
	v_add_f64 v[45:46], v[5:6], 2.0
	v_mul_f64 v[47:48], v[7:8], v[7:8]
	v_fma_f64 v[45:46], v[5:6], v[45:46], v[47:48]
	v_cmp_neq_f64_e32 vcc, 0, v[45:46]
	s_and_saveexec_b64 s[26:27], vcc
	s_cbranch_execz .LBB203_3
; %bb.27:                               ;   in Loop: Header=BB203_5 Depth=1
	v_add_f64 v[5:6], v[45:46], 1.0
	s_mov_b32 s10, 0xbf559e2b
	s_mov_b32 s11, 0x3fc3ab76
	;; [unrolled: 1-line block ×3, first 2 shown]
	v_frexp_mant_f64_e32 v[57:58], v[5:6]
	v_frexp_exp_i32_f64_e32 v61, v[5:6]
	v_add_f64 v[47:48], v[5:6], -1.0
	v_cmp_gt_f64_e32 vcc, s[4:5], v[57:58]
	v_add_f64 v[59:60], v[47:48], -v[5:6]
	v_add_f64 v[47:48], v[45:46], -v[47:48]
	v_subbrev_co_u32_e32 v75, vcc, 0, v61, vcc
	v_sub_u32_e32 v61, 0, v75
	v_ldexp_f64 v[5:6], v[5:6], v61
	v_add_f64 v[57:58], v[59:60], 1.0
	v_cmp_nge_f64_e32 vcc, -1.0, v[45:46]
	v_add_f64 v[59:60], v[5:6], 1.0
	v_add_f64 v[47:48], v[47:48], v[57:58]
	v_add_f64 v[65:66], v[5:6], -1.0
	v_add_f64 v[57:58], v[59:60], -1.0
	v_ldexp_f64 v[47:48], v[47:48], v61
	v_add_f64 v[67:68], v[65:66], 1.0
	v_add_f64 v[57:58], v[5:6], -v[57:58]
	v_add_f64 v[5:6], v[5:6], -v[67:68]
	v_add_f64 v[57:58], v[47:48], v[57:58]
	v_add_f64 v[5:6], v[47:48], v[5:6]
	;; [unrolled: 1-line block ×4, first 2 shown]
	v_rcp_f64_e32 v[63:64], v[61:62]
	v_add_f64 v[59:60], v[61:62], -v[59:60]
	v_add_f64 v[65:66], v[67:68], -v[65:66]
	;; [unrolled: 1-line block ×4, first 2 shown]
	v_fma_f64 v[69:70], -v[61:62], v[63:64], 1.0
	v_fma_f64 v[63:64], v[69:70], v[63:64], v[63:64]
	v_fma_f64 v[47:48], -v[61:62], v[63:64], 1.0
	v_fma_f64 v[47:48], v[47:48], v[63:64], v[63:64]
	v_mul_f64 v[63:64], v[67:68], v[47:48]
	v_mul_f64 v[69:70], v[61:62], v[63:64]
	v_fma_f64 v[59:60], v[63:64], v[61:62], -v[69:70]
	v_fma_f64 v[59:60], v[63:64], v[57:58], v[59:60]
	v_add_f64 v[71:72], v[69:70], v[59:60]
	v_add_f64 v[73:74], v[67:68], -v[71:72]
	v_add_f64 v[65:66], v[71:72], -v[69:70]
	;; [unrolled: 1-line block ×5, first 2 shown]
	v_add_f64 v[5:6], v[5:6], v[67:68]
	v_add_f64 v[5:6], v[59:60], v[5:6]
	;; [unrolled: 1-line block ×3, first 2 shown]
	v_mul_f64 v[65:66], v[47:48], v[59:60]
	v_add_f64 v[71:72], v[73:74], -v[59:60]
	v_mul_f64 v[67:68], v[61:62], v[65:66]
	v_add_f64 v[5:6], v[5:6], v[71:72]
	v_fma_f64 v[61:62], v[65:66], v[61:62], -v[67:68]
	v_fma_f64 v[57:58], v[65:66], v[57:58], v[61:62]
	v_add_f64 v[61:62], v[67:68], v[57:58]
	v_add_f64 v[69:70], v[59:60], -v[61:62]
	v_add_f64 v[67:68], v[61:62], -v[67:68]
	;; [unrolled: 1-line block ×5, first 2 shown]
	v_add_f64 v[5:6], v[5:6], v[59:60]
	v_add_f64 v[59:60], v[63:64], v[65:66]
	;; [unrolled: 1-line block ×3, first 2 shown]
	v_add_f64 v[57:58], v[59:60], -v[63:64]
	v_add_f64 v[5:6], v[69:70], v[5:6]
	v_add_f64 v[57:58], v[65:66], -v[57:58]
	v_mul_f64 v[5:6], v[47:48], v[5:6]
	v_add_f64 v[5:6], v[57:58], v[5:6]
	v_add_f64 v[47:48], v[59:60], v[5:6]
	v_mul_f64 v[57:58], v[47:48], v[47:48]
	v_fma_f64 v[61:62], v[57:58], s[10:11], v[17:18]
	s_mov_b32 s10, 0xd7f4df2e
	s_mov_b32 s11, 0x3fc7474d
	v_mul_f64 v[63:64], v[47:48], v[57:58]
	v_fma_f64 v[61:62], v[57:58], v[61:62], s[10:11]
	s_mov_b32 s10, 0x16291751
	s_mov_b32 s11, 0x3fcc71c0
	v_fma_f64 v[61:62], v[57:58], v[61:62], s[10:11]
	s_mov_b32 s10, 0x9b27acf1
	s_mov_b32 s11, 0x3fd24924
	;; [unrolled: 3-line block ×3, first 2 shown]
	v_cmp_neq_f64_e64 s[10:11], s[10:11], v[45:46]
	v_fma_f64 v[61:62], v[57:58], v[61:62], s[52:53]
	s_and_b64 vcc, vcc, s[10:11]
	v_fma_f64 v[57:58], v[57:58], v[61:62], s[42:43]
	v_ldexp_f64 v[61:62], v[47:48], 1
	v_add_f64 v[47:48], v[47:48], -v[59:60]
	v_mul_f64 v[57:58], v[63:64], v[57:58]
	v_cvt_f64_i32_e32 v[63:64], v75
	v_add_f64 v[5:6], v[5:6], -v[47:48]
	v_mul_f64 v[65:66], v[63:64], s[54:55]
	v_add_f64 v[59:60], v[61:62], v[57:58]
	v_ldexp_f64 v[5:6], v[5:6], 1
	v_add_f64 v[47:48], v[59:60], -v[61:62]
	v_fma_f64 v[61:62], v[63:64], s[54:55], -v[65:66]
	v_add_f64 v[47:48], v[57:58], -v[47:48]
	v_fma_f64 v[57:58], v[63:64], s[56:57], v[61:62]
	v_add_f64 v[5:6], v[5:6], v[47:48]
	v_add_f64 v[47:48], v[65:66], v[57:58]
	;; [unrolled: 1-line block ×3, first 2 shown]
	v_add_f64 v[65:66], v[47:48], -v[65:66]
	v_add_f64 v[63:64], v[47:48], v[61:62]
	v_add_f64 v[59:60], v[61:62], -v[59:60]
	v_add_f64 v[57:58], v[57:58], -v[65:66]
	;; [unrolled: 1-line block ×6, first 2 shown]
	v_add_f64 v[61:62], v[57:58], v[5:6]
	v_add_f64 v[47:48], v[47:48], -v[69:70]
	v_add_f64 v[47:48], v[59:60], v[47:48]
	v_add_f64 v[59:60], v[61:62], -v[57:58]
	;; [unrolled: 2-line block ×3, first 2 shown]
	v_add_f64 v[5:6], v[5:6], -v[59:60]
	v_add_f64 v[65:66], v[63:64], v[47:48]
	v_add_f64 v[57:58], v[57:58], -v[61:62]
	v_add_f64 v[59:60], v[65:66], -v[63:64]
	v_add_f64 v[5:6], v[5:6], v[57:58]
	v_add_f64 v[47:48], v[47:48], -v[59:60]
	v_add_f64 v[5:6], v[5:6], v[47:48]
	v_add_f64 v[5:6], v[65:66], v[5:6]
	v_mul_f64 v[5:6], v[5:6], 0.5
	v_cndmask_b32_e32 v5, 0, v5, vcc
	v_cmp_ngt_f64_e32 vcc, -1.0, v[45:46]
	v_cndmask_b32_e64 v6, v51, v6, s[10:11]
	v_cndmask_b32_e32 v6, v50, v6, vcc
	v_cmp_neq_f64_e32 vcc, -1.0, v[45:46]
	v_cndmask_b32_e32 v6, v52, v6, vcc
	s_branch .LBB203_3
.LBB203_28:
	v_readlane_b32 s0, v81, 6
	v_readlane_b32 s1, v81, 7
	s_or_b64 exec, exec, s[0:1]
	v_readlane_b32 s4, v81, 2
	s_mov_b64 s[0:1], 0
	v_readlane_b32 s5, v81, 3
.LBB203_29:
	s_andn2_b64 vcc, exec, s[0:1]
	s_cbranch_vccnz .LBB203_73
; %bb.30:
	v_readlane_b32 s0, v81, 0
	v_readlane_b32 s1, v81, 1
	v_cmp_lt_i64_e64 s[0:1], s[0:1], 1
	s_and_b64 vcc, exec, s[0:1]
	s_cbranch_vccnz .LBB203_73
; %bb.31:
	v_mov_b32_e32 v1, 0x10000
	v_readlane_b32 s6, v81, 0
	s_load_dword s2, s[4:5], 0xc5c
	v_mov_b32_e32 v2, 0
	v_readlane_b32 s7, v81, 1
	v_cmp_lt_i64_e32 vcc, s[6:7], v[1:2]
	s_mov_b32 s22, 0x55555555
	s_and_b64 s[0:1], vcc, exec
	v_cmp_lt_u64_e32 vcc, s[6:7], v[1:2]
	s_cselect_b32 s19, s7, 0
	s_cselect_b32 s18, s6, 0x10000
	s_waitcnt lgkmcnt(0)
	s_and_b32 s33, s2, 0xffff
	s_and_b64 s[0:1], vcc, exec
	s_mov_b32 s24, 0xbf559e2b
	s_mov_b32 s26, 0xd7f4df2e
	;; [unrolled: 1-line block ×19, first 2 shown]
	s_cselect_b32 s21, s7, 0
	s_cselect_b32 s20, s6, 0x10000
	s_mov_b32 s23, 0x3fe55555
	s_mov_b32 s25, 0x3fc3ab76
	;; [unrolled: 1-line block ×20, first 2 shown]
	v_mov_b32_e32 v55, 0x7ff80000
	v_mov_b32_e32 v56, 0x7ff00000
	;; [unrolled: 1-line block ×11, first 2 shown]
	s_lshl_b32 s58, s33, 1
	s_lshl_b32 s59, s33, 2
	s_movk_i32 s60, 0x204
	s_brev_b32 s61, -2
	s_mov_b64 s[84:85], 0
	s_mov_b32 s86, 0x55555780
	s_mov_b32 s91, 0x400921fb
	s_branch .LBB203_33
.LBB203_32:                             ;   in Loop: Header=BB203_33 Depth=1
	s_or_b64 exec, exec, s[2:3]
	s_add_u32 s84, s84, s59
	v_mov_b32_e32 v1, s18
	s_addc_u32 s85, s85, 0
	v_mov_b32_e32 v2, s19
	v_cmp_ge_i64_e32 vcc, s[84:85], v[1:2]
	s_cbranch_vccnz .LBB203_73
.LBB203_33:                             ; =>This Inner Loop Header: Depth=1
	v_mov_b32_e32 v1, s85
	v_add_co_u32_e32 v27, vcc, s84, v0
	v_addc_co_u32_e32 v28, vcc, 0, v1, vcc
	v_cmp_gt_u64_e32 vcc, s[20:21], v[27:28]
	v_mov_b32_e32 v11, 0
	v_mov_b32_e32 v15, 0
	;; [unrolled: 1-line block ×6, first 2 shown]
	s_and_saveexec_b64 s[2:3], vcc
	s_cbranch_execz .LBB203_35
; %bb.34:                               ;   in Loop: Header=BB203_33 Depth=1
	v_lshlrev_b64 v[1:2], 4, v[27:28]
	v_mov_b32_e32 v3, s47
	v_add_co_u32_e64 v1, s[0:1], s46, v1
	v_addc_co_u32_e64 v2, s[0:1], v3, v2, s[0:1]
	global_load_dwordx4 v[13:16], v[1:2], off
.LBB203_35:                             ;   in Loop: Header=BB203_33 Depth=1
	s_or_b64 exec, exec, s[2:3]
	v_add_co_u32_e64 v25, s[0:1], s33, v27
	v_addc_co_u32_e64 v26, s[0:1], 0, v28, s[0:1]
	v_cmp_gt_u64_e64 s[4:5], s[20:21], v[25:26]
	v_mov_b32_e32 v9, 0
	v_mov_b32_e32 v10, 0
	s_and_saveexec_b64 s[2:3], s[4:5]
	s_cbranch_execz .LBB203_37
; %bb.36:                               ;   in Loop: Header=BB203_33 Depth=1
	v_lshlrev_b64 v[1:2], 4, v[25:26]
	v_mov_b32_e32 v3, s47
	v_add_co_u32_e64 v1, s[0:1], s46, v1
	v_addc_co_u32_e64 v2, s[0:1], v3, v2, s[0:1]
	global_load_dwordx4 v[9:12], v[1:2], off
.LBB203_37:                             ;   in Loop: Header=BB203_33 Depth=1
	s_or_b64 exec, exec, s[2:3]
	v_add_co_u32_e64 v23, s[0:1], s58, v27
	v_addc_co_u32_e64 v24, s[0:1], 0, v28, s[0:1]
	v_cmp_gt_u64_e64 s[2:3], s[20:21], v[23:24]
	v_mov_b32_e32 v3, 0
	v_mov_b32_e32 v7, 0
	v_mov_b32_e32 v5, 0
	v_mov_b32_e32 v4, 0
	v_mov_b32_e32 v8, 0
	v_mov_b32_e32 v6, 0
	s_and_saveexec_b64 s[6:7], s[2:3]
	s_cbranch_execz .LBB203_39
; %bb.38:                               ;   in Loop: Header=BB203_33 Depth=1
	v_lshlrev_b64 v[1:2], 4, v[23:24]
	v_mov_b32_e32 v5, s47
	v_add_co_u32_e64 v1, s[0:1], s46, v1
	v_addc_co_u32_e64 v2, s[0:1], v5, v2, s[0:1]
	global_load_dwordx4 v[5:8], v[1:2], off
.LBB203_39:                             ;   in Loop: Header=BB203_33 Depth=1
	s_or_b64 exec, exec, s[6:7]
	s_mul_i32 s0, s33, 3
	v_add_co_u32_e64 v21, s[0:1], s0, v27
	v_addc_co_u32_e64 v22, s[0:1], 0, v28, s[0:1]
	v_cmp_gt_u64_e64 s[0:1], s[20:21], v[21:22]
	v_mov_b32_e32 v1, 0
	v_mov_b32_e32 v2, 0
	s_and_saveexec_b64 s[8:9], s[0:1]
	s_cbranch_execz .LBB203_41
; %bb.40:                               ;   in Loop: Header=BB203_33 Depth=1
	v_lshlrev_b64 v[1:2], 4, v[21:22]
	v_mov_b32_e32 v3, s47
	v_add_co_u32_e64 v1, s[6:7], s46, v1
	v_addc_co_u32_e64 v2, s[6:7], v3, v2, s[6:7]
	global_load_dwordx4 v[1:4], v[1:2], off
.LBB203_41:                             ;   in Loop: Header=BB203_33 Depth=1
	s_or_b64 exec, exec, s[8:9]
	s_waitcnt vmcnt(0)
	v_max_f64 v[29:30], |v[13:14]|, |v[13:14]|
	v_max_f64 v[31:32], |v[15:16]|, |v[15:16]|
	v_cmp_class_f64_e64 s[12:13], v[13:14], s60
	v_cmp_class_f64_e64 s[92:93], v[15:16], s60
	v_cmp_u_f64_e64 s[8:9], v[13:14], v[15:16]
	v_max_f64 v[29:30], v[29:30], v[31:32]
	s_or_b64 s[12:13], s[92:93], s[12:13]
	s_or_b64 s[8:9], s[12:13], s[8:9]
	v_frexp_exp_i32_f64_e32 v39, v[29:30]
	v_sub_u32_e32 v33, 0, v39
	v_ldexp_f64 v[29:30], |v[15:16]|, v33
	v_ldexp_f64 v[33:34], |v[13:14]|, v33
	v_mul_f64 v[29:30], v[29:30], v[29:30]
	v_fma_f64 v[33:34], v[33:34], v[33:34], v[29:30]
	v_rsq_f64_e32 v[29:30], v[33:34]
	v_cmp_eq_f64_e64 s[6:7], 0, v[33:34]
	v_mul_f64 v[35:36], v[33:34], v[29:30]
	v_mul_f64 v[29:30], v[29:30], 0.5
	v_fma_f64 v[37:38], -v[29:30], v[35:36], 0.5
	v_fma_f64 v[35:36], v[35:36], v[37:38], v[35:36]
	v_fma_f64 v[29:30], v[29:30], v[37:38], v[29:30]
	v_fma_f64 v[37:38], -v[35:36], v[35:36], v[33:34]
	v_fma_f64 v[35:36], v[37:38], v[29:30], v[35:36]
	v_add_f64 v[29:30], v[13:14], 1.0
	v_cndmask_b32_e64 v34, v36, v34, s[6:7]
	v_cndmask_b32_e64 v33, v35, v33, s[6:7]
	v_ldexp_f64 v[35:36], v[33:34], v39
	v_max_f64 v[33:34], |v[29:30]|, v[31:32]
	v_cmp_u_f64_e64 s[6:7], v[29:30], v[15:16]
	v_cmp_class_f64_e64 s[94:95], v[29:30], s60
	v_cmp_ngt_f64_e64 s[10:11], 0.5, v[35:36]
	s_or_b64 s[8:9], s[8:9], s[10:11]
	s_and_saveexec_b64 s[10:11], s[8:9]
	s_xor_b64 s[10:11], exec, s[10:11]
	s_cbranch_execz .LBB203_43
; %bb.42:                               ;   in Loop: Header=BB203_33 Depth=1
	v_frexp_exp_i32_f64_e32 v41, v[33:34]
	s_mov_b32 s87, s23
	v_sub_u32_e32 v35, 0, v41
	v_ldexp_f64 v[13:14], |v[15:16]|, v35
	v_ldexp_f64 v[35:36], |v[29:30]|, v35
	v_mul_f64 v[13:14], v[13:14], v[13:14]
	v_fma_f64 v[13:14], v[35:36], v[35:36], v[13:14]
	v_rsq_f64_e32 v[35:36], v[13:14]
	v_cmp_eq_f64_e64 s[8:9], 0, v[13:14]
	v_mul_f64 v[37:38], v[13:14], v[35:36]
	v_mul_f64 v[35:36], v[35:36], 0.5
	v_fma_f64 v[39:40], -v[35:36], v[37:38], 0.5
	v_fma_f64 v[37:38], v[37:38], v[39:40], v[37:38]
	v_fma_f64 v[35:36], v[35:36], v[39:40], v[35:36]
	v_fma_f64 v[39:40], -v[37:38], v[37:38], v[13:14]
	v_fma_f64 v[35:36], v[39:40], v[35:36], v[37:38]
	v_cndmask_b32_e64 v14, v36, v14, s[8:9]
	v_cndmask_b32_e64 v13, v35, v13, s[8:9]
	v_ldexp_f64 v[13:14], v[13:14], v41
	s_or_b64 s[8:9], s[92:93], s[94:95]
	v_cndmask_b32_e64 v14, v14, v55, s[6:7]
	v_cndmask_b32_e64 v36, v14, v56, s[8:9]
	s_or_b64 s[8:9], s[8:9], s[6:7]
	v_cndmask_b32_e64 v35, v13, 0, s[8:9]
	v_frexp_mant_f64_e32 v[13:14], v[35:36]
	v_cmp_gt_f64_e64 s[8:9], s[22:23], v[13:14]
	v_cndmask_b32_e64 v37, 0, 1, s[8:9]
	v_ldexp_f64 v[13:14], v[13:14], v37
	v_add_f64 v[37:38], v[13:14], 1.0
	v_add_f64 v[43:44], v[13:14], -1.0
	v_rcp_f64_e32 v[39:40], v[37:38]
	v_add_f64 v[45:46], v[37:38], -1.0
	v_add_f64 v[13:14], v[13:14], -v[45:46]
	v_fma_f64 v[41:42], -v[37:38], v[39:40], 1.0
	v_fma_f64 v[39:40], v[41:42], v[39:40], v[39:40]
	v_fma_f64 v[41:42], -v[37:38], v[39:40], 1.0
	v_fma_f64 v[39:40], v[41:42], v[39:40], v[39:40]
	v_mul_f64 v[41:42], v[43:44], v[39:40]
	v_mul_f64 v[47:48], v[37:38], v[41:42]
	v_fma_f64 v[37:38], v[41:42], v[37:38], -v[47:48]
	v_fma_f64 v[13:14], v[41:42], v[13:14], v[37:38]
	v_add_f64 v[37:38], v[47:48], v[13:14]
	v_add_f64 v[45:46], v[43:44], -v[37:38]
	v_add_f64 v[47:48], v[37:38], -v[47:48]
	;; [unrolled: 1-line block ×5, first 2 shown]
	v_add_f64 v[13:14], v[13:14], v[37:38]
	v_add_f64 v[13:14], v[45:46], v[13:14]
	v_mul_f64 v[13:14], v[39:40], v[13:14]
	v_add_f64 v[37:38], v[41:42], v[13:14]
	v_mul_f64 v[39:40], v[37:38], v[37:38]
	v_fma_f64 v[43:44], v[39:40], s[24:25], v[17:18]
	v_mul_f64 v[45:46], v[37:38], v[39:40]
	v_fma_f64 v[43:44], v[39:40], v[43:44], s[26:27]
	v_fma_f64 v[43:44], v[39:40], v[43:44], s[28:29]
	;; [unrolled: 1-line block ×5, first 2 shown]
	v_ldexp_f64 v[43:44], v[37:38], 1
	v_add_f64 v[37:38], v[37:38], -v[41:42]
	v_mul_f64 v[39:40], v[45:46], v[39:40]
	v_frexp_exp_i32_f64_e32 v45, v[35:36]
	v_add_f64 v[13:14], v[13:14], -v[37:38]
	v_add_f64 v[41:42], v[43:44], v[39:40]
	v_subbrev_co_u32_e64 v45, s[8:9], 0, v45, s[8:9]
	v_cvt_f64_i32_e32 v[45:46], v45
	v_ldexp_f64 v[13:14], v[13:14], 1
	v_cmp_class_f64_e64 s[8:9], v[35:36], s60
	v_mul_f64 v[47:48], v[45:46], s[36:37]
	v_add_f64 v[37:38], v[41:42], -v[43:44]
	v_fma_f64 v[43:44], v[45:46], s[36:37], -v[47:48]
	v_add_f64 v[37:38], v[39:40], -v[37:38]
	v_fma_f64 v[39:40], v[45:46], s[38:39], v[43:44]
	v_add_f64 v[13:14], v[13:14], v[37:38]
	v_add_f64 v[37:38], v[47:48], v[39:40]
	v_add_f64 v[43:44], v[41:42], v[13:14]
	v_add_f64 v[47:48], v[37:38], -v[47:48]
	v_add_f64 v[45:46], v[37:38], v[43:44]
	v_add_f64 v[41:42], v[43:44], -v[41:42]
	v_add_f64 v[39:40], v[39:40], -v[47:48]
	;; [unrolled: 1-line block ×6, first 2 shown]
	v_add_f64 v[43:44], v[39:40], v[13:14]
	v_add_f64 v[37:38], v[37:38], -v[51:52]
	v_add_f64 v[37:38], v[41:42], v[37:38]
	v_add_f64 v[41:42], v[43:44], -v[39:40]
	;; [unrolled: 2-line block ×3, first 2 shown]
	v_add_f64 v[13:14], v[13:14], -v[41:42]
	v_add_f64 v[47:48], v[45:46], v[37:38]
	v_add_f64 v[39:40], v[39:40], -v[43:44]
	v_add_f64 v[41:42], v[47:48], -v[45:46]
	v_add_f64 v[13:14], v[13:14], v[39:40]
	v_add_f64 v[37:38], v[37:38], -v[41:42]
	v_add_f64 v[13:14], v[13:14], v[37:38]
	v_add_f64 v[13:14], v[47:48], v[13:14]
	v_cndmask_b32_e64 v13, v13, v35, s[8:9]
	v_cndmask_b32_e64 v14, v14, v36, s[8:9]
	v_cmp_ngt_f64_e64 s[8:9], 0, v[35:36]
	v_cndmask_b32_e64 v14, v55, v14, s[8:9]
	v_cmp_nge_f64_e64 s[8:9], 0, v[35:36]
	v_cndmask_b32_e64 v13, 0, v13, s[8:9]
	v_cmp_neq_f64_e64 s[8:9], 0, v[35:36]
	v_cndmask_b32_e64 v14, v57, v14, s[8:9]
.LBB203_43:                             ;   in Loop: Header=BB203_33 Depth=1
	s_andn2_saveexec_b64 s[12:13], s[10:11]
	s_cbranch_execz .LBB203_47
; %bb.44:                               ;   in Loop: Header=BB203_33 Depth=1
	v_add_f64 v[35:36], v[13:14], 2.0
	v_mul_f64 v[35:36], v[13:14], v[35:36]
	v_fma_f64 v[35:36], v[15:16], v[15:16], v[35:36]
	v_cmp_neq_f64_e64 s[8:9], 0, v[35:36]
	s_and_saveexec_b64 s[14:15], s[8:9]
	s_cbranch_execz .LBB203_46
; %bb.45:                               ;   in Loop: Header=BB203_33 Depth=1
	v_add_f64 v[13:14], v[35:36], 1.0
	s_mov_b32 s87, s23
	s_mov_b32 s10, 0
	;; [unrolled: 1-line block ×3, first 2 shown]
	v_cmp_neq_f64_e64 s[10:11], s[10:11], v[35:36]
	v_frexp_mant_f64_e32 v[39:40], v[13:14]
	v_frexp_exp_i32_f64_e32 v43, v[13:14]
	v_add_f64 v[37:38], v[13:14], -1.0
	v_cmp_gt_f64_e64 s[8:9], s[22:23], v[39:40]
	v_add_f64 v[41:42], v[37:38], -v[13:14]
	v_add_f64 v[37:38], v[35:36], -v[37:38]
	v_subbrev_co_u32_e64 v64, s[8:9], 0, v43, s[8:9]
	v_sub_u32_e32 v43, 0, v64
	v_ldexp_f64 v[13:14], v[13:14], v43
	v_add_f64 v[39:40], v[41:42], 1.0
	v_cmp_nge_f64_e64 s[8:9], -1.0, v[35:36]
	v_add_f64 v[41:42], v[13:14], 1.0
	v_add_f64 v[37:38], v[37:38], v[39:40]
	v_add_f64 v[47:48], v[13:14], -1.0
	s_and_b64 s[8:9], s[8:9], s[10:11]
	v_add_f64 v[39:40], v[41:42], -1.0
	v_ldexp_f64 v[37:38], v[37:38], v43
	v_add_f64 v[49:50], v[47:48], 1.0
	v_add_f64 v[39:40], v[13:14], -v[39:40]
	v_add_f64 v[13:14], v[13:14], -v[49:50]
	v_add_f64 v[39:40], v[37:38], v[39:40]
	v_add_f64 v[13:14], v[37:38], v[13:14]
	v_add_f64 v[43:44], v[41:42], v[39:40]
	v_add_f64 v[49:50], v[47:48], v[13:14]
	v_rcp_f64_e32 v[45:46], v[43:44]
	v_add_f64 v[41:42], v[43:44], -v[41:42]
	v_add_f64 v[47:48], v[49:50], -v[47:48]
	;; [unrolled: 1-line block ×4, first 2 shown]
	v_fma_f64 v[51:52], -v[43:44], v[45:46], 1.0
	v_fma_f64 v[45:46], v[51:52], v[45:46], v[45:46]
	v_fma_f64 v[37:38], -v[43:44], v[45:46], 1.0
	v_fma_f64 v[37:38], v[37:38], v[45:46], v[45:46]
	v_mul_f64 v[45:46], v[49:50], v[37:38]
	v_mul_f64 v[51:52], v[43:44], v[45:46]
	v_fma_f64 v[41:42], v[45:46], v[43:44], -v[51:52]
	v_fma_f64 v[41:42], v[45:46], v[39:40], v[41:42]
	v_add_f64 v[53:54], v[51:52], v[41:42]
	v_add_f64 v[62:63], v[49:50], -v[53:54]
	v_add_f64 v[47:48], v[53:54], -v[51:52]
	;; [unrolled: 1-line block ×5, first 2 shown]
	v_add_f64 v[13:14], v[13:14], v[49:50]
	v_add_f64 v[13:14], v[41:42], v[13:14]
	;; [unrolled: 1-line block ×3, first 2 shown]
	v_mul_f64 v[47:48], v[37:38], v[41:42]
	v_add_f64 v[53:54], v[62:63], -v[41:42]
	v_mul_f64 v[49:50], v[43:44], v[47:48]
	v_add_f64 v[13:14], v[13:14], v[53:54]
	v_fma_f64 v[43:44], v[47:48], v[43:44], -v[49:50]
	v_fma_f64 v[39:40], v[47:48], v[39:40], v[43:44]
	v_add_f64 v[43:44], v[49:50], v[39:40]
	v_add_f64 v[51:52], v[41:42], -v[43:44]
	v_add_f64 v[49:50], v[43:44], -v[49:50]
	;; [unrolled: 1-line block ×5, first 2 shown]
	v_add_f64 v[13:14], v[13:14], v[41:42]
	v_add_f64 v[41:42], v[45:46], v[47:48]
	v_add_f64 v[13:14], v[39:40], v[13:14]
	v_add_f64 v[39:40], v[41:42], -v[45:46]
	v_add_f64 v[13:14], v[51:52], v[13:14]
	v_add_f64 v[39:40], v[47:48], -v[39:40]
	v_mul_f64 v[13:14], v[37:38], v[13:14]
	v_add_f64 v[13:14], v[39:40], v[13:14]
	v_add_f64 v[37:38], v[41:42], v[13:14]
	v_mul_f64 v[39:40], v[37:38], v[37:38]
	v_fma_f64 v[43:44], v[39:40], s[24:25], v[17:18]
	v_mul_f64 v[45:46], v[37:38], v[39:40]
	v_fma_f64 v[43:44], v[39:40], v[43:44], s[26:27]
	v_fma_f64 v[43:44], v[39:40], v[43:44], s[28:29]
	;; [unrolled: 1-line block ×5, first 2 shown]
	v_ldexp_f64 v[43:44], v[37:38], 1
	v_add_f64 v[37:38], v[37:38], -v[41:42]
	v_mul_f64 v[39:40], v[45:46], v[39:40]
	v_cvt_f64_i32_e32 v[45:46], v64
	v_add_f64 v[13:14], v[13:14], -v[37:38]
	v_mul_f64 v[47:48], v[45:46], s[36:37]
	v_add_f64 v[41:42], v[43:44], v[39:40]
	v_ldexp_f64 v[13:14], v[13:14], 1
	v_add_f64 v[37:38], v[41:42], -v[43:44]
	v_fma_f64 v[43:44], v[45:46], s[36:37], -v[47:48]
	v_add_f64 v[37:38], v[39:40], -v[37:38]
	v_fma_f64 v[39:40], v[45:46], s[38:39], v[43:44]
	v_add_f64 v[13:14], v[13:14], v[37:38]
	v_add_f64 v[37:38], v[47:48], v[39:40]
	;; [unrolled: 1-line block ×3, first 2 shown]
	v_add_f64 v[47:48], v[37:38], -v[47:48]
	v_add_f64 v[45:46], v[37:38], v[43:44]
	v_add_f64 v[41:42], v[43:44], -v[41:42]
	v_add_f64 v[39:40], v[39:40], -v[47:48]
	;; [unrolled: 1-line block ×6, first 2 shown]
	v_add_f64 v[43:44], v[39:40], v[13:14]
	v_add_f64 v[37:38], v[37:38], -v[51:52]
	v_add_f64 v[37:38], v[41:42], v[37:38]
	v_add_f64 v[41:42], v[43:44], -v[39:40]
	;; [unrolled: 2-line block ×3, first 2 shown]
	v_add_f64 v[13:14], v[13:14], -v[41:42]
	v_add_f64 v[47:48], v[45:46], v[37:38]
	v_add_f64 v[39:40], v[39:40], -v[43:44]
	v_add_f64 v[41:42], v[47:48], -v[45:46]
	v_add_f64 v[13:14], v[13:14], v[39:40]
	v_add_f64 v[37:38], v[37:38], -v[41:42]
	v_add_f64 v[13:14], v[13:14], v[37:38]
	v_add_f64 v[13:14], v[47:48], v[13:14]
	v_mul_f64 v[13:14], v[13:14], 0.5
	v_cndmask_b32_e64 v13, 0, v13, s[8:9]
	v_cmp_ngt_f64_e64 s[8:9], -1.0, v[35:36]
	v_cndmask_b32_e64 v14, v56, v14, s[10:11]
	v_cndmask_b32_e64 v14, v55, v14, s[8:9]
	v_cmp_neq_f64_e64 s[8:9], -1.0, v[35:36]
	v_cndmask_b32_e64 v14, v57, v14, s[8:9]
.LBB203_46:                             ;   in Loop: Header=BB203_33 Depth=1
	s_or_b64 exec, exec, s[14:15]
.LBB203_47:                             ;   in Loop: Header=BB203_33 Depth=1
	s_or_b64 exec, exec, s[12:13]
	v_max_f64 v[35:36], |v[9:10]|, |v[9:10]|
	v_max_f64 v[37:38], |v[11:12]|, |v[11:12]|
	v_cmp_class_f64_e64 s[14:15], v[9:10], s60
	v_cmp_class_f64_e64 s[88:89], v[11:12], s60
	v_cmp_u_f64_e64 s[10:11], v[9:10], v[11:12]
	v_max_f64 v[35:36], v[35:36], v[37:38]
	s_or_b64 s[14:15], s[88:89], s[14:15]
	s_or_b64 s[10:11], s[14:15], s[10:11]
	v_frexp_exp_i32_f64_e32 v45, v[35:36]
	v_sub_u32_e32 v39, 0, v45
	v_ldexp_f64 v[35:36], |v[11:12]|, v39
	v_ldexp_f64 v[39:40], |v[9:10]|, v39
	v_mul_f64 v[35:36], v[35:36], v[35:36]
	v_fma_f64 v[39:40], v[39:40], v[39:40], v[35:36]
	v_rsq_f64_e32 v[35:36], v[39:40]
	v_cmp_eq_f64_e64 s[8:9], 0, v[39:40]
	v_mul_f64 v[41:42], v[39:40], v[35:36]
	v_mul_f64 v[35:36], v[35:36], 0.5
	v_fma_f64 v[43:44], -v[35:36], v[41:42], 0.5
	v_fma_f64 v[41:42], v[41:42], v[43:44], v[41:42]
	v_fma_f64 v[35:36], v[35:36], v[43:44], v[35:36]
	v_fma_f64 v[43:44], -v[41:42], v[41:42], v[39:40]
	v_fma_f64 v[41:42], v[43:44], v[35:36], v[41:42]
	v_add_f64 v[35:36], v[9:10], 1.0
	v_cndmask_b32_e64 v40, v42, v40, s[8:9]
	v_cndmask_b32_e64 v39, v41, v39, s[8:9]
	v_ldexp_f64 v[41:42], v[39:40], v45
	v_max_f64 v[39:40], |v[35:36]|, v[37:38]
	v_cmp_u_f64_e64 s[8:9], v[35:36], v[11:12]
	v_cmp_class_f64_e64 s[40:41], v[35:36], s60
	v_cmp_ngt_f64_e64 s[12:13], 0.5, v[41:42]
	s_or_b64 s[10:11], s[10:11], s[12:13]
	s_and_saveexec_b64 s[12:13], s[10:11]
	s_xor_b64 s[12:13], exec, s[12:13]
	s_cbranch_execz .LBB203_49
; %bb.48:                               ;   in Loop: Header=BB203_33 Depth=1
	v_frexp_exp_i32_f64_e32 v47, v[39:40]
	s_mov_b32 s87, s23
	v_sub_u32_e32 v41, 0, v47
	v_ldexp_f64 v[9:10], |v[11:12]|, v41
	v_ldexp_f64 v[41:42], |v[35:36]|, v41
	v_mul_f64 v[9:10], v[9:10], v[9:10]
	v_fma_f64 v[9:10], v[41:42], v[41:42], v[9:10]
	v_rsq_f64_e32 v[41:42], v[9:10]
	v_cmp_eq_f64_e64 s[10:11], 0, v[9:10]
	v_mul_f64 v[43:44], v[9:10], v[41:42]
	v_mul_f64 v[41:42], v[41:42], 0.5
	v_fma_f64 v[45:46], -v[41:42], v[43:44], 0.5
	v_fma_f64 v[43:44], v[43:44], v[45:46], v[43:44]
	v_fma_f64 v[41:42], v[41:42], v[45:46], v[41:42]
	v_fma_f64 v[45:46], -v[43:44], v[43:44], v[9:10]
	v_fma_f64 v[41:42], v[45:46], v[41:42], v[43:44]
	v_cndmask_b32_e64 v10, v42, v10, s[10:11]
	v_cndmask_b32_e64 v9, v41, v9, s[10:11]
	v_ldexp_f64 v[9:10], v[9:10], v47
	s_or_b64 s[10:11], s[88:89], s[40:41]
	v_cndmask_b32_e64 v10, v10, v55, s[8:9]
	v_cndmask_b32_e64 v42, v10, v56, s[10:11]
	s_or_b64 s[10:11], s[10:11], s[8:9]
	v_cndmask_b32_e64 v41, v9, 0, s[10:11]
	v_frexp_mant_f64_e32 v[9:10], v[41:42]
	v_cmp_gt_f64_e64 s[10:11], s[22:23], v[9:10]
	v_cndmask_b32_e64 v43, 0, 1, s[10:11]
	v_ldexp_f64 v[9:10], v[9:10], v43
	v_add_f64 v[43:44], v[9:10], 1.0
	v_add_f64 v[49:50], v[9:10], -1.0
	v_rcp_f64_e32 v[45:46], v[43:44]
	v_add_f64 v[51:52], v[43:44], -1.0
	v_add_f64 v[9:10], v[9:10], -v[51:52]
	v_fma_f64 v[47:48], -v[43:44], v[45:46], 1.0
	v_fma_f64 v[45:46], v[47:48], v[45:46], v[45:46]
	v_fma_f64 v[47:48], -v[43:44], v[45:46], 1.0
	v_fma_f64 v[45:46], v[47:48], v[45:46], v[45:46]
	v_mul_f64 v[47:48], v[49:50], v[45:46]
	v_mul_f64 v[53:54], v[43:44], v[47:48]
	v_fma_f64 v[43:44], v[47:48], v[43:44], -v[53:54]
	v_fma_f64 v[9:10], v[47:48], v[9:10], v[43:44]
	v_add_f64 v[43:44], v[53:54], v[9:10]
	v_add_f64 v[51:52], v[49:50], -v[43:44]
	v_add_f64 v[53:54], v[43:44], -v[53:54]
	v_add_f64 v[49:50], v[49:50], -v[51:52]
	v_add_f64 v[9:10], v[53:54], -v[9:10]
	v_add_f64 v[43:44], v[49:50], -v[43:44]
	v_add_f64 v[9:10], v[9:10], v[43:44]
	v_add_f64 v[9:10], v[51:52], v[9:10]
	v_mul_f64 v[9:10], v[45:46], v[9:10]
	v_add_f64 v[43:44], v[47:48], v[9:10]
	v_mul_f64 v[45:46], v[43:44], v[43:44]
	v_fma_f64 v[49:50], v[45:46], s[24:25], v[17:18]
	v_mul_f64 v[51:52], v[43:44], v[45:46]
	v_fma_f64 v[49:50], v[45:46], v[49:50], s[26:27]
	v_fma_f64 v[49:50], v[45:46], v[49:50], s[28:29]
	;; [unrolled: 1-line block ×5, first 2 shown]
	v_ldexp_f64 v[49:50], v[43:44], 1
	v_add_f64 v[43:44], v[43:44], -v[47:48]
	v_mul_f64 v[45:46], v[51:52], v[45:46]
	v_frexp_exp_i32_f64_e32 v51, v[41:42]
	v_add_f64 v[9:10], v[9:10], -v[43:44]
	v_add_f64 v[47:48], v[49:50], v[45:46]
	v_subbrev_co_u32_e64 v51, s[10:11], 0, v51, s[10:11]
	v_cvt_f64_i32_e32 v[51:52], v51
	v_ldexp_f64 v[9:10], v[9:10], 1
	v_cmp_class_f64_e64 s[10:11], v[41:42], s60
	v_mul_f64 v[53:54], v[51:52], s[36:37]
	v_add_f64 v[43:44], v[47:48], -v[49:50]
	v_fma_f64 v[49:50], v[51:52], s[36:37], -v[53:54]
	v_add_f64 v[43:44], v[45:46], -v[43:44]
	v_fma_f64 v[45:46], v[51:52], s[38:39], v[49:50]
	v_add_f64 v[9:10], v[9:10], v[43:44]
	v_add_f64 v[43:44], v[53:54], v[45:46]
	;; [unrolled: 1-line block ×3, first 2 shown]
	v_add_f64 v[53:54], v[43:44], -v[53:54]
	v_add_f64 v[51:52], v[43:44], v[49:50]
	v_add_f64 v[47:48], v[49:50], -v[47:48]
	v_add_f64 v[45:46], v[45:46], -v[53:54]
	;; [unrolled: 1-line block ×6, first 2 shown]
	v_add_f64 v[49:50], v[45:46], v[9:10]
	v_add_f64 v[43:44], v[43:44], -v[64:65]
	v_add_f64 v[43:44], v[47:48], v[43:44]
	v_add_f64 v[47:48], v[49:50], -v[45:46]
	;; [unrolled: 2-line block ×3, first 2 shown]
	v_add_f64 v[9:10], v[9:10], -v[47:48]
	v_add_f64 v[53:54], v[51:52], v[43:44]
	v_add_f64 v[45:46], v[45:46], -v[49:50]
	v_add_f64 v[47:48], v[53:54], -v[51:52]
	v_add_f64 v[9:10], v[9:10], v[45:46]
	v_add_f64 v[43:44], v[43:44], -v[47:48]
	v_add_f64 v[9:10], v[9:10], v[43:44]
	v_add_f64 v[9:10], v[53:54], v[9:10]
	v_cndmask_b32_e64 v9, v9, v41, s[10:11]
	v_cndmask_b32_e64 v10, v10, v42, s[10:11]
	v_cmp_ngt_f64_e64 s[10:11], 0, v[41:42]
	v_cndmask_b32_e64 v10, v55, v10, s[10:11]
	v_cmp_nge_f64_e64 s[10:11], 0, v[41:42]
	v_cndmask_b32_e64 v9, 0, v9, s[10:11]
	v_cmp_neq_f64_e64 s[10:11], 0, v[41:42]
	v_cndmask_b32_e64 v10, v57, v10, s[10:11]
.LBB203_49:                             ;   in Loop: Header=BB203_33 Depth=1
	s_andn2_saveexec_b64 s[14:15], s[12:13]
	s_cbranch_execz .LBB203_53
; %bb.50:                               ;   in Loop: Header=BB203_33 Depth=1
	v_add_f64 v[41:42], v[9:10], 2.0
	v_mul_f64 v[41:42], v[9:10], v[41:42]
	v_fma_f64 v[41:42], v[11:12], v[11:12], v[41:42]
	v_cmp_neq_f64_e64 s[10:11], 0, v[41:42]
	s_and_saveexec_b64 s[16:17], s[10:11]
	s_cbranch_execz .LBB203_52
; %bb.51:                               ;   in Loop: Header=BB203_33 Depth=1
	v_add_f64 v[9:10], v[41:42], 1.0
	s_mov_b32 s87, s23
	s_mov_b32 s12, 0
	;; [unrolled: 1-line block ×3, first 2 shown]
	v_cmp_neq_f64_e64 s[12:13], s[12:13], v[41:42]
	v_frexp_mant_f64_e32 v[45:46], v[9:10]
	v_frexp_exp_i32_f64_e32 v49, v[9:10]
	v_add_f64 v[43:44], v[9:10], -1.0
	v_cmp_gt_f64_e64 s[10:11], s[22:23], v[45:46]
	v_add_f64 v[47:48], v[43:44], -v[9:10]
	v_add_f64 v[43:44], v[41:42], -v[43:44]
	v_subbrev_co_u32_e64 v70, s[10:11], 0, v49, s[10:11]
	v_sub_u32_e32 v49, 0, v70
	v_ldexp_f64 v[9:10], v[9:10], v49
	v_add_f64 v[45:46], v[47:48], 1.0
	v_cmp_nge_f64_e64 s[10:11], -1.0, v[41:42]
	v_add_f64 v[47:48], v[9:10], 1.0
	v_add_f64 v[43:44], v[43:44], v[45:46]
	v_add_f64 v[53:54], v[9:10], -1.0
	s_and_b64 s[10:11], s[10:11], s[12:13]
	v_add_f64 v[45:46], v[47:48], -1.0
	v_ldexp_f64 v[43:44], v[43:44], v49
	v_add_f64 v[62:63], v[53:54], 1.0
	v_add_f64 v[45:46], v[9:10], -v[45:46]
	v_add_f64 v[9:10], v[9:10], -v[62:63]
	v_add_f64 v[45:46], v[43:44], v[45:46]
	v_add_f64 v[9:10], v[43:44], v[9:10]
	;; [unrolled: 1-line block ×4, first 2 shown]
	v_rcp_f64_e32 v[51:52], v[49:50]
	v_add_f64 v[47:48], v[49:50], -v[47:48]
	v_add_f64 v[53:54], v[62:63], -v[53:54]
	;; [unrolled: 1-line block ×4, first 2 shown]
	v_fma_f64 v[64:65], -v[49:50], v[51:52], 1.0
	v_fma_f64 v[51:52], v[64:65], v[51:52], v[51:52]
	v_fma_f64 v[43:44], -v[49:50], v[51:52], 1.0
	v_fma_f64 v[43:44], v[43:44], v[51:52], v[51:52]
	v_mul_f64 v[51:52], v[62:63], v[43:44]
	v_mul_f64 v[64:65], v[49:50], v[51:52]
	v_fma_f64 v[47:48], v[51:52], v[49:50], -v[64:65]
	v_fma_f64 v[47:48], v[51:52], v[45:46], v[47:48]
	v_add_f64 v[66:67], v[64:65], v[47:48]
	v_add_f64 v[68:69], v[62:63], -v[66:67]
	v_add_f64 v[53:54], v[66:67], -v[64:65]
	;; [unrolled: 1-line block ×5, first 2 shown]
	v_add_f64 v[9:10], v[9:10], v[62:63]
	v_add_f64 v[9:10], v[47:48], v[9:10]
	;; [unrolled: 1-line block ×3, first 2 shown]
	v_mul_f64 v[53:54], v[43:44], v[47:48]
	v_add_f64 v[66:67], v[68:69], -v[47:48]
	v_mul_f64 v[62:63], v[49:50], v[53:54]
	v_add_f64 v[9:10], v[9:10], v[66:67]
	v_fma_f64 v[49:50], v[53:54], v[49:50], -v[62:63]
	v_fma_f64 v[45:46], v[53:54], v[45:46], v[49:50]
	v_add_f64 v[49:50], v[62:63], v[45:46]
	v_add_f64 v[64:65], v[47:48], -v[49:50]
	v_add_f64 v[62:63], v[49:50], -v[62:63]
	;; [unrolled: 1-line block ×5, first 2 shown]
	v_add_f64 v[9:10], v[9:10], v[47:48]
	v_add_f64 v[47:48], v[51:52], v[53:54]
	;; [unrolled: 1-line block ×3, first 2 shown]
	v_add_f64 v[45:46], v[47:48], -v[51:52]
	v_add_f64 v[9:10], v[64:65], v[9:10]
	v_add_f64 v[45:46], v[53:54], -v[45:46]
	v_mul_f64 v[9:10], v[43:44], v[9:10]
	v_add_f64 v[9:10], v[45:46], v[9:10]
	v_add_f64 v[43:44], v[47:48], v[9:10]
	v_mul_f64 v[45:46], v[43:44], v[43:44]
	v_fma_f64 v[49:50], v[45:46], s[24:25], v[17:18]
	v_mul_f64 v[51:52], v[43:44], v[45:46]
	v_fma_f64 v[49:50], v[45:46], v[49:50], s[26:27]
	v_fma_f64 v[49:50], v[45:46], v[49:50], s[28:29]
	;; [unrolled: 1-line block ×5, first 2 shown]
	v_ldexp_f64 v[49:50], v[43:44], 1
	v_add_f64 v[43:44], v[43:44], -v[47:48]
	v_mul_f64 v[45:46], v[51:52], v[45:46]
	v_cvt_f64_i32_e32 v[51:52], v70
	v_add_f64 v[9:10], v[9:10], -v[43:44]
	v_mul_f64 v[53:54], v[51:52], s[36:37]
	v_add_f64 v[47:48], v[49:50], v[45:46]
	v_ldexp_f64 v[9:10], v[9:10], 1
	v_add_f64 v[43:44], v[47:48], -v[49:50]
	v_fma_f64 v[49:50], v[51:52], s[36:37], -v[53:54]
	v_add_f64 v[43:44], v[45:46], -v[43:44]
	v_fma_f64 v[45:46], v[51:52], s[38:39], v[49:50]
	v_add_f64 v[9:10], v[9:10], v[43:44]
	v_add_f64 v[43:44], v[53:54], v[45:46]
	;; [unrolled: 1-line block ×3, first 2 shown]
	v_add_f64 v[53:54], v[43:44], -v[53:54]
	v_add_f64 v[51:52], v[43:44], v[49:50]
	v_add_f64 v[47:48], v[49:50], -v[47:48]
	v_add_f64 v[45:46], v[45:46], -v[53:54]
	;; [unrolled: 1-line block ×6, first 2 shown]
	v_add_f64 v[49:50], v[45:46], v[9:10]
	v_add_f64 v[43:44], v[43:44], -v[64:65]
	v_add_f64 v[43:44], v[47:48], v[43:44]
	v_add_f64 v[47:48], v[49:50], -v[45:46]
	;; [unrolled: 2-line block ×3, first 2 shown]
	v_add_f64 v[9:10], v[9:10], -v[47:48]
	v_add_f64 v[53:54], v[51:52], v[43:44]
	v_add_f64 v[45:46], v[45:46], -v[49:50]
	v_add_f64 v[47:48], v[53:54], -v[51:52]
	v_add_f64 v[9:10], v[9:10], v[45:46]
	v_add_f64 v[43:44], v[43:44], -v[47:48]
	v_add_f64 v[9:10], v[9:10], v[43:44]
	v_add_f64 v[9:10], v[53:54], v[9:10]
	v_mul_f64 v[9:10], v[9:10], 0.5
	v_cndmask_b32_e64 v9, 0, v9, s[10:11]
	v_cmp_ngt_f64_e64 s[10:11], -1.0, v[41:42]
	v_cndmask_b32_e64 v10, v56, v10, s[12:13]
	v_cndmask_b32_e64 v10, v55, v10, s[10:11]
	v_cmp_neq_f64_e64 s[10:11], -1.0, v[41:42]
	v_cndmask_b32_e64 v10, v57, v10, s[10:11]
.LBB203_52:                             ;   in Loop: Header=BB203_33 Depth=1
	s_or_b64 exec, exec, s[16:17]
.LBB203_53:                             ;   in Loop: Header=BB203_33 Depth=1
	s_or_b64 exec, exec, s[14:15]
	v_max_f64 v[41:42], |v[5:6]|, |v[5:6]|
	v_max_f64 v[43:44], |v[7:8]|, |v[7:8]|
	v_cmp_class_f64_e64 s[16:17], v[5:6], s60
	v_cmp_class_f64_e64 s[42:43], v[7:8], s60
	v_cmp_u_f64_e64 s[12:13], v[5:6], v[7:8]
	v_max_f64 v[41:42], v[41:42], v[43:44]
	s_or_b64 s[16:17], s[42:43], s[16:17]
	s_or_b64 s[12:13], s[16:17], s[12:13]
	v_frexp_exp_i32_f64_e32 v51, v[41:42]
	v_sub_u32_e32 v45, 0, v51
	v_ldexp_f64 v[41:42], |v[7:8]|, v45
	v_ldexp_f64 v[45:46], |v[5:6]|, v45
	v_mul_f64 v[41:42], v[41:42], v[41:42]
	v_fma_f64 v[45:46], v[45:46], v[45:46], v[41:42]
	v_rsq_f64_e32 v[41:42], v[45:46]
	v_cmp_eq_f64_e64 s[10:11], 0, v[45:46]
	v_mul_f64 v[47:48], v[45:46], v[41:42]
	v_mul_f64 v[41:42], v[41:42], 0.5
	v_fma_f64 v[49:50], -v[41:42], v[47:48], 0.5
	v_fma_f64 v[47:48], v[47:48], v[49:50], v[47:48]
	v_fma_f64 v[41:42], v[41:42], v[49:50], v[41:42]
	v_fma_f64 v[49:50], -v[47:48], v[47:48], v[45:46]
	v_fma_f64 v[47:48], v[49:50], v[41:42], v[47:48]
	v_add_f64 v[41:42], v[5:6], 1.0
	v_cndmask_b32_e64 v46, v48, v46, s[10:11]
	v_cndmask_b32_e64 v45, v47, v45, s[10:11]
	v_ldexp_f64 v[47:48], v[45:46], v51
	v_max_f64 v[45:46], |v[41:42]|, v[43:44]
	v_cmp_u_f64_e64 s[10:11], v[41:42], v[7:8]
	v_cmp_class_f64_e64 s[48:49], v[41:42], s60
	v_cmp_ngt_f64_e64 s[14:15], 0.5, v[47:48]
	s_or_b64 s[12:13], s[12:13], s[14:15]
	s_and_saveexec_b64 s[14:15], s[12:13]
	s_xor_b64 s[14:15], exec, s[14:15]
	s_cbranch_execz .LBB203_55
; %bb.54:                               ;   in Loop: Header=BB203_33 Depth=1
	v_frexp_exp_i32_f64_e32 v53, v[45:46]
	s_mov_b32 s87, s23
	v_sub_u32_e32 v47, 0, v53
	v_ldexp_f64 v[5:6], |v[7:8]|, v47
	v_ldexp_f64 v[47:48], |v[41:42]|, v47
	v_mul_f64 v[5:6], v[5:6], v[5:6]
	v_fma_f64 v[5:6], v[47:48], v[47:48], v[5:6]
	v_rsq_f64_e32 v[47:48], v[5:6]
	v_cmp_eq_f64_e64 s[12:13], 0, v[5:6]
	v_mul_f64 v[49:50], v[5:6], v[47:48]
	v_mul_f64 v[47:48], v[47:48], 0.5
	v_fma_f64 v[51:52], -v[47:48], v[49:50], 0.5
	v_fma_f64 v[49:50], v[49:50], v[51:52], v[49:50]
	v_fma_f64 v[47:48], v[47:48], v[51:52], v[47:48]
	v_fma_f64 v[51:52], -v[49:50], v[49:50], v[5:6]
	v_fma_f64 v[47:48], v[51:52], v[47:48], v[49:50]
	v_cndmask_b32_e64 v6, v48, v6, s[12:13]
	v_cndmask_b32_e64 v5, v47, v5, s[12:13]
	v_ldexp_f64 v[5:6], v[5:6], v53
	s_or_b64 s[12:13], s[42:43], s[48:49]
	v_cndmask_b32_e64 v6, v6, v55, s[10:11]
	v_cndmask_b32_e64 v48, v6, v56, s[12:13]
	s_or_b64 s[12:13], s[12:13], s[10:11]
	v_cndmask_b32_e64 v47, v5, 0, s[12:13]
	v_frexp_mant_f64_e32 v[5:6], v[47:48]
	v_cmp_gt_f64_e64 s[12:13], s[22:23], v[5:6]
	v_cndmask_b32_e64 v49, 0, 1, s[12:13]
	v_ldexp_f64 v[5:6], v[5:6], v49
	v_add_f64 v[49:50], v[5:6], 1.0
	v_add_f64 v[62:63], v[5:6], -1.0
	v_rcp_f64_e32 v[51:52], v[49:50]
	v_add_f64 v[64:65], v[49:50], -1.0
	v_add_f64 v[5:6], v[5:6], -v[64:65]
	v_fma_f64 v[53:54], -v[49:50], v[51:52], 1.0
	v_fma_f64 v[51:52], v[53:54], v[51:52], v[51:52]
	v_fma_f64 v[53:54], -v[49:50], v[51:52], 1.0
	v_fma_f64 v[51:52], v[53:54], v[51:52], v[51:52]
	v_mul_f64 v[53:54], v[62:63], v[51:52]
	v_mul_f64 v[66:67], v[49:50], v[53:54]
	v_fma_f64 v[49:50], v[53:54], v[49:50], -v[66:67]
	v_fma_f64 v[5:6], v[53:54], v[5:6], v[49:50]
	v_add_f64 v[49:50], v[66:67], v[5:6]
	v_add_f64 v[64:65], v[62:63], -v[49:50]
	v_add_f64 v[66:67], v[49:50], -v[66:67]
	;; [unrolled: 1-line block ×5, first 2 shown]
	v_add_f64 v[5:6], v[5:6], v[49:50]
	v_add_f64 v[5:6], v[64:65], v[5:6]
	v_mul_f64 v[5:6], v[51:52], v[5:6]
	v_add_f64 v[49:50], v[53:54], v[5:6]
	v_mul_f64 v[51:52], v[49:50], v[49:50]
	v_fma_f64 v[62:63], v[51:52], s[24:25], v[17:18]
	v_mul_f64 v[64:65], v[49:50], v[51:52]
	v_fma_f64 v[62:63], v[51:52], v[62:63], s[26:27]
	v_fma_f64 v[62:63], v[51:52], v[62:63], s[28:29]
	;; [unrolled: 1-line block ×5, first 2 shown]
	v_ldexp_f64 v[62:63], v[49:50], 1
	v_add_f64 v[49:50], v[49:50], -v[53:54]
	v_mul_f64 v[51:52], v[64:65], v[51:52]
	v_frexp_exp_i32_f64_e32 v64, v[47:48]
	v_add_f64 v[5:6], v[5:6], -v[49:50]
	v_add_f64 v[53:54], v[62:63], v[51:52]
	v_subbrev_co_u32_e64 v64, s[12:13], 0, v64, s[12:13]
	v_cvt_f64_i32_e32 v[64:65], v64
	v_ldexp_f64 v[5:6], v[5:6], 1
	v_cmp_class_f64_e64 s[12:13], v[47:48], s60
	v_mul_f64 v[66:67], v[64:65], s[36:37]
	v_add_f64 v[49:50], v[53:54], -v[62:63]
	v_fma_f64 v[62:63], v[64:65], s[36:37], -v[66:67]
	v_add_f64 v[49:50], v[51:52], -v[49:50]
	v_fma_f64 v[51:52], v[64:65], s[38:39], v[62:63]
	v_add_f64 v[5:6], v[5:6], v[49:50]
	v_add_f64 v[49:50], v[66:67], v[51:52]
	;; [unrolled: 1-line block ×3, first 2 shown]
	v_add_f64 v[66:67], v[49:50], -v[66:67]
	v_add_f64 v[64:65], v[49:50], v[62:63]
	v_add_f64 v[53:54], v[62:63], -v[53:54]
	v_add_f64 v[51:52], v[51:52], -v[66:67]
	;; [unrolled: 1-line block ×6, first 2 shown]
	v_add_f64 v[62:63], v[51:52], v[5:6]
	v_add_f64 v[49:50], v[49:50], -v[70:71]
	v_add_f64 v[49:50], v[53:54], v[49:50]
	v_add_f64 v[53:54], v[62:63], -v[51:52]
	;; [unrolled: 2-line block ×3, first 2 shown]
	v_add_f64 v[5:6], v[5:6], -v[53:54]
	v_add_f64 v[66:67], v[64:65], v[49:50]
	v_add_f64 v[51:52], v[51:52], -v[62:63]
	v_add_f64 v[53:54], v[66:67], -v[64:65]
	v_add_f64 v[5:6], v[5:6], v[51:52]
	v_add_f64 v[49:50], v[49:50], -v[53:54]
	v_add_f64 v[5:6], v[5:6], v[49:50]
	v_add_f64 v[5:6], v[66:67], v[5:6]
	v_cndmask_b32_e64 v5, v5, v47, s[12:13]
	v_cndmask_b32_e64 v6, v6, v48, s[12:13]
	v_cmp_ngt_f64_e64 s[12:13], 0, v[47:48]
	v_cndmask_b32_e64 v6, v55, v6, s[12:13]
	v_cmp_nge_f64_e64 s[12:13], 0, v[47:48]
	v_cndmask_b32_e64 v5, 0, v5, s[12:13]
	v_cmp_neq_f64_e64 s[12:13], 0, v[47:48]
	v_cndmask_b32_e64 v6, v57, v6, s[12:13]
.LBB203_55:                             ;   in Loop: Header=BB203_33 Depth=1
	s_andn2_saveexec_b64 s[16:17], s[14:15]
	s_cbranch_execz .LBB203_59
; %bb.56:                               ;   in Loop: Header=BB203_33 Depth=1
	v_add_f64 v[47:48], v[5:6], 2.0
	v_mul_f64 v[47:48], v[5:6], v[47:48]
	v_fma_f64 v[47:48], v[7:8], v[7:8], v[47:48]
	v_cmp_neq_f64_e64 s[12:13], 0, v[47:48]
	s_and_saveexec_b64 s[50:51], s[12:13]
	s_cbranch_execz .LBB203_58
; %bb.57:                               ;   in Loop: Header=BB203_33 Depth=1
	v_add_f64 v[5:6], v[47:48], 1.0
	s_mov_b32 s87, s23
	s_mov_b32 s14, 0
	;; [unrolled: 1-line block ×3, first 2 shown]
	v_cmp_neq_f64_e64 s[14:15], s[14:15], v[47:48]
	v_frexp_mant_f64_e32 v[51:52], v[5:6]
	v_frexp_exp_i32_f64_e32 v62, v[5:6]
	v_add_f64 v[49:50], v[5:6], -1.0
	v_cmp_gt_f64_e64 s[12:13], s[22:23], v[51:52]
	v_add_f64 v[53:54], v[49:50], -v[5:6]
	v_add_f64 v[49:50], v[47:48], -v[49:50]
	v_subbrev_co_u32_e64 v76, s[12:13], 0, v62, s[12:13]
	v_sub_u32_e32 v62, 0, v76
	v_ldexp_f64 v[5:6], v[5:6], v62
	v_add_f64 v[51:52], v[53:54], 1.0
	v_cmp_nge_f64_e64 s[12:13], -1.0, v[47:48]
	v_add_f64 v[53:54], v[5:6], 1.0
	v_add_f64 v[49:50], v[49:50], v[51:52]
	v_add_f64 v[66:67], v[5:6], -1.0
	s_and_b64 s[12:13], s[12:13], s[14:15]
	v_add_f64 v[51:52], v[53:54], -1.0
	v_ldexp_f64 v[49:50], v[49:50], v62
	v_add_f64 v[68:69], v[66:67], 1.0
	v_add_f64 v[51:52], v[5:6], -v[51:52]
	v_add_f64 v[5:6], v[5:6], -v[68:69]
	v_add_f64 v[51:52], v[49:50], v[51:52]
	v_add_f64 v[5:6], v[49:50], v[5:6]
	;; [unrolled: 1-line block ×4, first 2 shown]
	v_rcp_f64_e32 v[64:65], v[62:63]
	v_add_f64 v[53:54], v[62:63], -v[53:54]
	v_add_f64 v[66:67], v[68:69], -v[66:67]
	;; [unrolled: 1-line block ×4, first 2 shown]
	v_fma_f64 v[70:71], -v[62:63], v[64:65], 1.0
	v_fma_f64 v[64:65], v[70:71], v[64:65], v[64:65]
	v_fma_f64 v[49:50], -v[62:63], v[64:65], 1.0
	v_fma_f64 v[49:50], v[49:50], v[64:65], v[64:65]
	v_mul_f64 v[64:65], v[68:69], v[49:50]
	v_mul_f64 v[70:71], v[62:63], v[64:65]
	v_fma_f64 v[53:54], v[64:65], v[62:63], -v[70:71]
	v_fma_f64 v[53:54], v[64:65], v[51:52], v[53:54]
	v_add_f64 v[72:73], v[70:71], v[53:54]
	v_add_f64 v[74:75], v[68:69], -v[72:73]
	v_add_f64 v[66:67], v[72:73], -v[70:71]
	;; [unrolled: 1-line block ×5, first 2 shown]
	v_add_f64 v[5:6], v[5:6], v[68:69]
	v_add_f64 v[5:6], v[53:54], v[5:6]
	;; [unrolled: 1-line block ×3, first 2 shown]
	v_mul_f64 v[66:67], v[49:50], v[53:54]
	v_add_f64 v[72:73], v[74:75], -v[53:54]
	v_mul_f64 v[68:69], v[62:63], v[66:67]
	v_add_f64 v[5:6], v[5:6], v[72:73]
	v_fma_f64 v[62:63], v[66:67], v[62:63], -v[68:69]
	v_fma_f64 v[51:52], v[66:67], v[51:52], v[62:63]
	v_add_f64 v[62:63], v[68:69], v[51:52]
	v_add_f64 v[70:71], v[53:54], -v[62:63]
	v_add_f64 v[68:69], v[62:63], -v[68:69]
	;; [unrolled: 1-line block ×5, first 2 shown]
	v_add_f64 v[5:6], v[5:6], v[53:54]
	v_add_f64 v[53:54], v[64:65], v[66:67]
	;; [unrolled: 1-line block ×3, first 2 shown]
	v_add_f64 v[51:52], v[53:54], -v[64:65]
	v_add_f64 v[5:6], v[70:71], v[5:6]
	v_add_f64 v[51:52], v[66:67], -v[51:52]
	v_mul_f64 v[5:6], v[49:50], v[5:6]
	v_add_f64 v[5:6], v[51:52], v[5:6]
	v_add_f64 v[49:50], v[53:54], v[5:6]
	v_mul_f64 v[51:52], v[49:50], v[49:50]
	v_fma_f64 v[62:63], v[51:52], s[24:25], v[17:18]
	v_mul_f64 v[64:65], v[49:50], v[51:52]
	v_fma_f64 v[62:63], v[51:52], v[62:63], s[26:27]
	v_fma_f64 v[62:63], v[51:52], v[62:63], s[28:29]
	v_fma_f64 v[62:63], v[51:52], v[62:63], s[30:31]
	v_fma_f64 v[62:63], v[51:52], v[62:63], s[34:35]
	v_fma_f64 v[51:52], v[51:52], v[62:63], s[86:87]
	v_ldexp_f64 v[62:63], v[49:50], 1
	v_add_f64 v[49:50], v[49:50], -v[53:54]
	v_mul_f64 v[51:52], v[64:65], v[51:52]
	v_cvt_f64_i32_e32 v[64:65], v76
	v_add_f64 v[5:6], v[5:6], -v[49:50]
	v_mul_f64 v[66:67], v[64:65], s[36:37]
	v_add_f64 v[53:54], v[62:63], v[51:52]
	v_ldexp_f64 v[5:6], v[5:6], 1
	v_add_f64 v[49:50], v[53:54], -v[62:63]
	v_fma_f64 v[62:63], v[64:65], s[36:37], -v[66:67]
	v_add_f64 v[49:50], v[51:52], -v[49:50]
	v_fma_f64 v[51:52], v[64:65], s[38:39], v[62:63]
	v_add_f64 v[5:6], v[5:6], v[49:50]
	v_add_f64 v[49:50], v[66:67], v[51:52]
	v_add_f64 v[62:63], v[53:54], v[5:6]
	v_add_f64 v[66:67], v[49:50], -v[66:67]
	v_add_f64 v[64:65], v[49:50], v[62:63]
	v_add_f64 v[53:54], v[62:63], -v[53:54]
	v_add_f64 v[51:52], v[51:52], -v[66:67]
	;; [unrolled: 1-line block ×6, first 2 shown]
	v_add_f64 v[62:63], v[51:52], v[5:6]
	v_add_f64 v[49:50], v[49:50], -v[70:71]
	v_add_f64 v[49:50], v[53:54], v[49:50]
	v_add_f64 v[53:54], v[62:63], -v[51:52]
	;; [unrolled: 2-line block ×3, first 2 shown]
	v_add_f64 v[5:6], v[5:6], -v[53:54]
	v_add_f64 v[66:67], v[64:65], v[49:50]
	v_add_f64 v[51:52], v[51:52], -v[62:63]
	v_add_f64 v[53:54], v[66:67], -v[64:65]
	v_add_f64 v[5:6], v[5:6], v[51:52]
	v_add_f64 v[49:50], v[49:50], -v[53:54]
	v_add_f64 v[5:6], v[5:6], v[49:50]
	v_add_f64 v[5:6], v[66:67], v[5:6]
	v_mul_f64 v[5:6], v[5:6], 0.5
	v_cndmask_b32_e64 v5, 0, v5, s[12:13]
	v_cmp_ngt_f64_e64 s[12:13], -1.0, v[47:48]
	v_cndmask_b32_e64 v6, v56, v6, s[14:15]
	v_cndmask_b32_e64 v6, v55, v6, s[12:13]
	v_cmp_neq_f64_e64 s[12:13], -1.0, v[47:48]
	v_cndmask_b32_e64 v6, v57, v6, s[12:13]
.LBB203_58:                             ;   in Loop: Header=BB203_33 Depth=1
	s_or_b64 exec, exec, s[50:51]
.LBB203_59:                             ;   in Loop: Header=BB203_33 Depth=1
	s_or_b64 exec, exec, s[16:17]
	v_max_f64 v[47:48], |v[1:2]|, |v[1:2]|
	v_max_f64 v[49:50], |v[3:4]|, |v[3:4]|
	v_cmp_class_f64_e64 s[54:55], v[1:2], s60
	v_cmp_class_f64_e64 s[50:51], v[3:4], s60
	v_cmp_u_f64_e64 s[14:15], v[1:2], v[3:4]
	v_max_f64 v[47:48], v[47:48], v[49:50]
	s_or_b64 s[54:55], s[50:51], s[54:55]
	s_or_b64 s[14:15], s[54:55], s[14:15]
	v_frexp_exp_i32_f64_e32 v64, v[47:48]
	v_sub_u32_e32 v51, 0, v64
	v_ldexp_f64 v[47:48], |v[3:4]|, v51
	v_ldexp_f64 v[51:52], |v[1:2]|, v51
	v_mul_f64 v[47:48], v[47:48], v[47:48]
	v_fma_f64 v[51:52], v[51:52], v[51:52], v[47:48]
	v_rsq_f64_e32 v[47:48], v[51:52]
	v_cmp_eq_f64_e64 s[12:13], 0, v[51:52]
	v_mul_f64 v[53:54], v[51:52], v[47:48]
	v_mul_f64 v[47:48], v[47:48], 0.5
	v_fma_f64 v[62:63], -v[47:48], v[53:54], 0.5
	v_fma_f64 v[53:54], v[53:54], v[62:63], v[53:54]
	v_fma_f64 v[47:48], v[47:48], v[62:63], v[47:48]
	v_fma_f64 v[62:63], -v[53:54], v[53:54], v[51:52]
	v_fma_f64 v[53:54], v[62:63], v[47:48], v[53:54]
	v_add_f64 v[47:48], v[1:2], 1.0
	v_cndmask_b32_e64 v52, v54, v52, s[12:13]
	v_cndmask_b32_e64 v51, v53, v51, s[12:13]
	v_ldexp_f64 v[53:54], v[51:52], v64
	v_max_f64 v[51:52], |v[47:48]|, v[49:50]
	v_cmp_u_f64_e64 s[12:13], v[47:48], v[3:4]
	v_cmp_class_f64_e64 s[52:53], v[47:48], s60
	v_cmp_ngt_f64_e64 s[16:17], 0.5, v[53:54]
	s_or_b64 s[14:15], s[14:15], s[16:17]
	s_and_saveexec_b64 s[16:17], s[14:15]
	s_xor_b64 s[16:17], exec, s[16:17]
	s_cbranch_execnz .LBB203_65
; %bb.60:                               ;   in Loop: Header=BB203_33 Depth=1
	s_andn2_saveexec_b64 s[54:55], s[16:17]
	s_cbranch_execnz .LBB203_66
.LBB203_61:                             ;   in Loop: Header=BB203_33 Depth=1
	s_or_b64 exec, exec, s[54:55]
	s_and_saveexec_b64 s[14:15], vcc
	s_xor_b64 s[16:17], exec, s[14:15]
	s_cbranch_execnz .LBB203_69
.LBB203_62:                             ;   in Loop: Header=BB203_33 Depth=1
	s_or_b64 exec, exec, s[16:17]
	s_and_saveexec_b64 s[6:7], s[4:5]
	s_cbranch_execnz .LBB203_70
.LBB203_63:                             ;   in Loop: Header=BB203_33 Depth=1
	s_or_b64 exec, exec, s[6:7]
	s_and_saveexec_b64 s[4:5], s[2:3]
	s_cbranch_execnz .LBB203_71
.LBB203_64:                             ;   in Loop: Header=BB203_33 Depth=1
	s_or_b64 exec, exec, s[4:5]
	s_and_saveexec_b64 s[2:3], s[0:1]
	s_cbranch_execz .LBB203_32
	s_branch .LBB203_72
.LBB203_65:                             ;   in Loop: Header=BB203_33 Depth=1
	v_frexp_exp_i32_f64_e32 v66, v[51:52]
	s_mov_b32 s87, s23
	v_sub_u32_e32 v53, 0, v66
	v_ldexp_f64 v[1:2], |v[3:4]|, v53
	v_ldexp_f64 v[53:54], |v[47:48]|, v53
	v_mul_f64 v[1:2], v[1:2], v[1:2]
	v_fma_f64 v[1:2], v[53:54], v[53:54], v[1:2]
	v_rsq_f64_e32 v[53:54], v[1:2]
	v_cmp_eq_f64_e64 s[14:15], 0, v[1:2]
	v_mul_f64 v[62:63], v[1:2], v[53:54]
	v_mul_f64 v[53:54], v[53:54], 0.5
	v_fma_f64 v[64:65], -v[53:54], v[62:63], 0.5
	v_fma_f64 v[62:63], v[62:63], v[64:65], v[62:63]
	v_fma_f64 v[53:54], v[53:54], v[64:65], v[53:54]
	v_fma_f64 v[64:65], -v[62:63], v[62:63], v[1:2]
	v_fma_f64 v[53:54], v[64:65], v[53:54], v[62:63]
	v_cndmask_b32_e64 v2, v54, v2, s[14:15]
	v_cndmask_b32_e64 v1, v53, v1, s[14:15]
	v_ldexp_f64 v[1:2], v[1:2], v66
	s_or_b64 s[14:15], s[50:51], s[52:53]
	v_cndmask_b32_e64 v2, v2, v55, s[12:13]
	v_cndmask_b32_e64 v54, v2, v56, s[14:15]
	s_or_b64 s[14:15], s[14:15], s[12:13]
	v_cndmask_b32_e64 v53, v1, 0, s[14:15]
	v_frexp_mant_f64_e32 v[1:2], v[53:54]
	v_cmp_gt_f64_e64 s[14:15], s[22:23], v[1:2]
	v_cndmask_b32_e64 v62, 0, 1, s[14:15]
	v_ldexp_f64 v[1:2], v[1:2], v62
	v_add_f64 v[62:63], v[1:2], 1.0
	v_add_f64 v[68:69], v[1:2], -1.0
	v_rcp_f64_e32 v[64:65], v[62:63]
	v_add_f64 v[70:71], v[62:63], -1.0
	v_add_f64 v[1:2], v[1:2], -v[70:71]
	v_fma_f64 v[66:67], -v[62:63], v[64:65], 1.0
	v_fma_f64 v[64:65], v[66:67], v[64:65], v[64:65]
	v_fma_f64 v[66:67], -v[62:63], v[64:65], 1.0
	v_fma_f64 v[64:65], v[66:67], v[64:65], v[64:65]
	v_mul_f64 v[66:67], v[68:69], v[64:65]
	v_mul_f64 v[72:73], v[62:63], v[66:67]
	v_fma_f64 v[62:63], v[66:67], v[62:63], -v[72:73]
	v_fma_f64 v[1:2], v[66:67], v[1:2], v[62:63]
	v_add_f64 v[62:63], v[72:73], v[1:2]
	v_add_f64 v[70:71], v[68:69], -v[62:63]
	v_add_f64 v[72:73], v[62:63], -v[72:73]
	;; [unrolled: 1-line block ×5, first 2 shown]
	v_add_f64 v[1:2], v[1:2], v[62:63]
	v_add_f64 v[1:2], v[70:71], v[1:2]
	v_mul_f64 v[1:2], v[64:65], v[1:2]
	v_add_f64 v[62:63], v[66:67], v[1:2]
	v_mul_f64 v[64:65], v[62:63], v[62:63]
	v_fma_f64 v[68:69], v[64:65], s[24:25], v[17:18]
	v_mul_f64 v[70:71], v[62:63], v[64:65]
	v_fma_f64 v[68:69], v[64:65], v[68:69], s[26:27]
	v_fma_f64 v[68:69], v[64:65], v[68:69], s[28:29]
	;; [unrolled: 1-line block ×5, first 2 shown]
	v_ldexp_f64 v[68:69], v[62:63], 1
	v_add_f64 v[62:63], v[62:63], -v[66:67]
	v_mul_f64 v[64:65], v[70:71], v[64:65]
	v_frexp_exp_i32_f64_e32 v70, v[53:54]
	v_add_f64 v[1:2], v[1:2], -v[62:63]
	v_add_f64 v[66:67], v[68:69], v[64:65]
	v_subbrev_co_u32_e64 v70, s[14:15], 0, v70, s[14:15]
	v_cvt_f64_i32_e32 v[70:71], v70
	v_ldexp_f64 v[1:2], v[1:2], 1
	v_cmp_class_f64_e64 s[14:15], v[53:54], s60
	v_mul_f64 v[72:73], v[70:71], s[36:37]
	v_add_f64 v[62:63], v[66:67], -v[68:69]
	v_fma_f64 v[68:69], v[70:71], s[36:37], -v[72:73]
	v_add_f64 v[62:63], v[64:65], -v[62:63]
	v_fma_f64 v[64:65], v[70:71], s[38:39], v[68:69]
	v_add_f64 v[1:2], v[1:2], v[62:63]
	v_add_f64 v[62:63], v[72:73], v[64:65]
	;; [unrolled: 1-line block ×3, first 2 shown]
	v_add_f64 v[72:73], v[62:63], -v[72:73]
	v_add_f64 v[70:71], v[62:63], v[68:69]
	v_add_f64 v[66:67], v[68:69], -v[66:67]
	v_add_f64 v[64:65], v[64:65], -v[72:73]
	;; [unrolled: 1-line block ×6, first 2 shown]
	v_add_f64 v[68:69], v[64:65], v[1:2]
	v_add_f64 v[62:63], v[62:63], -v[76:77]
	v_add_f64 v[62:63], v[66:67], v[62:63]
	v_add_f64 v[66:67], v[68:69], -v[64:65]
	;; [unrolled: 2-line block ×3, first 2 shown]
	v_add_f64 v[1:2], v[1:2], -v[66:67]
	v_add_f64 v[72:73], v[70:71], v[62:63]
	v_add_f64 v[64:65], v[64:65], -v[68:69]
	v_add_f64 v[66:67], v[72:73], -v[70:71]
	v_add_f64 v[1:2], v[1:2], v[64:65]
	v_add_f64 v[62:63], v[62:63], -v[66:67]
	v_add_f64 v[1:2], v[1:2], v[62:63]
	v_add_f64 v[1:2], v[72:73], v[1:2]
	v_cndmask_b32_e64 v1, v1, v53, s[14:15]
	v_cndmask_b32_e64 v2, v2, v54, s[14:15]
	v_cmp_ngt_f64_e64 s[14:15], 0, v[53:54]
	v_cndmask_b32_e64 v2, v55, v2, s[14:15]
	v_cmp_nge_f64_e64 s[14:15], 0, v[53:54]
	v_cndmask_b32_e64 v1, 0, v1, s[14:15]
	v_cmp_neq_f64_e64 s[14:15], 0, v[53:54]
	v_cndmask_b32_e64 v2, v57, v2, s[14:15]
	s_andn2_saveexec_b64 s[54:55], s[16:17]
	s_cbranch_execz .LBB203_61
.LBB203_66:                             ;   in Loop: Header=BB203_33 Depth=1
	v_add_f64 v[53:54], v[1:2], 2.0
	v_mul_f64 v[53:54], v[1:2], v[53:54]
	v_fma_f64 v[53:54], v[3:4], v[3:4], v[53:54]
	v_cmp_neq_f64_e64 s[14:15], 0, v[53:54]
	s_and_saveexec_b64 s[56:57], s[14:15]
	s_cbranch_execz .LBB203_68
; %bb.67:                               ;   in Loop: Header=BB203_33 Depth=1
	v_add_f64 v[1:2], v[53:54], 1.0
	s_mov_b32 s87, s23
	v_cmp_ngt_f64_e64 s[16:17], -1.0, v[53:54]
	v_add_f64 v[62:63], v[1:2], -1.0
	v_frexp_exp_i32_f64_e32 v66, v[1:2]
	v_add_f64 v[64:65], v[62:63], -v[1:2]
	v_add_f64 v[62:63], v[53:54], -v[62:63]
	v_add_f64 v[64:65], v[64:65], 1.0
	v_add_f64 v[62:63], v[62:63], v[64:65]
	v_frexp_mant_f64_e32 v[64:65], v[1:2]
	v_cmp_gt_f64_e64 s[14:15], s[22:23], v[64:65]
	v_subbrev_co_u32_e64 v80, s[14:15], 0, v66, s[14:15]
	v_sub_u32_e32 v64, 0, v80
	v_ldexp_f64 v[1:2], v[1:2], v64
	v_ldexp_f64 v[62:63], v[62:63], v64
	s_mov_b32 s14, 0
	s_mov_b32 s15, 0x7ff00000
	v_cmp_neq_f64_e64 s[14:15], s[14:15], v[53:54]
	v_add_f64 v[64:65], v[1:2], -1.0
	v_add_f64 v[66:67], v[64:65], 1.0
	v_add_f64 v[66:67], v[1:2], -v[66:67]
	v_add_f64 v[66:67], v[62:63], v[66:67]
	v_add_f64 v[68:69], v[64:65], v[66:67]
	v_add_f64 v[64:65], v[68:69], -v[64:65]
	v_add_f64 v[64:65], v[66:67], -v[64:65]
	v_add_f64 v[66:67], v[1:2], 1.0
	v_add_f64 v[70:71], v[66:67], -1.0
	v_add_f64 v[1:2], v[1:2], -v[70:71]
	v_add_f64 v[1:2], v[62:63], v[1:2]
	v_add_f64 v[62:63], v[66:67], v[1:2]
	v_add_f64 v[66:67], v[62:63], -v[66:67]
	v_add_f64 v[1:2], v[1:2], -v[66:67]
	v_rcp_f64_e32 v[66:67], v[62:63]
	v_fma_f64 v[70:71], -v[62:63], v[66:67], 1.0
	v_fma_f64 v[66:67], v[70:71], v[66:67], v[66:67]
	v_fma_f64 v[70:71], -v[62:63], v[66:67], 1.0
	v_fma_f64 v[66:67], v[70:71], v[66:67], v[66:67]
	v_mul_f64 v[70:71], v[68:69], v[66:67]
	v_mul_f64 v[72:73], v[62:63], v[70:71]
	v_fma_f64 v[74:75], v[70:71], v[62:63], -v[72:73]
	v_fma_f64 v[74:75], v[70:71], v[1:2], v[74:75]
	v_add_f64 v[76:77], v[72:73], v[74:75]
	v_add_f64 v[78:79], v[68:69], -v[76:77]
	v_add_f64 v[72:73], v[76:77], -v[72:73]
	;; [unrolled: 1-line block ×4, first 2 shown]
	v_add_f64 v[64:65], v[64:65], v[68:69]
	v_add_f64 v[68:69], v[72:73], -v[74:75]
	v_add_f64 v[64:65], v[68:69], v[64:65]
	v_add_f64 v[68:69], v[78:79], v[64:65]
	v_add_f64 v[72:73], v[78:79], -v[68:69]
	v_add_f64 v[64:65], v[64:65], v[72:73]
	v_mul_f64 v[72:73], v[66:67], v[68:69]
	v_mul_f64 v[74:75], v[62:63], v[72:73]
	v_fma_f64 v[62:63], v[72:73], v[62:63], -v[74:75]
	v_fma_f64 v[1:2], v[72:73], v[1:2], v[62:63]
	v_add_f64 v[62:63], v[74:75], v[1:2]
	v_add_f64 v[76:77], v[68:69], -v[62:63]
	v_add_f64 v[74:75], v[62:63], -v[74:75]
	;; [unrolled: 1-line block ×5, first 2 shown]
	v_cvt_f64_i32_e32 v[68:69], v80
	v_add_f64 v[62:63], v[64:65], v[62:63]
	v_add_f64 v[1:2], v[1:2], v[62:63]
	;; [unrolled: 1-line block ×4, first 2 shown]
	v_add_f64 v[64:65], v[62:63], -v[70:71]
	v_mul_f64 v[70:71], v[68:69], s[36:37]
	v_mul_f64 v[1:2], v[66:67], v[1:2]
	v_add_f64 v[64:65], v[72:73], -v[64:65]
	v_fma_f64 v[72:73], v[68:69], s[36:37], -v[70:71]
	v_add_f64 v[1:2], v[64:65], v[1:2]
	v_fma_f64 v[68:69], v[68:69], s[38:39], v[72:73]
	v_add_f64 v[64:65], v[62:63], v[1:2]
	v_add_f64 v[72:73], v[70:71], v[68:69]
	v_add_f64 v[62:63], v[64:65], -v[62:63]
	v_add_f64 v[70:71], v[72:73], -v[70:71]
	;; [unrolled: 1-line block ×3, first 2 shown]
	v_mul_f64 v[62:63], v[64:65], v[64:65]
	v_add_f64 v[68:69], v[68:69], -v[70:71]
	v_ldexp_f64 v[70:71], v[64:65], 1
	v_ldexp_f64 v[1:2], v[1:2], 1
	v_fma_f64 v[66:67], v[62:63], s[24:25], v[17:18]
	v_fma_f64 v[66:67], v[62:63], v[66:67], s[26:27]
	;; [unrolled: 1-line block ×6, first 2 shown]
	v_mul_f64 v[62:63], v[64:65], v[62:63]
	v_mul_f64 v[62:63], v[62:63], v[66:67]
	v_add_f64 v[64:65], v[70:71], v[62:63]
	v_add_f64 v[66:67], v[64:65], -v[70:71]
	v_add_f64 v[62:63], v[62:63], -v[66:67]
	v_add_f64 v[1:2], v[1:2], v[62:63]
	v_add_f64 v[62:63], v[64:65], v[1:2]
	v_add_f64 v[64:65], v[62:63], -v[64:65]
	v_add_f64 v[1:2], v[1:2], -v[64:65]
	v_add_f64 v[64:65], v[72:73], v[62:63]
	v_add_f64 v[66:67], v[64:65], -v[72:73]
	v_add_f64 v[70:71], v[64:65], -v[66:67]
	;; [unrolled: 1-line block ×3, first 2 shown]
	v_add_f64 v[66:67], v[68:69], v[1:2]
	v_add_f64 v[70:71], v[72:73], -v[70:71]
	v_add_f64 v[62:63], v[62:63], v[70:71]
	v_add_f64 v[70:71], v[66:67], -v[68:69]
	;; [unrolled: 2-line block ×3, first 2 shown]
	v_add_f64 v[1:2], v[1:2], -v[70:71]
	v_add_f64 v[66:67], v[64:65], v[62:63]
	v_add_f64 v[68:69], v[68:69], -v[72:73]
	v_add_f64 v[64:65], v[66:67], -v[64:65]
	v_add_f64 v[1:2], v[1:2], v[68:69]
	v_add_f64 v[62:63], v[62:63], -v[64:65]
	v_add_f64 v[1:2], v[1:2], v[62:63]
	v_add_f64 v[1:2], v[66:67], v[1:2]
	v_mul_f64 v[1:2], v[1:2], 0.5
	v_cndmask_b32_e64 v2, v56, v2, s[14:15]
	v_cndmask_b32_e64 v2, v55, v2, s[16:17]
	v_cmp_nge_f64_e64 s[16:17], -1.0, v[53:54]
	s_and_b64 s[14:15], s[16:17], s[14:15]
	v_cndmask_b32_e64 v1, 0, v1, s[14:15]
	v_cmp_neq_f64_e64 s[14:15], -1.0, v[53:54]
	v_cndmask_b32_e64 v2, v57, v2, s[14:15]
.LBB203_68:                             ;   in Loop: Header=BB203_33 Depth=1
	s_or_b64 exec, exec, s[56:57]
	s_mov_b32 s56, 0xb5e68a13
	s_mov_b32 s57, 0x3eeba404
	s_or_b64 exec, exec, s[54:55]
	s_and_saveexec_b64 s[14:15], vcc
	s_xor_b64 s[16:17], exec, s[14:15]
	s_cbranch_execz .LBB203_62
.LBB203_69:                             ;   in Loop: Header=BB203_33 Depth=1
	v_max_f64 v[53:54], |v[29:30]|, |v[29:30]|
	s_mov_b32 s90, s82
	v_lshlrev_b64 v[27:28], 4, v[27:28]
	v_min_f64 v[31:32], v[53:54], v[31:32]
	v_div_scale_f64 v[53:54], s[14:15], v[33:34], v[33:34], v[31:32]
	s_mov_b32 s14, 0x69efb384
	s_mov_b32 s15, 0x3f4b2bb0
	v_rcp_f64_e32 v[62:63], v[53:54]
	v_fma_f64 v[64:65], -v[53:54], v[62:63], 1.0
	v_fma_f64 v[62:63], v[62:63], v[64:65], v[62:63]
	v_div_scale_f64 v[64:65], vcc, v[31:32], v[33:34], v[31:32]
	v_fma_f64 v[66:67], -v[53:54], v[62:63], 1.0
	v_fma_f64 v[62:63], v[62:63], v[66:67], v[62:63]
	v_mul_f64 v[66:67], v[64:65], v[62:63]
	v_fma_f64 v[53:54], -v[53:54], v[66:67], v[64:65]
	v_div_fmas_f64 v[53:54], v[53:54], v[62:63], v[66:67]
	v_cmp_lt_f64_e64 vcc, |v[29:30]|, |v[15:16]|
	v_ashrrev_i32_e32 v29, 31, v30
	v_div_fixup_f64 v[31:32], v[53:54], v[33:34], v[31:32]
	v_mul_f64 v[33:34], v[31:32], v[31:32]
	v_fma_f64 v[53:54], v[33:34], s[56:57], v[19:20]
	v_fma_f64 v[53:54], v[33:34], v[53:54], s[14:15]
	s_mov_b32 s14, 0xaf56de9b
	s_mov_b32 s15, 0xbf67952d
	v_fma_f64 v[53:54], v[33:34], v[53:54], s[14:15]
	s_mov_b32 s14, 0xa595c56f
	s_mov_b32 s15, 0x3f7d6d43
	;; [unrolled: 3-line block ×7, first 2 shown]
	v_fma_f64 v[53:54], v[33:34], v[53:54], s[14:15]
	v_cmp_eq_f64_e64 s[14:15], 0, v[15:16]
	v_fma_f64 v[53:54], v[33:34], v[53:54], s[62:63]
	v_fma_f64 v[53:54], v[33:34], v[53:54], s[64:65]
	;; [unrolled: 1-line block ×10, first 2 shown]
	v_mul_f64 v[33:34], v[33:34], v[53:54]
	v_and_b32_e32 v53, 0x54442d18, v29
	v_and_b32_e32 v29, 0x400921fb, v29
	v_fma_f64 v[31:32], v[31:32], v[33:34], v[31:32]
	v_add_f64 v[33:34], -v[31:32], s[82:83]
	v_cndmask_b32_e32 v32, v32, v34, vcc
	v_cndmask_b32_e32 v31, v31, v33, vcc
	v_add_f64 v[33:34], -v[31:32], s[90:91]
	v_cmp_gt_i32_e32 vcc, 0, v30
	v_cndmask_b32_e32 v30, v58, v59, vcc
	v_cndmask_b32_e32 v15, v60, v61, vcc
	;; [unrolled: 1-line block ×4, first 2 shown]
	v_cndmask_b32_e64 v29, v32, v29, s[14:15]
	s_and_b64 vcc, s[92:93], s[94:95]
	v_cndmask_b32_e64 v31, v31, v53, s[14:15]
	v_cndmask_b32_e32 v29, v29, v15, vcc
	v_mov_b32_e32 v33, s45
	v_cndmask_b32_e32 v15, v31, v30, vcc
	v_cndmask_b32_e64 v29, v29, v55, s[6:7]
	v_add_co_u32_e32 v27, vcc, s44, v27
	v_cndmask_b32_e64 v15, v15, 0, s[6:7]
	v_bfi_b32 v16, s61, v29, v16
	v_addc_co_u32_e32 v28, vcc, v33, v28, vcc
	global_store_dwordx4 v[27:28], v[13:16], off
	s_or_b64 exec, exec, s[16:17]
	s_and_saveexec_b64 s[6:7], s[4:5]
	s_cbranch_execz .LBB203_63
.LBB203_70:                             ;   in Loop: Header=BB203_33 Depth=1
	v_max_f64 v[13:14], |v[35:36]|, |v[35:36]|
	s_mov_b32 s90, s82
	v_lshlrev_b64 v[25:26], 4, v[25:26]
	v_min_f64 v[13:14], v[13:14], v[37:38]
	v_div_scale_f64 v[15:16], s[4:5], v[39:40], v[39:40], v[13:14]
	s_mov_b32 s4, 0x69efb384
	s_mov_b32 s5, 0x3f4b2bb0
	v_rcp_f64_e32 v[27:28], v[15:16]
	v_fma_f64 v[29:30], -v[15:16], v[27:28], 1.0
	v_fma_f64 v[27:28], v[27:28], v[29:30], v[27:28]
	v_div_scale_f64 v[29:30], vcc, v[13:14], v[39:40], v[13:14]
	v_fma_f64 v[31:32], -v[15:16], v[27:28], 1.0
	v_fma_f64 v[27:28], v[27:28], v[31:32], v[27:28]
	v_mul_f64 v[31:32], v[29:30], v[27:28]
	v_fma_f64 v[15:16], -v[15:16], v[31:32], v[29:30]
	v_div_fmas_f64 v[15:16], v[15:16], v[27:28], v[31:32]
	v_cmp_lt_f64_e64 vcc, |v[35:36]|, |v[11:12]|
	v_div_fixup_f64 v[13:14], v[15:16], v[39:40], v[13:14]
	v_mul_f64 v[15:16], v[13:14], v[13:14]
	v_fma_f64 v[27:28], v[15:16], s[56:57], v[19:20]
	v_fma_f64 v[27:28], v[15:16], v[27:28], s[4:5]
	s_mov_b32 s4, 0xaf56de9b
	s_mov_b32 s5, 0xbf67952d
	v_fma_f64 v[27:28], v[15:16], v[27:28], s[4:5]
	s_mov_b32 s4, 0xa595c56f
	s_mov_b32 s5, 0x3f7d6d43
	;; [unrolled: 3-line block ×7, first 2 shown]
	v_fma_f64 v[27:28], v[15:16], v[27:28], s[4:5]
	v_cmp_eq_f64_e64 s[4:5], 0, v[11:12]
	v_fma_f64 v[27:28], v[15:16], v[27:28], s[62:63]
	v_fma_f64 v[27:28], v[15:16], v[27:28], s[64:65]
	;; [unrolled: 1-line block ×10, first 2 shown]
	v_mul_f64 v[15:16], v[15:16], v[27:28]
	v_ashrrev_i32_e32 v27, 31, v36
	v_and_b32_e32 v29, 0x54442d18, v27
	v_and_b32_e32 v27, 0x400921fb, v27
	v_fma_f64 v[13:14], v[13:14], v[15:16], v[13:14]
	v_add_f64 v[15:16], -v[13:14], s[82:83]
	v_cndmask_b32_e32 v14, v14, v16, vcc
	v_cndmask_b32_e32 v13, v13, v15, vcc
	v_add_f64 v[15:16], -v[13:14], s[90:91]
	v_cmp_gt_i32_e32 vcc, 0, v36
	v_cndmask_b32_e32 v28, v58, v59, vcc
	v_cndmask_b32_e32 v11, v60, v61, vcc
	;; [unrolled: 1-line block ×4, first 2 shown]
	v_cndmask_b32_e64 v14, v14, v27, s[4:5]
	s_and_b64 vcc, s[88:89], s[40:41]
	v_cndmask_b32_e64 v13, v13, v29, s[4:5]
	v_cndmask_b32_e32 v14, v14, v11, vcc
	v_cndmask_b32_e32 v11, v13, v28, vcc
	v_cndmask_b32_e64 v13, v14, v55, s[8:9]
	v_mov_b32_e32 v15, s45
	v_bfi_b32 v12, s61, v13, v12
	v_add_co_u32_e32 v13, vcc, s44, v25
	v_cndmask_b32_e64 v11, v11, 0, s[8:9]
	v_addc_co_u32_e32 v14, vcc, v15, v26, vcc
	global_store_dwordx4 v[13:14], v[9:12], off
	s_or_b64 exec, exec, s[6:7]
	s_and_saveexec_b64 s[4:5], s[2:3]
	s_cbranch_execz .LBB203_64
.LBB203_71:                             ;   in Loop: Header=BB203_33 Depth=1
	v_max_f64 v[9:10], |v[41:42]|, |v[41:42]|
	s_mov_b32 s90, s82
	v_min_f64 v[9:10], v[9:10], v[43:44]
	v_div_scale_f64 v[11:12], s[2:3], v[45:46], v[45:46], v[9:10]
	s_mov_b32 s2, 0x69efb384
	s_mov_b32 s3, 0x3f4b2bb0
	v_rcp_f64_e32 v[13:14], v[11:12]
	v_fma_f64 v[15:16], -v[11:12], v[13:14], 1.0
	v_fma_f64 v[13:14], v[13:14], v[15:16], v[13:14]
	v_div_scale_f64 v[15:16], vcc, v[9:10], v[45:46], v[9:10]
	v_fma_f64 v[25:26], -v[11:12], v[13:14], 1.0
	v_fma_f64 v[13:14], v[13:14], v[25:26], v[13:14]
	v_mul_f64 v[25:26], v[15:16], v[13:14]
	v_fma_f64 v[11:12], -v[11:12], v[25:26], v[15:16]
	v_ashrrev_i32_e32 v16, 31, v42
	v_div_fmas_f64 v[11:12], v[11:12], v[13:14], v[25:26]
	v_cmp_lt_f64_e64 vcc, |v[41:42]|, |v[7:8]|
	v_and_b32_e32 v25, 0x54442d18, v16
	v_and_b32_e32 v16, 0x400921fb, v16
	v_div_fixup_f64 v[9:10], v[11:12], v[45:46], v[9:10]
	v_mul_f64 v[11:12], v[9:10], v[9:10]
	v_fma_f64 v[13:14], v[11:12], s[56:57], v[19:20]
	v_fma_f64 v[13:14], v[11:12], v[13:14], s[2:3]
	s_mov_b32 s2, 0xaf56de9b
	s_mov_b32 s3, 0xbf67952d
	v_fma_f64 v[13:14], v[11:12], v[13:14], s[2:3]
	s_mov_b32 s2, 0xa595c56f
	s_mov_b32 s3, 0x3f7d6d43
	;; [unrolled: 3-line block ×7, first 2 shown]
	v_fma_f64 v[13:14], v[11:12], v[13:14], s[2:3]
	v_cmp_eq_f64_e64 s[2:3], 0, v[7:8]
	v_fma_f64 v[13:14], v[11:12], v[13:14], s[62:63]
	v_fma_f64 v[13:14], v[11:12], v[13:14], s[64:65]
	v_fma_f64 v[13:14], v[11:12], v[13:14], s[66:67]
	v_fma_f64 v[13:14], v[11:12], v[13:14], s[68:69]
	v_fma_f64 v[13:14], v[11:12], v[13:14], s[70:71]
	v_fma_f64 v[13:14], v[11:12], v[13:14], s[72:73]
	v_fma_f64 v[13:14], v[11:12], v[13:14], s[74:75]
	v_fma_f64 v[13:14], v[11:12], v[13:14], s[76:77]
	v_fma_f64 v[13:14], v[11:12], v[13:14], s[78:79]
	v_fma_f64 v[13:14], v[11:12], v[13:14], s[80:81]
	v_mul_f64 v[11:12], v[11:12], v[13:14]
	v_lshlrev_b64 v[13:14], 4, v[23:24]
	v_fma_f64 v[9:10], v[9:10], v[11:12], v[9:10]
	v_add_f64 v[11:12], -v[9:10], s[82:83]
	v_cndmask_b32_e32 v10, v10, v12, vcc
	v_cndmask_b32_e32 v9, v9, v11, vcc
	v_add_f64 v[11:12], -v[9:10], s[90:91]
	v_cmp_gt_i32_e32 vcc, 0, v42
	v_cndmask_b32_e32 v15, v58, v59, vcc
	v_cndmask_b32_e32 v7, v60, v61, vcc
	;; [unrolled: 1-line block ×4, first 2 shown]
	v_cndmask_b32_e64 v10, v10, v16, s[2:3]
	s_and_b64 vcc, s[42:43], s[48:49]
	v_cndmask_b32_e64 v9, v9, v25, s[2:3]
	v_cndmask_b32_e32 v10, v10, v7, vcc
	v_cndmask_b32_e32 v7, v9, v15, vcc
	v_cndmask_b32_e64 v9, v10, v55, s[10:11]
	v_mov_b32_e32 v11, s45
	v_bfi_b32 v8, s61, v9, v8
	v_add_co_u32_e32 v9, vcc, s44, v13
	v_cndmask_b32_e64 v7, v7, 0, s[10:11]
	v_addc_co_u32_e32 v10, vcc, v11, v14, vcc
	global_store_dwordx4 v[9:10], v[5:8], off
	s_or_b64 exec, exec, s[4:5]
	s_and_saveexec_b64 s[2:3], s[0:1]
	s_cbranch_execz .LBB203_32
.LBB203_72:                             ;   in Loop: Header=BB203_33 Depth=1
	v_max_f64 v[5:6], |v[47:48]|, |v[47:48]|
	s_mov_b32 s90, s82
	v_min_f64 v[5:6], v[5:6], v[49:50]
	v_div_scale_f64 v[7:8], s[0:1], v[51:52], v[51:52], v[5:6]
	s_mov_b32 s0, 0x69efb384
	s_mov_b32 s1, 0x3f4b2bb0
	v_rcp_f64_e32 v[9:10], v[7:8]
	v_fma_f64 v[11:12], -v[7:8], v[9:10], 1.0
	v_fma_f64 v[9:10], v[9:10], v[11:12], v[9:10]
	v_div_scale_f64 v[11:12], vcc, v[5:6], v[51:52], v[5:6]
	v_fma_f64 v[13:14], -v[7:8], v[9:10], 1.0
	v_fma_f64 v[9:10], v[9:10], v[13:14], v[9:10]
	v_mul_f64 v[13:14], v[11:12], v[9:10]
	v_fma_f64 v[7:8], -v[7:8], v[13:14], v[11:12]
	v_ashrrev_i32_e32 v12, 31, v48
	v_div_fmas_f64 v[7:8], v[7:8], v[9:10], v[13:14]
	v_cmp_lt_f64_e64 vcc, |v[47:48]|, |v[3:4]|
	v_and_b32_e32 v13, 0x54442d18, v12
	v_and_b32_e32 v12, 0x400921fb, v12
	v_div_fixup_f64 v[5:6], v[7:8], v[51:52], v[5:6]
	v_mul_f64 v[7:8], v[5:6], v[5:6]
	v_fma_f64 v[9:10], v[7:8], s[56:57], v[19:20]
	v_fma_f64 v[9:10], v[7:8], v[9:10], s[0:1]
	s_mov_b32 s0, 0xaf56de9b
	s_mov_b32 s1, 0xbf67952d
	v_fma_f64 v[9:10], v[7:8], v[9:10], s[0:1]
	s_mov_b32 s0, 0xa595c56f
	s_mov_b32 s1, 0x3f7d6d43
	;; [unrolled: 3-line block ×7, first 2 shown]
	v_fma_f64 v[9:10], v[7:8], v[9:10], s[0:1]
	v_cmp_eq_f64_e64 s[0:1], 0, v[3:4]
	v_fma_f64 v[9:10], v[7:8], v[9:10], s[62:63]
	v_fma_f64 v[9:10], v[7:8], v[9:10], s[64:65]
	;; [unrolled: 1-line block ×10, first 2 shown]
	v_mul_f64 v[7:8], v[7:8], v[9:10]
	v_lshlrev_b64 v[9:10], 4, v[21:22]
	v_fma_f64 v[5:6], v[5:6], v[7:8], v[5:6]
	v_add_f64 v[7:8], -v[5:6], s[82:83]
	v_cndmask_b32_e32 v6, v6, v8, vcc
	v_cndmask_b32_e32 v5, v5, v7, vcc
	v_add_f64 v[7:8], -v[5:6], s[90:91]
	v_cmp_gt_i32_e32 vcc, 0, v48
	v_cndmask_b32_e32 v11, v58, v59, vcc
	v_cndmask_b32_e32 v3, v60, v61, vcc
	;; [unrolled: 1-line block ×4, first 2 shown]
	v_cndmask_b32_e64 v6, v6, v12, s[0:1]
	s_and_b64 vcc, s[50:51], s[52:53]
	v_cndmask_b32_e64 v5, v5, v13, s[0:1]
	v_cndmask_b32_e32 v6, v6, v3, vcc
	v_cndmask_b32_e32 v3, v5, v11, vcc
	v_cndmask_b32_e64 v5, v6, v55, s[12:13]
	v_mov_b32_e32 v7, s45
	v_bfi_b32 v4, s61, v5, v4
	v_add_co_u32_e32 v5, vcc, s44, v9
	v_cndmask_b32_e64 v3, v3, 0, s[12:13]
	v_addc_co_u32_e32 v6, vcc, v7, v10, vcc
	global_store_dwordx4 v[5:6], v[1:4], off
	s_branch .LBB203_32
.LBB203_73:
	s_endpgm
	.section	.rodata,"a",@progbits
	.p2align	6, 0x0
	.amdhsa_kernel _ZN2at6native12_GLOBAL__N_125multi_tensor_apply_kernelINS1_18TensorListMetadataILi2EEENS1_14UnaryOpFunctorIN3c107complexIdEELi2ELi1ELi1EEEJNS0_5Log1pIS8_EEEEEvT_T0_DpT1_
		.amdhsa_group_segment_fixed_size 0
		.amdhsa_private_segment_fixed_size 0
		.amdhsa_kernarg_size 3408
		.amdhsa_user_sgpr_count 6
		.amdhsa_user_sgpr_private_segment_buffer 1
		.amdhsa_user_sgpr_dispatch_ptr 0
		.amdhsa_user_sgpr_queue_ptr 0
		.amdhsa_user_sgpr_kernarg_segment_ptr 1
		.amdhsa_user_sgpr_dispatch_id 0
		.amdhsa_user_sgpr_flat_scratch_init 0
		.amdhsa_user_sgpr_private_segment_size 0
		.amdhsa_uses_dynamic_stack 0
		.amdhsa_system_sgpr_private_segment_wavefront_offset 0
		.amdhsa_system_sgpr_workgroup_id_x 1
		.amdhsa_system_sgpr_workgroup_id_y 0
		.amdhsa_system_sgpr_workgroup_id_z 0
		.amdhsa_system_sgpr_workgroup_info 0
		.amdhsa_system_vgpr_workitem_id 0
		.amdhsa_next_free_vgpr 82
		.amdhsa_next_free_sgpr 96
		.amdhsa_reserve_vcc 1
		.amdhsa_reserve_flat_scratch 0
		.amdhsa_float_round_mode_32 0
		.amdhsa_float_round_mode_16_64 0
		.amdhsa_float_denorm_mode_32 3
		.amdhsa_float_denorm_mode_16_64 3
		.amdhsa_dx10_clamp 1
		.amdhsa_ieee_mode 1
		.amdhsa_fp16_overflow 0
		.amdhsa_exception_fp_ieee_invalid_op 0
		.amdhsa_exception_fp_denorm_src 0
		.amdhsa_exception_fp_ieee_div_zero 0
		.amdhsa_exception_fp_ieee_overflow 0
		.amdhsa_exception_fp_ieee_underflow 0
		.amdhsa_exception_fp_ieee_inexact 0
		.amdhsa_exception_int_div_zero 0
	.end_amdhsa_kernel
	.section	.text._ZN2at6native12_GLOBAL__N_125multi_tensor_apply_kernelINS1_18TensorListMetadataILi2EEENS1_14UnaryOpFunctorIN3c107complexIdEELi2ELi1ELi1EEEJNS0_5Log1pIS8_EEEEEvT_T0_DpT1_,"axG",@progbits,_ZN2at6native12_GLOBAL__N_125multi_tensor_apply_kernelINS1_18TensorListMetadataILi2EEENS1_14UnaryOpFunctorIN3c107complexIdEELi2ELi1ELi1EEEJNS0_5Log1pIS8_EEEEEvT_T0_DpT1_,comdat
.Lfunc_end203:
	.size	_ZN2at6native12_GLOBAL__N_125multi_tensor_apply_kernelINS1_18TensorListMetadataILi2EEENS1_14UnaryOpFunctorIN3c107complexIdEELi2ELi1ELi1EEEJNS0_5Log1pIS8_EEEEEvT_T0_DpT1_, .Lfunc_end203-_ZN2at6native12_GLOBAL__N_125multi_tensor_apply_kernelINS1_18TensorListMetadataILi2EEENS1_14UnaryOpFunctorIN3c107complexIdEELi2ELi1ELi1EEEJNS0_5Log1pIS8_EEEEEvT_T0_DpT1_
                                        ; -- End function
	.set _ZN2at6native12_GLOBAL__N_125multi_tensor_apply_kernelINS1_18TensorListMetadataILi2EEENS1_14UnaryOpFunctorIN3c107complexIdEELi2ELi1ELi1EEEJNS0_5Log1pIS8_EEEEEvT_T0_DpT1_.num_vgpr, 82
	.set _ZN2at6native12_GLOBAL__N_125multi_tensor_apply_kernelINS1_18TensorListMetadataILi2EEENS1_14UnaryOpFunctorIN3c107complexIdEELi2ELi1ELi1EEEJNS0_5Log1pIS8_EEEEEvT_T0_DpT1_.num_agpr, 0
	.set _ZN2at6native12_GLOBAL__N_125multi_tensor_apply_kernelINS1_18TensorListMetadataILi2EEENS1_14UnaryOpFunctorIN3c107complexIdEELi2ELi1ELi1EEEJNS0_5Log1pIS8_EEEEEvT_T0_DpT1_.numbered_sgpr, 96
	.set _ZN2at6native12_GLOBAL__N_125multi_tensor_apply_kernelINS1_18TensorListMetadataILi2EEENS1_14UnaryOpFunctorIN3c107complexIdEELi2ELi1ELi1EEEJNS0_5Log1pIS8_EEEEEvT_T0_DpT1_.num_named_barrier, 0
	.set _ZN2at6native12_GLOBAL__N_125multi_tensor_apply_kernelINS1_18TensorListMetadataILi2EEENS1_14UnaryOpFunctorIN3c107complexIdEELi2ELi1ELi1EEEJNS0_5Log1pIS8_EEEEEvT_T0_DpT1_.private_seg_size, 0
	.set _ZN2at6native12_GLOBAL__N_125multi_tensor_apply_kernelINS1_18TensorListMetadataILi2EEENS1_14UnaryOpFunctorIN3c107complexIdEELi2ELi1ELi1EEEJNS0_5Log1pIS8_EEEEEvT_T0_DpT1_.uses_vcc, 1
	.set _ZN2at6native12_GLOBAL__N_125multi_tensor_apply_kernelINS1_18TensorListMetadataILi2EEENS1_14UnaryOpFunctorIN3c107complexIdEELi2ELi1ELi1EEEJNS0_5Log1pIS8_EEEEEvT_T0_DpT1_.uses_flat_scratch, 0
	.set _ZN2at6native12_GLOBAL__N_125multi_tensor_apply_kernelINS1_18TensorListMetadataILi2EEENS1_14UnaryOpFunctorIN3c107complexIdEELi2ELi1ELi1EEEJNS0_5Log1pIS8_EEEEEvT_T0_DpT1_.has_dyn_sized_stack, 0
	.set _ZN2at6native12_GLOBAL__N_125multi_tensor_apply_kernelINS1_18TensorListMetadataILi2EEENS1_14UnaryOpFunctorIN3c107complexIdEELi2ELi1ELi1EEEJNS0_5Log1pIS8_EEEEEvT_T0_DpT1_.has_recursion, 0
	.set _ZN2at6native12_GLOBAL__N_125multi_tensor_apply_kernelINS1_18TensorListMetadataILi2EEENS1_14UnaryOpFunctorIN3c107complexIdEELi2ELi1ELi1EEEJNS0_5Log1pIS8_EEEEEvT_T0_DpT1_.has_indirect_call, 0
	.section	.AMDGPU.csdata,"",@progbits
; Kernel info:
; codeLenInByte = 22968
; TotalNumSgprs: 100
; NumVgprs: 82
; ScratchSize: 0
; MemoryBound: 1
; FloatMode: 240
; IeeeMode: 1
; LDSByteSize: 0 bytes/workgroup (compile time only)
; SGPRBlocks: 12
; VGPRBlocks: 20
; NumSGPRsForWavesPerEU: 100
; NumVGPRsForWavesPerEU: 82
; Occupancy: 3
; WaveLimiterHint : 0
; COMPUTE_PGM_RSRC2:SCRATCH_EN: 0
; COMPUTE_PGM_RSRC2:USER_SGPR: 6
; COMPUTE_PGM_RSRC2:TRAP_HANDLER: 0
; COMPUTE_PGM_RSRC2:TGID_X_EN: 1
; COMPUTE_PGM_RSRC2:TGID_Y_EN: 0
; COMPUTE_PGM_RSRC2:TGID_Z_EN: 0
; COMPUTE_PGM_RSRC2:TIDIG_COMP_CNT: 0
	.section	.text._ZN2at6native12_GLOBAL__N_125multi_tensor_apply_kernelINS1_18TensorListMetadataILi2EEENS1_14UnaryOpFunctorIN3c107complexIfEELi2ELi1ELi1EEEJNS0_5Log1pIS8_EEEEEvT_T0_DpT1_,"axG",@progbits,_ZN2at6native12_GLOBAL__N_125multi_tensor_apply_kernelINS1_18TensorListMetadataILi2EEENS1_14UnaryOpFunctorIN3c107complexIfEELi2ELi1ELi1EEEJNS0_5Log1pIS8_EEEEEvT_T0_DpT1_,comdat
	.globl	_ZN2at6native12_GLOBAL__N_125multi_tensor_apply_kernelINS1_18TensorListMetadataILi2EEENS1_14UnaryOpFunctorIN3c107complexIfEELi2ELi1ELi1EEEJNS0_5Log1pIS8_EEEEEvT_T0_DpT1_ ; -- Begin function _ZN2at6native12_GLOBAL__N_125multi_tensor_apply_kernelINS1_18TensorListMetadataILi2EEENS1_14UnaryOpFunctorIN3c107complexIfEELi2ELi1ELi1EEEJNS0_5Log1pIS8_EEEEEvT_T0_DpT1_
	.p2align	8
	.type	_ZN2at6native12_GLOBAL__N_125multi_tensor_apply_kernelINS1_18TensorListMetadataILi2EEENS1_14UnaryOpFunctorIN3c107complexIfEELi2ELi1ELi1EEEJNS0_5Log1pIS8_EEEEEvT_T0_DpT1_,@function
_ZN2at6native12_GLOBAL__N_125multi_tensor_apply_kernelINS1_18TensorListMetadataILi2EEENS1_14UnaryOpFunctorIN3c107complexIfEELi2ELi1ELi1EEEJNS0_5Log1pIS8_EEEEEvT_T0_DpT1_: ; @_ZN2at6native12_GLOBAL__N_125multi_tensor_apply_kernelINS1_18TensorListMetadataILi2EEENS1_14UnaryOpFunctorIN3c107complexIfEELi2ELi1ELi1EEEJNS0_5Log1pIS8_EEEEEvT_T0_DpT1_
; %bb.0:
	v_mov_b32_e32 v1, s6
	global_load_ubyte v1, v1, s[4:5] offset:1536
	s_add_u32 s0, s4, s6
	s_mul_hi_u32 s3, s6, 3
	s_mul_i32 s6, s6, 3
	s_addc_u32 s8, s5, 0
	s_add_u32 s2, s0, s6
	s_addc_u32 s3, s8, s3
	s_load_dword s2, s[2:3], 0x740
	s_mov_b32 s1, 0
	s_mov_b32 s7, s1
	s_waitcnt lgkmcnt(0)
	s_ashr_i32 s3, s2, 31
	s_lshl_b64 s[16:17], s[2:3], 19
	s_waitcnt vmcnt(0)
	v_readfirstlane_b32 s0, v1
	s_lshl_b32 s0, s0, 3
	s_load_dwordx2 s[8:9], s[4:5], s0 offset:0x0
	s_load_dwordx2 s[14:15], s[4:5], s0 offset:0x400
	;; [unrolled: 1-line block ×3, first 2 shown]
	s_waitcnt lgkmcnt(0)
	s_add_u32 s10, s8, s16
	s_addc_u32 s11, s9, s17
	s_and_b32 s0, s10, 31
	s_add_u32 s12, s12, s16
	s_addc_u32 s13, s13, s17
	s_lshl_b64 s[2:3], s[2:3], 16
	s_and_b32 s6, s12, 31
	s_sub_u32 s2, s14, s2
	s_subb_u32 s3, s15, s3
	s_and_b32 s8, s14, 3
	s_mov_b32 s9, s1
	s_or_b64 s[6:7], s[6:7], s[8:9]
	s_or_b64 s[0:1], s[6:7], s[0:1]
	s_cmp_eq_u64 s[0:1], 0
	s_mov_b64 s[0:1], -1
	s_cbranch_scc0 .LBB204_29
; %bb.1:
	v_mov_b32_e32 v1, 0x10000
	v_mov_b32_e32 v2, 0
	v_cmp_lt_i64_e32 vcc, s[2:3], v[1:2]
	v_mov_b32_e32 v2, 0
	s_and_b64 s[0:1], vcc, exec
	s_cselect_b32 s7, s3, 0
	s_cselect_b32 s6, s2, 0x10000
	v_lshlrev_b32_e32 v1, 2, v0
	v_cmp_gt_i64_e32 vcc, s[6:7], v[1:2]
	s_and_saveexec_b64 s[8:9], vcc
	s_cbranch_execz .LBB204_28
; %bb.2:
	s_load_dword s0, s[4:5], 0xc5c
	v_mov_b32_e32 v1, v2
	v_mov_b32_e32 v18, v1
	v_lshlrev_b32_e32 v19, 5, v0
	s_mov_b64 s[14:15], 0
	s_waitcnt lgkmcnt(0)
	s_and_b32 s23, s0, 0xffff
	s_mov_b32 s22, 0x7f800000
	s_lshl_b32 s24, s23, 5
	s_mov_b32 s25, 0x800000
	s_mov_b32 s26, 0x3f317217
	;; [unrolled: 1-line block ×3, first 2 shown]
	v_mov_b32_e32 v20, 0x3f2aaada
	s_mov_b32 s28, 0x3f317218
	s_mov_b32 s29, 0x33800000
	s_movk_i32 s30, 0x204
	v_mov_b32_e32 v21, 0x3d29fb3f
	v_mov_b32_e32 v22, 0xbd97d4d7
	;; [unrolled: 1-line block ×6, first 2 shown]
	s_brev_b32 s31, -2
	v_mov_b32_e32 v27, 0x7f800000
	v_mov_b32_e32 v28, 0x41b17218
	;; [unrolled: 1-line block ×7, first 2 shown]
	s_mov_b64 s[16:17], s[10:11]
	s_mov_b64 s[18:19], s[12:13]
	v_mov_b32_e32 v17, v0
	s_branch .LBB204_5
.LBB204_3:                              ;   in Loop: Header=BB204_5 Depth=1
	s_or_b64 exec, exec, s[20:21]
	v_mov_b32_e32 v15, v3
.LBB204_4:                              ;   in Loop: Header=BB204_5 Depth=1
	s_or_b64 exec, exec, s[0:1]
	v_max_f32_e64 v40, |v7|, |v7|
	v_min_f32_e32 v14, v40, v14
	v_frexp_mant_f32_e32 v40, v36
	v_rcp_f32_e32 v40, v40
	v_frexp_exp_i32_f32_e32 v36, v36
	v_frexp_exp_i32_f32_e32 v41, v14
	v_frexp_mant_f32_e32 v14, v14
	v_mul_f32_e32 v14, v14, v40
	v_sub_u32_e32 v36, v41, v36
	v_ldexp_f32 v14, v14, v36
	v_mul_f32_e32 v36, v14, v14
	v_mov_b32_e32 v40, 0xbc7a590c
	v_fmac_f32_e32 v40, 0x3b2d2a58, v36
	v_fma_f32 v40, v36, v40, v21
	v_fma_f32 v40, v36, v40, v22
	;; [unrolled: 1-line block ×6, first 2 shown]
	v_mul_f32_e32 v36, v36, v40
	v_cmp_gt_i32_e64 s[0:1], 0, v7
	v_fmac_f32_e32 v14, v14, v36
	v_cndmask_b32_e64 v39, 0, v33, s[0:1]
	v_sub_f32_e32 v36, 0x3fc90fdb, v14
	v_cmp_gt_f32_e64 s[0:1], |v2|, |v7|
	v_cndmask_b32_e64 v14, v14, v36, s[0:1]
	v_cmp_gt_f32_e32 vcc, 0, v7
	v_sub_f32_e32 v36, 0x40490fdb, v14
	v_cmp_class_f32_e64 s[20:21], v2, s30
	v_cmp_class_f32_e64 s[34:35], v7, s30
	v_cndmask_b32_e32 v3, v31, v32, vcc
	v_cndmask_b32_e32 v14, v14, v36, vcc
	v_cmp_eq_f32_e32 vcc, 0, v2
	v_cndmask_b32_e32 v14, v14, v39, vcc
	s_and_b64 vcc, s[20:21], s[34:35]
	v_cndmask_b32_e32 v3, v14, v3, vcc
	v_cmp_o_f32_e32 vcc, v7, v2
	v_max_f32_e64 v7, |v5|, |v5|
	v_min_f32_e32 v7, v7, v12
	v_frexp_mant_f32_e32 v12, v35
	v_rcp_f32_e32 v12, v12
	v_frexp_exp_i32_f32_e32 v35, v35
	v_frexp_exp_i32_f32_e32 v36, v7
	v_frexp_mant_f32_e32 v7, v7
	v_mul_f32_e32 v7, v7, v12
	v_sub_u32_e32 v12, v36, v35
	v_ldexp_f32 v7, v7, v12
	v_mul_f32_e32 v12, v7, v7
	v_mov_b32_e32 v35, 0xbc7a590c
	v_fmac_f32_e32 v35, 0x3b2d2a58, v12
	v_fma_f32 v35, v12, v35, v21
	v_fma_f32 v35, v12, v35, v22
	;; [unrolled: 1-line block ×6, first 2 shown]
	v_mul_f32_e32 v12, v12, v35
	v_cndmask_b32_e32 v3, v29, v3, vcc
	v_cmp_gt_i32_e64 s[0:1], 0, v5
	v_fmac_f32_e32 v7, v7, v12
	v_bfi_b32 v14, s31, v3, v2
	v_cndmask_b32_e64 v3, 0, v33, s[0:1]
	v_sub_f32_e32 v12, 0x3fc90fdb, v7
	v_cmp_gt_f32_e64 s[0:1], |v8|, |v5|
	v_cndmask_b32_e64 v7, v7, v12, s[0:1]
	v_cmp_gt_f32_e32 vcc, 0, v5
	v_sub_f32_e32 v12, 0x40490fdb, v7
	v_cndmask_b32_e32 v2, v31, v32, vcc
	v_cndmask_b32_e32 v7, v7, v12, vcc
	v_cmp_eq_f32_e32 vcc, 0, v8
	v_cmp_class_f32_e64 s[20:21], v8, s30
	v_cmp_class_f32_e64 s[34:35], v5, s30
	v_cndmask_b32_e32 v3, v7, v3, vcc
	v_frexp_mant_f32_e32 v7, v34
	s_and_b64 vcc, s[20:21], s[34:35]
	v_rcp_f32_e32 v7, v7
	v_cndmask_b32_e32 v2, v3, v2, vcc
	v_cmp_o_f32_e32 vcc, v5, v8
	v_max_f32_e64 v5, |v10|, |v10|
	v_cndmask_b32_e32 v2, v29, v2, vcc
	v_min_f32_e32 v5, v5, v16
	v_bfi_b32 v12, s31, v2, v8
	v_frexp_exp_i32_f32_e32 v8, v34
	v_frexp_exp_i32_f32_e32 v16, v5
	v_frexp_mant_f32_e32 v5, v5
	v_mul_f32_e32 v5, v5, v7
	v_sub_u32_e32 v7, v16, v8
	v_ldexp_f32 v5, v5, v7
	v_mul_f32_e32 v7, v5, v5
	v_mov_b32_e32 v8, 0xbc7a590c
	v_fmac_f32_e32 v8, 0x3b2d2a58, v7
	v_fma_f32 v8, v7, v8, v21
	v_fma_f32 v8, v7, v8, v22
	;; [unrolled: 1-line block ×6, first 2 shown]
	v_mul_f32_e32 v7, v7, v8
	v_cmp_gt_i32_e64 s[0:1], 0, v10
	v_fmac_f32_e32 v5, v5, v7
	v_cndmask_b32_e64 v3, 0, v33, s[0:1]
	v_sub_f32_e32 v7, 0x3fc90fdb, v5
	v_cmp_gt_f32_e64 s[0:1], |v6|, |v10|
	v_cndmask_b32_e64 v5, v5, v7, s[0:1]
	v_cmp_gt_f32_e32 vcc, 0, v10
	v_sub_f32_e32 v7, 0x40490fdb, v5
	v_cmp_class_f32_e64 s[20:21], v6, s30
	v_cmp_class_f32_e64 s[34:35], v10, s30
	v_cndmask_b32_e32 v2, v31, v32, vcc
	v_cndmask_b32_e32 v5, v5, v7, vcc
	v_cmp_eq_f32_e32 vcc, 0, v6
	v_cndmask_b32_e32 v3, v5, v3, vcc
	s_and_b64 vcc, s[20:21], s[34:35]
	v_cndmask_b32_e32 v2, v3, v2, vcc
	v_cmp_o_f32_e32 vcc, v10, v6
	v_cndmask_b32_e32 v2, v29, v2, vcc
	v_bfi_b32 v10, s31, v2, v6
	v_frexp_mant_f32_e32 v6, v38
	v_rcp_f32_e32 v6, v6
	v_max_f32_e64 v5, |v1|, |v1|
	v_min_f32_e32 v5, v5, v37
	v_frexp_exp_i32_f32_e32 v7, v38
	v_frexp_exp_i32_f32_e32 v8, v5
	v_frexp_mant_f32_e32 v5, v5
	v_mul_f32_e32 v5, v5, v6
	v_sub_u32_e32 v6, v8, v7
	v_ldexp_f32 v5, v5, v6
	v_mul_f32_e32 v6, v5, v5
	v_mov_b32_e32 v7, 0xbc7a590c
	v_fmac_f32_e32 v7, 0x3b2d2a58, v6
	v_fma_f32 v7, v6, v7, v21
	v_fma_f32 v7, v6, v7, v22
	;; [unrolled: 1-line block ×6, first 2 shown]
	v_mul_f32_e32 v6, v6, v7
	v_cmp_gt_i32_e64 s[0:1], 0, v1
	v_fmac_f32_e32 v5, v5, v6
	v_cndmask_b32_e64 v3, 0, v33, s[0:1]
	v_sub_f32_e32 v6, 0x3fc90fdb, v5
	v_cmp_gt_f32_e64 s[0:1], |v4|, |v1|
	v_cndmask_b32_e64 v5, v5, v6, s[0:1]
	v_cmp_gt_f32_e32 vcc, 0, v1
	v_sub_f32_e32 v6, 0x40490fdb, v5
	v_cmp_class_f32_e64 s[20:21], v4, s30
	v_cmp_class_f32_e64 s[34:35], v1, s30
	v_cndmask_b32_e32 v2, v31, v32, vcc
	v_cndmask_b32_e32 v5, v5, v6, vcc
	v_cmp_eq_f32_e32 vcc, 0, v4
	v_cndmask_b32_e32 v3, v5, v3, vcc
	s_and_b64 vcc, s[20:21], s[34:35]
	v_cndmask_b32_e32 v2, v3, v2, vcc
	v_cmp_o_f32_e32 vcc, v1, v4
	v_cndmask_b32_e32 v1, v29, v2, vcc
	v_bfi_b32 v16, s31, v1, v4
	v_mov_b32_e32 v2, s19
	v_add_co_u32_e32 v1, vcc, s18, v19
	v_addc_co_u32_e32 v2, vcc, 0, v2, vcc
	v_add_co_u32_e32 v17, vcc, s23, v17
	v_addc_co_u32_e32 v18, vcc, 0, v18, vcc
	v_lshlrev_b64 v[3:4], 2, v[17:18]
	s_add_u32 s18, s18, s24
	s_addc_u32 s19, s19, 0
	s_add_u32 s16, s16, s24
	v_cmp_le_i64_e32 vcc, s[6:7], v[3:4]
	s_addc_u32 s17, s17, 0
	s_or_b64 s[14:15], vcc, s[14:15]
	global_store_dwordx4 v[1:2], v[9:12], off
	global_store_dwordx4 v[1:2], v[13:16], off offset:16
	s_andn2_b64 exec, exec, s[14:15]
	s_cbranch_execz .LBB204_28
.LBB204_5:                              ; =>This Inner Loop Header: Depth=1
	v_mov_b32_e32 v1, s17
	v_add_co_u32_e32 v9, vcc, s16, v19
	v_addc_co_u32_e32 v10, vcc, 0, v1, vcc
	global_load_dwordx4 v[5:8], v[9:10], off
	global_load_dwordx4 v[1:4], v[9:10], off offset:16
	s_waitcnt vmcnt(1)
	v_max_f32_e64 v9, |v5|, |v5|
	v_max_f32_e64 v16, |v6|, |v6|
	v_max_f32_e32 v11, v9, v16
	v_cvt_f64_f32_e32 v[9:10], v11
	v_cmp_eq_f32_e32 vcc, s22, v11
	v_frexp_exp_i32_f64_e32 v9, v[9:10]
	v_sub_u32_e32 v10, 0, v9
	v_ldexp_f32 v12, |v5|, v10
	v_ldexp_f32 v10, |v6|, v10
	v_mul_f32_e32 v10, v10, v10
	v_fmac_f32_e32 v10, v12, v12
	v_sqrt_f32_e32 v12, v10
	v_add_f32_e32 v10, 1.0, v5
	v_max_f32_e64 v34, |v10|, v16
	v_ldexp_f32 v9, v12, v9
	v_cmp_ngt_f32_e64 s[0:1], 0.5, v9
	s_or_b64 s[0:1], vcc, s[0:1]
                                        ; implicit-def: $vgpr9
	s_and_saveexec_b64 s[20:21], s[0:1]
	s_xor_b64 s[20:21], exec, s[20:21]
	s_cbranch_execz .LBB204_7
; %bb.6:                                ;   in Loop: Header=BB204_5 Depth=1
	v_cvt_f64_f32_e32 v[11:12], v34
	v_cmp_neq_f32_e32 vcc, s22, v34
	v_frexp_exp_i32_f64_e32 v9, v[11:12]
	v_sub_u32_e32 v11, 0, v9
	v_ldexp_f32 v12, |v10|, v11
	v_ldexp_f32 v11, |v6|, v11
	v_mul_f32_e32 v11, v11, v11
	v_fmac_f32_e32 v11, v12, v12
	v_sqrt_f32_e32 v11, v11
	v_ldexp_f32 v9, v11, v9
	v_cndmask_b32_e32 v9, v27, v9, vcc
	v_cmp_gt_f32_e32 vcc, s25, v9
	v_cndmask_b32_e64 v11, 0, 32, vcc
	v_ldexp_f32 v9, v9, v11
	v_log_f32_e32 v9, v9
	v_mul_f32_e32 v11, 0x3f317217, v9
	v_fma_f32 v11, v9, s26, -v11
	v_fmac_f32_e32 v11, 0x3377d1cf, v9
	v_fmac_f32_e32 v11, 0x3f317217, v9
	v_cmp_lt_f32_e64 s[0:1], |v9|, s22
	v_cndmask_b32_e64 v9, v9, v11, s[0:1]
	v_cndmask_b32_e32 v11, 0, v28, vcc
	v_sub_f32_e32 v9, v9, v11
.LBB204_7:                              ;   in Loop: Header=BB204_5 Depth=1
	s_andn2_saveexec_b64 s[0:1], s[20:21]
	s_cbranch_execz .LBB204_11
; %bb.8:                                ;   in Loop: Header=BB204_5 Depth=1
	v_add_f32_e32 v9, 2.0, v5
	v_mul_f32_e32 v9, v5, v9
	v_fmac_f32_e32 v9, v6, v6
	v_cmp_neq_f32_e32 vcc, 0, v9
	s_and_saveexec_b64 s[20:21], vcc
	s_cbranch_execz .LBB204_10
; %bb.9:                                ;   in Loop: Header=BB204_5 Depth=1
	v_add_f32_e32 v5, 1.0, v9
	v_cvt_f64_f32_e32 v[11:12], v5
	v_add_f32_e32 v13, -1.0, v5
	v_sub_f32_e32 v14, v13, v5
	v_sub_f32_e32 v13, v9, v13
	v_frexp_exp_i32_f64_e32 v11, v[11:12]
	v_frexp_mant_f32_e32 v12, v5
	v_cmp_gt_f32_e32 vcc, s27, v12
	v_add_f32_e32 v14, 1.0, v14
	v_add_f32_e32 v13, v13, v14
	v_subbrev_co_u32_e32 v11, vcc, 0, v11, vcc
	v_sub_u32_e32 v12, 0, v11
	v_ldexp_f32 v5, v5, v12
	v_ldexp_f32 v12, v13, v12
	v_add_f32_e32 v13, -1.0, v5
	v_add_f32_e32 v14, 1.0, v5
	v_add_f32_e32 v15, 1.0, v13
	v_add_f32_e32 v36, -1.0, v14
	v_sub_f32_e32 v15, v5, v15
	v_sub_f32_e32 v5, v5, v36
	v_add_f32_e32 v5, v12, v5
	v_add_f32_e32 v15, v12, v15
	;; [unrolled: 1-line block ×3, first 2 shown]
	v_rcp_f32_e32 v36, v12
	v_add_f32_e32 v35, v13, v15
	v_sub_f32_e32 v14, v12, v14
	v_sub_f32_e32 v13, v35, v13
	;; [unrolled: 1-line block ×3, first 2 shown]
	v_mul_f32_e32 v14, v35, v36
	v_sub_f32_e32 v13, v15, v13
	v_mul_f32_e32 v15, v12, v14
	v_fma_f32 v37, v14, v12, -v15
	v_fmac_f32_e32 v37, v14, v5
	v_add_f32_e32 v38, v15, v37
	v_sub_f32_e32 v39, v35, v38
	v_sub_f32_e32 v35, v35, v39
	;; [unrolled: 1-line block ×4, first 2 shown]
	v_add_f32_e32 v13, v13, v35
	v_sub_f32_e32 v15, v15, v37
	v_add_f32_e32 v13, v15, v13
	v_add_f32_e32 v15, v39, v13
	v_mul_f32_e32 v35, v36, v15
	v_mul_f32_e32 v37, v12, v35
	v_fma_f32 v12, v35, v12, -v37
	v_fmac_f32_e32 v12, v35, v5
	v_sub_f32_e32 v5, v39, v15
	v_add_f32_e32 v5, v13, v5
	v_add_f32_e32 v13, v37, v12
	v_sub_f32_e32 v38, v15, v13
	v_sub_f32_e32 v15, v15, v38
	;; [unrolled: 1-line block ×4, first 2 shown]
	v_add_f32_e32 v5, v5, v13
	v_sub_f32_e32 v12, v37, v12
	v_cvt_f32_i32_e32 v11, v11
	v_add_f32_e32 v5, v12, v5
	v_add_f32_e32 v12, v14, v35
	;; [unrolled: 1-line block ×3, first 2 shown]
	v_sub_f32_e32 v13, v12, v14
	v_mul_f32_e32 v5, v36, v5
	v_sub_f32_e32 v13, v35, v13
	v_add_f32_e32 v5, v13, v5
	v_mul_f32_e32 v35, 0x3f317218, v11
	v_add_f32_e32 v13, v12, v5
	v_fma_f32 v36, v11, s28, -v35
	v_mul_f32_e32 v14, v13, v13
	v_mov_b32_e32 v15, 0x3ecc95a3
	v_fmac_f32_e32 v36, 0xb102e308, v11
	v_sub_f32_e32 v11, v13, v12
	v_fmac_f32_e32 v15, 0x3e9b6dac, v14
	v_sub_f32_e32 v5, v5, v11
	v_add_f32_e32 v11, v35, v36
	v_fma_f32 v15, v14, v15, v20
	v_sub_f32_e32 v12, v11, v35
	v_ldexp_f32 v35, v13, 1
	v_mul_f32_e32 v13, v13, v14
	v_mul_f32_e32 v13, v13, v15
	v_add_f32_e32 v14, v35, v13
	v_sub_f32_e32 v15, v14, v35
	v_ldexp_f32 v5, v5, 1
	v_sub_f32_e32 v13, v13, v15
	v_add_f32_e32 v5, v5, v13
	v_add_f32_e32 v13, v14, v5
	v_sub_f32_e32 v14, v13, v14
	v_sub_f32_e32 v5, v5, v14
	v_add_f32_e32 v14, v11, v13
	v_sub_f32_e32 v15, v14, v11
	v_sub_f32_e32 v35, v14, v15
	;; [unrolled: 1-line block ×5, first 2 shown]
	v_add_f32_e32 v11, v13, v11
	v_add_f32_e32 v13, v12, v5
	v_sub_f32_e32 v15, v13, v12
	v_sub_f32_e32 v35, v13, v15
	;; [unrolled: 1-line block ×4, first 2 shown]
	v_add_f32_e32 v11, v13, v11
	v_add_f32_e32 v5, v5, v12
	v_add_f32_e32 v12, v14, v11
	v_sub_f32_e32 v13, v12, v14
	v_sub_f32_e32 v11, v11, v13
	v_add_f32_e32 v5, v5, v11
	v_add_f32_e32 v5, v12, v5
	v_cmp_neq_f32_e32 vcc, s22, v9
	v_cndmask_b32_e32 v5, v27, v5, vcc
	v_cmp_ngt_f32_e32 vcc, -1.0, v9
	v_cndmask_b32_e32 v5, v29, v5, vcc
	v_cmp_neq_f32_e32 vcc, -1.0, v9
	v_cndmask_b32_e32 v5, v30, v5, vcc
	v_cmp_lt_f32_e64 vcc, |v9|, s29
	v_cndmask_b32_e32 v5, v5, v9, vcc
	v_mul_f32_e32 v5, 0.5, v5
.LBB204_10:                             ;   in Loop: Header=BB204_5 Depth=1
	s_or_b64 exec, exec, s[20:21]
	v_mov_b32_e32 v9, v5
.LBB204_11:                             ;   in Loop: Header=BB204_5 Depth=1
	s_or_b64 exec, exec, s[0:1]
	v_max_f32_e64 v5, |v7|, |v7|
	v_max_f32_e64 v12, |v8|, |v8|
	v_max_f32_e32 v11, v5, v12
	v_cvt_f64_f32_e32 v[13:14], v11
	v_cmp_eq_f32_e32 vcc, s22, v11
	v_frexp_exp_i32_f64_e32 v13, v[13:14]
	v_sub_u32_e32 v5, 0, v13
	v_ldexp_f32 v14, |v7|, v5
	v_ldexp_f32 v5, |v8|, v5
	v_mul_f32_e32 v5, v5, v5
	v_fmac_f32_e32 v5, v14, v14
	v_sqrt_f32_e32 v14, v5
	v_add_f32_e32 v5, 1.0, v7
	v_max_f32_e64 v35, |v5|, v12
	v_ldexp_f32 v11, v14, v13
	v_cmp_ngt_f32_e64 s[0:1], 0.5, v11
	s_or_b64 s[0:1], vcc, s[0:1]
	s_and_saveexec_b64 s[20:21], s[0:1]
	s_xor_b64 s[20:21], exec, s[20:21]
	s_cbranch_execz .LBB204_13
; %bb.12:                               ;   in Loop: Header=BB204_5 Depth=1
	v_cvt_f64_f32_e32 v[13:14], v35
	v_cmp_neq_f32_e32 vcc, s22, v35
	v_frexp_exp_i32_f64_e32 v11, v[13:14]
	v_sub_u32_e32 v13, 0, v11
	v_ldexp_f32 v14, |v5|, v13
	v_ldexp_f32 v13, |v8|, v13
	v_mul_f32_e32 v13, v13, v13
	v_fmac_f32_e32 v13, v14, v14
	v_sqrt_f32_e32 v13, v13
	v_ldexp_f32 v11, v13, v11
	v_cndmask_b32_e32 v11, v27, v11, vcc
	v_cmp_gt_f32_e32 vcc, s25, v11
	v_cndmask_b32_e64 v13, 0, 32, vcc
	v_ldexp_f32 v11, v11, v13
	v_log_f32_e32 v11, v11
	v_mul_f32_e32 v13, 0x3f317217, v11
	v_fma_f32 v13, v11, s26, -v13
	v_fmac_f32_e32 v13, 0x3377d1cf, v11
	v_fmac_f32_e32 v13, 0x3f317217, v11
	v_cmp_lt_f32_e64 s[0:1], |v11|, s22
	v_cndmask_b32_e64 v11, v11, v13, s[0:1]
	v_cndmask_b32_e32 v13, 0, v28, vcc
	v_sub_f32_e32 v11, v11, v13
.LBB204_13:                             ;   in Loop: Header=BB204_5 Depth=1
	s_andn2_saveexec_b64 s[0:1], s[20:21]
	s_cbranch_execz .LBB204_17
; %bb.14:                               ;   in Loop: Header=BB204_5 Depth=1
	v_add_f32_e32 v11, 2.0, v7
	v_mul_f32_e32 v11, v7, v11
	v_fmac_f32_e32 v11, v8, v8
	v_cmp_neq_f32_e32 vcc, 0, v11
	s_and_saveexec_b64 s[20:21], vcc
	s_cbranch_execz .LBB204_16
; %bb.15:                               ;   in Loop: Header=BB204_5 Depth=1
	v_add_f32_e32 v7, 1.0, v11
	v_cvt_f64_f32_e32 v[13:14], v7
	v_add_f32_e32 v15, -1.0, v7
	v_sub_f32_e32 v36, v15, v7
	v_sub_f32_e32 v15, v11, v15
	v_frexp_exp_i32_f64_e32 v13, v[13:14]
	v_frexp_mant_f32_e32 v14, v7
	v_cmp_gt_f32_e32 vcc, s27, v14
	v_add_f32_e32 v36, 1.0, v36
	v_add_f32_e32 v15, v15, v36
	v_subbrev_co_u32_e32 v13, vcc, 0, v13, vcc
	v_sub_u32_e32 v14, 0, v13
	v_ldexp_f32 v7, v7, v14
	v_ldexp_f32 v14, v15, v14
	v_add_f32_e32 v15, -1.0, v7
	v_add_f32_e32 v36, 1.0, v7
	v_add_f32_e32 v37, 1.0, v15
	v_add_f32_e32 v39, -1.0, v36
	v_sub_f32_e32 v37, v7, v37
	v_sub_f32_e32 v7, v7, v39
	v_add_f32_e32 v7, v14, v7
	v_add_f32_e32 v37, v14, v37
	;; [unrolled: 1-line block ×3, first 2 shown]
	v_rcp_f32_e32 v39, v14
	v_add_f32_e32 v38, v15, v37
	v_sub_f32_e32 v36, v14, v36
	v_sub_f32_e32 v15, v38, v15
	;; [unrolled: 1-line block ×3, first 2 shown]
	v_mul_f32_e32 v36, v38, v39
	v_sub_f32_e32 v15, v37, v15
	v_mul_f32_e32 v37, v14, v36
	v_fma_f32 v40, v36, v14, -v37
	v_fmac_f32_e32 v40, v36, v7
	v_add_f32_e32 v41, v37, v40
	v_sub_f32_e32 v42, v38, v41
	v_sub_f32_e32 v38, v38, v42
	v_sub_f32_e32 v37, v41, v37
	v_sub_f32_e32 v38, v38, v41
	v_add_f32_e32 v15, v15, v38
	v_sub_f32_e32 v37, v37, v40
	v_add_f32_e32 v15, v37, v15
	v_add_f32_e32 v37, v42, v15
	v_mul_f32_e32 v38, v39, v37
	v_mul_f32_e32 v40, v14, v38
	v_fma_f32 v14, v38, v14, -v40
	v_fmac_f32_e32 v14, v38, v7
	v_sub_f32_e32 v7, v42, v37
	v_add_f32_e32 v7, v15, v7
	v_add_f32_e32 v15, v40, v14
	v_sub_f32_e32 v41, v37, v15
	v_sub_f32_e32 v37, v37, v41
	;; [unrolled: 1-line block ×4, first 2 shown]
	v_add_f32_e32 v7, v7, v15
	v_sub_f32_e32 v14, v40, v14
	v_cvt_f32_i32_e32 v13, v13
	v_add_f32_e32 v7, v14, v7
	v_add_f32_e32 v14, v36, v38
	;; [unrolled: 1-line block ×3, first 2 shown]
	v_sub_f32_e32 v15, v14, v36
	v_mul_f32_e32 v7, v39, v7
	v_sub_f32_e32 v15, v38, v15
	v_add_f32_e32 v7, v15, v7
	v_mul_f32_e32 v38, 0x3f317218, v13
	v_add_f32_e32 v15, v14, v7
	v_fma_f32 v39, v13, s28, -v38
	v_mul_f32_e32 v36, v15, v15
	v_mov_b32_e32 v37, 0x3ecc95a3
	v_fmac_f32_e32 v39, 0xb102e308, v13
	v_sub_f32_e32 v13, v15, v14
	v_fmac_f32_e32 v37, 0x3e9b6dac, v36
	v_sub_f32_e32 v7, v7, v13
	v_add_f32_e32 v13, v38, v39
	v_fma_f32 v37, v36, v37, v20
	v_sub_f32_e32 v14, v13, v38
	v_ldexp_f32 v38, v15, 1
	v_mul_f32_e32 v15, v15, v36
	v_mul_f32_e32 v15, v15, v37
	v_add_f32_e32 v36, v38, v15
	v_sub_f32_e32 v37, v36, v38
	v_ldexp_f32 v7, v7, 1
	v_sub_f32_e32 v15, v15, v37
	v_add_f32_e32 v7, v7, v15
	v_add_f32_e32 v15, v36, v7
	v_sub_f32_e32 v36, v15, v36
	v_sub_f32_e32 v7, v7, v36
	v_add_f32_e32 v36, v13, v15
	v_sub_f32_e32 v37, v36, v13
	v_sub_f32_e32 v38, v36, v37
	;; [unrolled: 1-line block ×5, first 2 shown]
	v_add_f32_e32 v13, v15, v13
	v_add_f32_e32 v15, v14, v7
	v_sub_f32_e32 v37, v15, v14
	v_sub_f32_e32 v38, v15, v37
	;; [unrolled: 1-line block ×4, first 2 shown]
	v_add_f32_e32 v13, v15, v13
	v_add_f32_e32 v7, v7, v14
	;; [unrolled: 1-line block ×3, first 2 shown]
	v_sub_f32_e32 v15, v14, v36
	v_sub_f32_e32 v13, v13, v15
	v_add_f32_e32 v7, v7, v13
	v_add_f32_e32 v7, v14, v7
	v_cmp_neq_f32_e32 vcc, s22, v11
	v_cndmask_b32_e32 v7, v27, v7, vcc
	v_cmp_ngt_f32_e32 vcc, -1.0, v11
	v_cndmask_b32_e32 v7, v29, v7, vcc
	v_cmp_neq_f32_e32 vcc, -1.0, v11
	v_cndmask_b32_e32 v7, v30, v7, vcc
	v_cmp_lt_f32_e64 vcc, |v11|, s29
	v_cndmask_b32_e32 v7, v7, v11, vcc
	v_mul_f32_e32 v7, 0.5, v7
.LBB204_16:                             ;   in Loop: Header=BB204_5 Depth=1
	s_or_b64 exec, exec, s[20:21]
	v_mov_b32_e32 v11, v7
.LBB204_17:                             ;   in Loop: Header=BB204_5 Depth=1
	s_or_b64 exec, exec, s[0:1]
	s_waitcnt vmcnt(0)
	v_max_f32_e64 v7, |v1|, |v1|
	v_max_f32_e64 v14, |v2|, |v2|
	v_max_f32_e32 v13, v7, v14
	v_cvt_f64_f32_e32 v[36:37], v13
	v_cmp_eq_f32_e32 vcc, s22, v13
	v_frexp_exp_i32_f64_e32 v15, v[36:37]
	v_sub_u32_e32 v7, 0, v15
	v_ldexp_f32 v36, |v1|, v7
	v_ldexp_f32 v7, |v2|, v7
	v_mul_f32_e32 v7, v7, v7
	v_fmac_f32_e32 v7, v36, v36
	v_sqrt_f32_e32 v36, v7
	v_add_f32_e32 v7, 1.0, v1
	v_ldexp_f32 v13, v36, v15
	v_cmp_ngt_f32_e64 s[0:1], 0.5, v13
	v_max_f32_e64 v36, |v7|, v14
	s_or_b64 s[0:1], vcc, s[0:1]
                                        ; implicit-def: $vgpr13
	s_and_saveexec_b64 s[20:21], s[0:1]
	s_xor_b64 s[20:21], exec, s[20:21]
	s_cbranch_execz .LBB204_19
; %bb.18:                               ;   in Loop: Header=BB204_5 Depth=1
	v_cvt_f64_f32_e32 v[37:38], v36
	v_cmp_neq_f32_e32 vcc, s22, v36
	v_frexp_exp_i32_f64_e32 v13, v[37:38]
	v_sub_u32_e32 v15, 0, v13
	v_ldexp_f32 v37, |v7|, v15
	v_ldexp_f32 v15, |v2|, v15
	v_mul_f32_e32 v15, v15, v15
	v_fmac_f32_e32 v15, v37, v37
	v_sqrt_f32_e32 v15, v15
	v_ldexp_f32 v13, v15, v13
	v_cndmask_b32_e32 v13, v27, v13, vcc
	v_cmp_gt_f32_e32 vcc, s25, v13
	v_cndmask_b32_e64 v15, 0, 32, vcc
	v_ldexp_f32 v13, v13, v15
	v_log_f32_e32 v13, v13
	v_mul_f32_e32 v15, 0x3f317217, v13
	v_fma_f32 v15, v13, s26, -v15
	v_fmac_f32_e32 v15, 0x3377d1cf, v13
	v_fmac_f32_e32 v15, 0x3f317217, v13
	v_cmp_lt_f32_e64 s[0:1], |v13|, s22
	v_cndmask_b32_e64 v13, v13, v15, s[0:1]
	v_cndmask_b32_e32 v15, 0, v28, vcc
	v_sub_f32_e32 v13, v13, v15
.LBB204_19:                             ;   in Loop: Header=BB204_5 Depth=1
	s_andn2_saveexec_b64 s[0:1], s[20:21]
	s_cbranch_execz .LBB204_23
; %bb.20:                               ;   in Loop: Header=BB204_5 Depth=1
	v_add_f32_e32 v13, 2.0, v1
	v_mul_f32_e32 v13, v1, v13
	v_fmac_f32_e32 v13, v2, v2
	v_cmp_neq_f32_e32 vcc, 0, v13
	s_and_saveexec_b64 s[20:21], vcc
	s_cbranch_execz .LBB204_22
; %bb.21:                               ;   in Loop: Header=BB204_5 Depth=1
	v_add_f32_e32 v1, 1.0, v13
	v_cvt_f64_f32_e32 v[37:38], v1
	v_add_f32_e32 v15, -1.0, v1
	v_sub_f32_e32 v39, v15, v1
	v_sub_f32_e32 v15, v13, v15
	v_frexp_exp_i32_f64_e32 v37, v[37:38]
	v_frexp_mant_f32_e32 v38, v1
	v_cmp_gt_f32_e32 vcc, s27, v38
	v_add_f32_e32 v39, 1.0, v39
	v_add_f32_e32 v15, v15, v39
	v_subbrev_co_u32_e32 v37, vcc, 0, v37, vcc
	v_sub_u32_e32 v38, 0, v37
	v_ldexp_f32 v1, v1, v38
	v_ldexp_f32 v15, v15, v38
	v_add_f32_e32 v38, -1.0, v1
	v_add_f32_e32 v39, 1.0, v1
	v_add_f32_e32 v40, 1.0, v38
	v_add_f32_e32 v42, -1.0, v39
	v_sub_f32_e32 v40, v1, v40
	v_sub_f32_e32 v1, v1, v42
	v_add_f32_e32 v1, v15, v1
	v_add_f32_e32 v40, v15, v40
	;; [unrolled: 1-line block ×3, first 2 shown]
	v_rcp_f32_e32 v42, v15
	v_add_f32_e32 v41, v38, v40
	v_sub_f32_e32 v39, v15, v39
	v_sub_f32_e32 v38, v41, v38
	;; [unrolled: 1-line block ×3, first 2 shown]
	v_mul_f32_e32 v39, v41, v42
	v_sub_f32_e32 v38, v40, v38
	v_mul_f32_e32 v40, v15, v39
	v_fma_f32 v43, v39, v15, -v40
	v_fmac_f32_e32 v43, v39, v1
	v_add_f32_e32 v44, v40, v43
	v_sub_f32_e32 v45, v41, v44
	v_sub_f32_e32 v41, v41, v45
	;; [unrolled: 1-line block ×4, first 2 shown]
	v_add_f32_e32 v38, v38, v41
	v_sub_f32_e32 v40, v40, v43
	v_add_f32_e32 v38, v40, v38
	v_add_f32_e32 v40, v45, v38
	v_mul_f32_e32 v41, v42, v40
	v_mul_f32_e32 v43, v15, v41
	v_fma_f32 v15, v41, v15, -v43
	v_fmac_f32_e32 v15, v41, v1
	v_sub_f32_e32 v1, v45, v40
	v_add_f32_e32 v1, v38, v1
	v_add_f32_e32 v38, v43, v15
	v_sub_f32_e32 v44, v40, v38
	v_sub_f32_e32 v40, v40, v44
	;; [unrolled: 1-line block ×4, first 2 shown]
	v_add_f32_e32 v1, v1, v38
	v_sub_f32_e32 v15, v43, v15
	v_cvt_f32_i32_e32 v37, v37
	v_add_f32_e32 v1, v15, v1
	v_add_f32_e32 v15, v39, v41
	;; [unrolled: 1-line block ×3, first 2 shown]
	v_sub_f32_e32 v38, v15, v39
	v_mul_f32_e32 v1, v42, v1
	v_sub_f32_e32 v38, v41, v38
	v_add_f32_e32 v1, v38, v1
	v_mul_f32_e32 v41, 0x3f317218, v37
	v_add_f32_e32 v38, v15, v1
	v_fma_f32 v42, v37, s28, -v41
	v_mul_f32_e32 v39, v38, v38
	v_mov_b32_e32 v40, 0x3ecc95a3
	v_fmac_f32_e32 v42, 0xb102e308, v37
	v_sub_f32_e32 v15, v38, v15
	v_fmac_f32_e32 v40, 0x3e9b6dac, v39
	v_sub_f32_e32 v1, v1, v15
	v_add_f32_e32 v15, v41, v42
	v_fma_f32 v40, v39, v40, v20
	v_sub_f32_e32 v37, v15, v41
	v_ldexp_f32 v41, v38, 1
	v_mul_f32_e32 v38, v38, v39
	v_mul_f32_e32 v38, v38, v40
	v_add_f32_e32 v39, v41, v38
	v_sub_f32_e32 v40, v39, v41
	v_ldexp_f32 v1, v1, 1
	v_sub_f32_e32 v38, v38, v40
	v_add_f32_e32 v1, v1, v38
	v_add_f32_e32 v38, v39, v1
	v_sub_f32_e32 v39, v38, v39
	v_sub_f32_e32 v1, v1, v39
	v_add_f32_e32 v39, v15, v38
	v_sub_f32_e32 v40, v39, v15
	v_sub_f32_e32 v41, v39, v40
	;; [unrolled: 1-line block ×5, first 2 shown]
	v_add_f32_e32 v15, v38, v15
	v_add_f32_e32 v38, v37, v1
	v_sub_f32_e32 v40, v38, v37
	v_sub_f32_e32 v41, v38, v40
	v_sub_f32_e32 v37, v37, v41
	v_sub_f32_e32 v1, v1, v40
	v_add_f32_e32 v15, v38, v15
	v_add_f32_e32 v1, v1, v37
	;; [unrolled: 1-line block ×3, first 2 shown]
	v_sub_f32_e32 v38, v37, v39
	v_sub_f32_e32 v15, v15, v38
	v_add_f32_e32 v1, v1, v15
	v_add_f32_e32 v1, v37, v1
	v_cmp_neq_f32_e32 vcc, s22, v13
	v_cndmask_b32_e32 v1, v27, v1, vcc
	v_cmp_ngt_f32_e32 vcc, -1.0, v13
	v_cndmask_b32_e32 v1, v29, v1, vcc
	v_cmp_neq_f32_e32 vcc, -1.0, v13
	v_cndmask_b32_e32 v1, v30, v1, vcc
	v_cmp_lt_f32_e64 vcc, |v13|, s29
	v_cndmask_b32_e32 v1, v1, v13, vcc
	v_mul_f32_e32 v1, 0.5, v1
.LBB204_22:                             ;   in Loop: Header=BB204_5 Depth=1
	s_or_b64 exec, exec, s[20:21]
	v_mov_b32_e32 v13, v1
.LBB204_23:                             ;   in Loop: Header=BB204_5 Depth=1
	s_or_b64 exec, exec, s[0:1]
	v_max_f32_e64 v1, |v3|, |v3|
	v_max_f32_e64 v37, |v4|, |v4|
	v_max_f32_e32 v15, v1, v37
	v_cvt_f64_f32_e32 v[38:39], v15
	v_cmp_eq_f32_e32 vcc, s22, v15
	v_frexp_exp_i32_f64_e32 v38, v[38:39]
	v_sub_u32_e32 v1, 0, v38
	v_ldexp_f32 v39, |v3|, v1
	v_ldexp_f32 v1, |v4|, v1
	v_mul_f32_e32 v1, v1, v1
	v_fmac_f32_e32 v1, v39, v39
	v_sqrt_f32_e32 v39, v1
	v_add_f32_e32 v1, 1.0, v3
	v_ldexp_f32 v15, v39, v38
	v_cmp_ngt_f32_e64 s[0:1], 0.5, v15
	v_max_f32_e64 v38, |v1|, v37
	s_or_b64 s[0:1], vcc, s[0:1]
	s_and_saveexec_b64 s[20:21], s[0:1]
	s_xor_b64 s[20:21], exec, s[20:21]
	s_cbranch_execz .LBB204_25
; %bb.24:                               ;   in Loop: Header=BB204_5 Depth=1
	v_cvt_f64_f32_e32 v[39:40], v38
	v_cmp_neq_f32_e32 vcc, s22, v38
	v_frexp_exp_i32_f64_e32 v15, v[39:40]
	v_sub_u32_e32 v39, 0, v15
	v_ldexp_f32 v40, |v1|, v39
	v_ldexp_f32 v39, |v4|, v39
	v_mul_f32_e32 v39, v39, v39
	v_fmac_f32_e32 v39, v40, v40
	v_sqrt_f32_e32 v39, v39
	v_ldexp_f32 v15, v39, v15
	v_cndmask_b32_e32 v15, v27, v15, vcc
	v_cmp_gt_f32_e32 vcc, s25, v15
	v_cndmask_b32_e64 v39, 0, 32, vcc
	v_ldexp_f32 v15, v15, v39
	v_log_f32_e32 v15, v15
	v_mul_f32_e32 v39, 0x3f317217, v15
	v_fma_f32 v39, v15, s26, -v39
	v_fmac_f32_e32 v39, 0x3377d1cf, v15
	v_fmac_f32_e32 v39, 0x3f317217, v15
	v_cmp_lt_f32_e64 s[0:1], |v15|, s22
	v_cndmask_b32_e64 v15, v15, v39, s[0:1]
	v_cndmask_b32_e32 v39, 0, v28, vcc
	v_sub_f32_e32 v15, v15, v39
.LBB204_25:                             ;   in Loop: Header=BB204_5 Depth=1
	s_andn2_saveexec_b64 s[0:1], s[20:21]
	s_cbranch_execz .LBB204_4
; %bb.26:                               ;   in Loop: Header=BB204_5 Depth=1
	v_add_f32_e32 v15, 2.0, v3
	v_mul_f32_e32 v15, v3, v15
	v_fmac_f32_e32 v15, v4, v4
	v_cmp_neq_f32_e32 vcc, 0, v15
	s_and_saveexec_b64 s[20:21], vcc
	s_cbranch_execz .LBB204_3
; %bb.27:                               ;   in Loop: Header=BB204_5 Depth=1
	v_add_f32_e32 v3, 1.0, v15
	v_cvt_f64_f32_e32 v[39:40], v3
	v_add_f32_e32 v41, -1.0, v3
	v_sub_f32_e32 v42, v41, v3
	v_sub_f32_e32 v41, v15, v41
	v_frexp_exp_i32_f64_e32 v39, v[39:40]
	v_frexp_mant_f32_e32 v40, v3
	v_cmp_gt_f32_e32 vcc, s27, v40
	v_add_f32_e32 v42, 1.0, v42
	v_add_f32_e32 v41, v41, v42
	v_subbrev_co_u32_e32 v39, vcc, 0, v39, vcc
	v_sub_u32_e32 v40, 0, v39
	v_ldexp_f32 v3, v3, v40
	v_ldexp_f32 v40, v41, v40
	v_add_f32_e32 v41, -1.0, v3
	v_add_f32_e32 v42, 1.0, v3
	v_add_f32_e32 v43, 1.0, v41
	v_add_f32_e32 v45, -1.0, v42
	v_sub_f32_e32 v43, v3, v43
	v_sub_f32_e32 v3, v3, v45
	v_add_f32_e32 v3, v40, v3
	v_add_f32_e32 v43, v40, v43
	;; [unrolled: 1-line block ×3, first 2 shown]
	v_rcp_f32_e32 v45, v40
	v_add_f32_e32 v44, v41, v43
	v_sub_f32_e32 v42, v40, v42
	v_sub_f32_e32 v41, v44, v41
	;; [unrolled: 1-line block ×3, first 2 shown]
	v_mul_f32_e32 v42, v44, v45
	v_sub_f32_e32 v41, v43, v41
	v_mul_f32_e32 v43, v40, v42
	v_fma_f32 v46, v42, v40, -v43
	v_fmac_f32_e32 v46, v42, v3
	v_add_f32_e32 v47, v43, v46
	v_sub_f32_e32 v48, v44, v47
	v_sub_f32_e32 v44, v44, v48
	v_sub_f32_e32 v43, v47, v43
	v_sub_f32_e32 v44, v44, v47
	v_add_f32_e32 v41, v41, v44
	v_sub_f32_e32 v43, v43, v46
	v_add_f32_e32 v41, v43, v41
	v_add_f32_e32 v43, v48, v41
	v_mul_f32_e32 v44, v45, v43
	v_mul_f32_e32 v46, v40, v44
	v_fma_f32 v40, v44, v40, -v46
	v_fmac_f32_e32 v40, v44, v3
	v_sub_f32_e32 v3, v48, v43
	v_add_f32_e32 v3, v41, v3
	v_add_f32_e32 v41, v46, v40
	v_sub_f32_e32 v47, v43, v41
	v_sub_f32_e32 v43, v43, v47
	;; [unrolled: 1-line block ×4, first 2 shown]
	v_add_f32_e32 v3, v3, v41
	v_sub_f32_e32 v40, v46, v40
	v_cvt_f32_i32_e32 v39, v39
	v_add_f32_e32 v3, v40, v3
	v_add_f32_e32 v40, v42, v44
	;; [unrolled: 1-line block ×3, first 2 shown]
	v_sub_f32_e32 v41, v40, v42
	v_mul_f32_e32 v3, v45, v3
	v_sub_f32_e32 v41, v44, v41
	v_add_f32_e32 v3, v41, v3
	v_mul_f32_e32 v44, 0x3f317218, v39
	v_add_f32_e32 v41, v40, v3
	v_fma_f32 v45, v39, s28, -v44
	v_mul_f32_e32 v42, v41, v41
	v_mov_b32_e32 v43, 0x3ecc95a3
	v_fmac_f32_e32 v45, 0xb102e308, v39
	v_sub_f32_e32 v39, v41, v40
	v_fmac_f32_e32 v43, 0x3e9b6dac, v42
	v_sub_f32_e32 v3, v3, v39
	v_add_f32_e32 v39, v44, v45
	v_fma_f32 v43, v42, v43, v20
	v_sub_f32_e32 v40, v39, v44
	v_ldexp_f32 v44, v41, 1
	v_mul_f32_e32 v41, v41, v42
	v_mul_f32_e32 v41, v41, v43
	v_add_f32_e32 v42, v44, v41
	v_sub_f32_e32 v43, v42, v44
	v_ldexp_f32 v3, v3, 1
	v_sub_f32_e32 v41, v41, v43
	v_add_f32_e32 v3, v3, v41
	v_add_f32_e32 v41, v42, v3
	v_sub_f32_e32 v42, v41, v42
	v_sub_f32_e32 v3, v3, v42
	v_add_f32_e32 v42, v39, v41
	v_sub_f32_e32 v43, v42, v39
	v_sub_f32_e32 v44, v42, v43
	;; [unrolled: 1-line block ×5, first 2 shown]
	v_add_f32_e32 v39, v41, v39
	v_add_f32_e32 v41, v40, v3
	v_sub_f32_e32 v43, v41, v40
	v_sub_f32_e32 v44, v41, v43
	;; [unrolled: 1-line block ×4, first 2 shown]
	v_add_f32_e32 v39, v41, v39
	v_add_f32_e32 v3, v3, v40
	v_add_f32_e32 v40, v42, v39
	v_sub_f32_e32 v41, v40, v42
	v_sub_f32_e32 v39, v39, v41
	v_add_f32_e32 v3, v3, v39
	v_add_f32_e32 v3, v40, v3
	v_cmp_neq_f32_e32 vcc, s22, v15
	v_cndmask_b32_e32 v3, v27, v3, vcc
	v_cmp_ngt_f32_e32 vcc, -1.0, v15
	v_cndmask_b32_e32 v3, v29, v3, vcc
	v_cmp_neq_f32_e32 vcc, -1.0, v15
	v_cndmask_b32_e32 v3, v30, v3, vcc
	v_cmp_lt_f32_e64 vcc, |v15|, s29
	v_cndmask_b32_e32 v3, v3, v15, vcc
	v_mul_f32_e32 v3, 0.5, v3
	s_branch .LBB204_3
.LBB204_28:
	s_or_b64 exec, exec, s[8:9]
	s_mov_b64 s[0:1], 0
.LBB204_29:
	s_andn2_b64 vcc, exec, s[0:1]
	s_cbranch_vccnz .LBB204_73
; %bb.30:
	v_cmp_lt_i64_e64 s[0:1], s[2:3], 1
	s_and_b64 vcc, exec, s[0:1]
	s_cbranch_vccnz .LBB204_73
; %bb.31:
	v_mov_b32_e32 v1, 0x10000
	s_load_dword s4, s[4:5], 0xc5c
	v_mov_b32_e32 v2, 0
	v_cmp_lt_i64_e32 vcc, s[2:3], v[1:2]
	s_mov_b64 s[18:19], 0
	s_and_b64 s[0:1], vcc, exec
	v_cmp_lt_u64_e32 vcc, s[2:3], v[1:2]
	s_cselect_b32 s15, s3, 0
	s_cselect_b32 s14, s2, 0x10000
	s_waitcnt lgkmcnt(0)
	s_and_b32 s22, s4, 0xffff
	s_and_b64 s[0:1], vcc, exec
	s_cselect_b32 s17, s3, 0
	s_cselect_b32 s16, s2, 0x10000
	s_lshl_b32 s23, s22, 1
	s_mul_i32 s24, s22, 3
	s_lshl_b32 s25, s22, 2
	s_mov_b32 s26, 0x7f800000
	s_mov_b32 s27, 0x800000
	;; [unrolled: 1-line block ×4, first 2 shown]
	v_mov_b32_e32 v17, 0x3f2aaada
	s_mov_b32 s30, 0x3f317218
	s_mov_b32 s31, 0x33800000
	s_movk_i32 s33, 0x204
	v_mov_b32_e32 v18, 0x3d29fb3f
	v_mov_b32_e32 v19, 0xbd97d4d7
	;; [unrolled: 1-line block ×6, first 2 shown]
	s_brev_b32 s34, -2
	v_mov_b32_e32 v24, 0x7f800000
	v_mov_b32_e32 v25, 0x41b17218
	;; [unrolled: 1-line block ×7, first 2 shown]
	s_branch .LBB204_33
.LBB204_32:                             ;   in Loop: Header=BB204_33 Depth=1
	s_or_b64 exec, exec, s[2:3]
	s_add_u32 s18, s18, s25
	v_mov_b32_e32 v1, s14
	s_addc_u32 s19, s19, 0
	v_mov_b32_e32 v2, s15
	v_cmp_ge_i64_e32 vcc, s[18:19], v[1:2]
	s_cbranch_vccnz .LBB204_73
.LBB204_33:                             ; =>This Inner Loop Header: Depth=1
	v_mov_b32_e32 v1, s19
	v_add_co_u32_e32 v13, vcc, s18, v0
	v_addc_co_u32_e32 v14, vcc, 0, v1, vcc
	v_cmp_gt_u64_e64 s[4:5], s[16:17], v[13:14]
	v_mov_b32_e32 v16, 0
	v_mov_b32_e32 v15, 0
	s_and_saveexec_b64 s[0:1], s[4:5]
	s_cbranch_execz .LBB204_35
; %bb.34:                               ;   in Loop: Header=BB204_33 Depth=1
	v_lshlrev_b64 v[1:2], 3, v[13:14]
	v_mov_b32_e32 v3, s11
	v_add_co_u32_e32 v1, vcc, s10, v1
	v_addc_co_u32_e32 v2, vcc, v3, v2, vcc
	global_load_dwordx2 v[15:16], v[1:2], off
.LBB204_35:                             ;   in Loop: Header=BB204_33 Depth=1
	s_or_b64 exec, exec, s[0:1]
	v_add_co_u32_e32 v9, vcc, s22, v13
	v_addc_co_u32_e32 v10, vcc, 0, v14, vcc
	v_cmp_gt_u64_e64 s[2:3], s[16:17], v[9:10]
	v_mov_b32_e32 v6, 0
	v_mov_b32_e32 v12, 0
	;; [unrolled: 1-line block ×3, first 2 shown]
	s_and_saveexec_b64 s[0:1], s[2:3]
	s_cbranch_execz .LBB204_37
; %bb.36:                               ;   in Loop: Header=BB204_33 Depth=1
	v_lshlrev_b64 v[1:2], 3, v[9:10]
	v_mov_b32_e32 v3, s11
	v_add_co_u32_e32 v1, vcc, s10, v1
	v_addc_co_u32_e32 v2, vcc, v3, v2, vcc
	global_load_dwordx2 v[11:12], v[1:2], off
.LBB204_37:                             ;   in Loop: Header=BB204_33 Depth=1
	s_or_b64 exec, exec, s[0:1]
	v_add_co_u32_e32 v7, vcc, s23, v13
	v_addc_co_u32_e32 v8, vcc, 0, v14, vcc
	v_cmp_gt_u64_e64 s[0:1], s[16:17], v[7:8]
	v_mov_b32_e32 v5, 0
	s_and_saveexec_b64 s[6:7], s[0:1]
	s_cbranch_execz .LBB204_39
; %bb.38:                               ;   in Loop: Header=BB204_33 Depth=1
	v_lshlrev_b64 v[1:2], 3, v[7:8]
	v_mov_b32_e32 v3, s11
	v_add_co_u32_e32 v1, vcc, s10, v1
	v_addc_co_u32_e32 v2, vcc, v3, v2, vcc
	global_load_dwordx2 v[5:6], v[1:2], off
.LBB204_39:                             ;   in Loop: Header=BB204_33 Depth=1
	s_or_b64 exec, exec, s[6:7]
	v_add_co_u32_e32 v1, vcc, s24, v13
	v_addc_co_u32_e32 v2, vcc, 0, v14, vcc
	v_cmp_gt_u64_e32 vcc, s[16:17], v[1:2]
	v_mov_b32_e32 v4, 0
	v_mov_b32_e32 v3, 0
	s_and_saveexec_b64 s[8:9], vcc
	s_cbranch_execz .LBB204_41
; %bb.40:                               ;   in Loop: Header=BB204_33 Depth=1
	v_lshlrev_b64 v[3:4], 3, v[1:2]
	v_mov_b32_e32 v31, s11
	v_add_co_u32_e64 v3, s[6:7], s10, v3
	v_addc_co_u32_e64 v4, s[6:7], v31, v4, s[6:7]
	global_load_dwordx2 v[3:4], v[3:4], off
.LBB204_41:                             ;   in Loop: Header=BB204_33 Depth=1
	s_or_b64 exec, exec, s[8:9]
	s_waitcnt vmcnt(0)
	v_max_f32_e64 v31, |v15|, |v15|
	v_max_f32_e64 v32, |v16|, |v16|
	v_max_f32_e32 v35, v31, v32
	v_cvt_f64_f32_e32 v[33:34], v35
	v_cmp_eq_f32_e64 s[6:7], s26, v35
	v_frexp_exp_i32_f64_e32 v33, v[33:34]
	v_sub_u32_e32 v31, 0, v33
	v_ldexp_f32 v34, |v15|, v31
	v_ldexp_f32 v31, |v16|, v31
	v_mul_f32_e32 v31, v31, v31
	v_fmac_f32_e32 v31, v34, v34
	v_sqrt_f32_e32 v34, v31
	v_add_f32_e32 v31, 1.0, v15
	v_ldexp_f32 v34, v34, v33
	v_cmp_ngt_f32_e64 s[8:9], 0.5, v34
	v_max_f32_e64 v33, |v31|, v32
	s_or_b64 s[6:7], s[6:7], s[8:9]
	s_and_saveexec_b64 s[8:9], s[6:7]
	s_xor_b64 s[20:21], exec, s[8:9]
	s_cbranch_execz .LBB204_43
; %bb.42:                               ;   in Loop: Header=BB204_33 Depth=1
	v_cvt_f64_f32_e32 v[34:35], v33
	v_cmp_neq_f32_e64 s[6:7], s26, v33
	v_frexp_exp_i32_f64_e32 v15, v[34:35]
	v_sub_u32_e32 v34, 0, v15
	v_ldexp_f32 v35, |v31|, v34
	v_ldexp_f32 v34, |v16|, v34
	v_mul_f32_e32 v34, v34, v34
	v_fmac_f32_e32 v34, v35, v35
	v_sqrt_f32_e32 v34, v34
	v_ldexp_f32 v15, v34, v15
	v_cndmask_b32_e64 v15, v24, v15, s[6:7]
	v_cmp_gt_f32_e64 s[6:7], s27, v15
	v_cndmask_b32_e64 v34, 0, 32, s[6:7]
	v_ldexp_f32 v15, v15, v34
	v_log_f32_e32 v15, v15
	v_mul_f32_e32 v34, 0x3f317217, v15
	v_fma_f32 v34, v15, s28, -v34
	v_fmac_f32_e32 v34, 0x3377d1cf, v15
	v_fmac_f32_e32 v34, 0x3f317217, v15
	v_cmp_lt_f32_e64 s[8:9], |v15|, s26
	v_cndmask_b32_e64 v15, v15, v34, s[8:9]
	v_cndmask_b32_e64 v34, 0, v25, s[6:7]
	v_sub_f32_e32 v15, v15, v34
.LBB204_43:                             ;   in Loop: Header=BB204_33 Depth=1
	s_andn2_saveexec_b64 s[8:9], s[20:21]
	s_cbranch_execz .LBB204_47
; %bb.44:                               ;   in Loop: Header=BB204_33 Depth=1
	v_add_f32_e32 v34, 2.0, v15
	v_mul_f32_e32 v34, v15, v34
	v_fmac_f32_e32 v34, v16, v16
	v_cmp_neq_f32_e64 s[6:7], 0, v34
	s_and_saveexec_b64 s[20:21], s[6:7]
	s_cbranch_execz .LBB204_46
; %bb.45:                               ;   in Loop: Header=BB204_33 Depth=1
	v_add_f32_e32 v15, 1.0, v34
	v_cvt_f64_f32_e32 v[35:36], v15
	v_add_f32_e32 v37, -1.0, v15
	v_sub_f32_e32 v38, v37, v15
	v_sub_f32_e32 v37, v34, v37
	v_frexp_exp_i32_f64_e32 v35, v[35:36]
	v_frexp_mant_f32_e32 v36, v15
	v_cmp_gt_f32_e64 s[6:7], s29, v36
	v_add_f32_e32 v38, 1.0, v38
	v_add_f32_e32 v37, v37, v38
	v_subbrev_co_u32_e64 v35, s[6:7], 0, v35, s[6:7]
	v_sub_u32_e32 v36, 0, v35
	v_ldexp_f32 v15, v15, v36
	v_ldexp_f32 v36, v37, v36
	v_add_f32_e32 v37, -1.0, v15
	v_add_f32_e32 v38, 1.0, v15
	v_add_f32_e32 v39, 1.0, v37
	v_add_f32_e32 v41, -1.0, v38
	v_sub_f32_e32 v39, v15, v39
	v_sub_f32_e32 v15, v15, v41
	v_add_f32_e32 v15, v36, v15
	v_add_f32_e32 v39, v36, v39
	;; [unrolled: 1-line block ×3, first 2 shown]
	v_rcp_f32_e32 v41, v36
	v_add_f32_e32 v40, v37, v39
	v_sub_f32_e32 v38, v36, v38
	v_sub_f32_e32 v37, v40, v37
	;; [unrolled: 1-line block ×3, first 2 shown]
	v_mul_f32_e32 v38, v40, v41
	v_sub_f32_e32 v37, v39, v37
	v_mul_f32_e32 v39, v36, v38
	v_fma_f32 v42, v38, v36, -v39
	v_fmac_f32_e32 v42, v38, v15
	v_add_f32_e32 v43, v39, v42
	v_sub_f32_e32 v44, v40, v43
	v_sub_f32_e32 v40, v40, v44
	;; [unrolled: 1-line block ×4, first 2 shown]
	v_add_f32_e32 v37, v37, v40
	v_sub_f32_e32 v39, v39, v42
	v_add_f32_e32 v37, v39, v37
	v_add_f32_e32 v39, v44, v37
	v_mul_f32_e32 v40, v41, v39
	v_mul_f32_e32 v42, v36, v40
	v_fma_f32 v36, v40, v36, -v42
	v_fmac_f32_e32 v36, v40, v15
	v_sub_f32_e32 v15, v44, v39
	v_add_f32_e32 v15, v37, v15
	v_add_f32_e32 v37, v42, v36
	v_sub_f32_e32 v43, v39, v37
	v_sub_f32_e32 v39, v39, v43
	;; [unrolled: 1-line block ×4, first 2 shown]
	v_add_f32_e32 v15, v15, v37
	v_sub_f32_e32 v36, v42, v36
	v_cvt_f32_i32_e32 v35, v35
	v_add_f32_e32 v15, v36, v15
	v_add_f32_e32 v36, v38, v40
	;; [unrolled: 1-line block ×3, first 2 shown]
	v_sub_f32_e32 v37, v36, v38
	v_mul_f32_e32 v15, v41, v15
	v_sub_f32_e32 v37, v40, v37
	v_add_f32_e32 v15, v37, v15
	v_mul_f32_e32 v40, 0x3f317218, v35
	v_add_f32_e32 v37, v36, v15
	v_fma_f32 v41, v35, s30, -v40
	v_mul_f32_e32 v38, v37, v37
	v_mov_b32_e32 v39, 0x3ecc95a3
	v_fmac_f32_e32 v41, 0xb102e308, v35
	v_sub_f32_e32 v35, v37, v36
	v_fmac_f32_e32 v39, 0x3e9b6dac, v38
	v_sub_f32_e32 v15, v15, v35
	v_add_f32_e32 v35, v40, v41
	v_fma_f32 v39, v38, v39, v17
	v_sub_f32_e32 v36, v35, v40
	v_ldexp_f32 v40, v37, 1
	v_mul_f32_e32 v37, v37, v38
	v_mul_f32_e32 v37, v37, v39
	v_add_f32_e32 v38, v40, v37
	v_sub_f32_e32 v39, v38, v40
	v_ldexp_f32 v15, v15, 1
	v_sub_f32_e32 v37, v37, v39
	v_add_f32_e32 v15, v15, v37
	v_add_f32_e32 v37, v38, v15
	v_sub_f32_e32 v38, v37, v38
	v_sub_f32_e32 v15, v15, v38
	v_add_f32_e32 v38, v35, v37
	v_sub_f32_e32 v39, v38, v35
	v_sub_f32_e32 v40, v38, v39
	;; [unrolled: 1-line block ×5, first 2 shown]
	v_add_f32_e32 v35, v37, v35
	v_add_f32_e32 v37, v36, v15
	v_sub_f32_e32 v39, v37, v36
	v_sub_f32_e32 v40, v37, v39
	;; [unrolled: 1-line block ×4, first 2 shown]
	v_add_f32_e32 v35, v37, v35
	v_add_f32_e32 v15, v15, v36
	;; [unrolled: 1-line block ×3, first 2 shown]
	v_sub_f32_e32 v37, v36, v38
	v_sub_f32_e32 v35, v35, v37
	v_add_f32_e32 v15, v15, v35
	v_add_f32_e32 v15, v36, v15
	v_cmp_neq_f32_e64 s[6:7], s26, v34
	v_cndmask_b32_e64 v15, v24, v15, s[6:7]
	v_cmp_ngt_f32_e64 s[6:7], -1.0, v34
	v_cndmask_b32_e64 v15, v26, v15, s[6:7]
	v_cmp_neq_f32_e64 s[6:7], -1.0, v34
	v_cndmask_b32_e64 v15, v27, v15, s[6:7]
	v_cmp_lt_f32_e64 s[6:7], |v34|, s31
	v_cndmask_b32_e64 v15, v15, v34, s[6:7]
	v_mul_f32_e32 v15, 0.5, v15
.LBB204_46:                             ;   in Loop: Header=BB204_33 Depth=1
	s_or_b64 exec, exec, s[20:21]
.LBB204_47:                             ;   in Loop: Header=BB204_33 Depth=1
	s_or_b64 exec, exec, s[8:9]
	v_max_f32_e64 v34, |v11|, |v11|
	v_max_f32_e64 v35, |v12|, |v12|
	v_max_f32_e32 v38, v34, v35
	v_cvt_f64_f32_e32 v[36:37], v38
	v_cmp_eq_f32_e64 s[6:7], s26, v38
	v_frexp_exp_i32_f64_e32 v36, v[36:37]
	v_sub_u32_e32 v34, 0, v36
	v_ldexp_f32 v37, |v11|, v34
	v_ldexp_f32 v34, |v12|, v34
	v_mul_f32_e32 v34, v34, v34
	v_fmac_f32_e32 v34, v37, v37
	v_sqrt_f32_e32 v37, v34
	v_add_f32_e32 v34, 1.0, v11
	v_ldexp_f32 v37, v37, v36
	v_cmp_ngt_f32_e64 s[8:9], 0.5, v37
	v_max_f32_e64 v36, |v34|, v35
	s_or_b64 s[6:7], s[6:7], s[8:9]
	s_and_saveexec_b64 s[8:9], s[6:7]
	s_xor_b64 s[20:21], exec, s[8:9]
	s_cbranch_execz .LBB204_49
; %bb.48:                               ;   in Loop: Header=BB204_33 Depth=1
	v_cvt_f64_f32_e32 v[37:38], v36
	v_cmp_neq_f32_e64 s[6:7], s26, v36
	v_frexp_exp_i32_f64_e32 v11, v[37:38]
	v_sub_u32_e32 v37, 0, v11
	v_ldexp_f32 v38, |v34|, v37
	v_ldexp_f32 v37, |v12|, v37
	v_mul_f32_e32 v37, v37, v37
	v_fmac_f32_e32 v37, v38, v38
	v_sqrt_f32_e32 v37, v37
	v_ldexp_f32 v11, v37, v11
	v_cndmask_b32_e64 v11, v24, v11, s[6:7]
	v_cmp_gt_f32_e64 s[6:7], s27, v11
	v_cndmask_b32_e64 v37, 0, 32, s[6:7]
	v_ldexp_f32 v11, v11, v37
	v_log_f32_e32 v11, v11
	v_mul_f32_e32 v37, 0x3f317217, v11
	v_fma_f32 v37, v11, s28, -v37
	v_fmac_f32_e32 v37, 0x3377d1cf, v11
	v_fmac_f32_e32 v37, 0x3f317217, v11
	v_cmp_lt_f32_e64 s[8:9], |v11|, s26
	v_cndmask_b32_e64 v11, v11, v37, s[8:9]
	v_cndmask_b32_e64 v37, 0, v25, s[6:7]
	v_sub_f32_e32 v11, v11, v37
.LBB204_49:                             ;   in Loop: Header=BB204_33 Depth=1
	s_andn2_saveexec_b64 s[8:9], s[20:21]
	s_cbranch_execz .LBB204_53
; %bb.50:                               ;   in Loop: Header=BB204_33 Depth=1
	v_add_f32_e32 v37, 2.0, v11
	v_mul_f32_e32 v37, v11, v37
	v_fmac_f32_e32 v37, v12, v12
	v_cmp_neq_f32_e64 s[6:7], 0, v37
	s_and_saveexec_b64 s[20:21], s[6:7]
	s_cbranch_execz .LBB204_52
; %bb.51:                               ;   in Loop: Header=BB204_33 Depth=1
	v_add_f32_e32 v11, 1.0, v37
	v_cvt_f64_f32_e32 v[38:39], v11
	v_add_f32_e32 v40, -1.0, v11
	v_sub_f32_e32 v41, v40, v11
	v_sub_f32_e32 v40, v37, v40
	v_frexp_exp_i32_f64_e32 v38, v[38:39]
	v_frexp_mant_f32_e32 v39, v11
	v_cmp_gt_f32_e64 s[6:7], s29, v39
	v_add_f32_e32 v41, 1.0, v41
	v_add_f32_e32 v40, v40, v41
	v_subbrev_co_u32_e64 v38, s[6:7], 0, v38, s[6:7]
	v_sub_u32_e32 v39, 0, v38
	v_ldexp_f32 v11, v11, v39
	v_ldexp_f32 v39, v40, v39
	v_add_f32_e32 v40, -1.0, v11
	v_add_f32_e32 v41, 1.0, v11
	v_add_f32_e32 v42, 1.0, v40
	v_add_f32_e32 v44, -1.0, v41
	v_sub_f32_e32 v42, v11, v42
	v_sub_f32_e32 v11, v11, v44
	v_add_f32_e32 v11, v39, v11
	v_add_f32_e32 v42, v39, v42
	;; [unrolled: 1-line block ×3, first 2 shown]
	v_rcp_f32_e32 v44, v39
	v_add_f32_e32 v43, v40, v42
	v_sub_f32_e32 v41, v39, v41
	v_sub_f32_e32 v40, v43, v40
	v_sub_f32_e32 v11, v11, v41
	v_mul_f32_e32 v41, v43, v44
	v_sub_f32_e32 v40, v42, v40
	v_mul_f32_e32 v42, v39, v41
	v_fma_f32 v45, v41, v39, -v42
	v_fmac_f32_e32 v45, v41, v11
	v_add_f32_e32 v46, v42, v45
	v_sub_f32_e32 v47, v43, v46
	v_sub_f32_e32 v43, v43, v47
	;; [unrolled: 1-line block ×4, first 2 shown]
	v_add_f32_e32 v40, v40, v43
	v_sub_f32_e32 v42, v42, v45
	v_add_f32_e32 v40, v42, v40
	v_add_f32_e32 v42, v47, v40
	v_mul_f32_e32 v43, v44, v42
	v_mul_f32_e32 v45, v39, v43
	v_fma_f32 v39, v43, v39, -v45
	v_fmac_f32_e32 v39, v43, v11
	v_sub_f32_e32 v11, v47, v42
	v_add_f32_e32 v11, v40, v11
	v_add_f32_e32 v40, v45, v39
	v_sub_f32_e32 v46, v42, v40
	v_sub_f32_e32 v42, v42, v46
	;; [unrolled: 1-line block ×4, first 2 shown]
	v_add_f32_e32 v11, v11, v40
	v_sub_f32_e32 v39, v45, v39
	v_cvt_f32_i32_e32 v38, v38
	v_add_f32_e32 v11, v39, v11
	v_add_f32_e32 v39, v41, v43
	;; [unrolled: 1-line block ×3, first 2 shown]
	v_sub_f32_e32 v40, v39, v41
	v_mul_f32_e32 v11, v44, v11
	v_sub_f32_e32 v40, v43, v40
	v_add_f32_e32 v11, v40, v11
	v_mul_f32_e32 v43, 0x3f317218, v38
	v_add_f32_e32 v40, v39, v11
	v_fma_f32 v44, v38, s30, -v43
	v_mul_f32_e32 v41, v40, v40
	v_mov_b32_e32 v42, 0x3ecc95a3
	v_fmac_f32_e32 v44, 0xb102e308, v38
	v_sub_f32_e32 v38, v40, v39
	v_fmac_f32_e32 v42, 0x3e9b6dac, v41
	v_sub_f32_e32 v11, v11, v38
	v_add_f32_e32 v38, v43, v44
	v_fma_f32 v42, v41, v42, v17
	v_sub_f32_e32 v39, v38, v43
	v_ldexp_f32 v43, v40, 1
	v_mul_f32_e32 v40, v40, v41
	v_mul_f32_e32 v40, v40, v42
	v_add_f32_e32 v41, v43, v40
	v_sub_f32_e32 v42, v41, v43
	v_ldexp_f32 v11, v11, 1
	v_sub_f32_e32 v40, v40, v42
	v_add_f32_e32 v11, v11, v40
	v_add_f32_e32 v40, v41, v11
	v_sub_f32_e32 v41, v40, v41
	v_sub_f32_e32 v11, v11, v41
	v_add_f32_e32 v41, v38, v40
	v_sub_f32_e32 v42, v41, v38
	v_sub_f32_e32 v43, v41, v42
	v_sub_f32_e32 v39, v44, v39
	v_sub_f32_e32 v38, v38, v43
	v_sub_f32_e32 v40, v40, v42
	v_add_f32_e32 v38, v40, v38
	v_add_f32_e32 v40, v39, v11
	v_sub_f32_e32 v42, v40, v39
	v_sub_f32_e32 v43, v40, v42
	;; [unrolled: 1-line block ×4, first 2 shown]
	v_add_f32_e32 v38, v40, v38
	v_add_f32_e32 v11, v11, v39
	;; [unrolled: 1-line block ×3, first 2 shown]
	v_sub_f32_e32 v40, v39, v41
	v_sub_f32_e32 v38, v38, v40
	v_add_f32_e32 v11, v11, v38
	v_add_f32_e32 v11, v39, v11
	v_cmp_neq_f32_e64 s[6:7], s26, v37
	v_cndmask_b32_e64 v11, v24, v11, s[6:7]
	v_cmp_ngt_f32_e64 s[6:7], -1.0, v37
	v_cndmask_b32_e64 v11, v26, v11, s[6:7]
	v_cmp_neq_f32_e64 s[6:7], -1.0, v37
	v_cndmask_b32_e64 v11, v27, v11, s[6:7]
	v_cmp_lt_f32_e64 s[6:7], |v37|, s31
	v_cndmask_b32_e64 v11, v11, v37, s[6:7]
	v_mul_f32_e32 v11, 0.5, v11
.LBB204_52:                             ;   in Loop: Header=BB204_33 Depth=1
	s_or_b64 exec, exec, s[20:21]
.LBB204_53:                             ;   in Loop: Header=BB204_33 Depth=1
	s_or_b64 exec, exec, s[8:9]
	v_max_f32_e64 v37, |v5|, |v5|
	v_max_f32_e64 v38, |v6|, |v6|
	v_max_f32_e32 v41, v37, v38
	v_cvt_f64_f32_e32 v[39:40], v41
	v_cmp_eq_f32_e64 s[6:7], s26, v41
	v_frexp_exp_i32_f64_e32 v39, v[39:40]
	v_sub_u32_e32 v37, 0, v39
	v_ldexp_f32 v40, |v5|, v37
	v_ldexp_f32 v37, |v6|, v37
	v_mul_f32_e32 v37, v37, v37
	v_fmac_f32_e32 v37, v40, v40
	v_sqrt_f32_e32 v40, v37
	v_add_f32_e32 v37, 1.0, v5
	v_ldexp_f32 v40, v40, v39
	v_cmp_ngt_f32_e64 s[8:9], 0.5, v40
	v_max_f32_e64 v39, |v37|, v38
	s_or_b64 s[6:7], s[6:7], s[8:9]
	s_and_saveexec_b64 s[8:9], s[6:7]
	s_xor_b64 s[20:21], exec, s[8:9]
	s_cbranch_execz .LBB204_55
; %bb.54:                               ;   in Loop: Header=BB204_33 Depth=1
	v_cvt_f64_f32_e32 v[40:41], v39
	v_cmp_neq_f32_e64 s[6:7], s26, v39
	v_frexp_exp_i32_f64_e32 v5, v[40:41]
	v_sub_u32_e32 v40, 0, v5
	v_ldexp_f32 v41, |v37|, v40
	v_ldexp_f32 v40, |v6|, v40
	v_mul_f32_e32 v40, v40, v40
	v_fmac_f32_e32 v40, v41, v41
	v_sqrt_f32_e32 v40, v40
	v_ldexp_f32 v5, v40, v5
	v_cndmask_b32_e64 v5, v24, v5, s[6:7]
	v_cmp_gt_f32_e64 s[6:7], s27, v5
	v_cndmask_b32_e64 v40, 0, 32, s[6:7]
	v_ldexp_f32 v5, v5, v40
	v_log_f32_e32 v5, v5
	v_mul_f32_e32 v40, 0x3f317217, v5
	v_fma_f32 v40, v5, s28, -v40
	v_fmac_f32_e32 v40, 0x3377d1cf, v5
	v_fmac_f32_e32 v40, 0x3f317217, v5
	v_cmp_lt_f32_e64 s[8:9], |v5|, s26
	v_cndmask_b32_e64 v5, v5, v40, s[8:9]
	v_cndmask_b32_e64 v40, 0, v25, s[6:7]
	v_sub_f32_e32 v5, v5, v40
.LBB204_55:                             ;   in Loop: Header=BB204_33 Depth=1
	s_andn2_saveexec_b64 s[8:9], s[20:21]
	s_cbranch_execz .LBB204_59
; %bb.56:                               ;   in Loop: Header=BB204_33 Depth=1
	v_add_f32_e32 v40, 2.0, v5
	v_mul_f32_e32 v40, v5, v40
	v_fmac_f32_e32 v40, v6, v6
	v_cmp_neq_f32_e64 s[6:7], 0, v40
	s_and_saveexec_b64 s[20:21], s[6:7]
	s_cbranch_execz .LBB204_58
; %bb.57:                               ;   in Loop: Header=BB204_33 Depth=1
	v_add_f32_e32 v5, 1.0, v40
	v_cvt_f64_f32_e32 v[41:42], v5
	v_add_f32_e32 v43, -1.0, v5
	v_sub_f32_e32 v44, v43, v5
	v_sub_f32_e32 v43, v40, v43
	v_frexp_exp_i32_f64_e32 v41, v[41:42]
	v_frexp_mant_f32_e32 v42, v5
	v_cmp_gt_f32_e64 s[6:7], s29, v42
	v_add_f32_e32 v44, 1.0, v44
	v_add_f32_e32 v43, v43, v44
	v_subbrev_co_u32_e64 v41, s[6:7], 0, v41, s[6:7]
	v_sub_u32_e32 v42, 0, v41
	v_ldexp_f32 v5, v5, v42
	v_ldexp_f32 v42, v43, v42
	v_add_f32_e32 v43, -1.0, v5
	v_add_f32_e32 v44, 1.0, v5
	v_add_f32_e32 v45, 1.0, v43
	v_add_f32_e32 v47, -1.0, v44
	v_sub_f32_e32 v45, v5, v45
	v_sub_f32_e32 v5, v5, v47
	v_add_f32_e32 v5, v42, v5
	v_add_f32_e32 v45, v42, v45
	;; [unrolled: 1-line block ×3, first 2 shown]
	v_rcp_f32_e32 v47, v42
	v_add_f32_e32 v46, v43, v45
	v_sub_f32_e32 v44, v42, v44
	v_sub_f32_e32 v43, v46, v43
	;; [unrolled: 1-line block ×3, first 2 shown]
	v_mul_f32_e32 v44, v46, v47
	v_sub_f32_e32 v43, v45, v43
	v_mul_f32_e32 v45, v42, v44
	v_fma_f32 v48, v44, v42, -v45
	v_fmac_f32_e32 v48, v44, v5
	v_add_f32_e32 v49, v45, v48
	v_sub_f32_e32 v50, v46, v49
	v_sub_f32_e32 v46, v46, v50
	;; [unrolled: 1-line block ×4, first 2 shown]
	v_add_f32_e32 v43, v43, v46
	v_sub_f32_e32 v45, v45, v48
	v_add_f32_e32 v43, v45, v43
	v_add_f32_e32 v45, v50, v43
	v_mul_f32_e32 v46, v47, v45
	v_mul_f32_e32 v48, v42, v46
	v_fma_f32 v42, v46, v42, -v48
	v_fmac_f32_e32 v42, v46, v5
	v_sub_f32_e32 v5, v50, v45
	v_add_f32_e32 v5, v43, v5
	v_add_f32_e32 v43, v48, v42
	v_sub_f32_e32 v49, v45, v43
	v_sub_f32_e32 v45, v45, v49
	;; [unrolled: 1-line block ×4, first 2 shown]
	v_add_f32_e32 v5, v5, v43
	v_sub_f32_e32 v42, v48, v42
	v_cvt_f32_i32_e32 v41, v41
	v_add_f32_e32 v5, v42, v5
	v_add_f32_e32 v42, v44, v46
	;; [unrolled: 1-line block ×3, first 2 shown]
	v_sub_f32_e32 v43, v42, v44
	v_mul_f32_e32 v5, v47, v5
	v_sub_f32_e32 v43, v46, v43
	v_add_f32_e32 v5, v43, v5
	v_mul_f32_e32 v46, 0x3f317218, v41
	v_add_f32_e32 v43, v42, v5
	v_fma_f32 v47, v41, s30, -v46
	v_mul_f32_e32 v44, v43, v43
	v_mov_b32_e32 v45, 0x3ecc95a3
	v_fmac_f32_e32 v47, 0xb102e308, v41
	v_sub_f32_e32 v41, v43, v42
	v_fmac_f32_e32 v45, 0x3e9b6dac, v44
	v_sub_f32_e32 v5, v5, v41
	v_add_f32_e32 v41, v46, v47
	v_fma_f32 v45, v44, v45, v17
	v_sub_f32_e32 v42, v41, v46
	v_ldexp_f32 v46, v43, 1
	v_mul_f32_e32 v43, v43, v44
	v_mul_f32_e32 v43, v43, v45
	v_add_f32_e32 v44, v46, v43
	v_sub_f32_e32 v45, v44, v46
	v_ldexp_f32 v5, v5, 1
	v_sub_f32_e32 v43, v43, v45
	v_add_f32_e32 v5, v5, v43
	v_add_f32_e32 v43, v44, v5
	v_sub_f32_e32 v44, v43, v44
	v_sub_f32_e32 v5, v5, v44
	v_add_f32_e32 v44, v41, v43
	v_sub_f32_e32 v45, v44, v41
	v_sub_f32_e32 v46, v44, v45
	;; [unrolled: 1-line block ×5, first 2 shown]
	v_add_f32_e32 v41, v43, v41
	v_add_f32_e32 v43, v42, v5
	v_sub_f32_e32 v45, v43, v42
	v_sub_f32_e32 v46, v43, v45
	;; [unrolled: 1-line block ×4, first 2 shown]
	v_add_f32_e32 v41, v43, v41
	v_add_f32_e32 v5, v5, v42
	;; [unrolled: 1-line block ×3, first 2 shown]
	v_sub_f32_e32 v43, v42, v44
	v_sub_f32_e32 v41, v41, v43
	v_add_f32_e32 v5, v5, v41
	v_add_f32_e32 v5, v42, v5
	v_cmp_neq_f32_e64 s[6:7], s26, v40
	v_cndmask_b32_e64 v5, v24, v5, s[6:7]
	v_cmp_ngt_f32_e64 s[6:7], -1.0, v40
	v_cndmask_b32_e64 v5, v26, v5, s[6:7]
	v_cmp_neq_f32_e64 s[6:7], -1.0, v40
	v_cndmask_b32_e64 v5, v27, v5, s[6:7]
	v_cmp_lt_f32_e64 s[6:7], |v40|, s31
	v_cndmask_b32_e64 v5, v5, v40, s[6:7]
	v_mul_f32_e32 v5, 0.5, v5
.LBB204_58:                             ;   in Loop: Header=BB204_33 Depth=1
	s_or_b64 exec, exec, s[20:21]
.LBB204_59:                             ;   in Loop: Header=BB204_33 Depth=1
	s_or_b64 exec, exec, s[8:9]
	v_max_f32_e64 v40, |v3|, |v3|
	v_max_f32_e64 v41, |v4|, |v4|
	v_max_f32_e32 v44, v40, v41
	v_cvt_f64_f32_e32 v[42:43], v44
	v_cmp_eq_f32_e64 s[6:7], s26, v44
	v_frexp_exp_i32_f64_e32 v42, v[42:43]
	v_sub_u32_e32 v40, 0, v42
	v_ldexp_f32 v43, |v3|, v40
	v_ldexp_f32 v40, |v4|, v40
	v_mul_f32_e32 v40, v40, v40
	v_fmac_f32_e32 v40, v43, v43
	v_sqrt_f32_e32 v43, v40
	v_add_f32_e32 v40, 1.0, v3
	v_ldexp_f32 v43, v43, v42
	v_cmp_ngt_f32_e64 s[8:9], 0.5, v43
	v_max_f32_e64 v42, |v40|, v41
	s_or_b64 s[6:7], s[6:7], s[8:9]
	s_and_saveexec_b64 s[8:9], s[6:7]
	s_xor_b64 s[20:21], exec, s[8:9]
	s_cbranch_execnz .LBB204_65
; %bb.60:                               ;   in Loop: Header=BB204_33 Depth=1
	s_andn2_saveexec_b64 s[8:9], s[20:21]
	s_cbranch_execnz .LBB204_66
.LBB204_61:                             ;   in Loop: Header=BB204_33 Depth=1
	s_or_b64 exec, exec, s[8:9]
	s_and_saveexec_b64 s[6:7], s[4:5]
	s_xor_b64 s[8:9], exec, s[6:7]
	s_cbranch_execnz .LBB204_69
.LBB204_62:                             ;   in Loop: Header=BB204_33 Depth=1
	s_or_b64 exec, exec, s[8:9]
	s_and_saveexec_b64 s[6:7], s[2:3]
	s_cbranch_execnz .LBB204_70
.LBB204_63:                             ;   in Loop: Header=BB204_33 Depth=1
	s_or_b64 exec, exec, s[6:7]
	s_and_saveexec_b64 s[4:5], s[0:1]
	s_cbranch_execnz .LBB204_71
.LBB204_64:                             ;   in Loop: Header=BB204_33 Depth=1
	s_or_b64 exec, exec, s[4:5]
	s_and_saveexec_b64 s[2:3], vcc
	s_cbranch_execz .LBB204_32
	s_branch .LBB204_72
.LBB204_65:                             ;   in Loop: Header=BB204_33 Depth=1
	v_cvt_f64_f32_e32 v[43:44], v42
	v_cmp_neq_f32_e64 s[6:7], s26, v42
	v_frexp_exp_i32_f64_e32 v3, v[43:44]
	v_sub_u32_e32 v43, 0, v3
	v_ldexp_f32 v44, |v40|, v43
	v_ldexp_f32 v43, |v4|, v43
	v_mul_f32_e32 v43, v43, v43
	v_fmac_f32_e32 v43, v44, v44
	v_sqrt_f32_e32 v43, v43
	v_ldexp_f32 v3, v43, v3
	v_cndmask_b32_e64 v3, v24, v3, s[6:7]
	v_cmp_gt_f32_e64 s[6:7], s27, v3
	v_cndmask_b32_e64 v43, 0, 32, s[6:7]
	v_ldexp_f32 v3, v3, v43
	v_log_f32_e32 v3, v3
	v_mul_f32_e32 v43, 0x3f317217, v3
	v_fma_f32 v43, v3, s28, -v43
	v_fmac_f32_e32 v43, 0x3377d1cf, v3
	v_fmac_f32_e32 v43, 0x3f317217, v3
	v_cmp_lt_f32_e64 s[8:9], |v3|, s26
	v_cndmask_b32_e64 v3, v3, v43, s[8:9]
	v_cndmask_b32_e64 v43, 0, v25, s[6:7]
	v_sub_f32_e32 v3, v3, v43
	s_andn2_saveexec_b64 s[8:9], s[20:21]
	s_cbranch_execz .LBB204_61
.LBB204_66:                             ;   in Loop: Header=BB204_33 Depth=1
	v_add_f32_e32 v43, 2.0, v3
	v_mul_f32_e32 v43, v3, v43
	v_fmac_f32_e32 v43, v4, v4
	v_cmp_neq_f32_e64 s[6:7], 0, v43
	s_and_saveexec_b64 s[20:21], s[6:7]
	s_cbranch_execz .LBB204_68
; %bb.67:                               ;   in Loop: Header=BB204_33 Depth=1
	v_add_f32_e32 v3, 1.0, v43
	v_cvt_f64_f32_e32 v[44:45], v3
	v_add_f32_e32 v46, -1.0, v3
	v_sub_f32_e32 v47, v46, v3
	v_sub_f32_e32 v46, v43, v46
	v_frexp_exp_i32_f64_e32 v44, v[44:45]
	v_frexp_mant_f32_e32 v45, v3
	v_cmp_gt_f32_e64 s[6:7], s29, v45
	v_add_f32_e32 v47, 1.0, v47
	v_add_f32_e32 v46, v46, v47
	v_subbrev_co_u32_e64 v44, s[6:7], 0, v44, s[6:7]
	v_sub_u32_e32 v45, 0, v44
	v_ldexp_f32 v3, v3, v45
	v_ldexp_f32 v45, v46, v45
	v_add_f32_e32 v46, -1.0, v3
	v_add_f32_e32 v47, 1.0, v3
	v_add_f32_e32 v48, 1.0, v46
	v_add_f32_e32 v50, -1.0, v47
	v_sub_f32_e32 v48, v3, v48
	v_sub_f32_e32 v3, v3, v50
	v_add_f32_e32 v3, v45, v3
	v_add_f32_e32 v48, v45, v48
	v_add_f32_e32 v45, v47, v3
	v_rcp_f32_e32 v50, v45
	v_add_f32_e32 v49, v46, v48
	v_sub_f32_e32 v47, v45, v47
	v_sub_f32_e32 v46, v49, v46
	;; [unrolled: 1-line block ×3, first 2 shown]
	v_mul_f32_e32 v47, v49, v50
	v_sub_f32_e32 v46, v48, v46
	v_mul_f32_e32 v48, v45, v47
	v_fma_f32 v51, v47, v45, -v48
	v_fmac_f32_e32 v51, v47, v3
	v_add_f32_e32 v52, v48, v51
	v_sub_f32_e32 v53, v49, v52
	v_sub_f32_e32 v49, v49, v53
	;; [unrolled: 1-line block ×4, first 2 shown]
	v_add_f32_e32 v46, v46, v49
	v_sub_f32_e32 v48, v48, v51
	v_add_f32_e32 v46, v48, v46
	v_add_f32_e32 v48, v53, v46
	v_mul_f32_e32 v49, v50, v48
	v_mul_f32_e32 v51, v45, v49
	v_fma_f32 v45, v49, v45, -v51
	v_fmac_f32_e32 v45, v49, v3
	v_sub_f32_e32 v3, v53, v48
	v_add_f32_e32 v3, v46, v3
	v_add_f32_e32 v46, v51, v45
	v_sub_f32_e32 v52, v48, v46
	v_sub_f32_e32 v48, v48, v52
	;; [unrolled: 1-line block ×4, first 2 shown]
	v_add_f32_e32 v3, v3, v46
	v_sub_f32_e32 v45, v51, v45
	v_cvt_f32_i32_e32 v44, v44
	v_add_f32_e32 v3, v45, v3
	v_add_f32_e32 v45, v47, v49
	;; [unrolled: 1-line block ×3, first 2 shown]
	v_sub_f32_e32 v46, v45, v47
	v_mul_f32_e32 v3, v50, v3
	v_sub_f32_e32 v46, v49, v46
	v_add_f32_e32 v3, v46, v3
	v_mul_f32_e32 v49, 0x3f317218, v44
	v_add_f32_e32 v46, v45, v3
	v_fma_f32 v50, v44, s30, -v49
	v_mul_f32_e32 v47, v46, v46
	v_mov_b32_e32 v48, 0x3ecc95a3
	v_fmac_f32_e32 v50, 0xb102e308, v44
	v_sub_f32_e32 v44, v46, v45
	v_fmac_f32_e32 v48, 0x3e9b6dac, v47
	v_sub_f32_e32 v3, v3, v44
	v_add_f32_e32 v44, v49, v50
	v_fma_f32 v48, v47, v48, v17
	v_sub_f32_e32 v45, v44, v49
	v_ldexp_f32 v49, v46, 1
	v_mul_f32_e32 v46, v46, v47
	v_mul_f32_e32 v46, v46, v48
	v_add_f32_e32 v47, v49, v46
	v_sub_f32_e32 v48, v47, v49
	v_ldexp_f32 v3, v3, 1
	v_sub_f32_e32 v46, v46, v48
	v_add_f32_e32 v3, v3, v46
	v_add_f32_e32 v46, v47, v3
	v_sub_f32_e32 v47, v46, v47
	v_sub_f32_e32 v3, v3, v47
	v_add_f32_e32 v47, v44, v46
	v_sub_f32_e32 v48, v47, v44
	v_sub_f32_e32 v49, v47, v48
	;; [unrolled: 1-line block ×5, first 2 shown]
	v_add_f32_e32 v44, v46, v44
	v_add_f32_e32 v46, v45, v3
	v_sub_f32_e32 v48, v46, v45
	v_sub_f32_e32 v49, v46, v48
	;; [unrolled: 1-line block ×4, first 2 shown]
	v_add_f32_e32 v44, v46, v44
	v_add_f32_e32 v3, v3, v45
	;; [unrolled: 1-line block ×3, first 2 shown]
	v_sub_f32_e32 v46, v45, v47
	v_sub_f32_e32 v44, v44, v46
	v_add_f32_e32 v3, v3, v44
	v_add_f32_e32 v3, v45, v3
	v_cmp_neq_f32_e64 s[6:7], s26, v43
	v_cndmask_b32_e64 v3, v24, v3, s[6:7]
	v_cmp_ngt_f32_e64 s[6:7], -1.0, v43
	v_cndmask_b32_e64 v3, v26, v3, s[6:7]
	v_cmp_neq_f32_e64 s[6:7], -1.0, v43
	v_cndmask_b32_e64 v3, v27, v3, s[6:7]
	v_cmp_lt_f32_e64 s[6:7], |v43|, s31
	v_cndmask_b32_e64 v3, v3, v43, s[6:7]
	v_mul_f32_e32 v3, 0.5, v3
.LBB204_68:                             ;   in Loop: Header=BB204_33 Depth=1
	s_or_b64 exec, exec, s[20:21]
	s_or_b64 exec, exec, s[8:9]
	s_and_saveexec_b64 s[6:7], s[4:5]
	s_xor_b64 s[8:9], exec, s[6:7]
	s_cbranch_execz .LBB204_62
.LBB204_69:                             ;   in Loop: Header=BB204_33 Depth=1
	v_max_f32_e64 v45, |v31|, |v31|
	v_min_f32_e32 v32, v45, v32
	v_frexp_mant_f32_e32 v45, v33
	v_rcp_f32_e32 v45, v45
	v_frexp_exp_i32_f32_e32 v33, v33
	v_frexp_exp_i32_f32_e32 v46, v32
	v_frexp_mant_f32_e32 v32, v32
	v_mul_f32_e32 v32, v32, v45
	v_sub_u32_e32 v33, v46, v33
	v_ldexp_f32 v32, v32, v33
	v_mul_f32_e32 v33, v32, v32
	v_mov_b32_e32 v45, 0xbc7a590c
	v_fmac_f32_e32 v45, 0x3b2d2a58, v33
	v_fma_f32 v45, v33, v45, v18
	v_fma_f32 v45, v33, v45, v19
	;; [unrolled: 1-line block ×6, first 2 shown]
	v_mul_f32_e32 v33, v33, v45
	v_cmp_gt_i32_e64 s[6:7], 0, v31
	v_fmac_f32_e32 v32, v32, v33
	v_cndmask_b32_e64 v44, 0, v30, s[6:7]
	v_sub_f32_e32 v33, 0x3fc90fdb, v32
	v_cmp_gt_f32_e64 s[6:7], |v16|, |v31|
	v_cndmask_b32_e64 v32, v32, v33, s[6:7]
	v_cmp_gt_f32_e64 s[4:5], 0, v31
	v_sub_f32_e32 v33, 0x40490fdb, v32
	v_cmp_class_f32_e64 s[20:21], v16, s33
	v_cmp_class_f32_e64 s[36:37], v31, s33
	v_cndmask_b32_e64 v43, v28, v29, s[4:5]
	v_cndmask_b32_e64 v32, v32, v33, s[4:5]
	v_cmp_eq_f32_e64 s[4:5], 0, v16
	v_cndmask_b32_e64 v32, v32, v44, s[4:5]
	s_and_b64 s[4:5], s[20:21], s[36:37]
	v_cndmask_b32_e64 v32, v32, v43, s[4:5]
	v_cmp_o_f32_e64 s[4:5], v31, v16
	v_lshlrev_b64 v[13:14], 3, v[13:14]
	v_cndmask_b32_e64 v31, v26, v32, s[4:5]
	v_bfi_b32 v16, s34, v31, v16
	v_mov_b32_e32 v31, s13
	v_add_co_u32_e64 v13, s[4:5], s12, v13
	v_addc_co_u32_e64 v14, s[4:5], v31, v14, s[4:5]
	global_store_dwordx2 v[13:14], v[15:16], off
	s_or_b64 exec, exec, s[8:9]
	s_and_saveexec_b64 s[6:7], s[2:3]
	s_cbranch_execz .LBB204_63
.LBB204_70:                             ;   in Loop: Header=BB204_33 Depth=1
	v_frexp_mant_f32_e32 v16, v36
	v_rcp_f32_e32 v16, v16
	v_max_f32_e64 v15, |v34|, |v34|
	v_min_f32_e32 v15, v15, v35
	v_frexp_exp_i32_f32_e32 v31, v36
	v_frexp_exp_i32_f32_e32 v32, v15
	v_frexp_mant_f32_e32 v15, v15
	v_mul_f32_e32 v15, v15, v16
	v_sub_u32_e32 v16, v32, v31
	v_ldexp_f32 v15, v15, v16
	v_mul_f32_e32 v16, v15, v15
	v_mov_b32_e32 v31, 0xbc7a590c
	v_fmac_f32_e32 v31, 0x3b2d2a58, v16
	v_fma_f32 v31, v16, v31, v18
	v_fma_f32 v31, v16, v31, v19
	;; [unrolled: 1-line block ×6, first 2 shown]
	v_mul_f32_e32 v16, v16, v31
	v_cmp_gt_i32_e64 s[4:5], 0, v34
	v_fmac_f32_e32 v15, v15, v16
	v_cndmask_b32_e64 v14, 0, v30, s[4:5]
	v_sub_f32_e32 v16, 0x3fc90fdb, v15
	v_cmp_gt_f32_e64 s[4:5], |v12|, |v34|
	v_cndmask_b32_e64 v15, v15, v16, s[4:5]
	v_cmp_gt_f32_e64 s[2:3], 0, v34
	v_sub_f32_e32 v16, 0x40490fdb, v15
	v_cmp_class_f32_e64 s[8:9], v12, s33
	v_cmp_class_f32_e64 s[20:21], v34, s33
	v_cndmask_b32_e64 v13, v28, v29, s[2:3]
	v_cndmask_b32_e64 v15, v15, v16, s[2:3]
	v_cmp_eq_f32_e64 s[2:3], 0, v12
	v_cndmask_b32_e64 v14, v15, v14, s[2:3]
	s_and_b64 s[2:3], s[8:9], s[20:21]
	v_cndmask_b32_e64 v13, v14, v13, s[2:3]
	v_cmp_o_f32_e64 s[2:3], v34, v12
	v_lshlrev_b64 v[9:10], 3, v[9:10]
	v_cndmask_b32_e64 v13, v26, v13, s[2:3]
	v_bfi_b32 v12, s34, v13, v12
	v_mov_b32_e32 v13, s13
	v_add_co_u32_e64 v9, s[2:3], s12, v9
	v_addc_co_u32_e64 v10, s[2:3], v13, v10, s[2:3]
	global_store_dwordx2 v[9:10], v[11:12], off
	s_or_b64 exec, exec, s[6:7]
	s_and_saveexec_b64 s[4:5], s[0:1]
	s_cbranch_execz .LBB204_64
.LBB204_71:                             ;   in Loop: Header=BB204_33 Depth=1
	v_frexp_mant_f32_e32 v12, v39
	v_rcp_f32_e32 v12, v12
	v_max_f32_e64 v11, |v37|, |v37|
	v_min_f32_e32 v11, v11, v38
	v_frexp_exp_i32_f32_e32 v13, v39
	v_frexp_exp_i32_f32_e32 v14, v11
	v_frexp_mant_f32_e32 v11, v11
	v_mul_f32_e32 v11, v11, v12
	v_sub_u32_e32 v12, v14, v13
	v_ldexp_f32 v11, v11, v12
	v_mul_f32_e32 v12, v11, v11
	v_mov_b32_e32 v13, 0xbc7a590c
	v_fmac_f32_e32 v13, 0x3b2d2a58, v12
	v_fma_f32 v13, v12, v13, v18
	v_fma_f32 v13, v12, v13, v19
	;; [unrolled: 1-line block ×6, first 2 shown]
	v_mul_f32_e32 v12, v12, v13
	v_cmp_gt_i32_e64 s[2:3], 0, v37
	v_fmac_f32_e32 v11, v11, v12
	v_cndmask_b32_e64 v10, 0, v30, s[2:3]
	v_sub_f32_e32 v12, 0x3fc90fdb, v11
	v_cmp_gt_f32_e64 s[2:3], |v6|, |v37|
	v_cndmask_b32_e64 v11, v11, v12, s[2:3]
	v_cmp_gt_f32_e64 s[0:1], 0, v37
	v_sub_f32_e32 v12, 0x40490fdb, v11
	v_cmp_class_f32_e64 s[6:7], v6, s33
	v_cmp_class_f32_e64 s[8:9], v37, s33
	v_cndmask_b32_e64 v9, v28, v29, s[0:1]
	v_cndmask_b32_e64 v11, v11, v12, s[0:1]
	v_cmp_eq_f32_e64 s[0:1], 0, v6
	v_cndmask_b32_e64 v10, v11, v10, s[0:1]
	s_and_b64 s[0:1], s[6:7], s[8:9]
	v_cndmask_b32_e64 v9, v10, v9, s[0:1]
	v_cmp_o_f32_e64 s[0:1], v37, v6
	v_lshlrev_b64 v[7:8], 3, v[7:8]
	v_cndmask_b32_e64 v9, v26, v9, s[0:1]
	v_bfi_b32 v6, s34, v9, v6
	v_mov_b32_e32 v9, s13
	v_add_co_u32_e64 v7, s[0:1], s12, v7
	v_addc_co_u32_e64 v8, s[0:1], v9, v8, s[0:1]
	global_store_dwordx2 v[7:8], v[5:6], off
	s_or_b64 exec, exec, s[4:5]
	s_and_saveexec_b64 s[2:3], vcc
	s_cbranch_execz .LBB204_32
.LBB204_72:                             ;   in Loop: Header=BB204_33 Depth=1
	v_frexp_mant_f32_e32 v8, v42
	v_rcp_f32_e32 v8, v8
	v_max_f32_e64 v7, |v40|, |v40|
	v_min_f32_e32 v7, v7, v41
	v_frexp_exp_i32_f32_e32 v9, v42
	v_frexp_exp_i32_f32_e32 v10, v7
	v_frexp_mant_f32_e32 v7, v7
	v_mul_f32_e32 v7, v7, v8
	v_sub_u32_e32 v8, v10, v9
	v_ldexp_f32 v7, v7, v8
	v_mul_f32_e32 v8, v7, v7
	v_mov_b32_e32 v9, 0xbc7a590c
	v_fmac_f32_e32 v9, 0x3b2d2a58, v8
	v_fma_f32 v9, v8, v9, v18
	v_fma_f32 v9, v8, v9, v19
	;; [unrolled: 1-line block ×6, first 2 shown]
	v_mul_f32_e32 v8, v8, v9
	v_cmp_gt_i32_e64 s[0:1], 0, v40
	v_fmac_f32_e32 v7, v7, v8
	v_cndmask_b32_e64 v6, 0, v30, s[0:1]
	v_sub_f32_e32 v8, 0x3fc90fdb, v7
	v_cmp_gt_f32_e64 s[0:1], |v4|, |v40|
	v_cndmask_b32_e64 v7, v7, v8, s[0:1]
	v_cmp_gt_f32_e32 vcc, 0, v40
	v_sub_f32_e32 v8, 0x40490fdb, v7
	v_cmp_class_f32_e64 s[4:5], v4, s33
	v_cmp_class_f32_e64 s[6:7], v40, s33
	v_cndmask_b32_e32 v5, v28, v29, vcc
	v_cndmask_b32_e32 v7, v7, v8, vcc
	v_cmp_eq_f32_e32 vcc, 0, v4
	v_cndmask_b32_e32 v6, v7, v6, vcc
	s_and_b64 vcc, s[4:5], s[6:7]
	v_cndmask_b32_e32 v5, v6, v5, vcc
	v_cmp_o_f32_e32 vcc, v40, v4
	v_lshlrev_b64 v[1:2], 3, v[1:2]
	v_cndmask_b32_e32 v5, v26, v5, vcc
	v_bfi_b32 v4, s34, v5, v4
	v_mov_b32_e32 v5, s13
	v_add_co_u32_e32 v1, vcc, s12, v1
	v_addc_co_u32_e32 v2, vcc, v5, v2, vcc
	global_store_dwordx2 v[1:2], v[3:4], off
	s_branch .LBB204_32
.LBB204_73:
	s_endpgm
	.section	.rodata,"a",@progbits
	.p2align	6, 0x0
	.amdhsa_kernel _ZN2at6native12_GLOBAL__N_125multi_tensor_apply_kernelINS1_18TensorListMetadataILi2EEENS1_14UnaryOpFunctorIN3c107complexIfEELi2ELi1ELi1EEEJNS0_5Log1pIS8_EEEEEvT_T0_DpT1_
		.amdhsa_group_segment_fixed_size 0
		.amdhsa_private_segment_fixed_size 0
		.amdhsa_kernarg_size 3408
		.amdhsa_user_sgpr_count 6
		.amdhsa_user_sgpr_private_segment_buffer 1
		.amdhsa_user_sgpr_dispatch_ptr 0
		.amdhsa_user_sgpr_queue_ptr 0
		.amdhsa_user_sgpr_kernarg_segment_ptr 1
		.amdhsa_user_sgpr_dispatch_id 0
		.amdhsa_user_sgpr_flat_scratch_init 0
		.amdhsa_user_sgpr_private_segment_size 0
		.amdhsa_uses_dynamic_stack 0
		.amdhsa_system_sgpr_private_segment_wavefront_offset 0
		.amdhsa_system_sgpr_workgroup_id_x 1
		.amdhsa_system_sgpr_workgroup_id_y 0
		.amdhsa_system_sgpr_workgroup_id_z 0
		.amdhsa_system_sgpr_workgroup_info 0
		.amdhsa_system_vgpr_workitem_id 0
		.amdhsa_next_free_vgpr 54
		.amdhsa_next_free_sgpr 38
		.amdhsa_reserve_vcc 1
		.amdhsa_reserve_flat_scratch 0
		.amdhsa_float_round_mode_32 0
		.amdhsa_float_round_mode_16_64 0
		.amdhsa_float_denorm_mode_32 3
		.amdhsa_float_denorm_mode_16_64 3
		.amdhsa_dx10_clamp 1
		.amdhsa_ieee_mode 1
		.amdhsa_fp16_overflow 0
		.amdhsa_exception_fp_ieee_invalid_op 0
		.amdhsa_exception_fp_denorm_src 0
		.amdhsa_exception_fp_ieee_div_zero 0
		.amdhsa_exception_fp_ieee_overflow 0
		.amdhsa_exception_fp_ieee_underflow 0
		.amdhsa_exception_fp_ieee_inexact 0
		.amdhsa_exception_int_div_zero 0
	.end_amdhsa_kernel
	.section	.text._ZN2at6native12_GLOBAL__N_125multi_tensor_apply_kernelINS1_18TensorListMetadataILi2EEENS1_14UnaryOpFunctorIN3c107complexIfEELi2ELi1ELi1EEEJNS0_5Log1pIS8_EEEEEvT_T0_DpT1_,"axG",@progbits,_ZN2at6native12_GLOBAL__N_125multi_tensor_apply_kernelINS1_18TensorListMetadataILi2EEENS1_14UnaryOpFunctorIN3c107complexIfEELi2ELi1ELi1EEEJNS0_5Log1pIS8_EEEEEvT_T0_DpT1_,comdat
.Lfunc_end204:
	.size	_ZN2at6native12_GLOBAL__N_125multi_tensor_apply_kernelINS1_18TensorListMetadataILi2EEENS1_14UnaryOpFunctorIN3c107complexIfEELi2ELi1ELi1EEEJNS0_5Log1pIS8_EEEEEvT_T0_DpT1_, .Lfunc_end204-_ZN2at6native12_GLOBAL__N_125multi_tensor_apply_kernelINS1_18TensorListMetadataILi2EEENS1_14UnaryOpFunctorIN3c107complexIfEELi2ELi1ELi1EEEJNS0_5Log1pIS8_EEEEEvT_T0_DpT1_
                                        ; -- End function
	.set _ZN2at6native12_GLOBAL__N_125multi_tensor_apply_kernelINS1_18TensorListMetadataILi2EEENS1_14UnaryOpFunctorIN3c107complexIfEELi2ELi1ELi1EEEJNS0_5Log1pIS8_EEEEEvT_T0_DpT1_.num_vgpr, 54
	.set _ZN2at6native12_GLOBAL__N_125multi_tensor_apply_kernelINS1_18TensorListMetadataILi2EEENS1_14UnaryOpFunctorIN3c107complexIfEELi2ELi1ELi1EEEJNS0_5Log1pIS8_EEEEEvT_T0_DpT1_.num_agpr, 0
	.set _ZN2at6native12_GLOBAL__N_125multi_tensor_apply_kernelINS1_18TensorListMetadataILi2EEENS1_14UnaryOpFunctorIN3c107complexIfEELi2ELi1ELi1EEEJNS0_5Log1pIS8_EEEEEvT_T0_DpT1_.numbered_sgpr, 38
	.set _ZN2at6native12_GLOBAL__N_125multi_tensor_apply_kernelINS1_18TensorListMetadataILi2EEENS1_14UnaryOpFunctorIN3c107complexIfEELi2ELi1ELi1EEEJNS0_5Log1pIS8_EEEEEvT_T0_DpT1_.num_named_barrier, 0
	.set _ZN2at6native12_GLOBAL__N_125multi_tensor_apply_kernelINS1_18TensorListMetadataILi2EEENS1_14UnaryOpFunctorIN3c107complexIfEELi2ELi1ELi1EEEJNS0_5Log1pIS8_EEEEEvT_T0_DpT1_.private_seg_size, 0
	.set _ZN2at6native12_GLOBAL__N_125multi_tensor_apply_kernelINS1_18TensorListMetadataILi2EEENS1_14UnaryOpFunctorIN3c107complexIfEELi2ELi1ELi1EEEJNS0_5Log1pIS8_EEEEEvT_T0_DpT1_.uses_vcc, 1
	.set _ZN2at6native12_GLOBAL__N_125multi_tensor_apply_kernelINS1_18TensorListMetadataILi2EEENS1_14UnaryOpFunctorIN3c107complexIfEELi2ELi1ELi1EEEJNS0_5Log1pIS8_EEEEEvT_T0_DpT1_.uses_flat_scratch, 0
	.set _ZN2at6native12_GLOBAL__N_125multi_tensor_apply_kernelINS1_18TensorListMetadataILi2EEENS1_14UnaryOpFunctorIN3c107complexIfEELi2ELi1ELi1EEEJNS0_5Log1pIS8_EEEEEvT_T0_DpT1_.has_dyn_sized_stack, 0
	.set _ZN2at6native12_GLOBAL__N_125multi_tensor_apply_kernelINS1_18TensorListMetadataILi2EEENS1_14UnaryOpFunctorIN3c107complexIfEELi2ELi1ELi1EEEJNS0_5Log1pIS8_EEEEEvT_T0_DpT1_.has_recursion, 0
	.set _ZN2at6native12_GLOBAL__N_125multi_tensor_apply_kernelINS1_18TensorListMetadataILi2EEENS1_14UnaryOpFunctorIN3c107complexIfEELi2ELi1ELi1EEEJNS0_5Log1pIS8_EEEEEvT_T0_DpT1_.has_indirect_call, 0
	.section	.AMDGPU.csdata,"",@progbits
; Kernel info:
; codeLenInByte = 9948
; TotalNumSgprs: 42
; NumVgprs: 54
; ScratchSize: 0
; MemoryBound: 0
; FloatMode: 240
; IeeeMode: 1
; LDSByteSize: 0 bytes/workgroup (compile time only)
; SGPRBlocks: 5
; VGPRBlocks: 13
; NumSGPRsForWavesPerEU: 42
; NumVGPRsForWavesPerEU: 54
; Occupancy: 4
; WaveLimiterHint : 0
; COMPUTE_PGM_RSRC2:SCRATCH_EN: 0
; COMPUTE_PGM_RSRC2:USER_SGPR: 6
; COMPUTE_PGM_RSRC2:TRAP_HANDLER: 0
; COMPUTE_PGM_RSRC2:TGID_X_EN: 1
; COMPUTE_PGM_RSRC2:TGID_Y_EN: 0
; COMPUTE_PGM_RSRC2:TGID_Z_EN: 0
; COMPUTE_PGM_RSRC2:TIDIG_COMP_CNT: 0
	.section	.text._ZN2at6native12_GLOBAL__N_125multi_tensor_apply_kernelINS1_18TensorListMetadataILi2EEENS1_14UnaryOpFunctorIN3c104HalfELi2ELi1ELi1EEEJNS0_5Log1pIfEEEEEvT_T0_DpT1_,"axG",@progbits,_ZN2at6native12_GLOBAL__N_125multi_tensor_apply_kernelINS1_18TensorListMetadataILi2EEENS1_14UnaryOpFunctorIN3c104HalfELi2ELi1ELi1EEEJNS0_5Log1pIfEEEEEvT_T0_DpT1_,comdat
	.globl	_ZN2at6native12_GLOBAL__N_125multi_tensor_apply_kernelINS1_18TensorListMetadataILi2EEENS1_14UnaryOpFunctorIN3c104HalfELi2ELi1ELi1EEEJNS0_5Log1pIfEEEEEvT_T0_DpT1_ ; -- Begin function _ZN2at6native12_GLOBAL__N_125multi_tensor_apply_kernelINS1_18TensorListMetadataILi2EEENS1_14UnaryOpFunctorIN3c104HalfELi2ELi1ELi1EEEJNS0_5Log1pIfEEEEEvT_T0_DpT1_
	.p2align	8
	.type	_ZN2at6native12_GLOBAL__N_125multi_tensor_apply_kernelINS1_18TensorListMetadataILi2EEENS1_14UnaryOpFunctorIN3c104HalfELi2ELi1ELi1EEEJNS0_5Log1pIfEEEEEvT_T0_DpT1_,@function
_ZN2at6native12_GLOBAL__N_125multi_tensor_apply_kernelINS1_18TensorListMetadataILi2EEENS1_14UnaryOpFunctorIN3c104HalfELi2ELi1ELi1EEEJNS0_5Log1pIfEEEEEvT_T0_DpT1_: ; @_ZN2at6native12_GLOBAL__N_125multi_tensor_apply_kernelINS1_18TensorListMetadataILi2EEENS1_14UnaryOpFunctorIN3c104HalfELi2ELi1ELi1EEEJNS0_5Log1pIfEEEEEvT_T0_DpT1_
; %bb.0:
	v_mov_b32_e32 v1, s6
	global_load_ubyte v1, v1, s[4:5] offset:1536
	s_add_u32 s0, s4, s6
	s_mul_hi_u32 s3, s6, 3
	s_mul_i32 s6, s6, 3
	s_addc_u32 s7, s5, 0
	s_add_u32 s2, s0, s6
	s_addc_u32 s3, s7, s3
	s_load_dword s10, s[2:3], 0x740
	s_mov_b32 s1, 0
	s_mov_b32 s13, s1
	s_waitcnt lgkmcnt(0)
	s_ashr_i32 s11, s10, 31
	s_lshl_b64 s[8:9], s[10:11], 17
	s_lshl_b64 s[10:11], s[10:11], 16
	s_waitcnt vmcnt(0)
	v_readfirstlane_b32 s0, v1
	s_lshl_b32 s0, s0, 3
	s_load_dwordx2 s[14:15], s[4:5], s0 offset:0x400
	s_load_dwordx2 s[6:7], s[4:5], s0 offset:0x0
	;; [unrolled: 1-line block ×3, first 2 shown]
	s_waitcnt lgkmcnt(0)
	s_add_u32 s0, s6, s8
	s_and_b32 s12, s2, 7
	s_and_b32 s0, s0, 7
	s_sub_u32 s10, s14, s10
	s_subb_u32 s11, s15, s11
	s_and_b32 s14, s14, 3
	s_mov_b32 s15, s1
	s_or_b64 s[12:13], s[12:13], s[14:15]
	s_or_b64 s[0:1], s[12:13], s[0:1]
	s_cmp_eq_u64 s[0:1], 0
	s_mov_b64 s[0:1], -1
	s_cbranch_scc0 .LBB205_5
; %bb.1:
	v_mov_b32_e32 v1, 0x10000
	v_mov_b32_e32 v2, 0
	v_cmp_lt_i64_e32 vcc, s[10:11], v[1:2]
	v_mov_b32_e32 v2, 0
	s_and_b64 s[0:1], vcc, exec
	s_cselect_b32 s13, s11, 0
	s_cselect_b32 s12, s10, 0x10000
	v_lshlrev_b32_e32 v1, 2, v0
	v_cmp_gt_i64_e32 vcc, s[12:13], v[1:2]
	s_and_saveexec_b64 s[14:15], vcc
	s_cbranch_execz .LBB205_4
; %bb.2:
	s_load_dword s0, s[4:5], 0xc5c
	v_mov_b32_e32 v1, v2
	v_lshlrev_b32_e32 v2, 3, v0
	v_mov_b32_e32 v3, s9
	v_add_co_u32_e32 v5, vcc, s8, v2
	s_waitcnt lgkmcnt(0)
	s_and_b32 s18, s0, 0xffff
	v_mov_b32_e32 v2, v1
	v_addc_co_u32_e32 v6, vcc, 0, v3, vcc
	s_lshl_b32 s19, s18, 3
	s_mov_b64 s[16:17], 0
	v_mov_b32_e32 v7, s7
	s_mov_b32 s20, 0x3f2aaaab
	v_mov_b32_e32 v8, 0x3f2aaada
	s_mov_b32 s21, 0x3f317218
	s_mov_b32 s22, 0x33800000
	s_movk_i32 s23, 0x7c00
	v_mov_b32_e32 v9, 0x7c00
	v_mov_b32_e32 v10, 0x7e00
	;; [unrolled: 1-line block ×4, first 2 shown]
	s_mov_b32 s24, 0x5040100
	v_mov_b32_e32 v1, v0
.LBB205_3:                              ; =>This Inner Loop Header: Depth=1
	v_add_co_u32_e32 v3, vcc, s6, v5
	v_addc_co_u32_e32 v4, vcc, v7, v6, vcc
	global_load_dwordx2 v[3:4], v[3:4], off
	s_waitcnt vmcnt(0)
	v_cvt_f32_f16_e32 v17, v3
	v_lshrrev_b32_e32 v16, 16, v3
	v_cmp_neq_f16_e64 s[0:1], s23, v3
	v_lshrrev_b32_e32 v13, 16, v4
	v_add_f32_e32 v18, 1.0, v17
	v_add_f32_e32 v14, -1.0, v18
	v_sub_f32_e32 v15, v14, v18
	v_add_f32_e32 v15, 1.0, v15
	v_sub_f32_e32 v14, v17, v14
	v_add_f32_e32 v19, v14, v15
	v_frexp_mant_f32_e32 v14, v18
	v_cmp_gt_f32_e32 vcc, s20, v14
	v_cvt_f64_f32_e32 v[14:15], v18
	v_frexp_exp_i32_f64_e32 v14, v[14:15]
	v_subbrev_co_u32_e32 v14, vcc, 0, v14, vcc
	v_sub_u32_e32 v15, 0, v14
	v_ldexp_f32 v18, v18, v15
	v_ldexp_f32 v15, v19, v15
	v_add_f32_e32 v19, -1.0, v18
	v_add_f32_e32 v20, 1.0, v19
	v_sub_f32_e32 v20, v18, v20
	v_add_f32_e32 v20, v15, v20
	v_add_f32_e32 v21, v19, v20
	v_sub_f32_e32 v19, v21, v19
	v_sub_f32_e32 v19, v20, v19
	v_add_f32_e32 v20, 1.0, v18
	v_add_f32_e32 v22, -1.0, v20
	v_sub_f32_e32 v18, v18, v22
	v_add_f32_e32 v15, v15, v18
	v_add_f32_e32 v18, v20, v15
	v_sub_f32_e32 v20, v18, v20
	v_sub_f32_e32 v15, v15, v20
	v_rcp_f32_e32 v20, v18
	v_cvt_f32_i32_e32 v14, v14
	v_cmp_lt_f32_e64 vcc, |v17|, s22
	v_cvt_f32_f16_e32 v17, v16
	v_mul_f32_e32 v22, v21, v20
	v_mul_f32_e32 v23, v18, v22
	v_fma_f32 v24, v22, v18, -v23
	v_fmac_f32_e32 v24, v22, v15
	v_add_f32_e32 v25, v23, v24
	v_sub_f32_e32 v26, v21, v25
	v_sub_f32_e32 v21, v21, v26
	;; [unrolled: 1-line block ×4, first 2 shown]
	v_add_f32_e32 v19, v19, v21
	v_sub_f32_e32 v21, v23, v24
	v_add_f32_e32 v19, v21, v19
	v_add_f32_e32 v21, v26, v19
	v_mul_f32_e32 v23, v20, v21
	v_mul_f32_e32 v24, v18, v23
	v_fma_f32 v18, v23, v18, -v24
	v_fmac_f32_e32 v18, v23, v15
	v_sub_f32_e32 v15, v26, v21
	v_add_f32_e32 v15, v19, v15
	v_add_f32_e32 v19, v24, v18
	v_sub_f32_e32 v25, v21, v19
	v_sub_f32_e32 v21, v21, v25
	v_sub_f32_e32 v24, v19, v24
	v_sub_f32_e32 v19, v21, v19
	v_add_f32_e32 v15, v15, v19
	v_sub_f32_e32 v18, v24, v18
	v_add_f32_e32 v15, v18, v15
	v_add_f32_e32 v18, v22, v23
	;; [unrolled: 1-line block ×3, first 2 shown]
	v_sub_f32_e32 v19, v18, v22
	v_mul_f32_e32 v15, v20, v15
	v_sub_f32_e32 v19, v23, v19
	v_add_f32_e32 v15, v19, v15
	v_mul_f32_e32 v22, 0x3f317218, v14
	v_add_f32_e32 v19, v18, v15
	v_fma_f32 v23, v14, s21, -v22
	v_mul_f32_e32 v20, v19, v19
	v_mov_b32_e32 v21, 0x3ecc95a3
	v_fmac_f32_e32 v23, 0xb102e308, v14
	v_sub_f32_e32 v14, v19, v18
	v_fmac_f32_e32 v21, 0x3e9b6dac, v20
	v_sub_f32_e32 v14, v15, v14
	v_add_f32_e32 v15, v22, v23
	v_fma_f32 v21, v20, v21, v8
	v_sub_f32_e32 v18, v15, v22
	v_ldexp_f32 v22, v19, 1
	v_mul_f32_e32 v19, v19, v20
	v_mul_f32_e32 v19, v19, v21
	v_add_f32_e32 v20, v22, v19
	v_sub_f32_e32 v21, v20, v22
	v_ldexp_f32 v14, v14, 1
	v_sub_f32_e32 v19, v19, v21
	v_add_f32_e32 v14, v14, v19
	v_add_f32_e32 v19, v20, v14
	v_sub_f32_e32 v20, v19, v20
	v_sub_f32_e32 v14, v14, v20
	v_add_f32_e32 v20, v15, v19
	v_sub_f32_e32 v21, v20, v15
	v_sub_f32_e32 v22, v20, v21
	;; [unrolled: 1-line block ×5, first 2 shown]
	v_add_f32_e32 v15, v19, v15
	v_add_f32_e32 v19, v18, v14
	v_sub_f32_e32 v21, v19, v18
	v_sub_f32_e32 v22, v19, v21
	;; [unrolled: 1-line block ×4, first 2 shown]
	v_add_f32_e32 v15, v19, v15
	v_add_f32_e32 v14, v14, v18
	;; [unrolled: 1-line block ×3, first 2 shown]
	v_sub_f32_e32 v19, v18, v20
	v_sub_f32_e32 v15, v15, v19
	v_add_f32_e32 v14, v14, v15
	v_add_f32_e32 v14, v18, v14
	v_cvt_f16_f32_e32 v14, v14
	v_add_f32_e32 v18, 1.0, v17
	v_cndmask_b32_e64 v14, v9, v14, s[0:1]
	v_cmp_ngt_f16_e64 s[0:1], -1.0, v3
	v_cndmask_b32_e64 v14, v10, v14, s[0:1]
	v_cmp_neq_f16_e64 s[0:1], -1.0, v3
	v_cndmask_b32_e64 v14, v11, v14, s[0:1]
	v_cndmask_b32_e32 v3, v14, v3, vcc
	v_add_f32_e32 v14, -1.0, v18
	v_sub_f32_e32 v15, v14, v18
	v_add_f32_e32 v15, 1.0, v15
	v_sub_f32_e32 v14, v17, v14
	v_add_f32_e32 v19, v14, v15
	v_frexp_mant_f32_e32 v14, v18
	v_cmp_gt_f32_e32 vcc, s20, v14
	v_cvt_f64_f32_e32 v[14:15], v18
	v_cmp_neq_f16_e64 s[0:1], s23, v16
	v_frexp_exp_i32_f64_e32 v14, v[14:15]
	v_subbrev_co_u32_e32 v14, vcc, 0, v14, vcc
	v_sub_u32_e32 v15, 0, v14
	v_ldexp_f32 v18, v18, v15
	v_ldexp_f32 v15, v19, v15
	v_add_f32_e32 v19, -1.0, v18
	v_add_f32_e32 v20, 1.0, v19
	v_sub_f32_e32 v20, v18, v20
	v_add_f32_e32 v20, v15, v20
	v_add_f32_e32 v21, v19, v20
	v_sub_f32_e32 v19, v21, v19
	v_sub_f32_e32 v19, v20, v19
	v_add_f32_e32 v20, 1.0, v18
	v_add_f32_e32 v22, -1.0, v20
	v_sub_f32_e32 v18, v18, v22
	v_add_f32_e32 v15, v15, v18
	v_add_f32_e32 v18, v20, v15
	v_sub_f32_e32 v20, v18, v20
	v_sub_f32_e32 v15, v15, v20
	v_rcp_f32_e32 v20, v18
	v_cvt_f32_i32_e32 v14, v14
	v_cmp_lt_f32_e64 vcc, |v17|, s22
	v_cvt_f32_f16_e32 v17, v4
	v_mul_f32_e32 v22, v21, v20
	v_mul_f32_e32 v23, v18, v22
	v_fma_f32 v24, v22, v18, -v23
	v_fmac_f32_e32 v24, v22, v15
	v_add_f32_e32 v25, v23, v24
	v_sub_f32_e32 v26, v21, v25
	v_sub_f32_e32 v21, v21, v26
	;; [unrolled: 1-line block ×4, first 2 shown]
	v_add_f32_e32 v19, v19, v21
	v_sub_f32_e32 v21, v23, v24
	v_add_f32_e32 v19, v21, v19
	v_add_f32_e32 v21, v26, v19
	v_mul_f32_e32 v23, v20, v21
	v_mul_f32_e32 v24, v18, v23
	v_fma_f32 v18, v23, v18, -v24
	v_fmac_f32_e32 v18, v23, v15
	v_sub_f32_e32 v15, v26, v21
	v_add_f32_e32 v15, v19, v15
	v_add_f32_e32 v19, v24, v18
	v_sub_f32_e32 v25, v21, v19
	v_sub_f32_e32 v21, v21, v25
	;; [unrolled: 1-line block ×4, first 2 shown]
	v_add_f32_e32 v15, v15, v19
	v_sub_f32_e32 v18, v24, v18
	v_add_f32_e32 v15, v18, v15
	v_add_f32_e32 v18, v22, v23
	;; [unrolled: 1-line block ×3, first 2 shown]
	v_sub_f32_e32 v19, v18, v22
	v_mul_f32_e32 v15, v20, v15
	v_sub_f32_e32 v19, v23, v19
	v_add_f32_e32 v15, v19, v15
	v_mul_f32_e32 v22, 0x3f317218, v14
	v_add_f32_e32 v19, v18, v15
	v_fma_f32 v23, v14, s21, -v22
	v_mul_f32_e32 v20, v19, v19
	v_mov_b32_e32 v21, 0x3ecc95a3
	v_fmac_f32_e32 v23, 0xb102e308, v14
	v_sub_f32_e32 v14, v19, v18
	v_fmac_f32_e32 v21, 0x3e9b6dac, v20
	v_sub_f32_e32 v14, v15, v14
	v_add_f32_e32 v15, v22, v23
	v_fma_f32 v21, v20, v21, v8
	v_sub_f32_e32 v18, v15, v22
	v_ldexp_f32 v22, v19, 1
	v_mul_f32_e32 v19, v19, v20
	v_mul_f32_e32 v19, v19, v21
	v_add_f32_e32 v20, v22, v19
	v_sub_f32_e32 v21, v20, v22
	v_ldexp_f32 v14, v14, 1
	v_sub_f32_e32 v19, v19, v21
	v_add_f32_e32 v14, v14, v19
	v_add_f32_e32 v19, v20, v14
	v_sub_f32_e32 v20, v19, v20
	v_sub_f32_e32 v14, v14, v20
	v_add_f32_e32 v20, v15, v19
	v_sub_f32_e32 v21, v20, v15
	v_sub_f32_e32 v22, v20, v21
	;; [unrolled: 1-line block ×5, first 2 shown]
	v_add_f32_e32 v15, v19, v15
	v_add_f32_e32 v19, v18, v14
	v_sub_f32_e32 v21, v19, v18
	v_sub_f32_e32 v22, v19, v21
	;; [unrolled: 1-line block ×4, first 2 shown]
	v_add_f32_e32 v15, v19, v15
	v_add_f32_e32 v14, v14, v18
	;; [unrolled: 1-line block ×3, first 2 shown]
	v_sub_f32_e32 v19, v18, v20
	v_sub_f32_e32 v15, v15, v19
	v_add_f32_e32 v14, v14, v15
	v_add_f32_e32 v14, v18, v14
	v_cvt_f16_f32_e32 v14, v14
	v_add_f32_e32 v18, 1.0, v17
	v_cndmask_b32_e64 v14, v9, v14, s[0:1]
	v_cmp_ngt_f16_e64 s[0:1], -1.0, v16
	v_cndmask_b32_e64 v14, v10, v14, s[0:1]
	v_cmp_neq_f16_e64 s[0:1], -1.0, v16
	v_cndmask_b32_e64 v14, v11, v14, s[0:1]
	v_cndmask_b32_e32 v16, v14, v16, vcc
	v_add_f32_e32 v14, -1.0, v18
	v_sub_f32_e32 v15, v14, v18
	v_add_f32_e32 v15, 1.0, v15
	v_sub_f32_e32 v14, v17, v14
	v_add_f32_e32 v19, v14, v15
	v_frexp_mant_f32_e32 v14, v18
	v_cmp_gt_f32_e32 vcc, s20, v14
	v_cvt_f64_f32_e32 v[14:15], v18
	v_cmp_neq_f16_e64 s[0:1], s23, v4
	v_perm_b32 v3, v16, v3, s24
	v_frexp_exp_i32_f64_e32 v14, v[14:15]
	v_subbrev_co_u32_e32 v14, vcc, 0, v14, vcc
	v_sub_u32_e32 v15, 0, v14
	v_ldexp_f32 v18, v18, v15
	v_ldexp_f32 v15, v19, v15
	v_add_f32_e32 v19, -1.0, v18
	v_add_f32_e32 v20, 1.0, v19
	v_sub_f32_e32 v20, v18, v20
	v_add_f32_e32 v20, v15, v20
	v_add_f32_e32 v21, v19, v20
	v_sub_f32_e32 v19, v21, v19
	v_sub_f32_e32 v19, v20, v19
	v_add_f32_e32 v20, 1.0, v18
	v_add_f32_e32 v22, -1.0, v20
	v_sub_f32_e32 v18, v18, v22
	v_add_f32_e32 v15, v15, v18
	v_add_f32_e32 v18, v20, v15
	v_sub_f32_e32 v20, v18, v20
	v_sub_f32_e32 v15, v15, v20
	v_rcp_f32_e32 v20, v18
	v_cvt_f32_i32_e32 v14, v14
	v_cmp_lt_f32_e64 vcc, |v17|, s22
	v_cvt_f32_f16_e32 v17, v13
	v_mul_f32_e32 v22, v21, v20
	v_mul_f32_e32 v23, v18, v22
	v_fma_f32 v24, v22, v18, -v23
	v_fmac_f32_e32 v24, v22, v15
	v_add_f32_e32 v25, v23, v24
	v_sub_f32_e32 v26, v21, v25
	v_sub_f32_e32 v21, v21, v26
	;; [unrolled: 1-line block ×4, first 2 shown]
	v_add_f32_e32 v19, v19, v21
	v_sub_f32_e32 v21, v23, v24
	v_add_f32_e32 v19, v21, v19
	v_add_f32_e32 v21, v26, v19
	v_mul_f32_e32 v23, v20, v21
	v_mul_f32_e32 v24, v18, v23
	v_fma_f32 v18, v23, v18, -v24
	v_fmac_f32_e32 v18, v23, v15
	v_sub_f32_e32 v15, v26, v21
	v_add_f32_e32 v15, v19, v15
	v_add_f32_e32 v19, v24, v18
	v_sub_f32_e32 v25, v21, v19
	v_sub_f32_e32 v21, v21, v25
	;; [unrolled: 1-line block ×4, first 2 shown]
	v_add_f32_e32 v15, v15, v19
	v_sub_f32_e32 v18, v24, v18
	v_add_f32_e32 v15, v18, v15
	v_add_f32_e32 v18, v22, v23
	;; [unrolled: 1-line block ×3, first 2 shown]
	v_sub_f32_e32 v19, v18, v22
	v_mul_f32_e32 v15, v20, v15
	v_sub_f32_e32 v19, v23, v19
	v_add_f32_e32 v15, v19, v15
	v_mul_f32_e32 v22, 0x3f317218, v14
	v_add_f32_e32 v19, v18, v15
	v_fma_f32 v23, v14, s21, -v22
	v_mul_f32_e32 v20, v19, v19
	v_mov_b32_e32 v21, 0x3ecc95a3
	v_fmac_f32_e32 v23, 0xb102e308, v14
	v_sub_f32_e32 v14, v19, v18
	v_fmac_f32_e32 v21, 0x3e9b6dac, v20
	v_sub_f32_e32 v14, v15, v14
	v_add_f32_e32 v15, v22, v23
	v_fma_f32 v21, v20, v21, v8
	v_sub_f32_e32 v18, v15, v22
	v_ldexp_f32 v22, v19, 1
	v_mul_f32_e32 v19, v19, v20
	v_mul_f32_e32 v19, v19, v21
	v_add_f32_e32 v20, v22, v19
	v_sub_f32_e32 v21, v20, v22
	v_ldexp_f32 v14, v14, 1
	v_sub_f32_e32 v19, v19, v21
	v_add_f32_e32 v14, v14, v19
	v_add_f32_e32 v19, v20, v14
	v_sub_f32_e32 v20, v19, v20
	v_sub_f32_e32 v14, v14, v20
	v_add_f32_e32 v20, v15, v19
	v_sub_f32_e32 v21, v20, v15
	v_sub_f32_e32 v22, v20, v21
	v_sub_f32_e32 v18, v23, v18
	v_sub_f32_e32 v15, v15, v22
	v_sub_f32_e32 v19, v19, v21
	v_add_f32_e32 v15, v19, v15
	v_add_f32_e32 v19, v18, v14
	v_sub_f32_e32 v21, v19, v18
	v_sub_f32_e32 v22, v19, v21
	;; [unrolled: 1-line block ×4, first 2 shown]
	v_add_f32_e32 v15, v19, v15
	v_add_f32_e32 v14, v14, v18
	;; [unrolled: 1-line block ×3, first 2 shown]
	v_sub_f32_e32 v19, v18, v20
	v_sub_f32_e32 v15, v15, v19
	v_add_f32_e32 v14, v14, v15
	v_add_f32_e32 v14, v18, v14
	v_cvt_f16_f32_e32 v14, v14
	v_add_f32_e32 v18, 1.0, v17
	v_cndmask_b32_e64 v14, v9, v14, s[0:1]
	v_cmp_ngt_f16_e64 s[0:1], -1.0, v4
	v_cndmask_b32_e64 v14, v10, v14, s[0:1]
	v_cmp_neq_f16_e64 s[0:1], -1.0, v4
	v_cndmask_b32_e64 v14, v11, v14, s[0:1]
	v_cndmask_b32_e32 v4, v14, v4, vcc
	v_add_f32_e32 v14, -1.0, v18
	v_sub_f32_e32 v15, v14, v18
	v_add_f32_e32 v15, 1.0, v15
	v_sub_f32_e32 v14, v17, v14
	v_add_f32_e32 v19, v14, v15
	v_frexp_mant_f32_e32 v14, v18
	v_cmp_gt_f32_e32 vcc, s20, v14
	v_cvt_f64_f32_e32 v[14:15], v18
	v_cmp_neq_f16_e64 s[0:1], s23, v13
	v_frexp_exp_i32_f64_e32 v14, v[14:15]
	v_subbrev_co_u32_e32 v14, vcc, 0, v14, vcc
	v_sub_u32_e32 v15, 0, v14
	v_ldexp_f32 v18, v18, v15
	v_ldexp_f32 v15, v19, v15
	v_add_f32_e32 v19, -1.0, v18
	v_add_f32_e32 v20, 1.0, v19
	v_sub_f32_e32 v20, v18, v20
	v_add_f32_e32 v20, v15, v20
	v_add_f32_e32 v21, v19, v20
	v_sub_f32_e32 v19, v21, v19
	v_sub_f32_e32 v19, v20, v19
	v_add_f32_e32 v20, 1.0, v18
	v_add_f32_e32 v22, -1.0, v20
	v_sub_f32_e32 v18, v18, v22
	v_add_f32_e32 v15, v15, v18
	v_add_f32_e32 v18, v20, v15
	v_sub_f32_e32 v20, v18, v20
	v_sub_f32_e32 v15, v15, v20
	v_rcp_f32_e32 v20, v18
	v_cvt_f32_i32_e32 v14, v14
	v_cmp_lt_f32_e64 vcc, |v17|, s22
	v_mul_f32_e32 v22, v21, v20
	v_mul_f32_e32 v23, v18, v22
	v_fma_f32 v24, v22, v18, -v23
	v_fmac_f32_e32 v24, v22, v15
	v_add_f32_e32 v25, v23, v24
	v_sub_f32_e32 v26, v21, v25
	v_sub_f32_e32 v21, v21, v26
	v_sub_f32_e32 v23, v25, v23
	v_sub_f32_e32 v21, v21, v25
	v_add_f32_e32 v19, v19, v21
	v_sub_f32_e32 v21, v23, v24
	v_add_f32_e32 v19, v21, v19
	v_add_f32_e32 v21, v26, v19
	v_mul_f32_e32 v23, v20, v21
	v_mul_f32_e32 v24, v18, v23
	v_fma_f32 v18, v23, v18, -v24
	v_fmac_f32_e32 v18, v23, v15
	v_sub_f32_e32 v15, v26, v21
	v_add_f32_e32 v15, v19, v15
	v_add_f32_e32 v19, v24, v18
	v_sub_f32_e32 v25, v21, v19
	v_sub_f32_e32 v21, v21, v25
	;; [unrolled: 1-line block ×4, first 2 shown]
	v_add_f32_e32 v15, v15, v19
	v_sub_f32_e32 v18, v24, v18
	v_add_f32_e32 v15, v18, v15
	v_add_f32_e32 v18, v22, v23
	;; [unrolled: 1-line block ×3, first 2 shown]
	v_sub_f32_e32 v19, v18, v22
	v_mul_f32_e32 v15, v20, v15
	v_sub_f32_e32 v19, v23, v19
	v_add_f32_e32 v15, v19, v15
	v_mul_f32_e32 v22, 0x3f317218, v14
	v_add_f32_e32 v19, v18, v15
	v_fma_f32 v23, v14, s21, -v22
	v_mul_f32_e32 v20, v19, v19
	v_mov_b32_e32 v21, 0x3ecc95a3
	v_fmac_f32_e32 v23, 0xb102e308, v14
	v_sub_f32_e32 v14, v19, v18
	v_fmac_f32_e32 v21, 0x3e9b6dac, v20
	v_sub_f32_e32 v14, v15, v14
	v_add_f32_e32 v15, v22, v23
	v_fma_f32 v21, v20, v21, v8
	v_sub_f32_e32 v18, v15, v22
	v_ldexp_f32 v22, v19, 1
	v_mul_f32_e32 v19, v19, v20
	v_mul_f32_e32 v19, v19, v21
	v_add_f32_e32 v20, v22, v19
	v_sub_f32_e32 v21, v20, v22
	v_ldexp_f32 v14, v14, 1
	v_sub_f32_e32 v19, v19, v21
	v_add_f32_e32 v14, v14, v19
	v_add_f32_e32 v19, v20, v14
	v_sub_f32_e32 v20, v19, v20
	v_sub_f32_e32 v14, v14, v20
	v_add_f32_e32 v20, v15, v19
	v_sub_f32_e32 v21, v20, v15
	v_sub_f32_e32 v22, v20, v21
	;; [unrolled: 1-line block ×5, first 2 shown]
	v_add_f32_e32 v15, v19, v15
	v_add_f32_e32 v19, v18, v14
	v_sub_f32_e32 v21, v19, v18
	v_sub_f32_e32 v22, v19, v21
	;; [unrolled: 1-line block ×4, first 2 shown]
	v_add_f32_e32 v15, v19, v15
	v_add_f32_e32 v14, v14, v18
	;; [unrolled: 1-line block ×3, first 2 shown]
	v_sub_f32_e32 v19, v18, v20
	v_sub_f32_e32 v15, v15, v19
	v_add_f32_e32 v14, v14, v15
	v_add_f32_e32 v14, v18, v14
	v_cvt_f16_f32_e32 v14, v14
	v_cndmask_b32_e64 v14, v9, v14, s[0:1]
	v_cmp_ngt_f16_e64 s[0:1], -1.0, v13
	v_cndmask_b32_e64 v14, v10, v14, s[0:1]
	v_cmp_neq_f16_e64 s[0:1], -1.0, v13
	v_cndmask_b32_e64 v14, v11, v14, s[0:1]
	v_cndmask_b32_e32 v15, v14, v13, vcc
	v_add_co_u32_e32 v13, vcc, s2, v5
	v_addc_co_u32_e32 v14, vcc, v12, v6, vcc
	v_add_co_u32_e32 v1, vcc, s18, v1
	v_perm_b32 v4, v15, v4, s24
	v_addc_co_u32_e32 v2, vcc, 0, v2, vcc
	global_store_dwordx2 v[13:14], v[3:4], off
	v_lshlrev_b64 v[3:4], 2, v[1:2]
	v_add_co_u32_e32 v5, vcc, s19, v5
	v_addc_co_u32_e32 v6, vcc, 0, v6, vcc
	v_cmp_le_i64_e32 vcc, s[12:13], v[3:4]
	s_or_b64 s[16:17], vcc, s[16:17]
	s_andn2_b64 exec, exec, s[16:17]
	s_cbranch_execnz .LBB205_3
.LBB205_4:
	s_or_b64 exec, exec, s[14:15]
	s_mov_b64 s[0:1], 0
.LBB205_5:
	s_andn2_b64 vcc, exec, s[0:1]
	s_cbranch_vccnz .LBB205_25
; %bb.6:
	v_cmp_lt_i64_e64 s[0:1], s[10:11], 1
	s_and_b64 vcc, exec, s[0:1]
	s_cbranch_vccnz .LBB205_25
; %bb.7:
	v_mov_b32_e32 v1, 0x10000
	s_load_dword s4, s[4:5], 0xc5c
	v_mov_b32_e32 v2, 0
	v_cmp_lt_i64_e32 vcc, s[10:11], v[1:2]
	v_mov_b32_e32 v10, 0
	s_and_b64 s[0:1], vcc, exec
	v_cmp_lt_u64_e32 vcc, s[10:11], v[1:2]
	s_cselect_b32 s13, s11, 0
	s_cselect_b32 s12, s10, 0x10000
	s_waitcnt lgkmcnt(0)
	s_and_b32 s4, s4, 0xffff
	v_lshlrev_b32_e32 v9, 1, v0
	s_and_b64 s[0:1], vcc, exec
	v_mov_b32_e32 v2, s7
	v_add_co_u32_e32 v1, vcc, s6, v9
	v_mad_u64_u32 v[7:8], s[0:1], s4, 6, v[9:10]
	v_addc_co_u32_e32 v2, vcc, 0, v2, vcc
	v_mov_b32_e32 v4, s3
	v_add_co_u32_e32 v3, vcc, s2, v9
	v_addc_co_u32_e32 v4, vcc, 0, v4, vcc
	v_mov_b32_e32 v6, s7
	v_add_co_u32_e32 v5, vcc, s6, v7
	;; [unrolled: 3-line block ×3, first 2 shown]
	s_cselect_b32 s11, s11, 0
	s_cselect_b32 s10, s10, 0x10000
	s_lshl_b32 s18, s4, 2
	v_addc_co_u32_e32 v8, vcc, v10, v8, vcc
	v_add_co_u32_e32 v11, vcc, s18, v9
	v_addc_co_u32_e64 v12, s[0:1], 0, 0, vcc
	v_mov_b32_e32 v10, s7
	v_add_co_u32_e32 v9, vcc, s6, v11
	v_addc_co_u32_e32 v10, vcc, v10, v12, vcc
	v_mov_b32_e32 v13, s3
	v_add_co_u32_e32 v11, vcc, s2, v11
	v_addc_co_u32_e32 v12, vcc, v13, v12, vcc
	v_add_co_u32_e32 v13, vcc, s4, v0
	v_lshlrev_b32_e32 v17, 1, v13
	v_addc_co_u32_e64 v14, s[0:1], 0, 0, vcc
	v_mov_b32_e32 v16, s7
	v_add_co_u32_e32 v15, vcc, s6, v17
	v_addc_co_u32_e32 v16, vcc, 0, v16, vcc
	v_mov_b32_e32 v18, s3
	v_add_co_u32_e32 v17, vcc, s2, v17
	s_mul_i32 s16, s4, 3
	v_addc_co_u32_e32 v18, vcc, 0, v18, vcc
	s_lshl_b32 s5, s4, 1
	v_add_co_u32_e32 v19, vcc, s16, v0
	v_addc_co_u32_e64 v20, s[0:1], 0, 0, vcc
	v_add_co_u32_e32 v21, vcc, s5, v0
	s_lshl_b32 s19, s4, 3
	s_mov_b64 s[14:15], 0
	s_mov_b32 s20, 0x33800000
	s_mov_b32 s21, 0x3f2aaaab
	;; [unrolled: 1-line block ×3, first 2 shown]
	s_movk_i32 s23, 0x7c00
	v_addc_co_u32_e64 v22, s[0:1], 0, 0, vcc
	v_mov_b32_e32 v23, 0x3f2aaada
	v_mov_b32_e32 v24, 0x7c00
	;; [unrolled: 1-line block ×4, first 2 shown]
	s_branch .LBB205_9
.LBB205_8:                              ;   in Loop: Header=BB205_9 Depth=1
	s_or_b64 exec, exec, s[0:1]
	v_add_co_u32_e32 v1, vcc, s19, v1
	v_addc_co_u32_e32 v2, vcc, 0, v2, vcc
	v_add_co_u32_e32 v3, vcc, s19, v3
	v_addc_co_u32_e32 v4, vcc, 0, v4, vcc
	;; [unrolled: 2-line block ×6, first 2 shown]
	s_add_u32 s14, s14, s18
	v_add_co_u32_e32 v15, vcc, s19, v15
	s_waitcnt vmcnt(0)
	v_mov_b32_e32 v28, s13
	s_addc_u32 s15, s15, 0
	v_addc_co_u32_e32 v16, vcc, 0, v16, vcc
	v_mov_b32_e32 v27, s12
	v_cmp_ge_i64_e32 vcc, s[14:15], v[27:28]
	v_add_co_u32_e64 v17, s[0:1], s19, v17
	v_addc_co_u32_e64 v18, s[0:1], 0, v18, s[0:1]
	s_cbranch_vccnz .LBB205_25
.LBB205_9:                              ; =>This Inner Loop Header: Depth=1
	v_mov_b32_e32 v28, s15
	v_add_co_u32_e32 v27, vcc, s14, v0
	v_addc_co_u32_e32 v28, vcc, 0, v28, vcc
	v_cmp_gt_u64_e64 s[4:5], s[10:11], v[27:28]
	v_mov_b32_e32 v30, 0
	s_and_saveexec_b64 s[0:1], s[4:5]
	s_cbranch_execz .LBB205_11
; %bb.10:                               ;   in Loop: Header=BB205_9 Depth=1
	v_mov_b32_e32 v28, s9
	v_add_co_u32_e32 v27, vcc, s8, v1
	v_addc_co_u32_e32 v28, vcc, v2, v28, vcc
	global_load_ushort v30, v[27:28], off
.LBB205_11:                             ;   in Loop: Header=BB205_9 Depth=1
	s_or_b64 exec, exec, s[0:1]
	v_mov_b32_e32 v28, s15
	v_add_co_u32_e32 v27, vcc, s14, v13
	v_addc_co_u32_e32 v28, vcc, v14, v28, vcc
	v_cmp_gt_u64_e64 s[2:3], s[10:11], v[27:28]
	v_mov_b32_e32 v28, 0
	v_mov_b32_e32 v29, 0
	s_and_saveexec_b64 s[0:1], s[2:3]
	s_cbranch_execz .LBB205_13
; %bb.12:                               ;   in Loop: Header=BB205_9 Depth=1
	v_mov_b32_e32 v27, s9
	v_add_co_u32_e32 v31, vcc, s8, v15
	v_addc_co_u32_e32 v32, vcc, v16, v27, vcc
	global_load_ushort v29, v[31:32], off
.LBB205_13:                             ;   in Loop: Header=BB205_9 Depth=1
	s_or_b64 exec, exec, s[0:1]
	v_mov_b32_e32 v27, s15
	v_add_co_u32_e32 v31, vcc, s14, v21
	v_addc_co_u32_e32 v32, vcc, v22, v27, vcc
	v_cmp_gt_u64_e64 s[0:1], s[10:11], v[31:32]
	s_and_saveexec_b64 s[6:7], s[0:1]
	s_cbranch_execz .LBB205_15
; %bb.14:                               ;   in Loop: Header=BB205_9 Depth=1
	v_mov_b32_e32 v28, s9
	v_add_co_u32_e32 v27, vcc, s8, v9
	v_addc_co_u32_e32 v28, vcc, v10, v28, vcc
	global_load_ushort v28, v[27:28], off
.LBB205_15:                             ;   in Loop: Header=BB205_9 Depth=1
	s_or_b64 exec, exec, s[6:7]
	v_mov_b32_e32 v27, s15
	v_add_co_u32_e32 v31, vcc, s14, v19
	v_addc_co_u32_e32 v32, vcc, v20, v27, vcc
	v_cmp_gt_u64_e32 vcc, s[10:11], v[31:32]
	v_mov_b32_e32 v27, 0
	s_and_saveexec_b64 s[16:17], vcc
	s_cbranch_execnz .LBB205_20
; %bb.16:                               ;   in Loop: Header=BB205_9 Depth=1
	s_or_b64 exec, exec, s[16:17]
	s_and_saveexec_b64 s[6:7], s[4:5]
	s_cbranch_execnz .LBB205_21
.LBB205_17:                             ;   in Loop: Header=BB205_9 Depth=1
	s_or_b64 exec, exec, s[6:7]
	s_and_saveexec_b64 s[4:5], s[2:3]
	s_cbranch_execnz .LBB205_22
.LBB205_18:                             ;   in Loop: Header=BB205_9 Depth=1
	s_or_b64 exec, exec, s[4:5]
	s_and_saveexec_b64 s[2:3], s[0:1]
	s_cbranch_execnz .LBB205_23
.LBB205_19:                             ;   in Loop: Header=BB205_9 Depth=1
	s_or_b64 exec, exec, s[2:3]
	s_and_saveexec_b64 s[0:1], vcc
	s_cbranch_execz .LBB205_8
	s_branch .LBB205_24
.LBB205_20:                             ;   in Loop: Header=BB205_9 Depth=1
	v_mov_b32_e32 v27, s9
	v_add_co_u32_e64 v31, s[6:7], s8, v5
	v_addc_co_u32_e64 v32, s[6:7], v6, v27, s[6:7]
	global_load_ushort v27, v[31:32], off
	s_or_b64 exec, exec, s[16:17]
	s_and_saveexec_b64 s[6:7], s[4:5]
	s_cbranch_execz .LBB205_17
.LBB205_21:                             ;   in Loop: Header=BB205_9 Depth=1
	s_waitcnt vmcnt(0)
	v_cvt_f32_f16_e32 v33, v30
	v_add_f32_e32 v34, 1.0, v33
	v_cvt_f64_f32_e32 v[31:32], v34
	v_frexp_mant_f32_e32 v35, v34
	v_cmp_gt_f32_e64 s[4:5], s21, v35
	v_frexp_exp_i32_f64_e32 v31, v[31:32]
	v_add_f32_e32 v32, -1.0, v34
	v_sub_f32_e32 v36, v33, v32
	v_sub_f32_e32 v32, v32, v34
	v_add_f32_e32 v32, 1.0, v32
	v_add_f32_e32 v32, v36, v32
	v_subbrev_co_u32_e64 v31, s[4:5], 0, v31, s[4:5]
	v_cvt_f32_i32_e32 v35, v31
	v_sub_u32_e32 v31, 0, v31
	v_ldexp_f32 v34, v34, v31
	v_add_f32_e32 v36, 1.0, v34
	v_add_f32_e32 v38, -1.0, v36
	v_ldexp_f32 v31, v32, v31
	v_sub_f32_e32 v38, v34, v38
	v_add_f32_e32 v38, v31, v38
	v_add_f32_e32 v32, -1.0, v34
	v_add_f32_e32 v41, v36, v38
	v_add_f32_e32 v37, 1.0, v32
	v_rcp_f32_e32 v42, v41
	v_sub_f32_e32 v34, v34, v37
	v_add_f32_e32 v31, v31, v34
	v_add_f32_e32 v34, v32, v31
	v_mul_f32_e32 v37, v34, v42
	v_mul_f32_e32 v43, v41, v37
	v_sub_f32_e32 v36, v41, v36
	v_sub_f32_e32 v36, v38, v36
	v_fma_f32 v38, v37, v41, -v43
	v_fmac_f32_e32 v38, v37, v36
	v_add_f32_e32 v44, v43, v38
	v_sub_f32_e32 v45, v34, v44
	v_sub_f32_e32 v32, v34, v32
	;; [unrolled: 1-line block ×7, first 2 shown]
	v_add_f32_e32 v31, v31, v32
	v_add_f32_e32 v31, v38, v31
	;; [unrolled: 1-line block ×3, first 2 shown]
	v_mul_f32_e32 v34, v42, v32
	v_mul_f32_e32 v43, v41, v34
	v_add_f32_e32 v38, v37, v34
	v_fma_f32 v41, v34, v41, -v43
	v_sub_f32_e32 v37, v38, v37
	v_fmac_f32_e32 v41, v34, v36
	v_sub_f32_e32 v37, v34, v37
	v_add_f32_e32 v34, v43, v41
	v_sub_f32_e32 v36, v32, v34
	v_sub_f32_e32 v43, v34, v43
	;; [unrolled: 1-line block ×5, first 2 shown]
	v_add_f32_e32 v31, v31, v43
	v_sub_f32_e32 v32, v32, v34
	v_add_f32_e32 v31, v31, v32
	v_add_f32_e32 v31, v41, v31
	v_add_f32_e32 v31, v36, v31
	v_mul_f32_e32 v31, v42, v31
	v_add_f32_e32 v31, v37, v31
	v_add_f32_e32 v32, v38, v31
	v_mul_f32_e32 v36, v32, v32
	v_mov_b32_e32 v41, 0x3ecc95a3
	v_fmac_f32_e32 v41, 0x3e9b6dac, v36
	v_mul_f32_e32 v37, v32, v36
	v_fma_f32 v36, v36, v41, v23
	v_ldexp_f32 v34, v32, 1
	v_mul_f32_e32 v36, v37, v36
	v_add_f32_e32 v37, v34, v36
	v_sub_f32_e32 v32, v32, v38
	v_mul_f32_e32 v39, 0x3f317218, v35
	v_sub_f32_e32 v31, v31, v32
	v_sub_f32_e32 v32, v37, v34
	v_fma_f32 v40, v35, s22, -v39
	v_ldexp_f32 v31, v31, 1
	v_sub_f32_e32 v32, v36, v32
	v_fmac_f32_e32 v40, 0xb102e308, v35
	v_add_f32_e32 v31, v31, v32
	v_add_f32_e32 v35, v39, v40
	;; [unrolled: 1-line block ×4, first 2 shown]
	v_sub_f32_e32 v38, v34, v35
	v_sub_f32_e32 v36, v35, v39
	;; [unrolled: 1-line block ×8, first 2 shown]
	v_add_f32_e32 v37, v36, v31
	v_add_f32_e32 v32, v32, v35
	;; [unrolled: 1-line block ×3, first 2 shown]
	v_sub_f32_e32 v38, v37, v36
	v_add_f32_e32 v35, v34, v32
	v_sub_f32_e32 v37, v37, v38
	v_sub_f32_e32 v31, v31, v38
	;; [unrolled: 1-line block ×4, first 2 shown]
	v_add_f32_e32 v31, v31, v36
	v_sub_f32_e32 v32, v32, v34
	v_add_f32_e32 v31, v31, v32
	v_add_f32_e32 v31, v35, v31
	v_cvt_f16_f32_e32 v31, v31
	v_cmp_neq_f16_e64 s[4:5], s23, v30
	v_cndmask_b32_e64 v31, v24, v31, s[4:5]
	v_cmp_ngt_f16_e64 s[4:5], -1.0, v30
	v_cndmask_b32_e64 v31, v25, v31, s[4:5]
	v_cmp_neq_f16_e64 s[4:5], -1.0, v30
	v_cndmask_b32_e64 v31, v26, v31, s[4:5]
	v_cmp_lt_f32_e64 s[4:5], |v33|, s20
	v_cndmask_b32_e64 v32, v31, v30, s[4:5]
	v_mov_b32_e32 v31, s9
	v_add_co_u32_e64 v30, s[4:5], s8, v3
	v_addc_co_u32_e64 v31, s[4:5], v4, v31, s[4:5]
	global_store_short v[30:31], v32, off
	s_or_b64 exec, exec, s[6:7]
	s_and_saveexec_b64 s[4:5], s[2:3]
	s_cbranch_execz .LBB205_18
.LBB205_22:                             ;   in Loop: Header=BB205_9 Depth=1
	s_waitcnt vmcnt(0)
	v_cvt_f32_f16_e32 v32, v29
	v_add_f32_e32 v33, 1.0, v32
	v_cvt_f64_f32_e32 v[30:31], v33
	v_add_f32_e32 v34, -1.0, v33
	v_sub_f32_e32 v35, v34, v33
	v_sub_f32_e32 v34, v32, v34
	v_frexp_exp_i32_f64_e32 v30, v[30:31]
	v_frexp_mant_f32_e32 v31, v33
	v_cmp_gt_f32_e64 s[2:3], s21, v31
	v_add_f32_e32 v35, 1.0, v35
	v_add_f32_e32 v34, v34, v35
	v_subbrev_co_u32_e64 v30, s[2:3], 0, v30, s[2:3]
	v_sub_u32_e32 v31, 0, v30
	v_ldexp_f32 v33, v33, v31
	v_ldexp_f32 v31, v34, v31
	v_add_f32_e32 v34, -1.0, v33
	v_add_f32_e32 v35, 1.0, v33
	v_add_f32_e32 v36, 1.0, v34
	v_add_f32_e32 v37, -1.0, v35
	v_sub_f32_e32 v36, v33, v36
	v_sub_f32_e32 v33, v33, v37
	v_add_f32_e32 v36, v31, v36
	v_add_f32_e32 v31, v31, v33
	;; [unrolled: 1-line block ×3, first 2 shown]
	v_rcp_f32_e32 v38, v37
	v_add_f32_e32 v33, v34, v36
	v_sub_f32_e32 v35, v37, v35
	v_sub_f32_e32 v34, v33, v34
	;; [unrolled: 1-line block ×3, first 2 shown]
	v_mul_f32_e32 v35, v33, v38
	v_sub_f32_e32 v34, v36, v34
	v_mul_f32_e32 v36, v37, v35
	v_fma_f32 v39, v35, v37, -v36
	v_fmac_f32_e32 v39, v35, v31
	v_add_f32_e32 v40, v36, v39
	v_sub_f32_e32 v41, v33, v40
	v_sub_f32_e32 v33, v33, v41
	;; [unrolled: 1-line block ×4, first 2 shown]
	v_add_f32_e32 v33, v34, v33
	v_sub_f32_e32 v34, v36, v39
	v_add_f32_e32 v33, v34, v33
	v_add_f32_e32 v34, v41, v33
	v_mul_f32_e32 v36, v38, v34
	v_mul_f32_e32 v39, v37, v36
	v_fma_f32 v37, v36, v37, -v39
	v_fmac_f32_e32 v37, v36, v31
	v_sub_f32_e32 v31, v41, v34
	v_add_f32_e32 v31, v33, v31
	v_add_f32_e32 v33, v39, v37
	v_sub_f32_e32 v40, v34, v33
	v_sub_f32_e32 v34, v34, v40
	;; [unrolled: 1-line block ×4, first 2 shown]
	v_add_f32_e32 v31, v31, v33
	v_sub_f32_e32 v33, v39, v37
	v_cvt_f32_i32_e32 v30, v30
	v_add_f32_e32 v31, v33, v31
	v_add_f32_e32 v33, v35, v36
	;; [unrolled: 1-line block ×3, first 2 shown]
	v_sub_f32_e32 v34, v33, v35
	v_mul_f32_e32 v31, v38, v31
	v_sub_f32_e32 v34, v36, v34
	v_add_f32_e32 v31, v34, v31
	v_mul_f32_e32 v37, 0x3f317218, v30
	v_add_f32_e32 v34, v33, v31
	v_fma_f32 v38, v30, s22, -v37
	v_mul_f32_e32 v35, v34, v34
	v_mov_b32_e32 v36, 0x3ecc95a3
	v_fmac_f32_e32 v38, 0xb102e308, v30
	v_sub_f32_e32 v30, v34, v33
	v_fmac_f32_e32 v36, 0x3e9b6dac, v35
	v_sub_f32_e32 v30, v31, v30
	v_add_f32_e32 v31, v37, v38
	v_fma_f32 v36, v35, v36, v23
	v_sub_f32_e32 v33, v31, v37
	v_ldexp_f32 v37, v34, 1
	v_mul_f32_e32 v34, v34, v35
	v_mul_f32_e32 v34, v34, v36
	v_add_f32_e32 v35, v37, v34
	v_sub_f32_e32 v36, v35, v37
	v_ldexp_f32 v30, v30, 1
	v_sub_f32_e32 v34, v34, v36
	v_add_f32_e32 v30, v30, v34
	v_add_f32_e32 v34, v35, v30
	v_sub_f32_e32 v35, v34, v35
	v_sub_f32_e32 v30, v30, v35
	v_add_f32_e32 v35, v31, v34
	v_sub_f32_e32 v36, v35, v31
	v_sub_f32_e32 v37, v35, v36
	;; [unrolled: 1-line block ×5, first 2 shown]
	v_add_f32_e32 v31, v34, v31
	v_add_f32_e32 v34, v33, v30
	v_sub_f32_e32 v36, v34, v33
	v_sub_f32_e32 v37, v34, v36
	;; [unrolled: 1-line block ×4, first 2 shown]
	v_add_f32_e32 v31, v34, v31
	v_add_f32_e32 v30, v30, v33
	;; [unrolled: 1-line block ×3, first 2 shown]
	v_sub_f32_e32 v34, v33, v35
	v_sub_f32_e32 v31, v31, v34
	v_add_f32_e32 v30, v30, v31
	v_add_f32_e32 v30, v33, v30
	v_cvt_f16_f32_e32 v30, v30
	v_cmp_neq_f16_e64 s[2:3], s23, v29
	v_cndmask_b32_e64 v30, v24, v30, s[2:3]
	v_cmp_ngt_f16_e64 s[2:3], -1.0, v29
	v_cndmask_b32_e64 v30, v25, v30, s[2:3]
	v_cmp_neq_f16_e64 s[2:3], -1.0, v29
	v_cndmask_b32_e64 v30, v26, v30, s[2:3]
	v_cmp_lt_f32_e64 s[2:3], |v32|, s20
	v_cndmask_b32_e64 v31, v30, v29, s[2:3]
	v_mov_b32_e32 v30, s9
	v_add_co_u32_e64 v29, s[2:3], s8, v17
	v_addc_co_u32_e64 v30, s[2:3], v18, v30, s[2:3]
	global_store_short v[29:30], v31, off
	s_or_b64 exec, exec, s[4:5]
	s_and_saveexec_b64 s[2:3], s[0:1]
	s_cbranch_execz .LBB205_19
.LBB205_23:                             ;   in Loop: Header=BB205_9 Depth=1
	s_waitcnt vmcnt(0)
	v_cvt_f32_f16_e32 v31, v28
	v_add_f32_e32 v32, 1.0, v31
	v_cvt_f64_f32_e32 v[29:30], v32
	v_add_f32_e32 v33, -1.0, v32
	v_sub_f32_e32 v34, v33, v32
	v_sub_f32_e32 v33, v31, v33
	v_frexp_exp_i32_f64_e32 v29, v[29:30]
	v_frexp_mant_f32_e32 v30, v32
	v_cmp_gt_f32_e64 s[0:1], s21, v30
	v_add_f32_e32 v34, 1.0, v34
	v_add_f32_e32 v33, v33, v34
	v_subbrev_co_u32_e64 v29, s[0:1], 0, v29, s[0:1]
	v_sub_u32_e32 v30, 0, v29
	v_ldexp_f32 v32, v32, v30
	v_ldexp_f32 v30, v33, v30
	v_add_f32_e32 v33, -1.0, v32
	v_add_f32_e32 v34, 1.0, v32
	v_add_f32_e32 v35, 1.0, v33
	v_add_f32_e32 v36, -1.0, v34
	v_sub_f32_e32 v35, v32, v35
	v_sub_f32_e32 v32, v32, v36
	v_add_f32_e32 v35, v30, v35
	v_add_f32_e32 v30, v30, v32
	;; [unrolled: 1-line block ×3, first 2 shown]
	v_rcp_f32_e32 v37, v36
	v_add_f32_e32 v32, v33, v35
	v_sub_f32_e32 v34, v36, v34
	v_sub_f32_e32 v33, v32, v33
	;; [unrolled: 1-line block ×3, first 2 shown]
	v_mul_f32_e32 v34, v32, v37
	v_sub_f32_e32 v33, v35, v33
	v_mul_f32_e32 v35, v36, v34
	v_fma_f32 v38, v34, v36, -v35
	v_fmac_f32_e32 v38, v34, v30
	v_add_f32_e32 v39, v35, v38
	v_sub_f32_e32 v40, v32, v39
	v_sub_f32_e32 v32, v32, v40
	v_sub_f32_e32 v35, v39, v35
	v_sub_f32_e32 v32, v32, v39
	v_add_f32_e32 v32, v33, v32
	v_sub_f32_e32 v33, v35, v38
	v_add_f32_e32 v32, v33, v32
	v_add_f32_e32 v33, v40, v32
	v_mul_f32_e32 v35, v37, v33
	v_mul_f32_e32 v38, v36, v35
	v_fma_f32 v36, v35, v36, -v38
	v_fmac_f32_e32 v36, v35, v30
	v_sub_f32_e32 v30, v40, v33
	v_add_f32_e32 v30, v32, v30
	v_add_f32_e32 v32, v38, v36
	v_sub_f32_e32 v39, v33, v32
	v_sub_f32_e32 v33, v33, v39
	;; [unrolled: 1-line block ×4, first 2 shown]
	v_add_f32_e32 v30, v30, v32
	v_sub_f32_e32 v32, v38, v36
	v_cvt_f32_i32_e32 v29, v29
	v_add_f32_e32 v30, v32, v30
	v_add_f32_e32 v32, v34, v35
	v_add_f32_e32 v30, v39, v30
	v_sub_f32_e32 v33, v32, v34
	v_mul_f32_e32 v30, v37, v30
	v_sub_f32_e32 v33, v35, v33
	v_add_f32_e32 v30, v33, v30
	v_mul_f32_e32 v36, 0x3f317218, v29
	v_add_f32_e32 v33, v32, v30
	v_fma_f32 v37, v29, s22, -v36
	v_mul_f32_e32 v34, v33, v33
	v_mov_b32_e32 v35, 0x3ecc95a3
	v_fmac_f32_e32 v37, 0xb102e308, v29
	v_sub_f32_e32 v29, v33, v32
	v_fmac_f32_e32 v35, 0x3e9b6dac, v34
	v_sub_f32_e32 v29, v30, v29
	v_add_f32_e32 v30, v36, v37
	v_fma_f32 v35, v34, v35, v23
	v_sub_f32_e32 v32, v30, v36
	v_ldexp_f32 v36, v33, 1
	v_mul_f32_e32 v33, v33, v34
	v_mul_f32_e32 v33, v33, v35
	v_add_f32_e32 v34, v36, v33
	v_sub_f32_e32 v35, v34, v36
	v_ldexp_f32 v29, v29, 1
	v_sub_f32_e32 v33, v33, v35
	v_add_f32_e32 v29, v29, v33
	v_add_f32_e32 v33, v34, v29
	v_sub_f32_e32 v34, v33, v34
	v_sub_f32_e32 v29, v29, v34
	v_add_f32_e32 v34, v30, v33
	v_sub_f32_e32 v35, v34, v30
	v_sub_f32_e32 v36, v34, v35
	;; [unrolled: 1-line block ×5, first 2 shown]
	v_add_f32_e32 v30, v33, v30
	v_add_f32_e32 v33, v32, v29
	v_sub_f32_e32 v35, v33, v32
	v_sub_f32_e32 v36, v33, v35
	;; [unrolled: 1-line block ×4, first 2 shown]
	v_add_f32_e32 v30, v33, v30
	v_add_f32_e32 v29, v29, v32
	v_add_f32_e32 v32, v34, v30
	v_sub_f32_e32 v33, v32, v34
	v_sub_f32_e32 v30, v30, v33
	v_add_f32_e32 v29, v29, v30
	v_add_f32_e32 v29, v32, v29
	v_cvt_f16_f32_e32 v29, v29
	v_cmp_neq_f16_e64 s[0:1], s23, v28
	v_cndmask_b32_e64 v29, v24, v29, s[0:1]
	v_cmp_ngt_f16_e64 s[0:1], -1.0, v28
	v_cndmask_b32_e64 v29, v25, v29, s[0:1]
	v_cmp_neq_f16_e64 s[0:1], -1.0, v28
	v_cndmask_b32_e64 v29, v26, v29, s[0:1]
	v_cmp_lt_f32_e64 s[0:1], |v31|, s20
	v_cndmask_b32_e64 v30, v29, v28, s[0:1]
	v_mov_b32_e32 v29, s9
	v_add_co_u32_e64 v28, s[0:1], s8, v11
	v_addc_co_u32_e64 v29, s[0:1], v12, v29, s[0:1]
	global_store_short v[28:29], v30, off
	s_or_b64 exec, exec, s[2:3]
	s_and_saveexec_b64 s[0:1], vcc
	s_cbranch_execz .LBB205_8
.LBB205_24:                             ;   in Loop: Header=BB205_9 Depth=1
	s_waitcnt vmcnt(0)
	v_cvt_f32_f16_e32 v30, v27
	v_add_f32_e32 v31, 1.0, v30
	v_cvt_f64_f32_e32 v[28:29], v31
	v_add_f32_e32 v32, -1.0, v31
	v_sub_f32_e32 v33, v32, v31
	v_sub_f32_e32 v32, v30, v32
	v_frexp_exp_i32_f64_e32 v28, v[28:29]
	v_frexp_mant_f32_e32 v29, v31
	v_cmp_gt_f32_e32 vcc, s21, v29
	v_add_f32_e32 v33, 1.0, v33
	v_add_f32_e32 v32, v32, v33
	v_subbrev_co_u32_e32 v28, vcc, 0, v28, vcc
	v_sub_u32_e32 v29, 0, v28
	v_ldexp_f32 v31, v31, v29
	v_ldexp_f32 v29, v32, v29
	v_add_f32_e32 v32, -1.0, v31
	v_add_f32_e32 v33, 1.0, v31
	v_add_f32_e32 v34, 1.0, v32
	v_add_f32_e32 v35, -1.0, v33
	v_sub_f32_e32 v34, v31, v34
	v_sub_f32_e32 v31, v31, v35
	v_add_f32_e32 v34, v29, v34
	v_add_f32_e32 v29, v29, v31
	;; [unrolled: 1-line block ×3, first 2 shown]
	v_rcp_f32_e32 v36, v35
	v_add_f32_e32 v31, v32, v34
	v_sub_f32_e32 v33, v35, v33
	v_sub_f32_e32 v32, v31, v32
	;; [unrolled: 1-line block ×3, first 2 shown]
	v_mul_f32_e32 v33, v31, v36
	v_sub_f32_e32 v32, v34, v32
	v_mul_f32_e32 v34, v35, v33
	v_fma_f32 v37, v33, v35, -v34
	v_fmac_f32_e32 v37, v33, v29
	v_add_f32_e32 v38, v34, v37
	v_sub_f32_e32 v39, v31, v38
	v_sub_f32_e32 v31, v31, v39
	;; [unrolled: 1-line block ×4, first 2 shown]
	v_add_f32_e32 v31, v32, v31
	v_sub_f32_e32 v32, v34, v37
	v_add_f32_e32 v31, v32, v31
	v_add_f32_e32 v32, v39, v31
	v_mul_f32_e32 v34, v36, v32
	v_mul_f32_e32 v37, v35, v34
	v_fma_f32 v35, v34, v35, -v37
	v_fmac_f32_e32 v35, v34, v29
	v_sub_f32_e32 v29, v39, v32
	v_add_f32_e32 v29, v31, v29
	v_add_f32_e32 v31, v37, v35
	v_sub_f32_e32 v38, v32, v31
	v_sub_f32_e32 v32, v32, v38
	;; [unrolled: 1-line block ×4, first 2 shown]
	v_add_f32_e32 v29, v29, v31
	v_sub_f32_e32 v31, v37, v35
	v_cvt_f32_i32_e32 v28, v28
	v_add_f32_e32 v29, v31, v29
	v_add_f32_e32 v31, v33, v34
	;; [unrolled: 1-line block ×3, first 2 shown]
	v_sub_f32_e32 v32, v31, v33
	v_mul_f32_e32 v29, v36, v29
	v_sub_f32_e32 v32, v34, v32
	v_add_f32_e32 v29, v32, v29
	v_mul_f32_e32 v35, 0x3f317218, v28
	v_add_f32_e32 v32, v31, v29
	v_fma_f32 v36, v28, s22, -v35
	v_mul_f32_e32 v33, v32, v32
	v_mov_b32_e32 v34, 0x3ecc95a3
	v_fmac_f32_e32 v36, 0xb102e308, v28
	v_sub_f32_e32 v28, v32, v31
	v_fmac_f32_e32 v34, 0x3e9b6dac, v33
	v_sub_f32_e32 v28, v29, v28
	v_add_f32_e32 v29, v35, v36
	v_fma_f32 v34, v33, v34, v23
	v_sub_f32_e32 v31, v29, v35
	v_ldexp_f32 v35, v32, 1
	v_mul_f32_e32 v32, v32, v33
	v_mul_f32_e32 v32, v32, v34
	v_add_f32_e32 v33, v35, v32
	v_sub_f32_e32 v34, v33, v35
	v_ldexp_f32 v28, v28, 1
	v_sub_f32_e32 v32, v32, v34
	v_add_f32_e32 v28, v28, v32
	v_add_f32_e32 v32, v33, v28
	v_sub_f32_e32 v33, v32, v33
	v_sub_f32_e32 v28, v28, v33
	v_add_f32_e32 v33, v29, v32
	v_sub_f32_e32 v34, v33, v29
	v_sub_f32_e32 v35, v33, v34
	;; [unrolled: 1-line block ×5, first 2 shown]
	v_add_f32_e32 v29, v32, v29
	v_add_f32_e32 v32, v31, v28
	v_sub_f32_e32 v34, v32, v31
	v_sub_f32_e32 v35, v32, v34
	;; [unrolled: 1-line block ×4, first 2 shown]
	v_add_f32_e32 v29, v32, v29
	v_add_f32_e32 v28, v28, v31
	;; [unrolled: 1-line block ×3, first 2 shown]
	v_sub_f32_e32 v32, v31, v33
	v_sub_f32_e32 v29, v29, v32
	v_add_f32_e32 v28, v28, v29
	v_add_f32_e32 v28, v31, v28
	v_cvt_f16_f32_e32 v28, v28
	v_cmp_neq_f16_e32 vcc, s23, v27
	v_cndmask_b32_e32 v28, v24, v28, vcc
	v_cmp_ngt_f16_e32 vcc, -1.0, v27
	v_cndmask_b32_e32 v28, v25, v28, vcc
	v_cmp_neq_f16_e32 vcc, -1.0, v27
	v_cndmask_b32_e32 v28, v26, v28, vcc
	v_cmp_lt_f32_e64 vcc, |v30|, s20
	v_cndmask_b32_e32 v29, v28, v27, vcc
	v_mov_b32_e32 v28, s9
	v_add_co_u32_e32 v27, vcc, s8, v7
	v_addc_co_u32_e32 v28, vcc, v8, v28, vcc
	global_store_short v[27:28], v29, off
	s_branch .LBB205_8
.LBB205_25:
	s_endpgm
	.section	.rodata,"a",@progbits
	.p2align	6, 0x0
	.amdhsa_kernel _ZN2at6native12_GLOBAL__N_125multi_tensor_apply_kernelINS1_18TensorListMetadataILi2EEENS1_14UnaryOpFunctorIN3c104HalfELi2ELi1ELi1EEEJNS0_5Log1pIfEEEEEvT_T0_DpT1_
		.amdhsa_group_segment_fixed_size 0
		.amdhsa_private_segment_fixed_size 0
		.amdhsa_kernarg_size 3408
		.amdhsa_user_sgpr_count 6
		.amdhsa_user_sgpr_private_segment_buffer 1
		.amdhsa_user_sgpr_dispatch_ptr 0
		.amdhsa_user_sgpr_queue_ptr 0
		.amdhsa_user_sgpr_kernarg_segment_ptr 1
		.amdhsa_user_sgpr_dispatch_id 0
		.amdhsa_user_sgpr_flat_scratch_init 0
		.amdhsa_user_sgpr_private_segment_size 0
		.amdhsa_uses_dynamic_stack 0
		.amdhsa_system_sgpr_private_segment_wavefront_offset 0
		.amdhsa_system_sgpr_workgroup_id_x 1
		.amdhsa_system_sgpr_workgroup_id_y 0
		.amdhsa_system_sgpr_workgroup_id_z 0
		.amdhsa_system_sgpr_workgroup_info 0
		.amdhsa_system_vgpr_workitem_id 0
		.amdhsa_next_free_vgpr 46
		.amdhsa_next_free_sgpr 25
		.amdhsa_reserve_vcc 1
		.amdhsa_reserve_flat_scratch 0
		.amdhsa_float_round_mode_32 0
		.amdhsa_float_round_mode_16_64 0
		.amdhsa_float_denorm_mode_32 3
		.amdhsa_float_denorm_mode_16_64 3
		.amdhsa_dx10_clamp 1
		.amdhsa_ieee_mode 1
		.amdhsa_fp16_overflow 0
		.amdhsa_exception_fp_ieee_invalid_op 0
		.amdhsa_exception_fp_denorm_src 0
		.amdhsa_exception_fp_ieee_div_zero 0
		.amdhsa_exception_fp_ieee_overflow 0
		.amdhsa_exception_fp_ieee_underflow 0
		.amdhsa_exception_fp_ieee_inexact 0
		.amdhsa_exception_int_div_zero 0
	.end_amdhsa_kernel
	.section	.text._ZN2at6native12_GLOBAL__N_125multi_tensor_apply_kernelINS1_18TensorListMetadataILi2EEENS1_14UnaryOpFunctorIN3c104HalfELi2ELi1ELi1EEEJNS0_5Log1pIfEEEEEvT_T0_DpT1_,"axG",@progbits,_ZN2at6native12_GLOBAL__N_125multi_tensor_apply_kernelINS1_18TensorListMetadataILi2EEENS1_14UnaryOpFunctorIN3c104HalfELi2ELi1ELi1EEEJNS0_5Log1pIfEEEEEvT_T0_DpT1_,comdat
.Lfunc_end205:
	.size	_ZN2at6native12_GLOBAL__N_125multi_tensor_apply_kernelINS1_18TensorListMetadataILi2EEENS1_14UnaryOpFunctorIN3c104HalfELi2ELi1ELi1EEEJNS0_5Log1pIfEEEEEvT_T0_DpT1_, .Lfunc_end205-_ZN2at6native12_GLOBAL__N_125multi_tensor_apply_kernelINS1_18TensorListMetadataILi2EEENS1_14UnaryOpFunctorIN3c104HalfELi2ELi1ELi1EEEJNS0_5Log1pIfEEEEEvT_T0_DpT1_
                                        ; -- End function
	.set _ZN2at6native12_GLOBAL__N_125multi_tensor_apply_kernelINS1_18TensorListMetadataILi2EEENS1_14UnaryOpFunctorIN3c104HalfELi2ELi1ELi1EEEJNS0_5Log1pIfEEEEEvT_T0_DpT1_.num_vgpr, 46
	.set _ZN2at6native12_GLOBAL__N_125multi_tensor_apply_kernelINS1_18TensorListMetadataILi2EEENS1_14UnaryOpFunctorIN3c104HalfELi2ELi1ELi1EEEJNS0_5Log1pIfEEEEEvT_T0_DpT1_.num_agpr, 0
	.set _ZN2at6native12_GLOBAL__N_125multi_tensor_apply_kernelINS1_18TensorListMetadataILi2EEENS1_14UnaryOpFunctorIN3c104HalfELi2ELi1ELi1EEEJNS0_5Log1pIfEEEEEvT_T0_DpT1_.numbered_sgpr, 25
	.set _ZN2at6native12_GLOBAL__N_125multi_tensor_apply_kernelINS1_18TensorListMetadataILi2EEENS1_14UnaryOpFunctorIN3c104HalfELi2ELi1ELi1EEEJNS0_5Log1pIfEEEEEvT_T0_DpT1_.num_named_barrier, 0
	.set _ZN2at6native12_GLOBAL__N_125multi_tensor_apply_kernelINS1_18TensorListMetadataILi2EEENS1_14UnaryOpFunctorIN3c104HalfELi2ELi1ELi1EEEJNS0_5Log1pIfEEEEEvT_T0_DpT1_.private_seg_size, 0
	.set _ZN2at6native12_GLOBAL__N_125multi_tensor_apply_kernelINS1_18TensorListMetadataILi2EEENS1_14UnaryOpFunctorIN3c104HalfELi2ELi1ELi1EEEJNS0_5Log1pIfEEEEEvT_T0_DpT1_.uses_vcc, 1
	.set _ZN2at6native12_GLOBAL__N_125multi_tensor_apply_kernelINS1_18TensorListMetadataILi2EEENS1_14UnaryOpFunctorIN3c104HalfELi2ELi1ELi1EEEJNS0_5Log1pIfEEEEEvT_T0_DpT1_.uses_flat_scratch, 0
	.set _ZN2at6native12_GLOBAL__N_125multi_tensor_apply_kernelINS1_18TensorListMetadataILi2EEENS1_14UnaryOpFunctorIN3c104HalfELi2ELi1ELi1EEEJNS0_5Log1pIfEEEEEvT_T0_DpT1_.has_dyn_sized_stack, 0
	.set _ZN2at6native12_GLOBAL__N_125multi_tensor_apply_kernelINS1_18TensorListMetadataILi2EEENS1_14UnaryOpFunctorIN3c104HalfELi2ELi1ELi1EEEJNS0_5Log1pIfEEEEEvT_T0_DpT1_.has_recursion, 0
	.set _ZN2at6native12_GLOBAL__N_125multi_tensor_apply_kernelINS1_18TensorListMetadataILi2EEENS1_14UnaryOpFunctorIN3c104HalfELi2ELi1ELi1EEEJNS0_5Log1pIfEEEEEvT_T0_DpT1_.has_indirect_call, 0
	.section	.AMDGPU.csdata,"",@progbits
; Kernel info:
; codeLenInByte = 5648
; TotalNumSgprs: 29
; NumVgprs: 46
; ScratchSize: 0
; MemoryBound: 0
; FloatMode: 240
; IeeeMode: 1
; LDSByteSize: 0 bytes/workgroup (compile time only)
; SGPRBlocks: 3
; VGPRBlocks: 11
; NumSGPRsForWavesPerEU: 29
; NumVGPRsForWavesPerEU: 46
; Occupancy: 5
; WaveLimiterHint : 0
; COMPUTE_PGM_RSRC2:SCRATCH_EN: 0
; COMPUTE_PGM_RSRC2:USER_SGPR: 6
; COMPUTE_PGM_RSRC2:TRAP_HANDLER: 0
; COMPUTE_PGM_RSRC2:TGID_X_EN: 1
; COMPUTE_PGM_RSRC2:TGID_Y_EN: 0
; COMPUTE_PGM_RSRC2:TGID_Z_EN: 0
; COMPUTE_PGM_RSRC2:TIDIG_COMP_CNT: 0
	.section	.text._ZN2at6native12_GLOBAL__N_125multi_tensor_apply_kernelINS1_18TensorListMetadataILi2EEENS1_14UnaryOpFunctorIN3c108BFloat16ELi2ELi1ELi1EEEJNS0_5Log1pIfEEEEEvT_T0_DpT1_,"axG",@progbits,_ZN2at6native12_GLOBAL__N_125multi_tensor_apply_kernelINS1_18TensorListMetadataILi2EEENS1_14UnaryOpFunctorIN3c108BFloat16ELi2ELi1ELi1EEEJNS0_5Log1pIfEEEEEvT_T0_DpT1_,comdat
	.globl	_ZN2at6native12_GLOBAL__N_125multi_tensor_apply_kernelINS1_18TensorListMetadataILi2EEENS1_14UnaryOpFunctorIN3c108BFloat16ELi2ELi1ELi1EEEJNS0_5Log1pIfEEEEEvT_T0_DpT1_ ; -- Begin function _ZN2at6native12_GLOBAL__N_125multi_tensor_apply_kernelINS1_18TensorListMetadataILi2EEENS1_14UnaryOpFunctorIN3c108BFloat16ELi2ELi1ELi1EEEJNS0_5Log1pIfEEEEEvT_T0_DpT1_
	.p2align	8
	.type	_ZN2at6native12_GLOBAL__N_125multi_tensor_apply_kernelINS1_18TensorListMetadataILi2EEENS1_14UnaryOpFunctorIN3c108BFloat16ELi2ELi1ELi1EEEJNS0_5Log1pIfEEEEEvT_T0_DpT1_,@function
_ZN2at6native12_GLOBAL__N_125multi_tensor_apply_kernelINS1_18TensorListMetadataILi2EEENS1_14UnaryOpFunctorIN3c108BFloat16ELi2ELi1ELi1EEEJNS0_5Log1pIfEEEEEvT_T0_DpT1_: ; @_ZN2at6native12_GLOBAL__N_125multi_tensor_apply_kernelINS1_18TensorListMetadataILi2EEENS1_14UnaryOpFunctorIN3c108BFloat16ELi2ELi1ELi1EEEJNS0_5Log1pIfEEEEEvT_T0_DpT1_
; %bb.0:
	v_mov_b32_e32 v1, s6
	global_load_ubyte v1, v1, s[4:5] offset:1536
	s_add_u32 s0, s4, s6
	s_mul_hi_u32 s1, s6, 3
	s_mul_i32 s6, s6, 3
	s_addc_u32 s2, s5, 0
	s_add_u32 s0, s0, s6
	s_addc_u32 s1, s2, s1
	s_load_dword s6, s[0:1], 0x740
	s_mov_b32 s11, 0
	s_mov_b32 s13, s11
	s_waitcnt vmcnt(0)
	v_readfirstlane_b32 s0, v1
	s_lshl_b32 s7, s0, 3
	s_load_dwordx2 s[14:15], s[4:5], s7 offset:0x400
	s_load_dwordx2 s[2:3], s[4:5], s7 offset:0x0
	s_load_dwordx2 s[0:1], s[4:5], s7 offset:0x200
	s_waitcnt lgkmcnt(0)
	s_ashr_i32 s7, s6, 31
	s_lshl_b64 s[8:9], s[6:7], 17
	s_lshl_b64 s[6:7], s[6:7], 16
	s_add_u32 s10, s2, s8
	s_and_b32 s12, s0, 7
	s_and_b32 s10, s10, 7
	s_sub_u32 s6, s14, s6
	s_subb_u32 s7, s15, s7
	s_and_b32 s14, s14, 3
	s_mov_b32 s15, s11
	s_or_b64 s[12:13], s[12:13], s[14:15]
	s_or_b64 s[10:11], s[12:13], s[10:11]
	s_cmp_eq_u64 s[10:11], 0
	s_mov_b64 s[10:11], -1
	s_cbranch_scc0 .LBB206_5
; %bb.1:
	v_mov_b32_e32 v1, 0x10000
	v_mov_b32_e32 v2, 0
	v_cmp_lt_i64_e32 vcc, s[6:7], v[1:2]
	v_mov_b32_e32 v2, 0
	s_and_b64 s[10:11], vcc, exec
	s_cselect_b32 s11, s7, 0
	s_cselect_b32 s10, s6, 0x10000
	v_lshlrev_b32_e32 v1, 2, v0
	v_cmp_gt_i64_e32 vcc, s[10:11], v[1:2]
	s_and_saveexec_b64 s[12:13], vcc
	s_cbranch_execz .LBB206_4
; %bb.2:
	s_load_dword s14, s[4:5], 0xc5c
	v_mov_b32_e32 v1, v2
	v_lshlrev_b32_e32 v2, 3, v0
	v_mov_b32_e32 v3, s9
	v_add_co_u32_e32 v5, vcc, s8, v2
	s_waitcnt lgkmcnt(0)
	s_and_b32 s16, s14, 0xffff
	v_mov_b32_e32 v2, v1
	v_addc_co_u32_e32 v6, vcc, 0, v3, vcc
	s_lshl_b32 s17, s16, 3
	s_mov_b64 s[14:15], 0
	v_mov_b32_e32 v7, s3
	s_mov_b32 s18, 0x3f2aaaab
	v_mov_b32_e32 v8, 0x3f2aaada
	s_mov_b32 s19, 0x3f317218
	s_mov_b32 s20, 0x7f800000
	v_mov_b32_e32 v9, 0x7f800000
	v_mov_b32_e32 v10, 0x7fc00000
	;; [unrolled: 1-line block ×3, first 2 shown]
	s_mov_b32 s21, 0x33800000
	s_movk_i32 s22, 0x7fff
	v_mov_b32_e32 v12, s1
	v_mov_b32_e32 v13, 0x7fc0
	;; [unrolled: 1-line block ×3, first 2 shown]
.LBB206_3:                              ; =>This Inner Loop Header: Depth=1
	v_add_co_u32_e32 v3, vcc, s2, v5
	v_addc_co_u32_e32 v4, vcc, v7, v6, vcc
	global_load_dwordx2 v[3:4], v[3:4], off
	s_waitcnt vmcnt(0)
	v_lshlrev_b32_e32 v16, 16, v3
	v_add_f32_e32 v17, 1.0, v16
	v_add_f32_e32 v14, -1.0, v17
	v_sub_f32_e32 v15, v14, v17
	v_add_f32_e32 v15, 1.0, v15
	v_sub_f32_e32 v14, v16, v14
	v_add_f32_e32 v19, v14, v15
	v_frexp_mant_f32_e32 v14, v17
	v_cmp_gt_f32_e32 vcc, s18, v14
	v_cvt_f64_f32_e32 v[14:15], v17
	v_and_b32_e32 v18, 0xffff0000, v3
	v_alignbit_b32 v3, v4, v3, 16
	v_and_b32_e32 v3, 0xffff0000, v3
	v_frexp_exp_i32_f64_e32 v14, v[14:15]
	v_subbrev_co_u32_e32 v14, vcc, 0, v14, vcc
	v_sub_u32_e32 v15, 0, v14
	v_ldexp_f32 v17, v17, v15
	v_ldexp_f32 v15, v19, v15
	v_add_f32_e32 v19, -1.0, v17
	v_add_f32_e32 v20, 1.0, v19
	v_sub_f32_e32 v20, v17, v20
	v_add_f32_e32 v20, v15, v20
	v_add_f32_e32 v21, v19, v20
	v_sub_f32_e32 v19, v21, v19
	v_sub_f32_e32 v19, v20, v19
	v_add_f32_e32 v20, 1.0, v17
	v_add_f32_e32 v22, -1.0, v20
	v_sub_f32_e32 v17, v17, v22
	v_add_f32_e32 v15, v15, v17
	v_add_f32_e32 v17, v20, v15
	v_sub_f32_e32 v20, v17, v20
	v_sub_f32_e32 v15, v15, v20
	v_rcp_f32_e32 v20, v17
	v_cvt_f32_i32_e32 v14, v14
	v_cmp_neq_f32_e32 vcc, s20, v16
	v_mul_f32_e32 v22, v21, v20
	v_mul_f32_e32 v23, v17, v22
	v_fma_f32 v24, v22, v17, -v23
	v_fmac_f32_e32 v24, v22, v15
	v_add_f32_e32 v25, v23, v24
	v_sub_f32_e32 v26, v21, v25
	v_sub_f32_e32 v21, v21, v26
	;; [unrolled: 1-line block ×4, first 2 shown]
	v_add_f32_e32 v19, v19, v21
	v_sub_f32_e32 v21, v23, v24
	v_add_f32_e32 v19, v21, v19
	v_add_f32_e32 v21, v26, v19
	v_mul_f32_e32 v23, v20, v21
	v_mul_f32_e32 v24, v17, v23
	v_fma_f32 v17, v23, v17, -v24
	v_fmac_f32_e32 v17, v23, v15
	v_sub_f32_e32 v15, v26, v21
	v_add_f32_e32 v15, v19, v15
	v_add_f32_e32 v19, v24, v17
	v_sub_f32_e32 v25, v21, v19
	v_sub_f32_e32 v21, v21, v25
	v_sub_f32_e32 v24, v19, v24
	v_sub_f32_e32 v19, v21, v19
	v_add_f32_e32 v15, v15, v19
	v_sub_f32_e32 v17, v24, v17
	v_add_f32_e32 v15, v17, v15
	v_add_f32_e32 v17, v22, v23
	;; [unrolled: 1-line block ×3, first 2 shown]
	v_sub_f32_e32 v19, v17, v22
	v_mul_f32_e32 v15, v20, v15
	v_sub_f32_e32 v19, v23, v19
	v_add_f32_e32 v15, v19, v15
	v_mul_f32_e32 v22, 0x3f317218, v14
	v_add_f32_e32 v19, v17, v15
	v_fma_f32 v23, v14, s19, -v22
	v_mul_f32_e32 v20, v19, v19
	v_mov_b32_e32 v21, 0x3ecc95a3
	v_fmac_f32_e32 v23, 0xb102e308, v14
	v_sub_f32_e32 v14, v19, v17
	v_fmac_f32_e32 v21, 0x3e9b6dac, v20
	v_sub_f32_e32 v14, v15, v14
	v_add_f32_e32 v15, v22, v23
	v_fma_f32 v21, v20, v21, v8
	v_sub_f32_e32 v17, v15, v22
	v_ldexp_f32 v22, v19, 1
	v_mul_f32_e32 v19, v19, v20
	v_mul_f32_e32 v19, v19, v21
	v_add_f32_e32 v20, v22, v19
	v_sub_f32_e32 v21, v20, v22
	v_ldexp_f32 v14, v14, 1
	v_sub_f32_e32 v19, v19, v21
	v_add_f32_e32 v14, v14, v19
	v_add_f32_e32 v19, v20, v14
	v_sub_f32_e32 v20, v19, v20
	v_sub_f32_e32 v14, v14, v20
	v_add_f32_e32 v20, v15, v19
	v_sub_f32_e32 v21, v20, v15
	v_sub_f32_e32 v22, v20, v21
	;; [unrolled: 1-line block ×5, first 2 shown]
	v_add_f32_e32 v15, v19, v15
	v_add_f32_e32 v19, v17, v14
	v_sub_f32_e32 v21, v19, v17
	v_sub_f32_e32 v22, v19, v21
	;; [unrolled: 1-line block ×4, first 2 shown]
	v_add_f32_e32 v15, v19, v15
	v_add_f32_e32 v14, v14, v17
	;; [unrolled: 1-line block ×3, first 2 shown]
	v_sub_f32_e32 v19, v17, v20
	v_sub_f32_e32 v15, v15, v19
	v_add_f32_e32 v14, v14, v15
	v_add_f32_e32 v14, v17, v14
	v_cndmask_b32_e32 v14, v9, v14, vcc
	v_cmp_ngt_f32_e32 vcc, -1.0, v16
	v_cndmask_b32_e32 v14, v10, v14, vcc
	v_cmp_neq_f32_e32 vcc, -1.0, v16
	v_cndmask_b32_e32 v14, v11, v14, vcc
	v_cmp_lt_f32_e64 vcc, |v16|, s21
	v_add_f32_e32 v19, 1.0, v18
	v_cndmask_b32_e32 v14, v14, v16, vcc
	v_add_f32_e32 v16, -1.0, v19
	v_sub_f32_e32 v17, v16, v19
	v_add_f32_e32 v17, 1.0, v17
	v_sub_f32_e32 v16, v18, v16
	v_add_f32_e32 v20, v16, v17
	v_frexp_mant_f32_e32 v16, v19
	v_cmp_gt_f32_e32 vcc, s18, v16
	v_cvt_f64_f32_e32 v[16:17], v19
	v_bfe_u32 v15, v14, 16, 1
	v_add3_u32 v15, v14, v15, s22
	v_lshrrev_b32_e32 v15, 16, v15
	v_frexp_exp_i32_f64_e32 v16, v[16:17]
	v_subbrev_co_u32_e32 v16, vcc, 0, v16, vcc
	v_sub_u32_e32 v17, 0, v16
	v_ldexp_f32 v19, v19, v17
	v_ldexp_f32 v17, v20, v17
	v_add_f32_e32 v20, -1.0, v19
	v_add_f32_e32 v21, 1.0, v20
	v_sub_f32_e32 v21, v19, v21
	v_add_f32_e32 v21, v17, v21
	v_add_f32_e32 v22, v20, v21
	v_sub_f32_e32 v20, v22, v20
	v_sub_f32_e32 v20, v21, v20
	v_add_f32_e32 v21, 1.0, v19
	v_add_f32_e32 v23, -1.0, v21
	v_sub_f32_e32 v19, v19, v23
	v_add_f32_e32 v17, v17, v19
	v_add_f32_e32 v19, v21, v17
	v_sub_f32_e32 v21, v19, v21
	v_sub_f32_e32 v17, v17, v21
	v_rcp_f32_e32 v21, v19
	v_cvt_f32_i32_e32 v16, v16
	v_cmp_neq_f32_e32 vcc, s20, v18
	v_mul_f32_e32 v23, v22, v21
	v_mul_f32_e32 v24, v19, v23
	v_fma_f32 v25, v23, v19, -v24
	v_fmac_f32_e32 v25, v23, v17
	v_add_f32_e32 v26, v24, v25
	v_sub_f32_e32 v27, v22, v26
	v_sub_f32_e32 v22, v22, v27
	;; [unrolled: 1-line block ×4, first 2 shown]
	v_add_f32_e32 v20, v20, v22
	v_sub_f32_e32 v22, v24, v25
	v_add_f32_e32 v20, v22, v20
	v_add_f32_e32 v22, v27, v20
	v_mul_f32_e32 v24, v21, v22
	v_mul_f32_e32 v25, v19, v24
	v_fma_f32 v19, v24, v19, -v25
	v_fmac_f32_e32 v19, v24, v17
	v_sub_f32_e32 v17, v27, v22
	v_add_f32_e32 v17, v20, v17
	v_add_f32_e32 v20, v25, v19
	v_sub_f32_e32 v26, v22, v20
	v_sub_f32_e32 v22, v22, v26
	v_sub_f32_e32 v25, v20, v25
	v_sub_f32_e32 v20, v22, v20
	v_add_f32_e32 v17, v17, v20
	v_sub_f32_e32 v19, v25, v19
	v_add_f32_e32 v17, v19, v17
	v_add_f32_e32 v19, v23, v24
	;; [unrolled: 1-line block ×3, first 2 shown]
	v_sub_f32_e32 v20, v19, v23
	v_mul_f32_e32 v17, v21, v17
	v_sub_f32_e32 v20, v24, v20
	v_add_f32_e32 v17, v20, v17
	v_mul_f32_e32 v23, 0x3f317218, v16
	v_add_f32_e32 v20, v19, v17
	v_fma_f32 v24, v16, s19, -v23
	v_mul_f32_e32 v21, v20, v20
	v_mov_b32_e32 v22, 0x3ecc95a3
	v_fmac_f32_e32 v24, 0xb102e308, v16
	v_sub_f32_e32 v16, v20, v19
	v_fmac_f32_e32 v22, 0x3e9b6dac, v21
	v_sub_f32_e32 v16, v17, v16
	v_add_f32_e32 v17, v23, v24
	v_fma_f32 v22, v21, v22, v8
	v_sub_f32_e32 v19, v17, v23
	v_ldexp_f32 v23, v20, 1
	v_mul_f32_e32 v20, v20, v21
	v_mul_f32_e32 v20, v20, v22
	v_add_f32_e32 v21, v23, v20
	v_sub_f32_e32 v22, v21, v23
	v_ldexp_f32 v16, v16, 1
	v_sub_f32_e32 v20, v20, v22
	v_add_f32_e32 v16, v16, v20
	v_add_f32_e32 v20, v21, v16
	v_sub_f32_e32 v21, v20, v21
	v_sub_f32_e32 v16, v16, v21
	v_add_f32_e32 v21, v17, v20
	v_sub_f32_e32 v22, v21, v17
	v_sub_f32_e32 v23, v21, v22
	;; [unrolled: 1-line block ×5, first 2 shown]
	v_add_f32_e32 v17, v20, v17
	v_add_f32_e32 v20, v19, v16
	v_sub_f32_e32 v22, v20, v19
	v_sub_f32_e32 v23, v20, v22
	v_sub_f32_e32 v19, v19, v23
	v_sub_f32_e32 v16, v16, v22
	v_add_f32_e32 v17, v20, v17
	v_add_f32_e32 v16, v16, v19
	;; [unrolled: 1-line block ×3, first 2 shown]
	v_sub_f32_e32 v20, v19, v21
	v_sub_f32_e32 v17, v17, v20
	v_add_f32_e32 v16, v16, v17
	v_add_f32_e32 v16, v19, v16
	v_cndmask_b32_e32 v16, v9, v16, vcc
	v_cmp_ngt_f32_e32 vcc, -1.0, v18
	v_cndmask_b32_e32 v16, v10, v16, vcc
	v_cmp_neq_f32_e32 vcc, -1.0, v18
	v_cndmask_b32_e32 v16, v11, v16, vcc
	v_cmp_lt_f32_e64 vcc, |v18|, s21
	v_cndmask_b32_e32 v18, v16, v18, vcc
	v_bfe_u32 v16, v18, 16, 1
	v_add3_u32 v16, v18, v16, s22
	v_add_f32_e32 v20, 1.0, v3
	v_and_b32_e32 v19, 0xffff0000, v16
	v_add_f32_e32 v16, -1.0, v20
	v_sub_f32_e32 v17, v16, v20
	v_add_f32_e32 v17, 1.0, v17
	v_sub_f32_e32 v16, v3, v16
	v_add_f32_e32 v21, v16, v17
	v_frexp_mant_f32_e32 v16, v20
	v_cmp_gt_f32_e32 vcc, s18, v16
	v_cvt_f64_f32_e32 v[16:17], v20
	v_frexp_exp_i32_f64_e32 v16, v[16:17]
	v_subbrev_co_u32_e32 v16, vcc, 0, v16, vcc
	v_sub_u32_e32 v17, 0, v16
	v_ldexp_f32 v20, v20, v17
	v_ldexp_f32 v17, v21, v17
	v_add_f32_e32 v21, -1.0, v20
	v_add_f32_e32 v22, 1.0, v21
	v_sub_f32_e32 v22, v20, v22
	v_add_f32_e32 v22, v17, v22
	v_add_f32_e32 v23, v21, v22
	v_sub_f32_e32 v21, v23, v21
	v_sub_f32_e32 v21, v22, v21
	v_add_f32_e32 v22, 1.0, v20
	v_add_f32_e32 v24, -1.0, v22
	v_sub_f32_e32 v20, v20, v24
	v_add_f32_e32 v17, v17, v20
	v_add_f32_e32 v20, v22, v17
	v_sub_f32_e32 v22, v20, v22
	v_sub_f32_e32 v17, v17, v22
	v_rcp_f32_e32 v22, v20
	v_cvt_f32_i32_e32 v16, v16
	v_cmp_neq_f32_e32 vcc, s20, v3
	v_mul_f32_e32 v24, v23, v22
	v_mul_f32_e32 v25, v20, v24
	v_fma_f32 v26, v24, v20, -v25
	v_fmac_f32_e32 v26, v24, v17
	v_add_f32_e32 v27, v25, v26
	v_sub_f32_e32 v28, v23, v27
	v_sub_f32_e32 v23, v23, v28
	;; [unrolled: 1-line block ×4, first 2 shown]
	v_add_f32_e32 v21, v21, v23
	v_sub_f32_e32 v23, v25, v26
	v_add_f32_e32 v21, v23, v21
	v_add_f32_e32 v23, v28, v21
	v_mul_f32_e32 v25, v22, v23
	v_mul_f32_e32 v26, v20, v25
	v_fma_f32 v20, v25, v20, -v26
	v_fmac_f32_e32 v20, v25, v17
	v_sub_f32_e32 v17, v28, v23
	v_add_f32_e32 v17, v21, v17
	v_add_f32_e32 v21, v26, v20
	v_sub_f32_e32 v27, v23, v21
	v_sub_f32_e32 v23, v23, v27
	;; [unrolled: 1-line block ×4, first 2 shown]
	v_add_f32_e32 v17, v17, v21
	v_sub_f32_e32 v20, v26, v20
	v_add_f32_e32 v17, v20, v17
	v_add_f32_e32 v20, v24, v25
	;; [unrolled: 1-line block ×3, first 2 shown]
	v_sub_f32_e32 v21, v20, v24
	v_mul_f32_e32 v17, v22, v17
	v_sub_f32_e32 v21, v25, v21
	v_add_f32_e32 v17, v21, v17
	v_mul_f32_e32 v24, 0x3f317218, v16
	v_add_f32_e32 v21, v20, v17
	v_fma_f32 v25, v16, s19, -v24
	v_mul_f32_e32 v22, v21, v21
	v_mov_b32_e32 v23, 0x3ecc95a3
	v_fmac_f32_e32 v25, 0xb102e308, v16
	v_sub_f32_e32 v16, v21, v20
	v_fmac_f32_e32 v23, 0x3e9b6dac, v22
	v_sub_f32_e32 v16, v17, v16
	v_add_f32_e32 v17, v24, v25
	v_fma_f32 v23, v22, v23, v8
	v_sub_f32_e32 v20, v17, v24
	v_ldexp_f32 v24, v21, 1
	v_mul_f32_e32 v21, v21, v22
	v_mul_f32_e32 v21, v21, v23
	v_add_f32_e32 v22, v24, v21
	v_sub_f32_e32 v23, v22, v24
	v_ldexp_f32 v16, v16, 1
	v_sub_f32_e32 v21, v21, v23
	v_add_f32_e32 v16, v16, v21
	v_add_f32_e32 v21, v22, v16
	v_sub_f32_e32 v22, v21, v22
	v_sub_f32_e32 v16, v16, v22
	v_add_f32_e32 v22, v17, v21
	v_sub_f32_e32 v23, v22, v17
	v_sub_f32_e32 v24, v22, v23
	v_sub_f32_e32 v20, v25, v20
	v_sub_f32_e32 v17, v17, v24
	v_sub_f32_e32 v21, v21, v23
	v_add_f32_e32 v17, v21, v17
	v_add_f32_e32 v21, v20, v16
	v_sub_f32_e32 v23, v21, v20
	v_sub_f32_e32 v24, v21, v23
	;; [unrolled: 1-line block ×4, first 2 shown]
	v_add_f32_e32 v17, v21, v17
	v_add_f32_e32 v16, v16, v20
	;; [unrolled: 1-line block ×3, first 2 shown]
	v_sub_f32_e32 v21, v20, v22
	v_sub_f32_e32 v17, v17, v21
	v_add_f32_e32 v16, v16, v17
	v_add_f32_e32 v16, v20, v16
	v_cndmask_b32_e32 v16, v9, v16, vcc
	v_cmp_ngt_f32_e32 vcc, -1.0, v3
	v_cndmask_b32_e32 v16, v10, v16, vcc
	v_cmp_neq_f32_e32 vcc, -1.0, v3
	v_cndmask_b32_e32 v16, v11, v16, vcc
	v_cmp_lt_f32_e64 vcc, |v3|, s21
	v_cndmask_b32_e32 v16, v16, v3, vcc
	v_bfe_u32 v3, v16, 16, 1
	v_and_b32_e32 v20, 0xffff0000, v4
	v_add3_u32 v3, v16, v3, s22
	v_add_f32_e32 v21, 1.0, v20
	v_lshrrev_b32_e32 v17, 16, v3
	v_add_f32_e32 v3, -1.0, v21
	v_sub_f32_e32 v4, v3, v21
	v_add_f32_e32 v4, 1.0, v4
	v_sub_f32_e32 v3, v20, v3
	v_add_f32_e32 v22, v3, v4
	v_frexp_mant_f32_e32 v3, v21
	v_cmp_gt_f32_e32 vcc, s18, v3
	v_cvt_f64_f32_e32 v[3:4], v21
	v_frexp_exp_i32_f64_e32 v3, v[3:4]
	v_subbrev_co_u32_e32 v3, vcc, 0, v3, vcc
	v_sub_u32_e32 v4, 0, v3
	v_ldexp_f32 v21, v21, v4
	v_ldexp_f32 v4, v22, v4
	v_add_f32_e32 v22, -1.0, v21
	v_add_f32_e32 v23, 1.0, v22
	v_sub_f32_e32 v23, v21, v23
	v_add_f32_e32 v23, v4, v23
	v_add_f32_e32 v24, v22, v23
	v_sub_f32_e32 v22, v24, v22
	v_sub_f32_e32 v22, v23, v22
	v_add_f32_e32 v23, 1.0, v21
	v_add_f32_e32 v25, -1.0, v23
	v_sub_f32_e32 v21, v21, v25
	v_add_f32_e32 v4, v4, v21
	v_add_f32_e32 v21, v23, v4
	v_sub_f32_e32 v23, v21, v23
	v_sub_f32_e32 v4, v4, v23
	v_rcp_f32_e32 v23, v21
	v_cvt_f32_i32_e32 v3, v3
	v_cmp_neq_f32_e32 vcc, s20, v20
	v_mul_f32_e32 v25, v24, v23
	v_mul_f32_e32 v26, v21, v25
	v_fma_f32 v27, v25, v21, -v26
	v_fmac_f32_e32 v27, v25, v4
	v_add_f32_e32 v28, v26, v27
	v_sub_f32_e32 v29, v24, v28
	v_sub_f32_e32 v24, v24, v29
	;; [unrolled: 1-line block ×4, first 2 shown]
	v_add_f32_e32 v22, v22, v24
	v_sub_f32_e32 v24, v26, v27
	v_add_f32_e32 v22, v24, v22
	v_add_f32_e32 v24, v29, v22
	v_mul_f32_e32 v26, v23, v24
	v_mul_f32_e32 v27, v21, v26
	v_fma_f32 v21, v26, v21, -v27
	v_fmac_f32_e32 v21, v26, v4
	v_sub_f32_e32 v4, v29, v24
	v_add_f32_e32 v4, v22, v4
	v_add_f32_e32 v22, v27, v21
	v_sub_f32_e32 v28, v24, v22
	v_sub_f32_e32 v24, v24, v28
	;; [unrolled: 1-line block ×4, first 2 shown]
	v_add_f32_e32 v4, v4, v22
	v_sub_f32_e32 v21, v27, v21
	v_add_f32_e32 v4, v21, v4
	v_add_f32_e32 v21, v25, v26
	;; [unrolled: 1-line block ×3, first 2 shown]
	v_sub_f32_e32 v22, v21, v25
	v_mul_f32_e32 v4, v23, v4
	v_sub_f32_e32 v22, v26, v22
	v_add_f32_e32 v4, v22, v4
	v_mul_f32_e32 v25, 0x3f317218, v3
	v_add_f32_e32 v22, v21, v4
	v_fma_f32 v26, v3, s19, -v25
	v_mul_f32_e32 v23, v22, v22
	v_mov_b32_e32 v24, 0x3ecc95a3
	v_fmac_f32_e32 v26, 0xb102e308, v3
	v_sub_f32_e32 v3, v22, v21
	v_fmac_f32_e32 v24, 0x3e9b6dac, v23
	v_sub_f32_e32 v3, v4, v3
	v_add_f32_e32 v4, v25, v26
	v_fma_f32 v24, v23, v24, v8
	v_sub_f32_e32 v21, v4, v25
	v_ldexp_f32 v25, v22, 1
	v_mul_f32_e32 v22, v22, v23
	v_mul_f32_e32 v22, v22, v24
	v_add_f32_e32 v23, v25, v22
	v_sub_f32_e32 v24, v23, v25
	v_ldexp_f32 v3, v3, 1
	v_sub_f32_e32 v22, v22, v24
	v_add_f32_e32 v3, v3, v22
	v_add_f32_e32 v22, v23, v3
	v_sub_f32_e32 v23, v22, v23
	v_sub_f32_e32 v3, v3, v23
	v_add_f32_e32 v23, v4, v22
	v_sub_f32_e32 v24, v23, v4
	v_sub_f32_e32 v25, v23, v24
	;; [unrolled: 1-line block ×5, first 2 shown]
	v_add_f32_e32 v4, v22, v4
	v_add_f32_e32 v22, v21, v3
	v_sub_f32_e32 v24, v22, v21
	v_sub_f32_e32 v25, v22, v24
	;; [unrolled: 1-line block ×4, first 2 shown]
	v_add_f32_e32 v4, v22, v4
	v_add_f32_e32 v3, v3, v21
	;; [unrolled: 1-line block ×3, first 2 shown]
	v_sub_f32_e32 v22, v21, v23
	v_sub_f32_e32 v4, v4, v22
	v_add_f32_e32 v3, v3, v4
	v_add_f32_e32 v3, v21, v3
	v_cndmask_b32_e32 v3, v9, v3, vcc
	v_cmp_ngt_f32_e32 vcc, -1.0, v20
	v_cndmask_b32_e32 v3, v10, v3, vcc
	v_cmp_neq_f32_e32 vcc, -1.0, v20
	v_cndmask_b32_e32 v3, v11, v3, vcc
	v_cmp_lt_f32_e64 vcc, |v20|, s21
	v_cndmask_b32_e32 v20, v3, v20, vcc
	v_bfe_u32 v3, v20, 16, 1
	v_add3_u32 v21, v20, v3, s22
	v_add_co_u32_e32 v3, vcc, s0, v5
	v_addc_co_u32_e32 v4, vcc, v12, v6, vcc
	v_and_b32_e32 v21, 0xffff0000, v21
	v_cmp_o_f32_e32 vcc, v20, v20
	v_cndmask_b32_e32 v20, v10, v21, vcc
	v_cmp_o_f32_e32 vcc, v16, v16
	v_cndmask_b32_e32 v16, v13, v17, vcc
	v_cmp_o_f32_e32 vcc, v18, v18
	v_cndmask_b32_e32 v17, v10, v19, vcc
	v_cmp_o_f32_e32 vcc, v14, v14
	v_cndmask_b32_e32 v14, v13, v15, vcc
	v_or_b32_e32 v14, v14, v17
	v_add_co_u32_e32 v1, vcc, s16, v1
	v_or3_b32 v15, 0, v16, v20
	v_or3_b32 v14, v14, 0, 0
	v_addc_co_u32_e32 v2, vcc, 0, v2, vcc
	global_store_dwordx2 v[3:4], v[14:15], off
	v_lshlrev_b64 v[3:4], 2, v[1:2]
	v_add_co_u32_e32 v5, vcc, s17, v5
	v_addc_co_u32_e32 v6, vcc, 0, v6, vcc
	v_cmp_le_i64_e32 vcc, s[10:11], v[3:4]
	s_or_b64 s[14:15], vcc, s[14:15]
	s_andn2_b64 exec, exec, s[14:15]
	s_cbranch_execnz .LBB206_3
.LBB206_4:
	s_or_b64 exec, exec, s[12:13]
	s_mov_b64 s[10:11], 0
.LBB206_5:
	s_andn2_b64 vcc, exec, s[10:11]
	s_cbranch_vccnz .LBB206_25
; %bb.6:
	v_cmp_lt_i64_e64 s[10:11], s[6:7], 1
	s_and_b64 vcc, exec, s[10:11]
	s_cbranch_vccnz .LBB206_25
; %bb.7:
	v_mov_b32_e32 v1, 0x10000
	s_load_dword s12, s[4:5], 0xc5c
	v_mov_b32_e32 v2, 0
	v_cmp_lt_i64_e32 vcc, s[6:7], v[1:2]
	v_mov_b32_e32 v10, 0
	s_and_b64 s[4:5], vcc, exec
	v_cmp_lt_u64_e32 vcc, s[6:7], v[1:2]
	s_cselect_b32 s11, s7, 0
	s_cselect_b32 s10, s6, 0x10000
	s_waitcnt lgkmcnt(0)
	s_and_b32 s14, s12, 0xffff
	v_lshlrev_b32_e32 v9, 1, v0
	s_and_b64 s[4:5], vcc, exec
	v_mov_b32_e32 v2, s3
	v_add_co_u32_e32 v1, vcc, s2, v9
	v_mad_u64_u32 v[7:8], s[4:5], s14, 6, v[9:10]
	v_addc_co_u32_e32 v2, vcc, 0, v2, vcc
	v_mov_b32_e32 v4, s1
	v_add_co_u32_e32 v3, vcc, s0, v9
	v_addc_co_u32_e32 v4, vcc, 0, v4, vcc
	v_mov_b32_e32 v6, s3
	v_add_co_u32_e32 v5, vcc, s2, v7
	;; [unrolled: 3-line block ×3, first 2 shown]
	s_cselect_b32 s13, s7, 0
	s_cselect_b32 s12, s6, 0x10000
	s_lshl_b32 s18, s14, 2
	v_addc_co_u32_e32 v8, vcc, v10, v8, vcc
	v_add_co_u32_e32 v11, vcc, s18, v9
	v_addc_co_u32_e64 v12, s[4:5], 0, 0, vcc
	v_mov_b32_e32 v10, s3
	v_add_co_u32_e32 v9, vcc, s2, v11
	v_addc_co_u32_e32 v10, vcc, v10, v12, vcc
	v_mov_b32_e32 v13, s1
	v_add_co_u32_e32 v11, vcc, s0, v11
	v_addc_co_u32_e32 v12, vcc, v13, v12, vcc
	v_add_co_u32_e32 v13, vcc, s14, v0
	v_lshlrev_b32_e32 v17, 1, v13
	v_addc_co_u32_e64 v14, s[4:5], 0, 0, vcc
	v_mov_b32_e32 v16, s3
	v_add_co_u32_e32 v15, vcc, s2, v17
	v_addc_co_u32_e32 v16, vcc, 0, v16, vcc
	v_mov_b32_e32 v18, s1
	v_add_co_u32_e32 v17, vcc, s0, v17
	s_mul_i32 s7, s14, 3
	v_addc_co_u32_e32 v18, vcc, 0, v18, vcc
	s_lshl_b32 s6, s14, 1
	v_add_co_u32_e32 v19, vcc, s7, v0
	v_addc_co_u32_e64 v20, s[0:1], 0, 0, vcc
	v_add_co_u32_e32 v21, vcc, s6, v0
	s_lshl_b32 s19, s14, 3
	s_mov_b64 s[14:15], 0
	s_mov_b32 s20, 0x33800000
	s_mov_b32 s21, 0x3f2aaaab
	;; [unrolled: 1-line block ×4, first 2 shown]
	s_movk_i32 s24, 0x7fff
	v_addc_co_u32_e64 v22, s[0:1], 0, 0, vcc
	v_mov_b32_e32 v23, 0x3f2aaada
	v_mov_b32_e32 v24, 0x7f800000
	;; [unrolled: 1-line block ×5, first 2 shown]
	s_branch .LBB206_9
.LBB206_8:                              ;   in Loop: Header=BB206_9 Depth=1
	s_or_b64 exec, exec, s[2:3]
	v_add_co_u32_e32 v1, vcc, s19, v1
	v_addc_co_u32_e32 v2, vcc, 0, v2, vcc
	v_add_co_u32_e32 v3, vcc, s19, v3
	v_addc_co_u32_e32 v4, vcc, 0, v4, vcc
	;; [unrolled: 2-line block ×6, first 2 shown]
	s_add_u32 s14, s14, s18
	v_add_co_u32_e32 v15, vcc, s19, v15
	v_mov_b32_e32 v29, s11
	s_addc_u32 s15, s15, 0
	v_addc_co_u32_e32 v16, vcc, 0, v16, vcc
	v_mov_b32_e32 v28, s10
	v_cmp_ge_i64_e32 vcc, s[14:15], v[28:29]
	v_add_co_u32_e64 v17, s[0:1], s19, v17
	v_addc_co_u32_e64 v18, s[0:1], 0, v18, s[0:1]
	s_cbranch_vccnz .LBB206_25
.LBB206_9:                              ; =>This Inner Loop Header: Depth=1
	v_mov_b32_e32 v29, s15
	v_add_co_u32_e32 v28, vcc, s14, v0
	v_addc_co_u32_e32 v29, vcc, 0, v29, vcc
	v_cmp_gt_u64_e32 vcc, s[12:13], v[28:29]
	v_mov_b32_e32 v31, 0
	s_and_saveexec_b64 s[2:3], vcc
	s_cbranch_execz .LBB206_11
; %bb.10:                               ;   in Loop: Header=BB206_9 Depth=1
	v_mov_b32_e32 v29, s9
	v_add_co_u32_e64 v28, s[0:1], s8, v1
	v_addc_co_u32_e64 v29, s[0:1], v2, v29, s[0:1]
	global_load_ushort v28, v[28:29], off
	s_waitcnt vmcnt(0)
	v_lshlrev_b32_e32 v31, 16, v28
.LBB206_11:                             ;   in Loop: Header=BB206_9 Depth=1
	s_or_b64 exec, exec, s[2:3]
	v_mov_b32_e32 v29, s15
	v_add_co_u32_e64 v28, s[0:1], s14, v13
	v_addc_co_u32_e64 v29, s[0:1], v14, v29, s[0:1]
	v_cmp_gt_u64_e64 s[4:5], s[12:13], v[28:29]
	v_mov_b32_e32 v29, 0
	v_mov_b32_e32 v30, 0
	s_and_saveexec_b64 s[2:3], s[4:5]
	s_cbranch_execz .LBB206_13
; %bb.12:                               ;   in Loop: Header=BB206_9 Depth=1
	v_mov_b32_e32 v28, s9
	v_add_co_u32_e64 v32, s[0:1], s8, v15
	v_addc_co_u32_e64 v33, s[0:1], v16, v28, s[0:1]
	global_load_ushort v28, v[32:33], off
	s_waitcnt vmcnt(0)
	v_lshlrev_b32_e32 v30, 16, v28
.LBB206_13:                             ;   in Loop: Header=BB206_9 Depth=1
	s_or_b64 exec, exec, s[2:3]
	v_mov_b32_e32 v28, s15
	v_add_co_u32_e64 v32, s[0:1], s14, v21
	v_addc_co_u32_e64 v33, s[0:1], v22, v28, s[0:1]
	v_cmp_gt_u64_e64 s[2:3], s[12:13], v[32:33]
	s_and_saveexec_b64 s[6:7], s[2:3]
	s_cbranch_execz .LBB206_15
; %bb.14:                               ;   in Loop: Header=BB206_9 Depth=1
	v_mov_b32_e32 v29, s9
	v_add_co_u32_e64 v28, s[0:1], s8, v9
	v_addc_co_u32_e64 v29, s[0:1], v10, v29, s[0:1]
	global_load_ushort v28, v[28:29], off
	s_waitcnt vmcnt(0)
	v_lshlrev_b32_e32 v29, 16, v28
.LBB206_15:                             ;   in Loop: Header=BB206_9 Depth=1
	s_or_b64 exec, exec, s[6:7]
	v_mov_b32_e32 v28, s15
	v_add_co_u32_e64 v32, s[0:1], s14, v19
	v_addc_co_u32_e64 v33, s[0:1], v20, v28, s[0:1]
	v_cmp_gt_u64_e64 s[0:1], s[12:13], v[32:33]
	v_mov_b32_e32 v28, 0
	s_and_saveexec_b64 s[16:17], s[0:1]
	s_cbranch_execnz .LBB206_20
; %bb.16:                               ;   in Loop: Header=BB206_9 Depth=1
	s_or_b64 exec, exec, s[16:17]
	s_and_saveexec_b64 s[6:7], vcc
	s_cbranch_execnz .LBB206_21
.LBB206_17:                             ;   in Loop: Header=BB206_9 Depth=1
	s_or_b64 exec, exec, s[6:7]
	s_and_saveexec_b64 s[6:7], s[4:5]
	s_cbranch_execnz .LBB206_22
.LBB206_18:                             ;   in Loop: Header=BB206_9 Depth=1
	s_or_b64 exec, exec, s[6:7]
	s_and_saveexec_b64 s[4:5], s[2:3]
	s_cbranch_execnz .LBB206_23
.LBB206_19:                             ;   in Loop: Header=BB206_9 Depth=1
	s_or_b64 exec, exec, s[4:5]
	s_and_saveexec_b64 s[2:3], s[0:1]
	s_cbranch_execz .LBB206_8
	s_branch .LBB206_24
.LBB206_20:                             ;   in Loop: Header=BB206_9 Depth=1
	v_mov_b32_e32 v28, s9
	v_add_co_u32_e64 v32, s[6:7], s8, v5
	v_addc_co_u32_e64 v33, s[6:7], v6, v28, s[6:7]
	global_load_ushort v28, v[32:33], off
	s_waitcnt vmcnt(0)
	v_lshlrev_b32_e32 v28, 16, v28
	s_or_b64 exec, exec, s[16:17]
	s_and_saveexec_b64 s[6:7], vcc
	s_cbranch_execz .LBB206_17
.LBB206_21:                             ;   in Loop: Header=BB206_9 Depth=1
	v_add_f32_e32 v34, 1.0, v31
	v_cvt_f64_f32_e32 v[32:33], v34
	v_frexp_mant_f32_e32 v35, v34
	v_cmp_gt_f32_e32 vcc, s21, v35
	v_frexp_exp_i32_f64_e32 v32, v[32:33]
	v_add_f32_e32 v33, -1.0, v34
	v_sub_f32_e32 v36, v31, v33
	v_sub_f32_e32 v33, v33, v34
	v_add_f32_e32 v33, 1.0, v33
	v_add_f32_e32 v33, v36, v33
	v_subbrev_co_u32_e32 v32, vcc, 0, v32, vcc
	v_cvt_f32_i32_e32 v35, v32
	v_sub_u32_e32 v32, 0, v32
	v_ldexp_f32 v34, v34, v32
	v_add_f32_e32 v39, 1.0, v34
	v_add_f32_e32 v40, -1.0, v39
	v_ldexp_f32 v32, v33, v32
	v_sub_f32_e32 v40, v34, v40
	v_add_f32_e32 v40, v32, v40
	v_add_f32_e32 v33, -1.0, v34
	v_add_f32_e32 v41, v39, v40
	v_add_f32_e32 v36, 1.0, v33
	v_rcp_f32_e32 v42, v41
	v_sub_f32_e32 v34, v34, v36
	v_add_f32_e32 v32, v32, v34
	v_add_f32_e32 v34, v33, v32
	v_mul_f32_e32 v36, v34, v42
	v_mul_f32_e32 v43, v41, v36
	v_sub_f32_e32 v39, v41, v39
	v_sub_f32_e32 v39, v40, v39
	v_fma_f32 v40, v36, v41, -v43
	v_fmac_f32_e32 v40, v36, v39
	v_add_f32_e32 v44, v43, v40
	v_sub_f32_e32 v45, v34, v44
	v_sub_f32_e32 v33, v34, v33
	;; [unrolled: 1-line block ×7, first 2 shown]
	v_add_f32_e32 v32, v32, v33
	v_add_f32_e32 v32, v40, v32
	;; [unrolled: 1-line block ×3, first 2 shown]
	v_mul_f32_e32 v34, v42, v33
	v_mul_f32_e32 v43, v41, v34
	v_add_f32_e32 v40, v36, v34
	v_fma_f32 v41, v34, v41, -v43
	v_sub_f32_e32 v36, v40, v36
	v_fmac_f32_e32 v41, v34, v39
	v_sub_f32_e32 v36, v34, v36
	v_add_f32_e32 v34, v43, v41
	v_sub_f32_e32 v39, v33, v34
	v_sub_f32_e32 v43, v34, v43
	;; [unrolled: 1-line block ×5, first 2 shown]
	v_add_f32_e32 v32, v32, v43
	v_sub_f32_e32 v33, v33, v34
	v_add_f32_e32 v32, v32, v33
	v_add_f32_e32 v32, v41, v32
	;; [unrolled: 1-line block ×3, first 2 shown]
	v_mul_f32_e32 v32, v42, v32
	v_add_f32_e32 v32, v36, v32
	v_add_f32_e32 v33, v40, v32
	v_mul_f32_e32 v36, v33, v33
	v_mov_b32_e32 v41, 0x3ecc95a3
	v_fmac_f32_e32 v41, 0x3e9b6dac, v36
	v_mul_f32_e32 v39, v33, v36
	v_fma_f32 v36, v36, v41, v23
	v_ldexp_f32 v34, v33, 1
	v_mul_f32_e32 v36, v39, v36
	v_add_f32_e32 v39, v34, v36
	v_sub_f32_e32 v33, v33, v40
	v_mul_f32_e32 v37, 0x3f317218, v35
	v_sub_f32_e32 v32, v32, v33
	v_sub_f32_e32 v33, v39, v34
	v_fma_f32 v38, v35, s22, -v37
	v_ldexp_f32 v32, v32, 1
	v_sub_f32_e32 v33, v36, v33
	v_fmac_f32_e32 v38, 0xb102e308, v35
	v_add_f32_e32 v32, v32, v33
	v_add_f32_e32 v35, v37, v38
	;; [unrolled: 1-line block ×4, first 2 shown]
	v_sub_f32_e32 v36, v35, v37
	v_sub_f32_e32 v36, v38, v36
	;; [unrolled: 1-line block ×8, first 2 shown]
	v_add_f32_e32 v37, v36, v32
	v_add_f32_e32 v33, v33, v35
	;; [unrolled: 1-line block ×3, first 2 shown]
	v_sub_f32_e32 v38, v37, v36
	v_add_f32_e32 v35, v34, v33
	v_sub_f32_e32 v37, v37, v38
	v_sub_f32_e32 v32, v32, v38
	;; [unrolled: 1-line block ×4, first 2 shown]
	v_add_f32_e32 v32, v32, v36
	v_sub_f32_e32 v33, v33, v34
	v_add_f32_e32 v32, v32, v33
	v_add_f32_e32 v32, v35, v32
	v_cmp_neq_f32_e32 vcc, s23, v31
	v_cndmask_b32_e32 v32, v24, v32, vcc
	v_cmp_ngt_f32_e32 vcc, -1.0, v31
	v_cndmask_b32_e32 v32, v25, v32, vcc
	v_cmp_neq_f32_e32 vcc, -1.0, v31
	v_cndmask_b32_e32 v32, v26, v32, vcc
	v_cmp_lt_f32_e64 vcc, |v31|, s20
	v_cndmask_b32_e32 v31, v32, v31, vcc
	v_bfe_u32 v32, v31, 16, 1
	v_add3_u32 v32, v31, v32, s24
	v_cmp_o_f32_e32 vcc, v31, v31
	v_cndmask_b32_sdwa v33, v27, v32, vcc dst_sel:DWORD dst_unused:UNUSED_PAD src0_sel:DWORD src1_sel:WORD_1
	v_mov_b32_e32 v32, s9
	v_add_co_u32_e32 v31, vcc, s8, v3
	v_addc_co_u32_e32 v32, vcc, v4, v32, vcc
	global_store_short v[31:32], v33, off
	s_or_b64 exec, exec, s[6:7]
	s_and_saveexec_b64 s[6:7], s[4:5]
	s_cbranch_execz .LBB206_18
.LBB206_22:                             ;   in Loop: Header=BB206_9 Depth=1
	v_add_f32_e32 v33, 1.0, v30
	v_cvt_f64_f32_e32 v[31:32], v33
	v_add_f32_e32 v34, -1.0, v33
	v_sub_f32_e32 v35, v34, v33
	v_sub_f32_e32 v34, v30, v34
	v_frexp_exp_i32_f64_e32 v31, v[31:32]
	v_frexp_mant_f32_e32 v32, v33
	v_cmp_gt_f32_e32 vcc, s21, v32
	v_add_f32_e32 v35, 1.0, v35
	v_add_f32_e32 v34, v34, v35
	v_subbrev_co_u32_e32 v31, vcc, 0, v31, vcc
	v_sub_u32_e32 v32, 0, v31
	v_ldexp_f32 v33, v33, v32
	v_ldexp_f32 v32, v34, v32
	v_add_f32_e32 v34, -1.0, v33
	v_add_f32_e32 v35, 1.0, v33
	v_add_f32_e32 v36, 1.0, v34
	v_add_f32_e32 v38, -1.0, v35
	v_sub_f32_e32 v36, v33, v36
	v_sub_f32_e32 v33, v33, v38
	v_add_f32_e32 v36, v32, v36
	v_add_f32_e32 v32, v32, v33
	v_add_f32_e32 v33, v35, v32
	v_rcp_f32_e32 v38, v33
	v_add_f32_e32 v37, v34, v36
	v_sub_f32_e32 v35, v33, v35
	v_sub_f32_e32 v34, v37, v34
	;; [unrolled: 1-line block ×3, first 2 shown]
	v_mul_f32_e32 v35, v37, v38
	v_sub_f32_e32 v34, v36, v34
	v_mul_f32_e32 v36, v33, v35
	v_fma_f32 v39, v35, v33, -v36
	v_fmac_f32_e32 v39, v35, v32
	v_add_f32_e32 v40, v36, v39
	v_sub_f32_e32 v41, v37, v40
	v_sub_f32_e32 v37, v37, v41
	;; [unrolled: 1-line block ×4, first 2 shown]
	v_add_f32_e32 v34, v34, v37
	v_sub_f32_e32 v36, v36, v39
	v_add_f32_e32 v34, v36, v34
	v_add_f32_e32 v36, v41, v34
	v_mul_f32_e32 v37, v38, v36
	v_mul_f32_e32 v39, v33, v37
	v_fma_f32 v33, v37, v33, -v39
	v_fmac_f32_e32 v33, v37, v32
	v_sub_f32_e32 v32, v41, v36
	v_add_f32_e32 v32, v34, v32
	v_add_f32_e32 v34, v39, v33
	v_sub_f32_e32 v40, v36, v34
	v_sub_f32_e32 v36, v36, v40
	;; [unrolled: 1-line block ×4, first 2 shown]
	v_add_f32_e32 v32, v32, v34
	v_sub_f32_e32 v33, v39, v33
	v_cvt_f32_i32_e32 v31, v31
	v_add_f32_e32 v32, v33, v32
	v_add_f32_e32 v33, v35, v37
	;; [unrolled: 1-line block ×3, first 2 shown]
	v_sub_f32_e32 v34, v33, v35
	v_mul_f32_e32 v32, v38, v32
	v_sub_f32_e32 v34, v37, v34
	v_add_f32_e32 v32, v34, v32
	v_mul_f32_e32 v37, 0x3f317218, v31
	v_add_f32_e32 v34, v33, v32
	v_fma_f32 v38, v31, s22, -v37
	v_mul_f32_e32 v35, v34, v34
	v_mov_b32_e32 v36, 0x3ecc95a3
	v_fmac_f32_e32 v38, 0xb102e308, v31
	v_sub_f32_e32 v31, v34, v33
	v_fmac_f32_e32 v36, 0x3e9b6dac, v35
	v_sub_f32_e32 v31, v32, v31
	v_add_f32_e32 v32, v37, v38
	v_fma_f32 v36, v35, v36, v23
	v_sub_f32_e32 v33, v32, v37
	v_ldexp_f32 v37, v34, 1
	v_mul_f32_e32 v34, v34, v35
	v_mul_f32_e32 v34, v34, v36
	v_add_f32_e32 v35, v37, v34
	v_sub_f32_e32 v36, v35, v37
	v_ldexp_f32 v31, v31, 1
	v_sub_f32_e32 v34, v34, v36
	v_add_f32_e32 v31, v31, v34
	v_add_f32_e32 v34, v35, v31
	v_sub_f32_e32 v35, v34, v35
	v_sub_f32_e32 v31, v31, v35
	v_add_f32_e32 v35, v32, v34
	v_sub_f32_e32 v36, v35, v32
	v_sub_f32_e32 v37, v35, v36
	;; [unrolled: 1-line block ×5, first 2 shown]
	v_add_f32_e32 v32, v34, v32
	v_add_f32_e32 v34, v33, v31
	v_sub_f32_e32 v36, v34, v33
	v_sub_f32_e32 v37, v34, v36
	;; [unrolled: 1-line block ×4, first 2 shown]
	v_add_f32_e32 v32, v34, v32
	v_add_f32_e32 v31, v31, v33
	;; [unrolled: 1-line block ×3, first 2 shown]
	v_sub_f32_e32 v34, v33, v35
	v_sub_f32_e32 v32, v32, v34
	v_add_f32_e32 v31, v31, v32
	v_add_f32_e32 v31, v33, v31
	v_cmp_neq_f32_e32 vcc, s23, v30
	v_cndmask_b32_e32 v31, v24, v31, vcc
	v_cmp_ngt_f32_e32 vcc, -1.0, v30
	v_cndmask_b32_e32 v31, v25, v31, vcc
	v_cmp_neq_f32_e32 vcc, -1.0, v30
	v_cndmask_b32_e32 v31, v26, v31, vcc
	v_cmp_lt_f32_e64 vcc, |v30|, s20
	v_cndmask_b32_e32 v30, v31, v30, vcc
	v_bfe_u32 v31, v30, 16, 1
	v_add3_u32 v31, v30, v31, s24
	v_cmp_o_f32_e32 vcc, v30, v30
	v_cndmask_b32_sdwa v32, v27, v31, vcc dst_sel:DWORD dst_unused:UNUSED_PAD src0_sel:DWORD src1_sel:WORD_1
	v_mov_b32_e32 v31, s9
	v_add_co_u32_e32 v30, vcc, s8, v17
	v_addc_co_u32_e32 v31, vcc, v18, v31, vcc
	global_store_short v[30:31], v32, off
	s_or_b64 exec, exec, s[6:7]
	s_and_saveexec_b64 s[4:5], s[2:3]
	s_cbranch_execz .LBB206_19
.LBB206_23:                             ;   in Loop: Header=BB206_9 Depth=1
	v_add_f32_e32 v32, 1.0, v29
	v_cvt_f64_f32_e32 v[30:31], v32
	v_add_f32_e32 v33, -1.0, v32
	v_sub_f32_e32 v34, v33, v32
	v_sub_f32_e32 v33, v29, v33
	v_frexp_exp_i32_f64_e32 v30, v[30:31]
	v_frexp_mant_f32_e32 v31, v32
	v_cmp_gt_f32_e32 vcc, s21, v31
	v_add_f32_e32 v34, 1.0, v34
	v_add_f32_e32 v33, v33, v34
	v_subbrev_co_u32_e32 v30, vcc, 0, v30, vcc
	v_sub_u32_e32 v31, 0, v30
	v_ldexp_f32 v32, v32, v31
	v_ldexp_f32 v31, v33, v31
	v_add_f32_e32 v33, -1.0, v32
	v_add_f32_e32 v34, 1.0, v32
	v_add_f32_e32 v35, 1.0, v33
	v_add_f32_e32 v37, -1.0, v34
	v_sub_f32_e32 v35, v32, v35
	v_sub_f32_e32 v32, v32, v37
	v_add_f32_e32 v35, v31, v35
	v_add_f32_e32 v31, v31, v32
	;; [unrolled: 1-line block ×3, first 2 shown]
	v_rcp_f32_e32 v37, v32
	v_add_f32_e32 v36, v33, v35
	v_sub_f32_e32 v34, v32, v34
	v_sub_f32_e32 v33, v36, v33
	;; [unrolled: 1-line block ×3, first 2 shown]
	v_mul_f32_e32 v34, v36, v37
	v_sub_f32_e32 v33, v35, v33
	v_mul_f32_e32 v35, v32, v34
	v_fma_f32 v38, v34, v32, -v35
	v_fmac_f32_e32 v38, v34, v31
	v_add_f32_e32 v39, v35, v38
	v_sub_f32_e32 v40, v36, v39
	v_sub_f32_e32 v36, v36, v40
	;; [unrolled: 1-line block ×4, first 2 shown]
	v_add_f32_e32 v33, v33, v36
	v_sub_f32_e32 v35, v35, v38
	v_add_f32_e32 v33, v35, v33
	v_add_f32_e32 v35, v40, v33
	v_mul_f32_e32 v36, v37, v35
	v_mul_f32_e32 v38, v32, v36
	v_fma_f32 v32, v36, v32, -v38
	v_fmac_f32_e32 v32, v36, v31
	v_sub_f32_e32 v31, v40, v35
	v_add_f32_e32 v31, v33, v31
	v_add_f32_e32 v33, v38, v32
	v_sub_f32_e32 v39, v35, v33
	v_sub_f32_e32 v35, v35, v39
	;; [unrolled: 1-line block ×4, first 2 shown]
	v_add_f32_e32 v31, v31, v33
	v_sub_f32_e32 v32, v38, v32
	v_cvt_f32_i32_e32 v30, v30
	v_add_f32_e32 v31, v32, v31
	v_add_f32_e32 v32, v34, v36
	;; [unrolled: 1-line block ×3, first 2 shown]
	v_sub_f32_e32 v33, v32, v34
	v_mul_f32_e32 v31, v37, v31
	v_sub_f32_e32 v33, v36, v33
	v_add_f32_e32 v31, v33, v31
	v_mul_f32_e32 v36, 0x3f317218, v30
	v_add_f32_e32 v33, v32, v31
	v_fma_f32 v37, v30, s22, -v36
	v_mul_f32_e32 v34, v33, v33
	v_mov_b32_e32 v35, 0x3ecc95a3
	v_fmac_f32_e32 v37, 0xb102e308, v30
	v_sub_f32_e32 v30, v33, v32
	v_fmac_f32_e32 v35, 0x3e9b6dac, v34
	v_sub_f32_e32 v30, v31, v30
	v_add_f32_e32 v31, v36, v37
	v_fma_f32 v35, v34, v35, v23
	v_sub_f32_e32 v32, v31, v36
	v_ldexp_f32 v36, v33, 1
	v_mul_f32_e32 v33, v33, v34
	v_mul_f32_e32 v33, v33, v35
	v_add_f32_e32 v34, v36, v33
	v_sub_f32_e32 v35, v34, v36
	v_ldexp_f32 v30, v30, 1
	v_sub_f32_e32 v33, v33, v35
	v_add_f32_e32 v30, v30, v33
	v_add_f32_e32 v33, v34, v30
	v_sub_f32_e32 v34, v33, v34
	v_sub_f32_e32 v30, v30, v34
	v_add_f32_e32 v34, v31, v33
	v_sub_f32_e32 v35, v34, v31
	v_sub_f32_e32 v36, v34, v35
	;; [unrolled: 1-line block ×5, first 2 shown]
	v_add_f32_e32 v31, v33, v31
	v_add_f32_e32 v33, v32, v30
	v_sub_f32_e32 v35, v33, v32
	v_sub_f32_e32 v36, v33, v35
	;; [unrolled: 1-line block ×4, first 2 shown]
	v_add_f32_e32 v31, v33, v31
	v_add_f32_e32 v30, v30, v32
	;; [unrolled: 1-line block ×3, first 2 shown]
	v_sub_f32_e32 v33, v32, v34
	v_sub_f32_e32 v31, v31, v33
	v_add_f32_e32 v30, v30, v31
	v_add_f32_e32 v30, v32, v30
	v_cmp_neq_f32_e32 vcc, s23, v29
	v_cndmask_b32_e32 v30, v24, v30, vcc
	v_cmp_ngt_f32_e32 vcc, -1.0, v29
	v_cndmask_b32_e32 v30, v25, v30, vcc
	v_cmp_neq_f32_e32 vcc, -1.0, v29
	v_cndmask_b32_e32 v30, v26, v30, vcc
	v_cmp_lt_f32_e64 vcc, |v29|, s20
	v_cndmask_b32_e32 v29, v30, v29, vcc
	v_bfe_u32 v30, v29, 16, 1
	v_add3_u32 v30, v29, v30, s24
	v_cmp_o_f32_e32 vcc, v29, v29
	v_cndmask_b32_sdwa v31, v27, v30, vcc dst_sel:DWORD dst_unused:UNUSED_PAD src0_sel:DWORD src1_sel:WORD_1
	v_mov_b32_e32 v30, s9
	v_add_co_u32_e32 v29, vcc, s8, v11
	v_addc_co_u32_e32 v30, vcc, v12, v30, vcc
	global_store_short v[29:30], v31, off
	s_or_b64 exec, exec, s[4:5]
	s_and_saveexec_b64 s[2:3], s[0:1]
	s_cbranch_execz .LBB206_8
.LBB206_24:                             ;   in Loop: Header=BB206_9 Depth=1
	v_add_f32_e32 v31, 1.0, v28
	v_cvt_f64_f32_e32 v[29:30], v31
	v_add_f32_e32 v32, -1.0, v31
	v_sub_f32_e32 v33, v32, v31
	v_sub_f32_e32 v32, v28, v32
	v_frexp_exp_i32_f64_e32 v29, v[29:30]
	v_frexp_mant_f32_e32 v30, v31
	v_cmp_gt_f32_e32 vcc, s21, v30
	v_add_f32_e32 v33, 1.0, v33
	v_add_f32_e32 v32, v32, v33
	v_subbrev_co_u32_e32 v29, vcc, 0, v29, vcc
	v_sub_u32_e32 v30, 0, v29
	v_ldexp_f32 v31, v31, v30
	v_ldexp_f32 v30, v32, v30
	v_add_f32_e32 v32, -1.0, v31
	v_add_f32_e32 v33, 1.0, v31
	v_add_f32_e32 v34, 1.0, v32
	v_add_f32_e32 v36, -1.0, v33
	v_sub_f32_e32 v34, v31, v34
	v_sub_f32_e32 v31, v31, v36
	v_add_f32_e32 v34, v30, v34
	v_add_f32_e32 v30, v30, v31
	;; [unrolled: 1-line block ×3, first 2 shown]
	v_rcp_f32_e32 v36, v31
	v_add_f32_e32 v35, v32, v34
	v_sub_f32_e32 v33, v31, v33
	v_sub_f32_e32 v32, v35, v32
	;; [unrolled: 1-line block ×3, first 2 shown]
	v_mul_f32_e32 v33, v35, v36
	v_sub_f32_e32 v32, v34, v32
	v_mul_f32_e32 v34, v31, v33
	v_fma_f32 v37, v33, v31, -v34
	v_fmac_f32_e32 v37, v33, v30
	v_add_f32_e32 v38, v34, v37
	v_sub_f32_e32 v39, v35, v38
	v_sub_f32_e32 v35, v35, v39
	;; [unrolled: 1-line block ×4, first 2 shown]
	v_add_f32_e32 v32, v32, v35
	v_sub_f32_e32 v34, v34, v37
	v_add_f32_e32 v32, v34, v32
	v_add_f32_e32 v34, v39, v32
	v_mul_f32_e32 v35, v36, v34
	v_mul_f32_e32 v37, v31, v35
	v_fma_f32 v31, v35, v31, -v37
	v_fmac_f32_e32 v31, v35, v30
	v_sub_f32_e32 v30, v39, v34
	v_add_f32_e32 v30, v32, v30
	v_add_f32_e32 v32, v37, v31
	v_sub_f32_e32 v38, v34, v32
	v_sub_f32_e32 v34, v34, v38
	;; [unrolled: 1-line block ×4, first 2 shown]
	v_add_f32_e32 v30, v30, v32
	v_sub_f32_e32 v31, v37, v31
	v_cvt_f32_i32_e32 v29, v29
	v_add_f32_e32 v30, v31, v30
	v_add_f32_e32 v31, v33, v35
	v_add_f32_e32 v30, v38, v30
	v_sub_f32_e32 v32, v31, v33
	v_mul_f32_e32 v30, v36, v30
	v_sub_f32_e32 v32, v35, v32
	v_add_f32_e32 v30, v32, v30
	v_mul_f32_e32 v35, 0x3f317218, v29
	v_add_f32_e32 v32, v31, v30
	v_fma_f32 v36, v29, s22, -v35
	v_mul_f32_e32 v33, v32, v32
	v_mov_b32_e32 v34, 0x3ecc95a3
	v_fmac_f32_e32 v36, 0xb102e308, v29
	v_sub_f32_e32 v29, v32, v31
	v_fmac_f32_e32 v34, 0x3e9b6dac, v33
	v_sub_f32_e32 v29, v30, v29
	v_add_f32_e32 v30, v35, v36
	v_fma_f32 v34, v33, v34, v23
	v_sub_f32_e32 v31, v30, v35
	v_ldexp_f32 v35, v32, 1
	v_mul_f32_e32 v32, v32, v33
	v_mul_f32_e32 v32, v32, v34
	v_add_f32_e32 v33, v35, v32
	v_sub_f32_e32 v34, v33, v35
	v_ldexp_f32 v29, v29, 1
	v_sub_f32_e32 v32, v32, v34
	v_add_f32_e32 v29, v29, v32
	v_add_f32_e32 v32, v33, v29
	v_sub_f32_e32 v33, v32, v33
	v_sub_f32_e32 v29, v29, v33
	v_add_f32_e32 v33, v30, v32
	v_sub_f32_e32 v34, v33, v30
	v_sub_f32_e32 v35, v33, v34
	;; [unrolled: 1-line block ×5, first 2 shown]
	v_add_f32_e32 v30, v32, v30
	v_add_f32_e32 v32, v31, v29
	v_sub_f32_e32 v34, v32, v31
	v_sub_f32_e32 v35, v32, v34
	v_sub_f32_e32 v31, v31, v35
	v_sub_f32_e32 v29, v29, v34
	v_add_f32_e32 v30, v32, v30
	v_add_f32_e32 v29, v29, v31
	;; [unrolled: 1-line block ×3, first 2 shown]
	v_sub_f32_e32 v32, v31, v33
	v_sub_f32_e32 v30, v30, v32
	v_add_f32_e32 v29, v29, v30
	v_add_f32_e32 v29, v31, v29
	v_cmp_neq_f32_e32 vcc, s23, v28
	v_cndmask_b32_e32 v29, v24, v29, vcc
	v_cmp_ngt_f32_e32 vcc, -1.0, v28
	v_cndmask_b32_e32 v29, v25, v29, vcc
	v_cmp_neq_f32_e32 vcc, -1.0, v28
	v_cndmask_b32_e32 v29, v26, v29, vcc
	v_cmp_lt_f32_e64 vcc, |v28|, s20
	v_cndmask_b32_e32 v28, v29, v28, vcc
	v_bfe_u32 v29, v28, 16, 1
	v_add3_u32 v29, v28, v29, s24
	v_cmp_o_f32_e32 vcc, v28, v28
	v_cndmask_b32_sdwa v30, v27, v29, vcc dst_sel:DWORD dst_unused:UNUSED_PAD src0_sel:DWORD src1_sel:WORD_1
	v_mov_b32_e32 v29, s9
	v_add_co_u32_e32 v28, vcc, s8, v7
	v_addc_co_u32_e32 v29, vcc, v8, v29, vcc
	global_store_short v[28:29], v30, off
	s_branch .LBB206_8
.LBB206_25:
	s_endpgm
	.section	.rodata,"a",@progbits
	.p2align	6, 0x0
	.amdhsa_kernel _ZN2at6native12_GLOBAL__N_125multi_tensor_apply_kernelINS1_18TensorListMetadataILi2EEENS1_14UnaryOpFunctorIN3c108BFloat16ELi2ELi1ELi1EEEJNS0_5Log1pIfEEEEEvT_T0_DpT1_
		.amdhsa_group_segment_fixed_size 0
		.amdhsa_private_segment_fixed_size 0
		.amdhsa_kernarg_size 3408
		.amdhsa_user_sgpr_count 6
		.amdhsa_user_sgpr_private_segment_buffer 1
		.amdhsa_user_sgpr_dispatch_ptr 0
		.amdhsa_user_sgpr_queue_ptr 0
		.amdhsa_user_sgpr_kernarg_segment_ptr 1
		.amdhsa_user_sgpr_dispatch_id 0
		.amdhsa_user_sgpr_flat_scratch_init 0
		.amdhsa_user_sgpr_private_segment_size 0
		.amdhsa_uses_dynamic_stack 0
		.amdhsa_system_sgpr_private_segment_wavefront_offset 0
		.amdhsa_system_sgpr_workgroup_id_x 1
		.amdhsa_system_sgpr_workgroup_id_y 0
		.amdhsa_system_sgpr_workgroup_id_z 0
		.amdhsa_system_sgpr_workgroup_info 0
		.amdhsa_system_vgpr_workitem_id 0
		.amdhsa_next_free_vgpr 46
		.amdhsa_next_free_sgpr 25
		.amdhsa_reserve_vcc 1
		.amdhsa_reserve_flat_scratch 0
		.amdhsa_float_round_mode_32 0
		.amdhsa_float_round_mode_16_64 0
		.amdhsa_float_denorm_mode_32 3
		.amdhsa_float_denorm_mode_16_64 3
		.amdhsa_dx10_clamp 1
		.amdhsa_ieee_mode 1
		.amdhsa_fp16_overflow 0
		.amdhsa_exception_fp_ieee_invalid_op 0
		.amdhsa_exception_fp_denorm_src 0
		.amdhsa_exception_fp_ieee_div_zero 0
		.amdhsa_exception_fp_ieee_overflow 0
		.amdhsa_exception_fp_ieee_underflow 0
		.amdhsa_exception_fp_ieee_inexact 0
		.amdhsa_exception_int_div_zero 0
	.end_amdhsa_kernel
	.section	.text._ZN2at6native12_GLOBAL__N_125multi_tensor_apply_kernelINS1_18TensorListMetadataILi2EEENS1_14UnaryOpFunctorIN3c108BFloat16ELi2ELi1ELi1EEEJNS0_5Log1pIfEEEEEvT_T0_DpT1_,"axG",@progbits,_ZN2at6native12_GLOBAL__N_125multi_tensor_apply_kernelINS1_18TensorListMetadataILi2EEENS1_14UnaryOpFunctorIN3c108BFloat16ELi2ELi1ELi1EEEJNS0_5Log1pIfEEEEEvT_T0_DpT1_,comdat
.Lfunc_end206:
	.size	_ZN2at6native12_GLOBAL__N_125multi_tensor_apply_kernelINS1_18TensorListMetadataILi2EEENS1_14UnaryOpFunctorIN3c108BFloat16ELi2ELi1ELi1EEEJNS0_5Log1pIfEEEEEvT_T0_DpT1_, .Lfunc_end206-_ZN2at6native12_GLOBAL__N_125multi_tensor_apply_kernelINS1_18TensorListMetadataILi2EEENS1_14UnaryOpFunctorIN3c108BFloat16ELi2ELi1ELi1EEEJNS0_5Log1pIfEEEEEvT_T0_DpT1_
                                        ; -- End function
	.set _ZN2at6native12_GLOBAL__N_125multi_tensor_apply_kernelINS1_18TensorListMetadataILi2EEENS1_14UnaryOpFunctorIN3c108BFloat16ELi2ELi1ELi1EEEJNS0_5Log1pIfEEEEEvT_T0_DpT1_.num_vgpr, 46
	.set _ZN2at6native12_GLOBAL__N_125multi_tensor_apply_kernelINS1_18TensorListMetadataILi2EEENS1_14UnaryOpFunctorIN3c108BFloat16ELi2ELi1ELi1EEEJNS0_5Log1pIfEEEEEvT_T0_DpT1_.num_agpr, 0
	.set _ZN2at6native12_GLOBAL__N_125multi_tensor_apply_kernelINS1_18TensorListMetadataILi2EEENS1_14UnaryOpFunctorIN3c108BFloat16ELi2ELi1ELi1EEEJNS0_5Log1pIfEEEEEvT_T0_DpT1_.numbered_sgpr, 25
	.set _ZN2at6native12_GLOBAL__N_125multi_tensor_apply_kernelINS1_18TensorListMetadataILi2EEENS1_14UnaryOpFunctorIN3c108BFloat16ELi2ELi1ELi1EEEJNS0_5Log1pIfEEEEEvT_T0_DpT1_.num_named_barrier, 0
	.set _ZN2at6native12_GLOBAL__N_125multi_tensor_apply_kernelINS1_18TensorListMetadataILi2EEENS1_14UnaryOpFunctorIN3c108BFloat16ELi2ELi1ELi1EEEJNS0_5Log1pIfEEEEEvT_T0_DpT1_.private_seg_size, 0
	.set _ZN2at6native12_GLOBAL__N_125multi_tensor_apply_kernelINS1_18TensorListMetadataILi2EEENS1_14UnaryOpFunctorIN3c108BFloat16ELi2ELi1ELi1EEEJNS0_5Log1pIfEEEEEvT_T0_DpT1_.uses_vcc, 1
	.set _ZN2at6native12_GLOBAL__N_125multi_tensor_apply_kernelINS1_18TensorListMetadataILi2EEENS1_14UnaryOpFunctorIN3c108BFloat16ELi2ELi1ELi1EEEJNS0_5Log1pIfEEEEEvT_T0_DpT1_.uses_flat_scratch, 0
	.set _ZN2at6native12_GLOBAL__N_125multi_tensor_apply_kernelINS1_18TensorListMetadataILi2EEENS1_14UnaryOpFunctorIN3c108BFloat16ELi2ELi1ELi1EEEJNS0_5Log1pIfEEEEEvT_T0_DpT1_.has_dyn_sized_stack, 0
	.set _ZN2at6native12_GLOBAL__N_125multi_tensor_apply_kernelINS1_18TensorListMetadataILi2EEENS1_14UnaryOpFunctorIN3c108BFloat16ELi2ELi1ELi1EEEJNS0_5Log1pIfEEEEEvT_T0_DpT1_.has_recursion, 0
	.set _ZN2at6native12_GLOBAL__N_125multi_tensor_apply_kernelINS1_18TensorListMetadataILi2EEENS1_14UnaryOpFunctorIN3c108BFloat16ELi2ELi1ELi1EEEJNS0_5Log1pIfEEEEEvT_T0_DpT1_.has_indirect_call, 0
	.section	.AMDGPU.csdata,"",@progbits
; Kernel info:
; codeLenInByte = 5700
; TotalNumSgprs: 29
; NumVgprs: 46
; ScratchSize: 0
; MemoryBound: 0
; FloatMode: 240
; IeeeMode: 1
; LDSByteSize: 0 bytes/workgroup (compile time only)
; SGPRBlocks: 3
; VGPRBlocks: 11
; NumSGPRsForWavesPerEU: 29
; NumVGPRsForWavesPerEU: 46
; Occupancy: 5
; WaveLimiterHint : 0
; COMPUTE_PGM_RSRC2:SCRATCH_EN: 0
; COMPUTE_PGM_RSRC2:USER_SGPR: 6
; COMPUTE_PGM_RSRC2:TRAP_HANDLER: 0
; COMPUTE_PGM_RSRC2:TGID_X_EN: 1
; COMPUTE_PGM_RSRC2:TGID_Y_EN: 0
; COMPUTE_PGM_RSRC2:TGID_Z_EN: 0
; COMPUTE_PGM_RSRC2:TIDIG_COMP_CNT: 0
	.section	.text._ZN2at6native12_GLOBAL__N_125multi_tensor_apply_kernelINS1_18TensorListMetadataILi1EEENS1_14UnaryOpFunctorIdLi1ELi1ELi0EEEJNS0_5Log1pIdEEEEEvT_T0_DpT1_,"axG",@progbits,_ZN2at6native12_GLOBAL__N_125multi_tensor_apply_kernelINS1_18TensorListMetadataILi1EEENS1_14UnaryOpFunctorIdLi1ELi1ELi0EEEJNS0_5Log1pIdEEEEEvT_T0_DpT1_,comdat
	.globl	_ZN2at6native12_GLOBAL__N_125multi_tensor_apply_kernelINS1_18TensorListMetadataILi1EEENS1_14UnaryOpFunctorIdLi1ELi1ELi0EEEJNS0_5Log1pIdEEEEEvT_T0_DpT1_ ; -- Begin function _ZN2at6native12_GLOBAL__N_125multi_tensor_apply_kernelINS1_18TensorListMetadataILi1EEENS1_14UnaryOpFunctorIdLi1ELi1ELi0EEEJNS0_5Log1pIdEEEEEvT_T0_DpT1_
	.p2align	8
	.type	_ZN2at6native12_GLOBAL__N_125multi_tensor_apply_kernelINS1_18TensorListMetadataILi1EEENS1_14UnaryOpFunctorIdLi1ELi1ELi0EEEJNS0_5Log1pIdEEEEEvT_T0_DpT1_,@function
_ZN2at6native12_GLOBAL__N_125multi_tensor_apply_kernelINS1_18TensorListMetadataILi1EEENS1_14UnaryOpFunctorIdLi1ELi1ELi0EEEJNS0_5Log1pIdEEEEEvT_T0_DpT1_: ; @_ZN2at6native12_GLOBAL__N_125multi_tensor_apply_kernelINS1_18TensorListMetadataILi1EEENS1_14UnaryOpFunctorIdLi1ELi1ELi0EEEJNS0_5Log1pIdEEEEEvT_T0_DpT1_
; %bb.0:
	v_mov_b32_e32 v1, s6
	global_load_ubyte v1, v1, s[4:5] offset:1760
	s_add_u32 s0, s4, s6
	s_mul_hi_u32 s1, s6, 3
	s_mul_i32 s6, s6, 3
	s_addc_u32 s2, s5, 0
	s_add_u32 s0, s0, s6
	s_addc_u32 s1, s2, s1
	s_load_dword s0, s[0:1], 0x820
	s_mov_b32 s7, 0
	s_waitcnt vmcnt(0)
	v_readfirstlane_b32 s1, v1
	s_lshl_b32 s1, s1, 3
	s_load_dwordx2 s[2:3], s[4:5], s1 offset:0x370
	s_load_dwordx2 s[14:15], s[4:5], s1 offset:0x0
	s_waitcnt lgkmcnt(0)
	s_ashr_i32 s1, s0, 31
	s_lshl_b64 s[16:17], s[0:1], 19
	s_lshl_b64 s[0:1], s[0:1], 16
	s_and_b32 s6, s14, 31
	s_sub_u32 s18, s2, s0
	s_subb_u32 s19, s3, s1
	s_and_b32 s0, s2, 3
	s_mov_b32 s1, s7
	s_or_b64 s[0:1], s[6:7], s[0:1]
	s_cmp_eq_u64 s[0:1], 0
	s_cbranch_scc1 .LBB207_21
; %bb.1:
	v_cmp_lt_i64_e64 s[0:1], s[18:19], 1
	s_and_b64 vcc, exec, s[0:1]
	s_cbranch_vccnz .LBB207_20
; %bb.2:
	v_mov_b32_e32 v1, 0x10000
	s_load_dword s2, s[4:5], 0xd3c
	v_mov_b32_e32 v2, 0
	v_cmp_lt_i64_e32 vcc, s[18:19], v[1:2]
	s_mov_b32 s26, 0x55555555
	s_and_b64 s[0:1], vcc, exec
	v_cmp_lt_u64_e32 vcc, s[18:19], v[1:2]
	s_cselect_b32 s21, s19, 0
	s_cselect_b32 s20, s18, 0x10000
	s_waitcnt lgkmcnt(0)
	s_and_b32 s2, s2, 0xffff
	s_and_b64 s[0:1], vcc, exec
	s_cselect_b32 s23, s19, 0
	s_cselect_b32 s22, s18, 0x10000
	s_lshl_b32 s3, s2, 1
	s_lshl_b32 s33, s2, 2
	s_add_u32 s6, s14, s16
	v_lshlrev_b32_e32 v1, 3, v0
	s_addc_u32 s7, s15, s17
	v_mov_b32_e32 v2, s7
	v_add_co_u32_e32 v1, vcc, s6, v1
	s_mul_i32 s0, s2, 3
	v_addc_co_u32_e32 v2, vcc, 0, v2, vcc
	v_add_co_u32_e32 v15, vcc, s0, v0
	v_addc_co_u32_e64 v16, s[0:1], 0, 0, vcc
	v_add_co_u32_e32 v17, vcc, s3, v0
	v_addc_co_u32_e64 v18, s[0:1], 0, 0, vcc
	v_add_co_u32_e32 v19, vcc, s2, v0
	v_lshlrev_b32_e32 v3, 3, v19
	v_addc_co_u32_e64 v20, s[0:1], 0, 0, vcc
	v_mov_b32_e32 v4, s7
	v_add_co_u32_e32 v3, vcc, s6, v3
	s_mov_b32 s28, 0xfefa39ef
	s_mov_b32 s30, 0x3b39803f
	;; [unrolled: 1-line block ×8, first 2 shown]
	s_lshl_b32 s50, s2, 5
	s_mul_i32 s51, s2, 24
	s_lshl_b32 s52, s2, 4
	v_addc_co_u32_e32 v4, vcc, 0, v4, vcc
	s_mov_b64 s[24:25], 0
	s_mov_b32 s27, 0x3fe55555
	s_mov_b32 s29, 0x3fe62e42
	;; [unrolled: 1-line block ×10, first 2 shown]
	v_mov_b32_e32 v5, 0x6b47b09a
	v_mov_b32_e32 v6, 0x3fc38538
	;; [unrolled: 1-line block ×5, first 2 shown]
	s_branch .LBB207_4
.LBB207_3:                              ;   in Loop: Header=BB207_4 Depth=1
	s_or_b64 exec, exec, s[2:3]
	s_add_u32 s24, s24, s33
	v_add_co_u32_e32 v1, vcc, s50, v1
	s_waitcnt vmcnt(0)
	v_mov_b32_e32 v7, s20
	s_addc_u32 s25, s25, 0
	v_addc_co_u32_e32 v2, vcc, 0, v2, vcc
	v_mov_b32_e32 v8, s21
	v_cmp_lt_i64_e32 vcc, s[24:25], v[7:8]
	v_add_co_u32_e64 v3, s[0:1], s50, v3
	v_addc_co_u32_e64 v4, s[0:1], 0, v4, s[0:1]
	s_cbranch_vccz .LBB207_20
.LBB207_4:                              ; =>This Inner Loop Header: Depth=1
	v_mov_b32_e32 v8, s25
	v_add_co_u32_e32 v7, vcc, s24, v0
	v_addc_co_u32_e32 v8, vcc, 0, v8, vcc
	v_cmp_gt_u64_e64 s[6:7], s[22:23], v[7:8]
	v_mov_b32_e32 v11, 0
	v_mov_b32_e32 v13, 0
	v_mov_b32_e32 v12, 0
	v_mov_b32_e32 v14, 0
	s_and_saveexec_b64 s[0:1], s[6:7]
	s_cbranch_execz .LBB207_6
; %bb.5:                                ;   in Loop: Header=BB207_4 Depth=1
	global_load_dwordx2 v[13:14], v[1:2], off
.LBB207_6:                              ;   in Loop: Header=BB207_4 Depth=1
	s_or_b64 exec, exec, s[0:1]
	v_mov_b32_e32 v8, s25
	v_add_co_u32_e32 v7, vcc, s24, v19
	v_addc_co_u32_e32 v8, vcc, v20, v8, vcc
	v_cmp_gt_u64_e64 s[2:3], s[22:23], v[7:8]
	s_and_saveexec_b64 s[0:1], s[2:3]
	s_cbranch_execz .LBB207_8
; %bb.7:                                ;   in Loop: Header=BB207_4 Depth=1
	global_load_dwordx2 v[11:12], v[3:4], off
.LBB207_8:                              ;   in Loop: Header=BB207_4 Depth=1
	s_or_b64 exec, exec, s[0:1]
	v_mov_b32_e32 v8, s25
	v_add_co_u32_e32 v7, vcc, s24, v17
	v_addc_co_u32_e32 v8, vcc, v18, v8, vcc
	v_cmp_gt_u64_e64 s[0:1], s[22:23], v[7:8]
	v_mov_b32_e32 v7, 0
	v_mov_b32_e32 v9, 0
	v_mov_b32_e32 v8, 0
	v_mov_b32_e32 v10, 0
	s_and_saveexec_b64 s[8:9], s[0:1]
	s_cbranch_execz .LBB207_10
; %bb.9:                                ;   in Loop: Header=BB207_4 Depth=1
	v_add_co_u32_e32 v9, vcc, s52, v1
	v_addc_co_u32_e32 v10, vcc, 0, v2, vcc
	global_load_dwordx2 v[9:10], v[9:10], off
.LBB207_10:                             ;   in Loop: Header=BB207_4 Depth=1
	s_or_b64 exec, exec, s[8:9]
	v_mov_b32_e32 v25, s25
	v_add_co_u32_e32 v24, vcc, s24, v15
	v_addc_co_u32_e32 v25, vcc, v16, v25, vcc
	v_cmp_gt_u64_e32 vcc, s[22:23], v[24:25]
	s_and_saveexec_b64 s[10:11], vcc
	s_cbranch_execnz .LBB207_15
; %bb.11:                               ;   in Loop: Header=BB207_4 Depth=1
	s_or_b64 exec, exec, s[10:11]
	s_and_saveexec_b64 s[48:49], s[6:7]
	s_cbranch_execnz .LBB207_16
.LBB207_12:                             ;   in Loop: Header=BB207_4 Depth=1
	s_or_b64 exec, exec, s[48:49]
	s_and_saveexec_b64 s[8:9], s[2:3]
	s_cbranch_execnz .LBB207_17
.LBB207_13:                             ;   in Loop: Header=BB207_4 Depth=1
	s_or_b64 exec, exec, s[8:9]
	s_and_saveexec_b64 s[6:7], s[0:1]
	s_cbranch_execnz .LBB207_18
.LBB207_14:                             ;   in Loop: Header=BB207_4 Depth=1
	s_or_b64 exec, exec, s[6:7]
	s_and_saveexec_b64 s[2:3], vcc
	s_cbranch_execz .LBB207_3
	s_branch .LBB207_19
.LBB207_15:                             ;   in Loop: Header=BB207_4 Depth=1
	v_add_co_u32_e64 v7, s[8:9], s51, v1
	v_addc_co_u32_e64 v8, s[8:9], 0, v2, s[8:9]
	global_load_dwordx2 v[7:8], v[7:8], off
	s_or_b64 exec, exec, s[10:11]
	s_and_saveexec_b64 s[48:49], s[6:7]
	s_cbranch_execz .LBB207_12
.LBB207_16:                             ;   in Loop: Header=BB207_4 Depth=1
	s_waitcnt vmcnt(0)
	v_add_f64 v[24:25], v[13:14], 1.0
	s_mov_b32 s45, s27
	v_cmp_neq_f64_e64 s[8:9], s[46:47], v[13:14]
	v_cmp_ngt_f64_e64 s[10:11], -1.0, v[13:14]
	v_cmp_neq_f64_e64 s[12:13], -1.0, v[13:14]
	v_frexp_mant_f64_e32 v[26:27], v[24:25]
	v_frexp_exp_i32_f64_e32 v30, v[24:25]
	v_add_f64 v[28:29], v[24:25], -1.0
	v_cmp_gt_f64_e64 s[6:7], s[26:27], v[26:27]
	v_add_f64 v[26:27], v[28:29], -v[24:25]
	v_add_f64 v[28:29], v[13:14], -v[28:29]
	v_subbrev_co_u32_e64 v46, s[6:7], 0, v30, s[6:7]
	v_sub_u32_e32 v32, 0, v46
	v_ldexp_f64 v[24:25], v[24:25], v32
	v_add_f64 v[26:27], v[26:27], 1.0
	v_cmp_nge_f64_e64 s[6:7], -1.0, v[13:14]
	v_add_f64 v[30:31], v[24:25], 1.0
	v_add_f64 v[26:27], v[28:29], v[26:27]
	v_add_f64 v[36:37], v[24:25], -1.0
	s_and_b64 s[6:7], s[6:7], s[8:9]
	v_add_f64 v[28:29], v[30:31], -1.0
	v_ldexp_f64 v[26:27], v[26:27], v32
	v_add_f64 v[38:39], v[36:37], 1.0
	v_add_f64 v[28:29], v[24:25], -v[28:29]
	v_add_f64 v[24:25], v[24:25], -v[38:39]
	v_add_f64 v[28:29], v[26:27], v[28:29]
	v_add_f64 v[24:25], v[26:27], v[24:25]
	v_add_f64 v[32:33], v[30:31], v[28:29]
	v_add_f64 v[38:39], v[36:37], v[24:25]
	v_rcp_f64_e32 v[34:35], v[32:33]
	v_add_f64 v[30:31], v[32:33], -v[30:31]
	v_add_f64 v[36:37], v[38:39], -v[36:37]
	;; [unrolled: 1-line block ×4, first 2 shown]
	v_fma_f64 v[40:41], -v[32:33], v[34:35], 1.0
	v_fma_f64 v[34:35], v[40:41], v[34:35], v[34:35]
	v_fma_f64 v[26:27], -v[32:33], v[34:35], 1.0
	v_fma_f64 v[26:27], v[26:27], v[34:35], v[34:35]
	v_mul_f64 v[34:35], v[38:39], v[26:27]
	v_mul_f64 v[40:41], v[32:33], v[34:35]
	v_fma_f64 v[30:31], v[34:35], v[32:33], -v[40:41]
	v_fma_f64 v[30:31], v[34:35], v[28:29], v[30:31]
	v_add_f64 v[42:43], v[40:41], v[30:31]
	v_add_f64 v[44:45], v[38:39], -v[42:43]
	v_add_f64 v[36:37], v[42:43], -v[40:41]
	;; [unrolled: 1-line block ×5, first 2 shown]
	v_add_f64 v[24:25], v[24:25], v[38:39]
	v_add_f64 v[24:25], v[30:31], v[24:25]
	;; [unrolled: 1-line block ×3, first 2 shown]
	v_mul_f64 v[36:37], v[26:27], v[30:31]
	v_add_f64 v[42:43], v[44:45], -v[30:31]
	v_mul_f64 v[38:39], v[32:33], v[36:37]
	v_add_f64 v[24:25], v[24:25], v[42:43]
	v_fma_f64 v[32:33], v[36:37], v[32:33], -v[38:39]
	v_fma_f64 v[28:29], v[36:37], v[28:29], v[32:33]
	v_add_f64 v[32:33], v[38:39], v[28:29]
	v_add_f64 v[40:41], v[30:31], -v[32:33]
	v_add_f64 v[38:39], v[32:33], -v[38:39]
	;; [unrolled: 1-line block ×5, first 2 shown]
	v_add_f64 v[24:25], v[24:25], v[30:31]
	v_add_f64 v[30:31], v[34:35], v[36:37]
	;; [unrolled: 1-line block ×3, first 2 shown]
	v_add_f64 v[28:29], v[30:31], -v[34:35]
	v_add_f64 v[24:25], v[40:41], v[24:25]
	v_add_f64 v[28:29], v[36:37], -v[28:29]
	v_mul_f64 v[24:25], v[26:27], v[24:25]
	v_add_f64 v[24:25], v[28:29], v[24:25]
	v_add_f64 v[26:27], v[30:31], v[24:25]
	v_mul_f64 v[28:29], v[26:27], v[26:27]
	v_fma_f64 v[32:33], v[28:29], s[34:35], v[5:6]
	v_mul_f64 v[34:35], v[26:27], v[28:29]
	v_fma_f64 v[32:33], v[28:29], v[32:33], s[36:37]
	v_fma_f64 v[32:33], v[28:29], v[32:33], s[38:39]
	;; [unrolled: 1-line block ×5, first 2 shown]
	v_ldexp_f64 v[32:33], v[26:27], 1
	v_add_f64 v[26:27], v[26:27], -v[30:31]
	v_mul_f64 v[28:29], v[34:35], v[28:29]
	v_cvt_f64_i32_e32 v[34:35], v46
	v_add_f64 v[24:25], v[24:25], -v[26:27]
	v_mul_f64 v[36:37], v[34:35], s[28:29]
	v_add_f64 v[30:31], v[32:33], v[28:29]
	v_ldexp_f64 v[24:25], v[24:25], 1
	v_add_f64 v[26:27], v[30:31], -v[32:33]
	v_fma_f64 v[32:33], v[34:35], s[28:29], -v[36:37]
	v_add_f64 v[26:27], v[28:29], -v[26:27]
	v_fma_f64 v[28:29], v[34:35], s[30:31], v[32:33]
	v_add_f64 v[24:25], v[24:25], v[26:27]
	v_add_f64 v[26:27], v[36:37], v[28:29]
	;; [unrolled: 1-line block ×3, first 2 shown]
	v_add_f64 v[36:37], v[26:27], -v[36:37]
	v_add_f64 v[34:35], v[26:27], v[32:33]
	v_add_f64 v[30:31], v[32:33], -v[30:31]
	v_add_f64 v[28:29], v[28:29], -v[36:37]
	;; [unrolled: 1-line block ×6, first 2 shown]
	v_add_f64 v[32:33], v[28:29], v[24:25]
	v_add_f64 v[26:27], v[26:27], -v[40:41]
	v_add_f64 v[26:27], v[30:31], v[26:27]
	v_add_f64 v[30:31], v[32:33], -v[28:29]
	;; [unrolled: 2-line block ×3, first 2 shown]
	v_add_f64 v[24:25], v[24:25], -v[30:31]
	v_add_f64 v[36:37], v[34:35], v[26:27]
	v_add_f64 v[28:29], v[28:29], -v[32:33]
	v_add_f64 v[30:31], v[36:37], -v[34:35]
	v_add_f64 v[24:25], v[24:25], v[28:29]
	v_add_f64 v[26:27], v[26:27], -v[30:31]
	v_add_f64 v[24:25], v[24:25], v[26:27]
	v_add_f64 v[24:25], v[36:37], v[24:25]
	v_cndmask_b32_e64 v14, v21, v25, s[8:9]
	v_cndmask_b32_e64 v14, v22, v14, s[10:11]
	;; [unrolled: 1-line block ×4, first 2 shown]
	global_store_dwordx2 v[1:2], v[13:14], off
	s_or_b64 exec, exec, s[48:49]
	s_and_saveexec_b64 s[8:9], s[2:3]
	s_cbranch_execz .LBB207_13
.LBB207_17:                             ;   in Loop: Header=BB207_4 Depth=1
	s_waitcnt vmcnt(0)
	v_add_f64 v[13:14], v[11:12], 1.0
	s_mov_b32 s45, s27
	v_cmp_neq_f64_e64 s[6:7], s[46:47], v[11:12]
	v_frexp_mant_f64_e32 v[26:27], v[13:14]
	v_frexp_exp_i32_f64_e32 v30, v[13:14]
	v_add_f64 v[24:25], v[13:14], -1.0
	v_cmp_gt_f64_e64 s[2:3], s[26:27], v[26:27]
	v_add_f64 v[28:29], v[24:25], -v[13:14]
	v_add_f64 v[24:25], v[11:12], -v[24:25]
	v_subbrev_co_u32_e64 v44, s[2:3], 0, v30, s[2:3]
	v_sub_u32_e32 v30, 0, v44
	v_ldexp_f64 v[13:14], v[13:14], v30
	v_add_f64 v[26:27], v[28:29], 1.0
	v_cmp_nge_f64_e64 s[2:3], -1.0, v[11:12]
	v_add_f64 v[28:29], v[13:14], 1.0
	v_add_f64 v[24:25], v[24:25], v[26:27]
	v_add_f64 v[34:35], v[13:14], -1.0
	s_and_b64 s[2:3], s[2:3], s[6:7]
	v_add_f64 v[26:27], v[28:29], -1.0
	v_ldexp_f64 v[24:25], v[24:25], v30
	v_add_f64 v[36:37], v[34:35], 1.0
	v_add_f64 v[26:27], v[13:14], -v[26:27]
	v_add_f64 v[13:14], v[13:14], -v[36:37]
	v_add_f64 v[26:27], v[24:25], v[26:27]
	v_add_f64 v[13:14], v[24:25], v[13:14]
	;; [unrolled: 1-line block ×4, first 2 shown]
	v_rcp_f64_e32 v[32:33], v[30:31]
	v_add_f64 v[28:29], v[30:31], -v[28:29]
	v_add_f64 v[34:35], v[36:37], -v[34:35]
	;; [unrolled: 1-line block ×4, first 2 shown]
	v_fma_f64 v[38:39], -v[30:31], v[32:33], 1.0
	v_fma_f64 v[32:33], v[38:39], v[32:33], v[32:33]
	v_fma_f64 v[24:25], -v[30:31], v[32:33], 1.0
	v_fma_f64 v[24:25], v[24:25], v[32:33], v[32:33]
	v_mul_f64 v[32:33], v[36:37], v[24:25]
	v_mul_f64 v[38:39], v[30:31], v[32:33]
	v_fma_f64 v[28:29], v[32:33], v[30:31], -v[38:39]
	v_fma_f64 v[28:29], v[32:33], v[26:27], v[28:29]
	v_add_f64 v[40:41], v[38:39], v[28:29]
	v_add_f64 v[42:43], v[36:37], -v[40:41]
	v_add_f64 v[34:35], v[40:41], -v[38:39]
	;; [unrolled: 1-line block ×5, first 2 shown]
	v_add_f64 v[13:14], v[13:14], v[36:37]
	v_add_f64 v[13:14], v[28:29], v[13:14]
	;; [unrolled: 1-line block ×3, first 2 shown]
	v_mul_f64 v[34:35], v[24:25], v[28:29]
	v_add_f64 v[40:41], v[42:43], -v[28:29]
	v_mul_f64 v[36:37], v[30:31], v[34:35]
	v_add_f64 v[13:14], v[13:14], v[40:41]
	v_fma_f64 v[30:31], v[34:35], v[30:31], -v[36:37]
	v_fma_f64 v[26:27], v[34:35], v[26:27], v[30:31]
	v_add_f64 v[30:31], v[36:37], v[26:27]
	v_add_f64 v[38:39], v[28:29], -v[30:31]
	v_add_f64 v[36:37], v[30:31], -v[36:37]
	;; [unrolled: 1-line block ×5, first 2 shown]
	v_add_f64 v[13:14], v[13:14], v[28:29]
	v_add_f64 v[28:29], v[32:33], v[34:35]
	;; [unrolled: 1-line block ×3, first 2 shown]
	v_add_f64 v[26:27], v[28:29], -v[32:33]
	v_add_f64 v[13:14], v[38:39], v[13:14]
	v_add_f64 v[26:27], v[34:35], -v[26:27]
	v_mul_f64 v[13:14], v[24:25], v[13:14]
	v_add_f64 v[13:14], v[26:27], v[13:14]
	v_add_f64 v[24:25], v[28:29], v[13:14]
	v_mul_f64 v[26:27], v[24:25], v[24:25]
	v_fma_f64 v[30:31], v[26:27], s[34:35], v[5:6]
	v_mul_f64 v[32:33], v[24:25], v[26:27]
	v_fma_f64 v[30:31], v[26:27], v[30:31], s[36:37]
	v_fma_f64 v[30:31], v[26:27], v[30:31], s[38:39]
	;; [unrolled: 1-line block ×5, first 2 shown]
	v_ldexp_f64 v[30:31], v[24:25], 1
	v_add_f64 v[24:25], v[24:25], -v[28:29]
	v_mul_f64 v[26:27], v[32:33], v[26:27]
	v_cvt_f64_i32_e32 v[32:33], v44
	v_add_f64 v[13:14], v[13:14], -v[24:25]
	v_mul_f64 v[34:35], v[32:33], s[28:29]
	v_add_f64 v[28:29], v[30:31], v[26:27]
	v_ldexp_f64 v[13:14], v[13:14], 1
	v_add_f64 v[24:25], v[28:29], -v[30:31]
	v_fma_f64 v[30:31], v[32:33], s[28:29], -v[34:35]
	v_add_f64 v[24:25], v[26:27], -v[24:25]
	v_fma_f64 v[26:27], v[32:33], s[30:31], v[30:31]
	v_add_f64 v[13:14], v[13:14], v[24:25]
	v_add_f64 v[24:25], v[34:35], v[26:27]
	;; [unrolled: 1-line block ×3, first 2 shown]
	v_add_f64 v[34:35], v[24:25], -v[34:35]
	v_add_f64 v[32:33], v[24:25], v[30:31]
	v_add_f64 v[28:29], v[30:31], -v[28:29]
	v_add_f64 v[26:27], v[26:27], -v[34:35]
	;; [unrolled: 1-line block ×6, first 2 shown]
	v_add_f64 v[30:31], v[26:27], v[13:14]
	v_add_f64 v[24:25], v[24:25], -v[38:39]
	v_add_f64 v[24:25], v[28:29], v[24:25]
	v_add_f64 v[28:29], v[30:31], -v[26:27]
	;; [unrolled: 2-line block ×3, first 2 shown]
	v_add_f64 v[13:14], v[13:14], -v[28:29]
	v_add_f64 v[34:35], v[32:33], v[24:25]
	v_add_f64 v[26:27], v[26:27], -v[30:31]
	v_add_f64 v[28:29], v[34:35], -v[32:33]
	v_add_f64 v[13:14], v[13:14], v[26:27]
	v_add_f64 v[24:25], v[24:25], -v[28:29]
	v_add_f64 v[13:14], v[13:14], v[24:25]
	v_add_f64 v[13:14], v[34:35], v[13:14]
	v_cndmask_b32_e64 v13, 0, v13, s[2:3]
	v_cmp_ngt_f64_e64 s[2:3], -1.0, v[11:12]
	v_cndmask_b32_e64 v14, v21, v14, s[6:7]
	v_cndmask_b32_e64 v14, v22, v14, s[2:3]
	v_cmp_neq_f64_e64 s[2:3], -1.0, v[11:12]
	v_cndmask_b32_e64 v14, v23, v14, s[2:3]
	global_store_dwordx2 v[3:4], v[13:14], off
	s_or_b64 exec, exec, s[8:9]
	s_and_saveexec_b64 s[6:7], s[0:1]
	s_cbranch_execz .LBB207_14
.LBB207_18:                             ;   in Loop: Header=BB207_4 Depth=1
	s_waitcnt vmcnt(0)
	v_add_f64 v[11:12], v[9:10], 1.0
	s_mov_b32 s45, s27
	v_cmp_neq_f64_e64 s[2:3], s[46:47], v[9:10]
	v_frexp_mant_f64_e32 v[24:25], v[11:12]
	v_frexp_exp_i32_f64_e32 v28, v[11:12]
	v_add_f64 v[13:14], v[11:12], -1.0
	v_cmp_gt_f64_e64 s[0:1], s[26:27], v[24:25]
	v_add_f64 v[26:27], v[13:14], -v[11:12]
	v_add_f64 v[13:14], v[9:10], -v[13:14]
	v_subbrev_co_u32_e64 v42, s[0:1], 0, v28, s[0:1]
	v_sub_u32_e32 v28, 0, v42
	v_ldexp_f64 v[11:12], v[11:12], v28
	v_add_f64 v[24:25], v[26:27], 1.0
	v_cmp_nge_f64_e64 s[0:1], -1.0, v[9:10]
	v_add_f64 v[26:27], v[11:12], 1.0
	v_add_f64 v[13:14], v[13:14], v[24:25]
	v_add_f64 v[32:33], v[11:12], -1.0
	s_and_b64 s[0:1], s[0:1], s[2:3]
	v_add_f64 v[24:25], v[26:27], -1.0
	v_ldexp_f64 v[13:14], v[13:14], v28
	v_add_f64 v[34:35], v[32:33], 1.0
	v_add_f64 v[24:25], v[11:12], -v[24:25]
	v_add_f64 v[11:12], v[11:12], -v[34:35]
	v_add_f64 v[24:25], v[13:14], v[24:25]
	v_add_f64 v[11:12], v[13:14], v[11:12]
	;; [unrolled: 1-line block ×4, first 2 shown]
	v_rcp_f64_e32 v[30:31], v[28:29]
	v_add_f64 v[26:27], v[28:29], -v[26:27]
	v_add_f64 v[32:33], v[34:35], -v[32:33]
	;; [unrolled: 1-line block ×4, first 2 shown]
	v_fma_f64 v[36:37], -v[28:29], v[30:31], 1.0
	v_fma_f64 v[30:31], v[36:37], v[30:31], v[30:31]
	v_fma_f64 v[13:14], -v[28:29], v[30:31], 1.0
	v_fma_f64 v[13:14], v[13:14], v[30:31], v[30:31]
	v_mul_f64 v[30:31], v[34:35], v[13:14]
	v_mul_f64 v[36:37], v[28:29], v[30:31]
	v_fma_f64 v[26:27], v[30:31], v[28:29], -v[36:37]
	v_fma_f64 v[26:27], v[30:31], v[24:25], v[26:27]
	v_add_f64 v[38:39], v[36:37], v[26:27]
	v_add_f64 v[40:41], v[34:35], -v[38:39]
	v_add_f64 v[32:33], v[38:39], -v[36:37]
	;; [unrolled: 1-line block ×5, first 2 shown]
	v_add_f64 v[11:12], v[11:12], v[34:35]
	v_add_f64 v[11:12], v[26:27], v[11:12]
	;; [unrolled: 1-line block ×3, first 2 shown]
	v_mul_f64 v[32:33], v[13:14], v[26:27]
	v_add_f64 v[38:39], v[40:41], -v[26:27]
	v_mul_f64 v[34:35], v[28:29], v[32:33]
	v_add_f64 v[11:12], v[11:12], v[38:39]
	v_fma_f64 v[28:29], v[32:33], v[28:29], -v[34:35]
	v_fma_f64 v[24:25], v[32:33], v[24:25], v[28:29]
	v_add_f64 v[28:29], v[34:35], v[24:25]
	v_add_f64 v[36:37], v[26:27], -v[28:29]
	v_add_f64 v[34:35], v[28:29], -v[34:35]
	;; [unrolled: 1-line block ×5, first 2 shown]
	v_add_f64 v[11:12], v[11:12], v[26:27]
	v_add_f64 v[26:27], v[30:31], v[32:33]
	v_add_f64 v[11:12], v[24:25], v[11:12]
	v_add_f64 v[24:25], v[26:27], -v[30:31]
	v_add_f64 v[11:12], v[36:37], v[11:12]
	v_add_f64 v[24:25], v[32:33], -v[24:25]
	v_mul_f64 v[11:12], v[13:14], v[11:12]
	v_add_f64 v[11:12], v[24:25], v[11:12]
	v_add_f64 v[13:14], v[26:27], v[11:12]
	v_mul_f64 v[24:25], v[13:14], v[13:14]
	v_fma_f64 v[28:29], v[24:25], s[34:35], v[5:6]
	v_mul_f64 v[30:31], v[13:14], v[24:25]
	v_fma_f64 v[28:29], v[24:25], v[28:29], s[36:37]
	v_fma_f64 v[28:29], v[24:25], v[28:29], s[38:39]
	v_fma_f64 v[28:29], v[24:25], v[28:29], s[40:41]
	v_fma_f64 v[28:29], v[24:25], v[28:29], s[42:43]
	v_fma_f64 v[24:25], v[24:25], v[28:29], s[44:45]
	v_ldexp_f64 v[28:29], v[13:14], 1
	v_add_f64 v[13:14], v[13:14], -v[26:27]
	v_mul_f64 v[24:25], v[30:31], v[24:25]
	v_cvt_f64_i32_e32 v[30:31], v42
	v_add_f64 v[11:12], v[11:12], -v[13:14]
	v_mul_f64 v[32:33], v[30:31], s[28:29]
	v_add_f64 v[26:27], v[28:29], v[24:25]
	v_ldexp_f64 v[11:12], v[11:12], 1
	v_add_f64 v[13:14], v[26:27], -v[28:29]
	v_fma_f64 v[28:29], v[30:31], s[28:29], -v[32:33]
	v_add_f64 v[13:14], v[24:25], -v[13:14]
	v_fma_f64 v[24:25], v[30:31], s[30:31], v[28:29]
	v_add_f64 v[11:12], v[11:12], v[13:14]
	v_add_f64 v[13:14], v[32:33], v[24:25]
	;; [unrolled: 1-line block ×3, first 2 shown]
	v_add_f64 v[32:33], v[13:14], -v[32:33]
	v_add_f64 v[30:31], v[13:14], v[28:29]
	v_add_f64 v[26:27], v[28:29], -v[26:27]
	v_add_f64 v[24:25], v[24:25], -v[32:33]
	;; [unrolled: 1-line block ×6, first 2 shown]
	v_add_f64 v[28:29], v[24:25], v[11:12]
	v_add_f64 v[13:14], v[13:14], -v[36:37]
	v_add_f64 v[13:14], v[26:27], v[13:14]
	v_add_f64 v[26:27], v[28:29], -v[24:25]
	;; [unrolled: 2-line block ×3, first 2 shown]
	v_add_f64 v[11:12], v[11:12], -v[26:27]
	v_add_f64 v[32:33], v[30:31], v[13:14]
	v_add_f64 v[24:25], v[24:25], -v[28:29]
	v_add_f64 v[26:27], v[32:33], -v[30:31]
	v_add_f64 v[11:12], v[11:12], v[24:25]
	v_add_f64 v[13:14], v[13:14], -v[26:27]
	v_add_f64 v[11:12], v[11:12], v[13:14]
	v_add_f64 v[11:12], v[32:33], v[11:12]
	v_cndmask_b32_e64 v11, 0, v11, s[0:1]
	v_cmp_ngt_f64_e64 s[0:1], -1.0, v[9:10]
	v_cndmask_b32_e64 v12, v21, v12, s[2:3]
	v_cndmask_b32_e64 v12, v22, v12, s[0:1]
	v_cmp_neq_f64_e64 s[0:1], -1.0, v[9:10]
	v_cndmask_b32_e64 v12, v23, v12, s[0:1]
	v_add_co_u32_e64 v9, s[0:1], s52, v1
	v_addc_co_u32_e64 v10, s[0:1], 0, v2, s[0:1]
	global_store_dwordx2 v[9:10], v[11:12], off
	s_or_b64 exec, exec, s[6:7]
	s_and_saveexec_b64 s[2:3], vcc
	s_cbranch_execz .LBB207_3
.LBB207_19:                             ;   in Loop: Header=BB207_4 Depth=1
	s_waitcnt vmcnt(0)
	v_add_f64 v[9:10], v[7:8], 1.0
	s_mov_b32 s45, s27
	v_cmp_neq_f64_e64 s[0:1], s[46:47], v[7:8]
	v_frexp_mant_f64_e32 v[13:14], v[9:10]
	v_frexp_exp_i32_f64_e32 v26, v[9:10]
	v_add_f64 v[11:12], v[9:10], -1.0
	v_cmp_gt_f64_e32 vcc, s[26:27], v[13:14]
	v_add_f64 v[24:25], v[11:12], -v[9:10]
	v_add_f64 v[11:12], v[7:8], -v[11:12]
	v_subbrev_co_u32_e32 v40, vcc, 0, v26, vcc
	v_sub_u32_e32 v26, 0, v40
	v_ldexp_f64 v[9:10], v[9:10], v26
	v_add_f64 v[13:14], v[24:25], 1.0
	v_cmp_nge_f64_e32 vcc, -1.0, v[7:8]
	v_add_f64 v[24:25], v[9:10], 1.0
	v_add_f64 v[11:12], v[11:12], v[13:14]
	v_add_f64 v[30:31], v[9:10], -1.0
	s_and_b64 vcc, vcc, s[0:1]
	v_add_f64 v[13:14], v[24:25], -1.0
	v_ldexp_f64 v[11:12], v[11:12], v26
	v_add_f64 v[32:33], v[30:31], 1.0
	v_add_f64 v[13:14], v[9:10], -v[13:14]
	v_add_f64 v[9:10], v[9:10], -v[32:33]
	v_add_f64 v[13:14], v[11:12], v[13:14]
	v_add_f64 v[9:10], v[11:12], v[9:10]
	;; [unrolled: 1-line block ×4, first 2 shown]
	v_rcp_f64_e32 v[28:29], v[26:27]
	v_add_f64 v[24:25], v[26:27], -v[24:25]
	v_add_f64 v[30:31], v[32:33], -v[30:31]
	;; [unrolled: 1-line block ×4, first 2 shown]
	v_fma_f64 v[34:35], -v[26:27], v[28:29], 1.0
	v_fma_f64 v[28:29], v[34:35], v[28:29], v[28:29]
	v_fma_f64 v[11:12], -v[26:27], v[28:29], 1.0
	v_fma_f64 v[11:12], v[11:12], v[28:29], v[28:29]
	v_mul_f64 v[28:29], v[32:33], v[11:12]
	v_mul_f64 v[34:35], v[26:27], v[28:29]
	v_fma_f64 v[24:25], v[28:29], v[26:27], -v[34:35]
	v_fma_f64 v[24:25], v[28:29], v[13:14], v[24:25]
	v_add_f64 v[36:37], v[34:35], v[24:25]
	v_add_f64 v[38:39], v[32:33], -v[36:37]
	v_add_f64 v[30:31], v[36:37], -v[34:35]
	;; [unrolled: 1-line block ×5, first 2 shown]
	v_add_f64 v[9:10], v[9:10], v[32:33]
	v_add_f64 v[9:10], v[24:25], v[9:10]
	;; [unrolled: 1-line block ×3, first 2 shown]
	v_mul_f64 v[30:31], v[11:12], v[24:25]
	v_add_f64 v[36:37], v[38:39], -v[24:25]
	v_mul_f64 v[32:33], v[26:27], v[30:31]
	v_add_f64 v[9:10], v[9:10], v[36:37]
	v_fma_f64 v[26:27], v[30:31], v[26:27], -v[32:33]
	v_fma_f64 v[13:14], v[30:31], v[13:14], v[26:27]
	v_add_f64 v[26:27], v[32:33], v[13:14]
	v_add_f64 v[34:35], v[24:25], -v[26:27]
	v_add_f64 v[32:33], v[26:27], -v[32:33]
	;; [unrolled: 1-line block ×5, first 2 shown]
	v_add_f64 v[9:10], v[9:10], v[24:25]
	v_add_f64 v[24:25], v[28:29], v[30:31]
	;; [unrolled: 1-line block ×3, first 2 shown]
	v_add_f64 v[13:14], v[24:25], -v[28:29]
	v_add_f64 v[9:10], v[34:35], v[9:10]
	v_add_f64 v[13:14], v[30:31], -v[13:14]
	v_mul_f64 v[9:10], v[11:12], v[9:10]
	v_add_f64 v[9:10], v[13:14], v[9:10]
	v_add_f64 v[11:12], v[24:25], v[9:10]
	v_mul_f64 v[13:14], v[11:12], v[11:12]
	v_fma_f64 v[26:27], v[13:14], s[34:35], v[5:6]
	v_mul_f64 v[28:29], v[11:12], v[13:14]
	v_fma_f64 v[26:27], v[13:14], v[26:27], s[36:37]
	v_fma_f64 v[26:27], v[13:14], v[26:27], s[38:39]
	;; [unrolled: 1-line block ×5, first 2 shown]
	v_ldexp_f64 v[26:27], v[11:12], 1
	v_add_f64 v[11:12], v[11:12], -v[24:25]
	v_mul_f64 v[13:14], v[28:29], v[13:14]
	v_cvt_f64_i32_e32 v[28:29], v40
	v_add_f64 v[9:10], v[9:10], -v[11:12]
	v_mul_f64 v[30:31], v[28:29], s[28:29]
	v_add_f64 v[24:25], v[26:27], v[13:14]
	v_ldexp_f64 v[9:10], v[9:10], 1
	v_add_f64 v[11:12], v[24:25], -v[26:27]
	v_fma_f64 v[26:27], v[28:29], s[28:29], -v[30:31]
	v_add_f64 v[11:12], v[13:14], -v[11:12]
	v_fma_f64 v[13:14], v[28:29], s[30:31], v[26:27]
	v_add_f64 v[9:10], v[9:10], v[11:12]
	v_add_f64 v[11:12], v[30:31], v[13:14]
	v_add_f64 v[26:27], v[24:25], v[9:10]
	v_add_f64 v[30:31], v[11:12], -v[30:31]
	v_add_f64 v[28:29], v[11:12], v[26:27]
	v_add_f64 v[24:25], v[26:27], -v[24:25]
	v_add_f64 v[13:14], v[13:14], -v[30:31]
	;; [unrolled: 1-line block ×6, first 2 shown]
	v_add_f64 v[26:27], v[13:14], v[9:10]
	v_add_f64 v[11:12], v[11:12], -v[34:35]
	v_add_f64 v[11:12], v[24:25], v[11:12]
	v_add_f64 v[24:25], v[26:27], -v[13:14]
	;; [unrolled: 2-line block ×3, first 2 shown]
	v_add_f64 v[9:10], v[9:10], -v[24:25]
	v_add_f64 v[30:31], v[28:29], v[11:12]
	v_add_f64 v[13:14], v[13:14], -v[26:27]
	v_add_f64 v[24:25], v[30:31], -v[28:29]
	v_add_f64 v[9:10], v[9:10], v[13:14]
	v_add_f64 v[11:12], v[11:12], -v[24:25]
	v_add_f64 v[9:10], v[9:10], v[11:12]
	v_add_f64 v[9:10], v[30:31], v[9:10]
	v_cndmask_b32_e32 v9, 0, v9, vcc
	v_cmp_ngt_f64_e32 vcc, -1.0, v[7:8]
	v_cndmask_b32_e64 v10, v21, v10, s[0:1]
	v_cndmask_b32_e32 v10, v22, v10, vcc
	v_cmp_neq_f64_e32 vcc, -1.0, v[7:8]
	v_cndmask_b32_e32 v10, v23, v10, vcc
	v_add_co_u32_e32 v7, vcc, s51, v1
	v_addc_co_u32_e32 v8, vcc, 0, v2, vcc
	global_store_dwordx2 v[7:8], v[9:10], off
	s_branch .LBB207_3
.LBB207_20:
	s_cbranch_execz .LBB207_22
	s_branch .LBB207_25
.LBB207_21:
.LBB207_22:
	v_mov_b32_e32 v1, 0x10000
	v_mov_b32_e32 v2, 0
	v_cmp_lt_i64_e32 vcc, s[18:19], v[1:2]
	v_mov_b32_e32 v2, 0
	s_and_b64 s[0:1], vcc, exec
	s_cselect_b32 s3, s19, 0
	s_cselect_b32 s2, s18, 0x10000
	v_lshlrev_b32_e32 v1, 2, v0
	v_cmp_gt_i64_e32 vcc, s[2:3], v[1:2]
	s_and_saveexec_b64 s[0:1], vcc
	s_cbranch_execz .LBB207_25
; %bb.23:
	s_load_dword s0, s[4:5], 0xd3c
	v_mov_b32_e32 v1, v2
	v_lshlrev_b32_e32 v2, 5, v0
	s_mov_b32 s6, 0x55555555
	s_mov_b32 s7, 0x3fe55555
	s_waitcnt lgkmcnt(0)
	s_and_b32 s26, s0, 0xffff
	s_add_u32 s0, s14, s16
	s_addc_u32 s1, s15, s17
	v_mov_b32_e32 v3, s1
	v_add_co_u32_e32 v2, vcc, s0, v2
	s_mov_b32 s0, 0x6b47b09a
	v_addc_co_u32_e32 v3, vcc, 0, v3, vcc
	s_mov_b32 s1, 0x3fc38538
	v_add_co_u32_e32 v14, vcc, 16, v2
	s_mov_b32 s8, 0xbf559e2b
	v_mov_b32_e32 v17, s1
	s_mov_b32 s10, 0xd7f4df2e
	s_mov_b32 s12, 0x16291751
	;; [unrolled: 1-line block ×7, first 2 shown]
	v_addc_co_u32_e32 v15, vcc, 0, v3, vcc
	s_lshl_b32 s27, s26, 5
	s_mov_b64 s[4:5], 0
	s_mov_b32 s9, 0x3fc3ab76
	v_mov_b32_e32 v16, s0
	s_mov_b32 s11, 0x3fc7474d
	s_mov_b32 s13, 0x3fcc71c0
	;; [unrolled: 1-line block ×8, first 2 shown]
	v_mov_b32_e32 v18, 0x7ff00000
	v_mov_b32_e32 v19, 0x7ff80000
	;; [unrolled: 1-line block ×3, first 2 shown]
	s_mov_b32 s19, s7
.LBB207_24:                             ; =>This Inner Loop Header: Depth=1
	global_load_dwordx4 v[2:5], v[14:15], off
	global_load_dwordx4 v[7:10], v[14:15], off offset:-16
	s_waitcnt vmcnt(0)
	v_add_f64 v[11:12], v[7:8], 1.0
	v_cmp_ngt_f64_e64 s[0:1], -1.0, v[7:8]
	v_add_f64 v[21:22], v[11:12], -1.0
	v_frexp_exp_i32_f64_e32 v6, v[11:12]
	v_add_f64 v[23:24], v[21:22], -v[11:12]
	v_add_f64 v[21:22], v[7:8], -v[21:22]
	v_add_f64 v[23:24], v[23:24], 1.0
	v_add_f64 v[21:22], v[21:22], v[23:24]
	v_frexp_mant_f64_e32 v[23:24], v[11:12]
	v_cmp_gt_f64_e32 vcc, s[6:7], v[23:24]
	v_subbrev_co_u32_e32 v6, vcc, 0, v6, vcc
	v_sub_u32_e32 v13, 0, v6
	v_ldexp_f64 v[11:12], v[11:12], v13
	v_ldexp_f64 v[21:22], v[21:22], v13
	v_cmp_neq_f64_e32 vcc, s[24:25], v[7:8]
	v_add_f64 v[23:24], v[11:12], -1.0
	v_add_f64 v[25:26], v[23:24], 1.0
	v_add_f64 v[25:26], v[11:12], -v[25:26]
	v_add_f64 v[25:26], v[21:22], v[25:26]
	v_add_f64 v[27:28], v[23:24], v[25:26]
	v_add_f64 v[23:24], v[27:28], -v[23:24]
	v_add_f64 v[23:24], v[25:26], -v[23:24]
	v_add_f64 v[25:26], v[11:12], 1.0
	v_add_f64 v[29:30], v[25:26], -1.0
	v_add_f64 v[11:12], v[11:12], -v[29:30]
	v_add_f64 v[11:12], v[21:22], v[11:12]
	v_add_f64 v[21:22], v[25:26], v[11:12]
	v_add_f64 v[25:26], v[21:22], -v[25:26]
	v_add_f64 v[11:12], v[11:12], -v[25:26]
	v_rcp_f64_e32 v[25:26], v[21:22]
	v_fma_f64 v[29:30], -v[21:22], v[25:26], 1.0
	v_fma_f64 v[25:26], v[29:30], v[25:26], v[25:26]
	v_fma_f64 v[29:30], -v[21:22], v[25:26], 1.0
	v_fma_f64 v[25:26], v[29:30], v[25:26], v[25:26]
	v_mul_f64 v[29:30], v[27:28], v[25:26]
	v_mul_f64 v[31:32], v[21:22], v[29:30]
	v_fma_f64 v[33:34], v[29:30], v[21:22], -v[31:32]
	v_fma_f64 v[33:34], v[29:30], v[11:12], v[33:34]
	v_add_f64 v[35:36], v[31:32], v[33:34]
	v_add_f64 v[37:38], v[27:28], -v[35:36]
	v_add_f64 v[31:32], v[35:36], -v[31:32]
	;; [unrolled: 1-line block ×4, first 2 shown]
	v_add_f64 v[23:24], v[23:24], v[27:28]
	v_add_f64 v[27:28], v[31:32], -v[33:34]
	v_add_f64 v[23:24], v[27:28], v[23:24]
	v_add_f64 v[27:28], v[37:38], v[23:24]
	v_add_f64 v[31:32], v[37:38], -v[27:28]
	v_add_f64 v[23:24], v[23:24], v[31:32]
	v_mul_f64 v[31:32], v[25:26], v[27:28]
	v_mul_f64 v[33:34], v[21:22], v[31:32]
	v_fma_f64 v[21:22], v[31:32], v[21:22], -v[33:34]
	v_fma_f64 v[11:12], v[31:32], v[11:12], v[21:22]
	v_add_f64 v[21:22], v[33:34], v[11:12]
	v_add_f64 v[35:36], v[27:28], -v[21:22]
	v_add_f64 v[33:34], v[21:22], -v[33:34]
	;; [unrolled: 1-line block ×5, first 2 shown]
	v_cvt_f64_i32_e32 v[27:28], v6
	v_add_f64 v[21:22], v[23:24], v[21:22]
	v_add_f64 v[11:12], v[11:12], v[21:22]
	;; [unrolled: 1-line block ×4, first 2 shown]
	v_add_f64 v[23:24], v[21:22], -v[29:30]
	v_mul_f64 v[29:30], v[27:28], s[20:21]
	v_mul_f64 v[11:12], v[25:26], v[11:12]
	v_add_f64 v[23:24], v[31:32], -v[23:24]
	v_fma_f64 v[31:32], v[27:28], s[20:21], -v[29:30]
	v_add_f64 v[11:12], v[23:24], v[11:12]
	v_fma_f64 v[27:28], v[27:28], s[22:23], v[31:32]
	v_add_f64 v[23:24], v[21:22], v[11:12]
	v_add_f64 v[31:32], v[29:30], v[27:28]
	v_add_f64 v[21:22], v[23:24], -v[21:22]
	v_add_f64 v[29:30], v[31:32], -v[29:30]
	v_add_f64 v[11:12], v[11:12], -v[21:22]
	v_mul_f64 v[21:22], v[23:24], v[23:24]
	v_add_f64 v[27:28], v[27:28], -v[29:30]
	v_ldexp_f64 v[29:30], v[23:24], 1
	v_ldexp_f64 v[11:12], v[11:12], 1
	v_fma_f64 v[25:26], v[21:22], s[8:9], v[16:17]
	v_fma_f64 v[25:26], v[21:22], v[25:26], s[10:11]
	;; [unrolled: 1-line block ×6, first 2 shown]
	v_mul_f64 v[21:22], v[23:24], v[21:22]
	v_mul_f64 v[21:22], v[21:22], v[25:26]
	v_add_f64 v[23:24], v[29:30], v[21:22]
	v_add_f64 v[25:26], v[23:24], -v[29:30]
	v_add_f64 v[21:22], v[21:22], -v[25:26]
	v_add_f64 v[11:12], v[11:12], v[21:22]
	v_add_f64 v[21:22], v[23:24], v[11:12]
	v_add_f64 v[23:24], v[21:22], -v[23:24]
	v_add_f64 v[11:12], v[11:12], -v[23:24]
	v_add_f64 v[23:24], v[31:32], v[21:22]
	v_add_f64 v[25:26], v[23:24], -v[31:32]
	v_add_f64 v[29:30], v[23:24], -v[25:26]
	v_add_f64 v[21:22], v[21:22], -v[25:26]
	v_add_f64 v[25:26], v[27:28], v[11:12]
	v_add_f64 v[29:30], v[31:32], -v[29:30]
	v_add_f64 v[21:22], v[21:22], v[29:30]
	v_add_f64 v[29:30], v[25:26], -v[27:28]
	;; [unrolled: 2-line block ×3, first 2 shown]
	v_add_f64 v[11:12], v[11:12], -v[29:30]
	v_add_f64 v[25:26], v[23:24], v[21:22]
	v_add_f64 v[27:28], v[27:28], -v[31:32]
	v_add_f64 v[23:24], v[25:26], -v[23:24]
	v_add_f64 v[11:12], v[11:12], v[27:28]
	v_add_f64 v[21:22], v[21:22], -v[23:24]
	v_add_f64 v[11:12], v[11:12], v[21:22]
	v_add_f64 v[11:12], v[25:26], v[11:12]
	v_cndmask_b32_e32 v6, v18, v12, vcc
	v_cndmask_b32_e64 v12, v19, v6, s[0:1]
	v_cmp_nge_f64_e64 s[0:1], -1.0, v[7:8]
	s_and_b64 vcc, s[0:1], vcc
	v_cndmask_b32_e32 v6, 0, v11, vcc
	v_cmp_neq_f64_e32 vcc, -1.0, v[7:8]
	v_cmp_ngt_f64_e64 s[0:1], -1.0, v[9:10]
	v_cndmask_b32_e32 v7, v20, v12, vcc
	v_add_f64 v[11:12], v[9:10], 1.0
	v_add_f64 v[21:22], v[11:12], -1.0
	v_frexp_exp_i32_f64_e32 v8, v[11:12]
	v_add_f64 v[23:24], v[21:22], -v[11:12]
	v_add_f64 v[21:22], v[9:10], -v[21:22]
	v_add_f64 v[23:24], v[23:24], 1.0
	v_add_f64 v[21:22], v[21:22], v[23:24]
	v_frexp_mant_f64_e32 v[23:24], v[11:12]
	v_cmp_gt_f64_e32 vcc, s[6:7], v[23:24]
	v_subbrev_co_u32_e32 v8, vcc, 0, v8, vcc
	v_sub_u32_e32 v13, 0, v8
	v_ldexp_f64 v[11:12], v[11:12], v13
	v_ldexp_f64 v[21:22], v[21:22], v13
	v_cmp_neq_f64_e32 vcc, s[24:25], v[9:10]
	v_add_f64 v[23:24], v[11:12], -1.0
	v_add_f64 v[25:26], v[23:24], 1.0
	v_add_f64 v[25:26], v[11:12], -v[25:26]
	v_add_f64 v[25:26], v[21:22], v[25:26]
	v_add_f64 v[27:28], v[23:24], v[25:26]
	v_add_f64 v[23:24], v[27:28], -v[23:24]
	v_add_f64 v[23:24], v[25:26], -v[23:24]
	v_add_f64 v[25:26], v[11:12], 1.0
	v_add_f64 v[29:30], v[25:26], -1.0
	v_add_f64 v[11:12], v[11:12], -v[29:30]
	v_add_f64 v[11:12], v[21:22], v[11:12]
	v_add_f64 v[21:22], v[25:26], v[11:12]
	v_add_f64 v[25:26], v[21:22], -v[25:26]
	v_add_f64 v[11:12], v[11:12], -v[25:26]
	v_rcp_f64_e32 v[25:26], v[21:22]
	v_fma_f64 v[29:30], -v[21:22], v[25:26], 1.0
	v_fma_f64 v[25:26], v[29:30], v[25:26], v[25:26]
	v_fma_f64 v[29:30], -v[21:22], v[25:26], 1.0
	v_fma_f64 v[25:26], v[29:30], v[25:26], v[25:26]
	v_mul_f64 v[29:30], v[27:28], v[25:26]
	v_mul_f64 v[31:32], v[21:22], v[29:30]
	v_fma_f64 v[33:34], v[29:30], v[21:22], -v[31:32]
	v_fma_f64 v[33:34], v[29:30], v[11:12], v[33:34]
	v_add_f64 v[35:36], v[31:32], v[33:34]
	v_add_f64 v[37:38], v[27:28], -v[35:36]
	v_add_f64 v[31:32], v[35:36], -v[31:32]
	;; [unrolled: 1-line block ×4, first 2 shown]
	v_add_f64 v[23:24], v[23:24], v[27:28]
	v_add_f64 v[27:28], v[31:32], -v[33:34]
	v_add_f64 v[23:24], v[27:28], v[23:24]
	v_add_f64 v[27:28], v[37:38], v[23:24]
	v_add_f64 v[31:32], v[37:38], -v[27:28]
	v_add_f64 v[23:24], v[23:24], v[31:32]
	v_mul_f64 v[31:32], v[25:26], v[27:28]
	v_mul_f64 v[33:34], v[21:22], v[31:32]
	v_fma_f64 v[21:22], v[31:32], v[21:22], -v[33:34]
	v_fma_f64 v[11:12], v[31:32], v[11:12], v[21:22]
	v_add_f64 v[21:22], v[33:34], v[11:12]
	v_add_f64 v[35:36], v[27:28], -v[21:22]
	v_add_f64 v[33:34], v[21:22], -v[33:34]
	;; [unrolled: 1-line block ×5, first 2 shown]
	v_cvt_f64_i32_e32 v[27:28], v8
	v_add_f64 v[21:22], v[23:24], v[21:22]
	v_add_f64 v[11:12], v[11:12], v[21:22]
	;; [unrolled: 1-line block ×4, first 2 shown]
	v_add_f64 v[23:24], v[21:22], -v[29:30]
	v_mul_f64 v[29:30], v[27:28], s[20:21]
	v_mul_f64 v[11:12], v[25:26], v[11:12]
	v_add_f64 v[23:24], v[31:32], -v[23:24]
	v_fma_f64 v[31:32], v[27:28], s[20:21], -v[29:30]
	v_add_f64 v[11:12], v[23:24], v[11:12]
	v_fma_f64 v[27:28], v[27:28], s[22:23], v[31:32]
	v_add_f64 v[23:24], v[21:22], v[11:12]
	v_add_f64 v[31:32], v[29:30], v[27:28]
	v_add_f64 v[21:22], v[23:24], -v[21:22]
	v_add_f64 v[29:30], v[31:32], -v[29:30]
	;; [unrolled: 1-line block ×3, first 2 shown]
	v_mul_f64 v[21:22], v[23:24], v[23:24]
	v_add_f64 v[27:28], v[27:28], -v[29:30]
	v_ldexp_f64 v[29:30], v[23:24], 1
	v_ldexp_f64 v[11:12], v[11:12], 1
	v_fma_f64 v[25:26], v[21:22], s[8:9], v[16:17]
	v_fma_f64 v[25:26], v[21:22], v[25:26], s[10:11]
	;; [unrolled: 1-line block ×6, first 2 shown]
	v_mul_f64 v[21:22], v[23:24], v[21:22]
	v_mul_f64 v[21:22], v[21:22], v[25:26]
	v_add_f64 v[23:24], v[29:30], v[21:22]
	v_add_f64 v[25:26], v[23:24], -v[29:30]
	v_add_f64 v[21:22], v[21:22], -v[25:26]
	v_add_f64 v[11:12], v[11:12], v[21:22]
	v_add_f64 v[21:22], v[23:24], v[11:12]
	v_add_f64 v[23:24], v[21:22], -v[23:24]
	v_add_f64 v[11:12], v[11:12], -v[23:24]
	v_add_f64 v[23:24], v[31:32], v[21:22]
	v_add_f64 v[25:26], v[23:24], -v[31:32]
	v_add_f64 v[29:30], v[23:24], -v[25:26]
	;; [unrolled: 1-line block ×3, first 2 shown]
	v_add_f64 v[25:26], v[27:28], v[11:12]
	v_add_f64 v[29:30], v[31:32], -v[29:30]
	v_add_f64 v[21:22], v[21:22], v[29:30]
	v_add_f64 v[29:30], v[25:26], -v[27:28]
	;; [unrolled: 2-line block ×3, first 2 shown]
	v_add_f64 v[11:12], v[11:12], -v[29:30]
	v_add_f64 v[25:26], v[23:24], v[21:22]
	v_add_f64 v[27:28], v[27:28], -v[31:32]
	v_add_f64 v[23:24], v[25:26], -v[23:24]
	v_add_f64 v[11:12], v[11:12], v[27:28]
	v_add_f64 v[21:22], v[21:22], -v[23:24]
	v_add_f64 v[11:12], v[11:12], v[21:22]
	v_add_f64 v[11:12], v[25:26], v[11:12]
	v_cndmask_b32_e32 v8, v18, v12, vcc
	v_cndmask_b32_e64 v12, v19, v8, s[0:1]
	v_cmp_nge_f64_e64 s[0:1], -1.0, v[9:10]
	s_and_b64 vcc, s[0:1], vcc
	v_cndmask_b32_e32 v8, 0, v11, vcc
	v_cmp_neq_f64_e32 vcc, -1.0, v[9:10]
	v_add_f64 v[10:11], v[2:3], 1.0
	v_cmp_ngt_f64_e64 s[0:1], -1.0, v[2:3]
	v_cndmask_b32_e32 v9, v20, v12, vcc
	v_add_f64 v[12:13], v[10:11], -1.0
	v_frexp_exp_i32_f64_e32 v23, v[10:11]
	v_add_f64 v[21:22], v[12:13], -v[10:11]
	v_add_f64 v[12:13], v[2:3], -v[12:13]
	v_add_f64 v[21:22], v[21:22], 1.0
	v_add_f64 v[12:13], v[12:13], v[21:22]
	v_frexp_mant_f64_e32 v[21:22], v[10:11]
	v_cmp_gt_f64_e32 vcc, s[6:7], v[21:22]
	v_subbrev_co_u32_e32 v37, vcc, 0, v23, vcc
	v_sub_u32_e32 v21, 0, v37
	v_ldexp_f64 v[10:11], v[10:11], v21
	v_ldexp_f64 v[12:13], v[12:13], v21
	v_cmp_neq_f64_e32 vcc, s[24:25], v[2:3]
	v_add_f64 v[21:22], v[10:11], -1.0
	v_add_f64 v[23:24], v[21:22], 1.0
	v_add_f64 v[23:24], v[10:11], -v[23:24]
	v_add_f64 v[23:24], v[12:13], v[23:24]
	v_add_f64 v[25:26], v[21:22], v[23:24]
	v_add_f64 v[21:22], v[25:26], -v[21:22]
	v_add_f64 v[21:22], v[23:24], -v[21:22]
	v_add_f64 v[23:24], v[10:11], 1.0
	v_add_f64 v[27:28], v[23:24], -1.0
	v_add_f64 v[10:11], v[10:11], -v[27:28]
	v_add_f64 v[10:11], v[12:13], v[10:11]
	v_add_f64 v[12:13], v[23:24], v[10:11]
	v_add_f64 v[23:24], v[12:13], -v[23:24]
	v_add_f64 v[10:11], v[10:11], -v[23:24]
	v_rcp_f64_e32 v[23:24], v[12:13]
	v_fma_f64 v[27:28], -v[12:13], v[23:24], 1.0
	v_fma_f64 v[23:24], v[27:28], v[23:24], v[23:24]
	v_fma_f64 v[27:28], -v[12:13], v[23:24], 1.0
	v_fma_f64 v[23:24], v[27:28], v[23:24], v[23:24]
	v_mul_f64 v[27:28], v[25:26], v[23:24]
	v_mul_f64 v[29:30], v[12:13], v[27:28]
	v_fma_f64 v[31:32], v[27:28], v[12:13], -v[29:30]
	v_fma_f64 v[31:32], v[27:28], v[10:11], v[31:32]
	v_add_f64 v[33:34], v[29:30], v[31:32]
	v_add_f64 v[35:36], v[25:26], -v[33:34]
	v_add_f64 v[29:30], v[33:34], -v[29:30]
	;; [unrolled: 1-line block ×4, first 2 shown]
	v_add_f64 v[21:22], v[21:22], v[25:26]
	v_add_f64 v[25:26], v[29:30], -v[31:32]
	v_add_f64 v[21:22], v[25:26], v[21:22]
	v_add_f64 v[25:26], v[35:36], v[21:22]
	v_add_f64 v[29:30], v[35:36], -v[25:26]
	v_add_f64 v[21:22], v[21:22], v[29:30]
	v_mul_f64 v[29:30], v[23:24], v[25:26]
	v_mul_f64 v[31:32], v[12:13], v[29:30]
	v_fma_f64 v[12:13], v[29:30], v[12:13], -v[31:32]
	v_fma_f64 v[10:11], v[29:30], v[10:11], v[12:13]
	v_add_f64 v[12:13], v[31:32], v[10:11]
	v_add_f64 v[33:34], v[25:26], -v[12:13]
	v_add_f64 v[31:32], v[12:13], -v[31:32]
	;; [unrolled: 1-line block ×5, first 2 shown]
	v_cvt_f64_i32_e32 v[25:26], v37
	v_add_f64 v[12:13], v[21:22], v[12:13]
	v_add_f64 v[10:11], v[10:11], v[12:13]
	;; [unrolled: 1-line block ×4, first 2 shown]
	v_add_f64 v[21:22], v[12:13], -v[27:28]
	v_mul_f64 v[27:28], v[25:26], s[20:21]
	v_mul_f64 v[10:11], v[23:24], v[10:11]
	v_add_f64 v[21:22], v[29:30], -v[21:22]
	v_fma_f64 v[29:30], v[25:26], s[20:21], -v[27:28]
	v_add_f64 v[10:11], v[21:22], v[10:11]
	v_fma_f64 v[25:26], v[25:26], s[22:23], v[29:30]
	v_add_f64 v[21:22], v[12:13], v[10:11]
	v_add_f64 v[29:30], v[27:28], v[25:26]
	v_add_f64 v[12:13], v[21:22], -v[12:13]
	v_add_f64 v[27:28], v[29:30], -v[27:28]
	;; [unrolled: 1-line block ×3, first 2 shown]
	v_mul_f64 v[12:13], v[21:22], v[21:22]
	v_add_f64 v[25:26], v[25:26], -v[27:28]
	v_ldexp_f64 v[27:28], v[21:22], 1
	v_ldexp_f64 v[10:11], v[10:11], 1
	v_fma_f64 v[23:24], v[12:13], s[8:9], v[16:17]
	v_fma_f64 v[23:24], v[12:13], v[23:24], s[10:11]
	;; [unrolled: 1-line block ×6, first 2 shown]
	v_mul_f64 v[12:13], v[21:22], v[12:13]
	v_mul_f64 v[12:13], v[12:13], v[23:24]
	v_add_f64 v[21:22], v[27:28], v[12:13]
	v_add_f64 v[23:24], v[21:22], -v[27:28]
	v_add_f64 v[12:13], v[12:13], -v[23:24]
	v_add_f64 v[10:11], v[10:11], v[12:13]
	v_add_f64 v[12:13], v[21:22], v[10:11]
	v_add_f64 v[21:22], v[12:13], -v[21:22]
	v_add_f64 v[10:11], v[10:11], -v[21:22]
	v_add_f64 v[21:22], v[29:30], v[12:13]
	v_add_f64 v[23:24], v[21:22], -v[29:30]
	v_add_f64 v[27:28], v[21:22], -v[23:24]
	;; [unrolled: 1-line block ×3, first 2 shown]
	v_add_f64 v[23:24], v[25:26], v[10:11]
	v_add_f64 v[27:28], v[29:30], -v[27:28]
	v_add_f64 v[12:13], v[12:13], v[27:28]
	v_add_f64 v[27:28], v[23:24], -v[25:26]
	;; [unrolled: 2-line block ×3, first 2 shown]
	v_add_f64 v[10:11], v[10:11], -v[27:28]
	v_add_f64 v[23:24], v[21:22], v[12:13]
	v_add_f64 v[25:26], v[25:26], -v[29:30]
	v_add_f64 v[21:22], v[23:24], -v[21:22]
	v_add_f64 v[10:11], v[10:11], v[25:26]
	v_add_f64 v[12:13], v[12:13], -v[21:22]
	v_add_f64 v[10:11], v[10:11], v[12:13]
	v_add_f64 v[12:13], v[4:5], 1.0
	v_add_f64 v[10:11], v[23:24], v[10:11]
	v_frexp_exp_i32_f64_e32 v23, v[12:13]
	v_cndmask_b32_e32 v11, v18, v11, vcc
	v_cndmask_b32_e64 v11, v19, v11, s[0:1]
	v_cmp_nge_f64_e64 s[0:1], -1.0, v[2:3]
	s_and_b64 vcc, s[0:1], vcc
	v_cndmask_b32_e32 v10, 0, v10, vcc
	v_cmp_neq_f64_e32 vcc, -1.0, v[2:3]
	v_add_f64 v[2:3], v[12:13], -1.0
	v_cmp_ngt_f64_e64 s[0:1], -1.0, v[4:5]
	v_cndmask_b32_e32 v11, v20, v11, vcc
	v_add_f64 v[21:22], v[2:3], -v[12:13]
	v_add_f64 v[2:3], v[4:5], -v[2:3]
	v_add_f64 v[21:22], v[21:22], 1.0
	v_add_f64 v[21:22], v[2:3], v[21:22]
	v_frexp_mant_f64_e32 v[2:3], v[12:13]
	v_cmp_gt_f64_e32 vcc, s[6:7], v[2:3]
	v_subbrev_co_u32_e32 v2, vcc, 0, v23, vcc
	v_sub_u32_e32 v3, 0, v2
	v_ldexp_f64 v[12:13], v[12:13], v3
	v_ldexp_f64 v[21:22], v[21:22], v3
	v_cvt_f64_i32_e32 v[2:3], v2
	v_cmp_neq_f64_e32 vcc, s[24:25], v[4:5]
	v_add_f64 v[23:24], v[12:13], -1.0
	v_add_f64 v[25:26], v[23:24], 1.0
	v_add_f64 v[25:26], v[12:13], -v[25:26]
	v_add_f64 v[25:26], v[21:22], v[25:26]
	v_add_f64 v[27:28], v[23:24], v[25:26]
	v_add_f64 v[23:24], v[27:28], -v[23:24]
	v_add_f64 v[23:24], v[25:26], -v[23:24]
	v_add_f64 v[25:26], v[12:13], 1.0
	v_add_f64 v[29:30], v[25:26], -1.0
	v_add_f64 v[12:13], v[12:13], -v[29:30]
	v_add_f64 v[12:13], v[21:22], v[12:13]
	v_add_f64 v[21:22], v[25:26], v[12:13]
	v_add_f64 v[25:26], v[21:22], -v[25:26]
	v_add_f64 v[12:13], v[12:13], -v[25:26]
	v_rcp_f64_e32 v[25:26], v[21:22]
	v_fma_f64 v[29:30], -v[21:22], v[25:26], 1.0
	v_fma_f64 v[25:26], v[29:30], v[25:26], v[25:26]
	v_fma_f64 v[29:30], -v[21:22], v[25:26], 1.0
	v_fma_f64 v[25:26], v[29:30], v[25:26], v[25:26]
	v_mul_f64 v[29:30], v[27:28], v[25:26]
	v_mul_f64 v[31:32], v[21:22], v[29:30]
	v_fma_f64 v[33:34], v[29:30], v[21:22], -v[31:32]
	v_fma_f64 v[33:34], v[29:30], v[12:13], v[33:34]
	v_add_f64 v[35:36], v[31:32], v[33:34]
	v_add_f64 v[37:38], v[27:28], -v[35:36]
	v_add_f64 v[31:32], v[35:36], -v[31:32]
	v_add_f64 v[27:28], v[27:28], -v[37:38]
	v_add_f64 v[27:28], v[27:28], -v[35:36]
	v_add_f64 v[23:24], v[23:24], v[27:28]
	v_add_f64 v[27:28], v[31:32], -v[33:34]
	v_add_f64 v[23:24], v[27:28], v[23:24]
	v_add_f64 v[27:28], v[37:38], v[23:24]
	v_add_f64 v[31:32], v[37:38], -v[27:28]
	v_add_f64 v[23:24], v[23:24], v[31:32]
	v_mul_f64 v[31:32], v[25:26], v[27:28]
	v_mul_f64 v[33:34], v[21:22], v[31:32]
	v_fma_f64 v[21:22], v[31:32], v[21:22], -v[33:34]
	v_fma_f64 v[12:13], v[31:32], v[12:13], v[21:22]
	v_add_f64 v[21:22], v[33:34], v[12:13]
	v_add_f64 v[35:36], v[27:28], -v[21:22]
	v_add_f64 v[33:34], v[21:22], -v[33:34]
	;; [unrolled: 1-line block ×5, first 2 shown]
	v_mul_f64 v[27:28], v[2:3], s[20:21]
	v_add_f64 v[21:22], v[23:24], v[21:22]
	v_add_f64 v[12:13], v[12:13], v[21:22]
	;; [unrolled: 1-line block ×4, first 2 shown]
	v_add_f64 v[23:24], v[21:22], -v[29:30]
	v_fma_f64 v[29:30], v[2:3], s[20:21], -v[27:28]
	v_mul_f64 v[12:13], v[25:26], v[12:13]
	v_add_f64 v[23:24], v[31:32], -v[23:24]
	v_fma_f64 v[2:3], v[2:3], s[22:23], v[29:30]
	v_add_f64 v[12:13], v[23:24], v[12:13]
	v_add_f64 v[29:30], v[27:28], v[2:3]
	;; [unrolled: 1-line block ×3, first 2 shown]
	v_add_f64 v[27:28], v[29:30], -v[27:28]
	v_add_f64 v[21:22], v[23:24], -v[21:22]
	;; [unrolled: 1-line block ×3, first 2 shown]
	v_ldexp_f64 v[27:28], v[23:24], 1
	v_add_f64 v[12:13], v[12:13], -v[21:22]
	v_mul_f64 v[21:22], v[23:24], v[23:24]
	v_ldexp_f64 v[12:13], v[12:13], 1
	v_fma_f64 v[25:26], v[21:22], s[8:9], v[16:17]
	v_fma_f64 v[25:26], v[21:22], v[25:26], s[10:11]
	;; [unrolled: 1-line block ×6, first 2 shown]
	v_mul_f64 v[21:22], v[23:24], v[21:22]
	v_mul_f64 v[21:22], v[21:22], v[25:26]
	v_add_f64 v[23:24], v[27:28], v[21:22]
	v_add_f64 v[25:26], v[23:24], -v[27:28]
	v_add_f64 v[21:22], v[21:22], -v[25:26]
	v_add_f64 v[12:13], v[12:13], v[21:22]
	v_add_f64 v[21:22], v[23:24], v[12:13]
	v_add_f64 v[23:24], v[21:22], -v[23:24]
	v_add_f64 v[12:13], v[12:13], -v[23:24]
	v_add_f64 v[23:24], v[29:30], v[21:22]
	v_add_f64 v[25:26], v[23:24], -v[29:30]
	v_add_f64 v[27:28], v[23:24], -v[25:26]
	;; [unrolled: 1-line block ×3, first 2 shown]
	v_add_f64 v[25:26], v[2:3], v[12:13]
	v_add_f64 v[27:28], v[29:30], -v[27:28]
	v_add_f64 v[21:22], v[21:22], v[27:28]
	v_add_f64 v[27:28], v[25:26], -v[2:3]
	v_add_f64 v[29:30], v[25:26], -v[27:28]
	;; [unrolled: 1-line block ×4, first 2 shown]
	v_add_f64 v[2:3], v[12:13], v[2:3]
	v_add_f64 v[12:13], v[25:26], v[21:22]
	;; [unrolled: 1-line block ×3, first 2 shown]
	v_add_f64 v[23:24], v[21:22], -v[23:24]
	v_add_f64 v[12:13], v[12:13], -v[23:24]
	v_add_f64 v[2:3], v[2:3], v[12:13]
	v_add_f64 v[2:3], v[21:22], v[2:3]
	v_cndmask_b32_e32 v3, v18, v3, vcc
	v_cndmask_b32_e64 v3, v19, v3, s[0:1]
	v_cmp_nge_f64_e64 s[0:1], -1.0, v[4:5]
	s_and_b64 vcc, s[0:1], vcc
	v_cndmask_b32_e32 v12, 0, v2, vcc
	v_cmp_neq_f64_e32 vcc, -1.0, v[4:5]
	v_cndmask_b32_e32 v13, v20, v3, vcc
	v_add_co_u32_e32 v0, vcc, s26, v0
	v_addc_co_u32_e32 v1, vcc, 0, v1, vcc
	global_store_dwordx4 v[14:15], v[6:9], off offset:-16
	global_store_dwordx4 v[14:15], v[10:13], off
	v_lshlrev_b64 v[2:3], 2, v[0:1]
	v_add_co_u32_e32 v14, vcc, s27, v14
	v_addc_co_u32_e32 v15, vcc, 0, v15, vcc
	v_cmp_le_i64_e32 vcc, s[2:3], v[2:3]
	s_or_b64 s[4:5], vcc, s[4:5]
	s_andn2_b64 exec, exec, s[4:5]
	s_cbranch_execnz .LBB207_24
.LBB207_25:
	s_endpgm
	.section	.rodata,"a",@progbits
	.p2align	6, 0x0
	.amdhsa_kernel _ZN2at6native12_GLOBAL__N_125multi_tensor_apply_kernelINS1_18TensorListMetadataILi1EEENS1_14UnaryOpFunctorIdLi1ELi1ELi0EEEJNS0_5Log1pIdEEEEEvT_T0_DpT1_
		.amdhsa_group_segment_fixed_size 0
		.amdhsa_private_segment_fixed_size 0
		.amdhsa_kernarg_size 3632
		.amdhsa_user_sgpr_count 6
		.amdhsa_user_sgpr_private_segment_buffer 1
		.amdhsa_user_sgpr_dispatch_ptr 0
		.amdhsa_user_sgpr_queue_ptr 0
		.amdhsa_user_sgpr_kernarg_segment_ptr 1
		.amdhsa_user_sgpr_dispatch_id 0
		.amdhsa_user_sgpr_flat_scratch_init 0
		.amdhsa_user_sgpr_private_segment_size 0
		.amdhsa_uses_dynamic_stack 0
		.amdhsa_system_sgpr_private_segment_wavefront_offset 0
		.amdhsa_system_sgpr_workgroup_id_x 1
		.amdhsa_system_sgpr_workgroup_id_y 0
		.amdhsa_system_sgpr_workgroup_id_z 0
		.amdhsa_system_sgpr_workgroup_info 0
		.amdhsa_system_vgpr_workitem_id 0
		.amdhsa_next_free_vgpr 47
		.amdhsa_next_free_sgpr 53
		.amdhsa_reserve_vcc 1
		.amdhsa_reserve_flat_scratch 0
		.amdhsa_float_round_mode_32 0
		.amdhsa_float_round_mode_16_64 0
		.amdhsa_float_denorm_mode_32 3
		.amdhsa_float_denorm_mode_16_64 3
		.amdhsa_dx10_clamp 1
		.amdhsa_ieee_mode 1
		.amdhsa_fp16_overflow 0
		.amdhsa_exception_fp_ieee_invalid_op 0
		.amdhsa_exception_fp_denorm_src 0
		.amdhsa_exception_fp_ieee_div_zero 0
		.amdhsa_exception_fp_ieee_overflow 0
		.amdhsa_exception_fp_ieee_underflow 0
		.amdhsa_exception_fp_ieee_inexact 0
		.amdhsa_exception_int_div_zero 0
	.end_amdhsa_kernel
	.section	.text._ZN2at6native12_GLOBAL__N_125multi_tensor_apply_kernelINS1_18TensorListMetadataILi1EEENS1_14UnaryOpFunctorIdLi1ELi1ELi0EEEJNS0_5Log1pIdEEEEEvT_T0_DpT1_,"axG",@progbits,_ZN2at6native12_GLOBAL__N_125multi_tensor_apply_kernelINS1_18TensorListMetadataILi1EEENS1_14UnaryOpFunctorIdLi1ELi1ELi0EEEJNS0_5Log1pIdEEEEEvT_T0_DpT1_,comdat
.Lfunc_end207:
	.size	_ZN2at6native12_GLOBAL__N_125multi_tensor_apply_kernelINS1_18TensorListMetadataILi1EEENS1_14UnaryOpFunctorIdLi1ELi1ELi0EEEJNS0_5Log1pIdEEEEEvT_T0_DpT1_, .Lfunc_end207-_ZN2at6native12_GLOBAL__N_125multi_tensor_apply_kernelINS1_18TensorListMetadataILi1EEENS1_14UnaryOpFunctorIdLi1ELi1ELi0EEEJNS0_5Log1pIdEEEEEvT_T0_DpT1_
                                        ; -- End function
	.set _ZN2at6native12_GLOBAL__N_125multi_tensor_apply_kernelINS1_18TensorListMetadataILi1EEENS1_14UnaryOpFunctorIdLi1ELi1ELi0EEEJNS0_5Log1pIdEEEEEvT_T0_DpT1_.num_vgpr, 47
	.set _ZN2at6native12_GLOBAL__N_125multi_tensor_apply_kernelINS1_18TensorListMetadataILi1EEENS1_14UnaryOpFunctorIdLi1ELi1ELi0EEEJNS0_5Log1pIdEEEEEvT_T0_DpT1_.num_agpr, 0
	.set _ZN2at6native12_GLOBAL__N_125multi_tensor_apply_kernelINS1_18TensorListMetadataILi1EEENS1_14UnaryOpFunctorIdLi1ELi1ELi0EEEJNS0_5Log1pIdEEEEEvT_T0_DpT1_.numbered_sgpr, 53
	.set _ZN2at6native12_GLOBAL__N_125multi_tensor_apply_kernelINS1_18TensorListMetadataILi1EEENS1_14UnaryOpFunctorIdLi1ELi1ELi0EEEJNS0_5Log1pIdEEEEEvT_T0_DpT1_.num_named_barrier, 0
	.set _ZN2at6native12_GLOBAL__N_125multi_tensor_apply_kernelINS1_18TensorListMetadataILi1EEENS1_14UnaryOpFunctorIdLi1ELi1ELi0EEEJNS0_5Log1pIdEEEEEvT_T0_DpT1_.private_seg_size, 0
	.set _ZN2at6native12_GLOBAL__N_125multi_tensor_apply_kernelINS1_18TensorListMetadataILi1EEENS1_14UnaryOpFunctorIdLi1ELi1ELi0EEEJNS0_5Log1pIdEEEEEvT_T0_DpT1_.uses_vcc, 1
	.set _ZN2at6native12_GLOBAL__N_125multi_tensor_apply_kernelINS1_18TensorListMetadataILi1EEENS1_14UnaryOpFunctorIdLi1ELi1ELi0EEEJNS0_5Log1pIdEEEEEvT_T0_DpT1_.uses_flat_scratch, 0
	.set _ZN2at6native12_GLOBAL__N_125multi_tensor_apply_kernelINS1_18TensorListMetadataILi1EEENS1_14UnaryOpFunctorIdLi1ELi1ELi0EEEJNS0_5Log1pIdEEEEEvT_T0_DpT1_.has_dyn_sized_stack, 0
	.set _ZN2at6native12_GLOBAL__N_125multi_tensor_apply_kernelINS1_18TensorListMetadataILi1EEENS1_14UnaryOpFunctorIdLi1ELi1ELi0EEEJNS0_5Log1pIdEEEEEvT_T0_DpT1_.has_recursion, 0
	.set _ZN2at6native12_GLOBAL__N_125multi_tensor_apply_kernelINS1_18TensorListMetadataILi1EEENS1_14UnaryOpFunctorIdLi1ELi1ELi0EEEJNS0_5Log1pIdEEEEEvT_T0_DpT1_.has_indirect_call, 0
	.section	.AMDGPU.csdata,"",@progbits
; Kernel info:
; codeLenInByte = 8712
; TotalNumSgprs: 57
; NumVgprs: 47
; ScratchSize: 0
; MemoryBound: 0
; FloatMode: 240
; IeeeMode: 1
; LDSByteSize: 0 bytes/workgroup (compile time only)
; SGPRBlocks: 7
; VGPRBlocks: 11
; NumSGPRsForWavesPerEU: 57
; NumVGPRsForWavesPerEU: 47
; Occupancy: 5
; WaveLimiterHint : 0
; COMPUTE_PGM_RSRC2:SCRATCH_EN: 0
; COMPUTE_PGM_RSRC2:USER_SGPR: 6
; COMPUTE_PGM_RSRC2:TRAP_HANDLER: 0
; COMPUTE_PGM_RSRC2:TGID_X_EN: 1
; COMPUTE_PGM_RSRC2:TGID_Y_EN: 0
; COMPUTE_PGM_RSRC2:TGID_Z_EN: 0
; COMPUTE_PGM_RSRC2:TIDIG_COMP_CNT: 0
	.section	.text._ZN2at6native12_GLOBAL__N_125multi_tensor_apply_kernelINS1_18TensorListMetadataILi1EEENS1_14UnaryOpFunctorIfLi1ELi1ELi0EEEJNS0_5Log1pIfEEEEEvT_T0_DpT1_,"axG",@progbits,_ZN2at6native12_GLOBAL__N_125multi_tensor_apply_kernelINS1_18TensorListMetadataILi1EEENS1_14UnaryOpFunctorIfLi1ELi1ELi0EEEJNS0_5Log1pIfEEEEEvT_T0_DpT1_,comdat
	.globl	_ZN2at6native12_GLOBAL__N_125multi_tensor_apply_kernelINS1_18TensorListMetadataILi1EEENS1_14UnaryOpFunctorIfLi1ELi1ELi0EEEJNS0_5Log1pIfEEEEEvT_T0_DpT1_ ; -- Begin function _ZN2at6native12_GLOBAL__N_125multi_tensor_apply_kernelINS1_18TensorListMetadataILi1EEENS1_14UnaryOpFunctorIfLi1ELi1ELi0EEEJNS0_5Log1pIfEEEEEvT_T0_DpT1_
	.p2align	8
	.type	_ZN2at6native12_GLOBAL__N_125multi_tensor_apply_kernelINS1_18TensorListMetadataILi1EEENS1_14UnaryOpFunctorIfLi1ELi1ELi0EEEJNS0_5Log1pIfEEEEEvT_T0_DpT1_,@function
_ZN2at6native12_GLOBAL__N_125multi_tensor_apply_kernelINS1_18TensorListMetadataILi1EEENS1_14UnaryOpFunctorIfLi1ELi1ELi0EEEJNS0_5Log1pIfEEEEEvT_T0_DpT1_: ; @_ZN2at6native12_GLOBAL__N_125multi_tensor_apply_kernelINS1_18TensorListMetadataILi1EEENS1_14UnaryOpFunctorIfLi1ELi1ELi0EEEJNS0_5Log1pIfEEEEEvT_T0_DpT1_
; %bb.0:
	v_mov_b32_e32 v1, s6
	global_load_ubyte v1, v1, s[4:5] offset:1760
	s_add_u32 s0, s4, s6
	s_mul_hi_u32 s1, s6, 3
	s_mul_i32 s6, s6, 3
	s_addc_u32 s2, s5, 0
	s_add_u32 s0, s0, s6
	s_addc_u32 s1, s2, s1
	s_load_dword s0, s[0:1], 0x820
	s_mov_b32 s7, 0
	s_waitcnt vmcnt(0)
	v_readfirstlane_b32 s1, v1
	s_lshl_b32 s1, s1, 3
	s_load_dwordx2 s[2:3], s[4:5], s1 offset:0x370
	s_load_dwordx2 s[10:11], s[4:5], s1 offset:0x0
	s_waitcnt lgkmcnt(0)
	s_ashr_i32 s1, s0, 31
	s_lshl_b64 s[12:13], s[0:1], 18
	s_lshl_b64 s[0:1], s[0:1], 16
	s_and_b32 s6, s10, 15
	s_sub_u32 s14, s2, s0
	s_subb_u32 s15, s3, s1
	s_and_b32 s0, s2, 3
	s_mov_b32 s1, s7
	s_or_b64 s[0:1], s[6:7], s[0:1]
	s_cmp_eq_u64 s[0:1], 0
	s_cbranch_scc1 .LBB208_21
; %bb.1:
	v_cmp_lt_i64_e64 s[0:1], s[14:15], 1
	s_and_b64 vcc, exec, s[0:1]
	s_cbranch_vccnz .LBB208_20
; %bb.2:
	v_mov_b32_e32 v1, 0x10000
	s_load_dword s2, s[4:5], 0xd3c
	v_mov_b32_e32 v2, 0
	v_cmp_lt_i64_e32 vcc, s[14:15], v[1:2]
	s_mov_b64 s[20:21], 0
	s_and_b64 s[0:1], vcc, exec
	v_cmp_lt_u64_e32 vcc, s[14:15], v[1:2]
	s_cselect_b32 s17, s15, 0
	s_cselect_b32 s16, s14, 0x10000
	s_waitcnt lgkmcnt(0)
	s_and_b32 s2, s2, 0xffff
	s_and_b64 s[0:1], vcc, exec
	s_cselect_b32 s19, s15, 0
	s_cselect_b32 s18, s14, 0x10000
	s_lshl_b32 s3, s2, 1
	s_lshl_b32 s24, s2, 2
	s_add_u32 s6, s10, s12
	v_lshlrev_b32_e32 v1, 2, v0
	s_addc_u32 s7, s11, s13
	v_mov_b32_e32 v2, s7
	v_add_co_u32_e32 v1, vcc, s6, v1
	s_mul_i32 s0, s2, 3
	v_addc_co_u32_e32 v2, vcc, 0, v2, vcc
	v_add_co_u32_e32 v5, vcc, s0, v0
	v_addc_co_u32_e64 v6, s[0:1], 0, 0, vcc
	v_add_co_u32_e32 v7, vcc, s3, v0
	v_addc_co_u32_e64 v8, s[0:1], 0, 0, vcc
	v_add_co_u32_e32 v9, vcc, s2, v0
	v_lshlrev_b32_e32 v3, 2, v9
	v_addc_co_u32_e64 v10, s[0:1], 0, 0, vcc
	v_mov_b32_e32 v4, s7
	v_add_co_u32_e32 v3, vcc, s6, v3
	s_lshl_b32 s25, s2, 4
	s_mul_i32 s26, s2, 12
	s_lshl_b32 s27, s2, 3
	v_addc_co_u32_e32 v4, vcc, 0, v4, vcc
	s_mov_b32 s28, 0x33800000
	s_mov_b32 s29, 0x3f2aaaab
	;; [unrolled: 1-line block ×3, first 2 shown]
	v_mov_b32_e32 v11, 0x3f2aaada
	s_mov_b32 s31, 0x7f800000
	v_mov_b32_e32 v12, 0x7f800000
	v_mov_b32_e32 v13, 0x7fc00000
	;; [unrolled: 1-line block ×3, first 2 shown]
	s_branch .LBB208_4
.LBB208_3:                              ;   in Loop: Header=BB208_4 Depth=1
	s_or_b64 exec, exec, s[0:1]
	s_add_u32 s20, s20, s24
	v_add_co_u32_e32 v1, vcc, s25, v1
	s_waitcnt vmcnt(0)
	v_mov_b32_e32 v15, s16
	s_addc_u32 s21, s21, 0
	v_addc_co_u32_e32 v2, vcc, 0, v2, vcc
	v_mov_b32_e32 v16, s17
	v_cmp_lt_i64_e32 vcc, s[20:21], v[15:16]
	v_add_co_u32_e64 v3, s[0:1], s25, v3
	v_addc_co_u32_e64 v4, s[0:1], 0, v4, s[0:1]
	s_cbranch_vccz .LBB208_20
.LBB208_4:                              ; =>This Inner Loop Header: Depth=1
	v_mov_b32_e32 v16, s21
	v_add_co_u32_e32 v15, vcc, s20, v0
	v_addc_co_u32_e32 v16, vcc, 0, v16, vcc
	v_cmp_gt_u64_e64 s[6:7], s[18:19], v[15:16]
	v_mov_b32_e32 v18, 0
	s_and_saveexec_b64 s[0:1], s[6:7]
	s_cbranch_execz .LBB208_6
; %bb.5:                                ;   in Loop: Header=BB208_4 Depth=1
	global_load_dword v18, v[1:2], off
.LBB208_6:                              ;   in Loop: Header=BB208_4 Depth=1
	s_or_b64 exec, exec, s[0:1]
	v_mov_b32_e32 v16, s21
	v_add_co_u32_e32 v15, vcc, s20, v9
	v_addc_co_u32_e32 v16, vcc, v10, v16, vcc
	v_cmp_gt_u64_e64 s[2:3], s[18:19], v[15:16]
	v_mov_b32_e32 v16, 0
	v_mov_b32_e32 v17, 0
	s_and_saveexec_b64 s[0:1], s[2:3]
	s_cbranch_execz .LBB208_8
; %bb.7:                                ;   in Loop: Header=BB208_4 Depth=1
	global_load_dword v17, v[3:4], off
.LBB208_8:                              ;   in Loop: Header=BB208_4 Depth=1
	s_or_b64 exec, exec, s[0:1]
	v_mov_b32_e32 v15, s21
	v_add_co_u32_e32 v19, vcc, s20, v7
	v_addc_co_u32_e32 v20, vcc, v8, v15, vcc
	v_cmp_gt_u64_e64 s[0:1], s[18:19], v[19:20]
	s_and_saveexec_b64 s[8:9], s[0:1]
	s_cbranch_execz .LBB208_10
; %bb.9:                                ;   in Loop: Header=BB208_4 Depth=1
	v_add_co_u32_e32 v15, vcc, s27, v1
	v_addc_co_u32_e32 v16, vcc, 0, v2, vcc
	global_load_dword v16, v[15:16], off
.LBB208_10:                             ;   in Loop: Header=BB208_4 Depth=1
	s_or_b64 exec, exec, s[8:9]
	v_mov_b32_e32 v15, s21
	v_add_co_u32_e32 v19, vcc, s20, v5
	v_addc_co_u32_e32 v20, vcc, v6, v15, vcc
	v_cmp_gt_u64_e32 vcc, s[18:19], v[19:20]
	v_mov_b32_e32 v15, 0
	s_and_saveexec_b64 s[22:23], vcc
	s_cbranch_execnz .LBB208_15
; %bb.11:                               ;   in Loop: Header=BB208_4 Depth=1
	s_or_b64 exec, exec, s[22:23]
	s_and_saveexec_b64 s[8:9], s[6:7]
	s_cbranch_execnz .LBB208_16
.LBB208_12:                             ;   in Loop: Header=BB208_4 Depth=1
	s_or_b64 exec, exec, s[8:9]
	s_and_saveexec_b64 s[6:7], s[2:3]
	s_cbranch_execnz .LBB208_17
.LBB208_13:                             ;   in Loop: Header=BB208_4 Depth=1
	s_or_b64 exec, exec, s[6:7]
	s_and_saveexec_b64 s[2:3], s[0:1]
	s_cbranch_execnz .LBB208_18
.LBB208_14:                             ;   in Loop: Header=BB208_4 Depth=1
	s_or_b64 exec, exec, s[2:3]
	s_and_saveexec_b64 s[0:1], vcc
	s_cbranch_execz .LBB208_3
	s_branch .LBB208_19
.LBB208_15:                             ;   in Loop: Header=BB208_4 Depth=1
	v_add_co_u32_e64 v19, s[8:9], s26, v1
	v_addc_co_u32_e64 v20, s[8:9], 0, v2, s[8:9]
	global_load_dword v15, v[19:20], off
	s_or_b64 exec, exec, s[22:23]
	s_and_saveexec_b64 s[8:9], s[6:7]
	s_cbranch_execz .LBB208_12
.LBB208_16:                             ;   in Loop: Header=BB208_4 Depth=1
	s_waitcnt vmcnt(0)
	v_add_f32_e32 v21, 1.0, v18
	v_cvt_f64_f32_e32 v[19:20], v21
	v_frexp_mant_f32_e32 v22, v21
	v_cmp_gt_f32_e64 s[6:7], s29, v22
	v_frexp_exp_i32_f64_e32 v19, v[19:20]
	v_add_f32_e32 v20, -1.0, v21
	v_sub_f32_e32 v23, v18, v20
	v_sub_f32_e32 v20, v20, v21
	v_add_f32_e32 v20, 1.0, v20
	v_add_f32_e32 v20, v23, v20
	v_subbrev_co_u32_e64 v19, s[6:7], 0, v19, s[6:7]
	v_cvt_f32_i32_e32 v22, v19
	v_sub_u32_e32 v19, 0, v19
	v_ldexp_f32 v21, v21, v19
	v_add_f32_e32 v26, 1.0, v21
	v_add_f32_e32 v27, -1.0, v26
	v_ldexp_f32 v19, v20, v19
	v_sub_f32_e32 v27, v21, v27
	v_add_f32_e32 v27, v19, v27
	v_add_f32_e32 v20, -1.0, v21
	v_add_f32_e32 v28, v26, v27
	v_add_f32_e32 v23, 1.0, v20
	v_rcp_f32_e32 v29, v28
	v_sub_f32_e32 v21, v21, v23
	v_add_f32_e32 v19, v19, v21
	v_add_f32_e32 v21, v20, v19
	v_mul_f32_e32 v23, v21, v29
	v_mul_f32_e32 v30, v28, v23
	v_sub_f32_e32 v26, v28, v26
	v_sub_f32_e32 v26, v27, v26
	v_fma_f32 v27, v23, v28, -v30
	v_fmac_f32_e32 v27, v23, v26
	v_add_f32_e32 v31, v30, v27
	v_sub_f32_e32 v30, v31, v30
	v_sub_f32_e32 v27, v30, v27
	;; [unrolled: 1-line block ×7, first 2 shown]
	v_add_f32_e32 v19, v19, v20
	v_add_f32_e32 v19, v27, v19
	;; [unrolled: 1-line block ×3, first 2 shown]
	v_mul_f32_e32 v21, v29, v20
	v_mul_f32_e32 v31, v28, v21
	v_add_f32_e32 v27, v23, v21
	v_fma_f32 v28, v21, v28, -v31
	v_sub_f32_e32 v23, v27, v23
	v_fmac_f32_e32 v28, v21, v26
	v_sub_f32_e32 v23, v21, v23
	v_add_f32_e32 v21, v31, v28
	v_sub_f32_e32 v26, v20, v21
	v_sub_f32_e32 v30, v30, v20
	;; [unrolled: 1-line block ×4, first 2 shown]
	v_add_f32_e32 v19, v19, v30
	v_sub_f32_e32 v20, v20, v21
	v_sub_f32_e32 v28, v31, v28
	v_add_f32_e32 v19, v19, v20
	v_add_f32_e32 v19, v28, v19
	;; [unrolled: 1-line block ×3, first 2 shown]
	v_mul_f32_e32 v19, v29, v19
	v_add_f32_e32 v19, v23, v19
	v_add_f32_e32 v20, v27, v19
	v_mul_f32_e32 v23, v20, v20
	v_mov_b32_e32 v28, 0x3ecc95a3
	v_fmac_f32_e32 v28, 0x3e9b6dac, v23
	v_mul_f32_e32 v26, v20, v23
	v_fma_f32 v23, v23, v28, v11
	v_ldexp_f32 v21, v20, 1
	v_mul_f32_e32 v23, v26, v23
	v_add_f32_e32 v26, v21, v23
	v_sub_f32_e32 v20, v20, v27
	v_mul_f32_e32 v24, 0x3f317218, v22
	v_sub_f32_e32 v19, v19, v20
	v_sub_f32_e32 v20, v26, v21
	v_fma_f32 v25, v22, s30, -v24
	v_ldexp_f32 v19, v19, 1
	v_sub_f32_e32 v20, v23, v20
	v_fmac_f32_e32 v25, 0xb102e308, v22
	v_add_f32_e32 v19, v19, v20
	v_add_f32_e32 v22, v24, v25
	;; [unrolled: 1-line block ×4, first 2 shown]
	v_sub_f32_e32 v23, v22, v24
	v_sub_f32_e32 v23, v25, v23
	;; [unrolled: 1-line block ×8, first 2 shown]
	v_add_f32_e32 v24, v23, v19
	v_add_f32_e32 v20, v20, v22
	;; [unrolled: 1-line block ×3, first 2 shown]
	v_sub_f32_e32 v25, v24, v23
	v_add_f32_e32 v22, v21, v20
	v_sub_f32_e32 v24, v24, v25
	v_sub_f32_e32 v19, v19, v25
	;; [unrolled: 1-line block ×4, first 2 shown]
	v_add_f32_e32 v19, v19, v23
	v_sub_f32_e32 v20, v20, v21
	v_add_f32_e32 v19, v19, v20
	v_add_f32_e32 v19, v22, v19
	v_cmp_neq_f32_e64 s[6:7], s31, v18
	v_cndmask_b32_e64 v19, v12, v19, s[6:7]
	v_cmp_ngt_f32_e64 s[6:7], -1.0, v18
	v_cndmask_b32_e64 v19, v13, v19, s[6:7]
	v_cmp_neq_f32_e64 s[6:7], -1.0, v18
	v_cndmask_b32_e64 v19, v14, v19, s[6:7]
	v_cmp_lt_f32_e64 s[6:7], |v18|, s28
	v_cndmask_b32_e64 v18, v19, v18, s[6:7]
	global_store_dword v[1:2], v18, off
	s_or_b64 exec, exec, s[8:9]
	s_and_saveexec_b64 s[6:7], s[2:3]
	s_cbranch_execz .LBB208_13
.LBB208_17:                             ;   in Loop: Header=BB208_4 Depth=1
	s_waitcnt vmcnt(0)
	v_add_f32_e32 v20, 1.0, v17
	v_cvt_f64_f32_e32 v[18:19], v20
	v_add_f32_e32 v21, -1.0, v20
	v_sub_f32_e32 v22, v21, v20
	v_sub_f32_e32 v21, v17, v21
	v_frexp_exp_i32_f64_e32 v18, v[18:19]
	v_frexp_mant_f32_e32 v19, v20
	v_cmp_gt_f32_e64 s[2:3], s29, v19
	v_add_f32_e32 v22, 1.0, v22
	v_add_f32_e32 v21, v21, v22
	v_subbrev_co_u32_e64 v18, s[2:3], 0, v18, s[2:3]
	v_sub_u32_e32 v19, 0, v18
	v_ldexp_f32 v20, v20, v19
	v_ldexp_f32 v19, v21, v19
	v_add_f32_e32 v21, -1.0, v20
	v_add_f32_e32 v22, 1.0, v20
	v_add_f32_e32 v23, 1.0, v21
	v_add_f32_e32 v25, -1.0, v22
	v_sub_f32_e32 v23, v20, v23
	v_sub_f32_e32 v20, v20, v25
	v_add_f32_e32 v23, v19, v23
	v_add_f32_e32 v19, v19, v20
	;; [unrolled: 1-line block ×3, first 2 shown]
	v_rcp_f32_e32 v25, v20
	v_add_f32_e32 v24, v21, v23
	v_sub_f32_e32 v22, v20, v22
	v_sub_f32_e32 v21, v24, v21
	;; [unrolled: 1-line block ×3, first 2 shown]
	v_mul_f32_e32 v22, v24, v25
	v_sub_f32_e32 v21, v23, v21
	v_mul_f32_e32 v23, v20, v22
	v_fma_f32 v26, v22, v20, -v23
	v_fmac_f32_e32 v26, v22, v19
	v_add_f32_e32 v27, v23, v26
	v_sub_f32_e32 v28, v24, v27
	v_sub_f32_e32 v24, v24, v28
	;; [unrolled: 1-line block ×4, first 2 shown]
	v_add_f32_e32 v21, v21, v24
	v_sub_f32_e32 v23, v23, v26
	v_add_f32_e32 v21, v23, v21
	v_add_f32_e32 v23, v28, v21
	v_mul_f32_e32 v24, v25, v23
	v_mul_f32_e32 v26, v20, v24
	v_fma_f32 v20, v24, v20, -v26
	v_fmac_f32_e32 v20, v24, v19
	v_sub_f32_e32 v19, v28, v23
	v_add_f32_e32 v19, v21, v19
	v_add_f32_e32 v21, v26, v20
	v_sub_f32_e32 v27, v23, v21
	v_sub_f32_e32 v23, v23, v27
	;; [unrolled: 1-line block ×4, first 2 shown]
	v_add_f32_e32 v19, v19, v21
	v_sub_f32_e32 v20, v26, v20
	v_cvt_f32_i32_e32 v18, v18
	v_add_f32_e32 v19, v20, v19
	v_add_f32_e32 v20, v22, v24
	;; [unrolled: 1-line block ×3, first 2 shown]
	v_sub_f32_e32 v21, v20, v22
	v_mul_f32_e32 v19, v25, v19
	v_sub_f32_e32 v21, v24, v21
	v_add_f32_e32 v19, v21, v19
	v_mul_f32_e32 v24, 0x3f317218, v18
	v_add_f32_e32 v21, v20, v19
	v_fma_f32 v25, v18, s30, -v24
	v_mul_f32_e32 v22, v21, v21
	v_mov_b32_e32 v23, 0x3ecc95a3
	v_fmac_f32_e32 v25, 0xb102e308, v18
	v_sub_f32_e32 v18, v21, v20
	v_fmac_f32_e32 v23, 0x3e9b6dac, v22
	v_sub_f32_e32 v18, v19, v18
	v_add_f32_e32 v19, v24, v25
	v_fma_f32 v23, v22, v23, v11
	v_sub_f32_e32 v20, v19, v24
	v_ldexp_f32 v24, v21, 1
	v_mul_f32_e32 v21, v21, v22
	v_mul_f32_e32 v21, v21, v23
	v_add_f32_e32 v22, v24, v21
	v_sub_f32_e32 v23, v22, v24
	v_ldexp_f32 v18, v18, 1
	v_sub_f32_e32 v21, v21, v23
	v_add_f32_e32 v18, v18, v21
	v_add_f32_e32 v21, v22, v18
	v_sub_f32_e32 v22, v21, v22
	v_sub_f32_e32 v18, v18, v22
	v_add_f32_e32 v22, v19, v21
	v_sub_f32_e32 v23, v22, v19
	v_sub_f32_e32 v24, v22, v23
	v_sub_f32_e32 v20, v25, v20
	v_sub_f32_e32 v19, v19, v24
	v_sub_f32_e32 v21, v21, v23
	v_add_f32_e32 v19, v21, v19
	v_add_f32_e32 v21, v20, v18
	v_sub_f32_e32 v23, v21, v20
	v_sub_f32_e32 v24, v21, v23
	;; [unrolled: 1-line block ×4, first 2 shown]
	v_add_f32_e32 v19, v21, v19
	v_add_f32_e32 v18, v18, v20
	;; [unrolled: 1-line block ×3, first 2 shown]
	v_sub_f32_e32 v21, v20, v22
	v_sub_f32_e32 v19, v19, v21
	v_add_f32_e32 v18, v18, v19
	v_add_f32_e32 v18, v20, v18
	v_cmp_neq_f32_e64 s[2:3], s31, v17
	v_cndmask_b32_e64 v18, v12, v18, s[2:3]
	v_cmp_ngt_f32_e64 s[2:3], -1.0, v17
	v_cndmask_b32_e64 v18, v13, v18, s[2:3]
	v_cmp_neq_f32_e64 s[2:3], -1.0, v17
	v_cndmask_b32_e64 v18, v14, v18, s[2:3]
	v_cmp_lt_f32_e64 s[2:3], |v17|, s28
	v_cndmask_b32_e64 v17, v18, v17, s[2:3]
	global_store_dword v[3:4], v17, off
	s_or_b64 exec, exec, s[6:7]
	s_and_saveexec_b64 s[2:3], s[0:1]
	s_cbranch_execz .LBB208_14
.LBB208_18:                             ;   in Loop: Header=BB208_4 Depth=1
	s_waitcnt vmcnt(0)
	v_add_f32_e32 v19, 1.0, v16
	v_cvt_f64_f32_e32 v[17:18], v19
	v_add_f32_e32 v20, -1.0, v19
	v_sub_f32_e32 v21, v20, v19
	v_sub_f32_e32 v20, v16, v20
	v_frexp_exp_i32_f64_e32 v17, v[17:18]
	v_frexp_mant_f32_e32 v18, v19
	v_cmp_gt_f32_e64 s[0:1], s29, v18
	v_add_f32_e32 v21, 1.0, v21
	v_add_f32_e32 v20, v20, v21
	v_subbrev_co_u32_e64 v17, s[0:1], 0, v17, s[0:1]
	v_sub_u32_e32 v18, 0, v17
	v_ldexp_f32 v19, v19, v18
	v_ldexp_f32 v18, v20, v18
	v_add_f32_e32 v20, -1.0, v19
	v_add_f32_e32 v21, 1.0, v19
	v_add_f32_e32 v22, 1.0, v20
	v_add_f32_e32 v24, -1.0, v21
	v_sub_f32_e32 v22, v19, v22
	v_sub_f32_e32 v19, v19, v24
	v_add_f32_e32 v22, v18, v22
	v_add_f32_e32 v18, v18, v19
	;; [unrolled: 1-line block ×3, first 2 shown]
	v_rcp_f32_e32 v24, v19
	v_add_f32_e32 v23, v20, v22
	v_sub_f32_e32 v21, v19, v21
	v_sub_f32_e32 v20, v23, v20
	;; [unrolled: 1-line block ×3, first 2 shown]
	v_mul_f32_e32 v21, v23, v24
	v_sub_f32_e32 v20, v22, v20
	v_mul_f32_e32 v22, v19, v21
	v_fma_f32 v25, v21, v19, -v22
	v_fmac_f32_e32 v25, v21, v18
	v_add_f32_e32 v26, v22, v25
	v_sub_f32_e32 v27, v23, v26
	v_sub_f32_e32 v23, v23, v27
	;; [unrolled: 1-line block ×4, first 2 shown]
	v_add_f32_e32 v20, v20, v23
	v_sub_f32_e32 v22, v22, v25
	v_add_f32_e32 v20, v22, v20
	v_add_f32_e32 v22, v27, v20
	v_mul_f32_e32 v23, v24, v22
	v_mul_f32_e32 v25, v19, v23
	v_fma_f32 v19, v23, v19, -v25
	v_fmac_f32_e32 v19, v23, v18
	v_sub_f32_e32 v18, v27, v22
	v_add_f32_e32 v18, v20, v18
	v_add_f32_e32 v20, v25, v19
	v_sub_f32_e32 v26, v22, v20
	v_sub_f32_e32 v22, v22, v26
	;; [unrolled: 1-line block ×4, first 2 shown]
	v_add_f32_e32 v18, v18, v20
	v_sub_f32_e32 v19, v25, v19
	v_cvt_f32_i32_e32 v17, v17
	v_add_f32_e32 v18, v19, v18
	v_add_f32_e32 v19, v21, v23
	;; [unrolled: 1-line block ×3, first 2 shown]
	v_sub_f32_e32 v20, v19, v21
	v_mul_f32_e32 v18, v24, v18
	v_sub_f32_e32 v20, v23, v20
	v_add_f32_e32 v18, v20, v18
	v_mul_f32_e32 v23, 0x3f317218, v17
	v_add_f32_e32 v20, v19, v18
	v_fma_f32 v24, v17, s30, -v23
	v_mul_f32_e32 v21, v20, v20
	v_mov_b32_e32 v22, 0x3ecc95a3
	v_fmac_f32_e32 v24, 0xb102e308, v17
	v_sub_f32_e32 v17, v20, v19
	v_fmac_f32_e32 v22, 0x3e9b6dac, v21
	v_sub_f32_e32 v17, v18, v17
	v_add_f32_e32 v18, v23, v24
	v_fma_f32 v22, v21, v22, v11
	v_sub_f32_e32 v19, v18, v23
	v_ldexp_f32 v23, v20, 1
	v_mul_f32_e32 v20, v20, v21
	v_mul_f32_e32 v20, v20, v22
	v_add_f32_e32 v21, v23, v20
	v_sub_f32_e32 v22, v21, v23
	v_ldexp_f32 v17, v17, 1
	v_sub_f32_e32 v20, v20, v22
	v_add_f32_e32 v17, v17, v20
	v_add_f32_e32 v20, v21, v17
	v_sub_f32_e32 v21, v20, v21
	v_sub_f32_e32 v17, v17, v21
	v_add_f32_e32 v21, v18, v20
	v_sub_f32_e32 v22, v21, v18
	v_sub_f32_e32 v23, v21, v22
	;; [unrolled: 1-line block ×5, first 2 shown]
	v_add_f32_e32 v18, v20, v18
	v_add_f32_e32 v20, v19, v17
	v_sub_f32_e32 v22, v20, v19
	v_sub_f32_e32 v23, v20, v22
	;; [unrolled: 1-line block ×4, first 2 shown]
	v_add_f32_e32 v18, v20, v18
	v_add_f32_e32 v17, v17, v19
	v_add_f32_e32 v19, v21, v18
	v_sub_f32_e32 v20, v19, v21
	v_sub_f32_e32 v18, v18, v20
	v_add_f32_e32 v17, v17, v18
	v_add_f32_e32 v17, v19, v17
	v_cmp_neq_f32_e64 s[0:1], s31, v16
	v_cndmask_b32_e64 v17, v12, v17, s[0:1]
	v_cmp_ngt_f32_e64 s[0:1], -1.0, v16
	v_cndmask_b32_e64 v17, v13, v17, s[0:1]
	v_cmp_neq_f32_e64 s[0:1], -1.0, v16
	v_cndmask_b32_e64 v17, v14, v17, s[0:1]
	v_cmp_lt_f32_e64 s[0:1], |v16|, s28
	v_cndmask_b32_e64 v18, v17, v16, s[0:1]
	v_add_co_u32_e64 v16, s[0:1], s27, v1
	v_addc_co_u32_e64 v17, s[0:1], 0, v2, s[0:1]
	global_store_dword v[16:17], v18, off
	s_or_b64 exec, exec, s[2:3]
	s_and_saveexec_b64 s[0:1], vcc
	s_cbranch_execz .LBB208_3
.LBB208_19:                             ;   in Loop: Header=BB208_4 Depth=1
	s_waitcnt vmcnt(0)
	v_add_f32_e32 v18, 1.0, v15
	v_cvt_f64_f32_e32 v[16:17], v18
	v_add_f32_e32 v19, -1.0, v18
	v_sub_f32_e32 v20, v19, v18
	v_sub_f32_e32 v19, v15, v19
	v_frexp_exp_i32_f64_e32 v16, v[16:17]
	v_frexp_mant_f32_e32 v17, v18
	v_cmp_gt_f32_e32 vcc, s29, v17
	v_add_f32_e32 v20, 1.0, v20
	v_add_f32_e32 v19, v19, v20
	v_subbrev_co_u32_e32 v16, vcc, 0, v16, vcc
	v_sub_u32_e32 v17, 0, v16
	v_ldexp_f32 v18, v18, v17
	v_ldexp_f32 v17, v19, v17
	v_add_f32_e32 v19, -1.0, v18
	v_add_f32_e32 v20, 1.0, v18
	v_add_f32_e32 v21, 1.0, v19
	v_add_f32_e32 v23, -1.0, v20
	v_sub_f32_e32 v21, v18, v21
	v_sub_f32_e32 v18, v18, v23
	v_add_f32_e32 v21, v17, v21
	v_add_f32_e32 v17, v17, v18
	;; [unrolled: 1-line block ×3, first 2 shown]
	v_rcp_f32_e32 v23, v18
	v_add_f32_e32 v22, v19, v21
	v_sub_f32_e32 v20, v18, v20
	v_sub_f32_e32 v19, v22, v19
	;; [unrolled: 1-line block ×3, first 2 shown]
	v_mul_f32_e32 v20, v22, v23
	v_sub_f32_e32 v19, v21, v19
	v_mul_f32_e32 v21, v18, v20
	v_fma_f32 v24, v20, v18, -v21
	v_fmac_f32_e32 v24, v20, v17
	v_add_f32_e32 v25, v21, v24
	v_sub_f32_e32 v26, v22, v25
	v_sub_f32_e32 v22, v22, v26
	;; [unrolled: 1-line block ×4, first 2 shown]
	v_add_f32_e32 v19, v19, v22
	v_sub_f32_e32 v21, v21, v24
	v_add_f32_e32 v19, v21, v19
	v_add_f32_e32 v21, v26, v19
	v_mul_f32_e32 v22, v23, v21
	v_mul_f32_e32 v24, v18, v22
	v_fma_f32 v18, v22, v18, -v24
	v_fmac_f32_e32 v18, v22, v17
	v_sub_f32_e32 v17, v26, v21
	v_add_f32_e32 v17, v19, v17
	v_add_f32_e32 v19, v24, v18
	v_sub_f32_e32 v25, v21, v19
	v_sub_f32_e32 v21, v21, v25
	;; [unrolled: 1-line block ×4, first 2 shown]
	v_add_f32_e32 v17, v17, v19
	v_sub_f32_e32 v18, v24, v18
	v_cvt_f32_i32_e32 v16, v16
	v_add_f32_e32 v17, v18, v17
	v_add_f32_e32 v18, v20, v22
	;; [unrolled: 1-line block ×3, first 2 shown]
	v_sub_f32_e32 v19, v18, v20
	v_mul_f32_e32 v17, v23, v17
	v_sub_f32_e32 v19, v22, v19
	v_add_f32_e32 v17, v19, v17
	v_mul_f32_e32 v22, 0x3f317218, v16
	v_add_f32_e32 v19, v18, v17
	v_fma_f32 v23, v16, s30, -v22
	v_mul_f32_e32 v20, v19, v19
	v_mov_b32_e32 v21, 0x3ecc95a3
	v_fmac_f32_e32 v23, 0xb102e308, v16
	v_sub_f32_e32 v16, v19, v18
	v_fmac_f32_e32 v21, 0x3e9b6dac, v20
	v_sub_f32_e32 v16, v17, v16
	v_add_f32_e32 v17, v22, v23
	v_fma_f32 v21, v20, v21, v11
	v_sub_f32_e32 v18, v17, v22
	v_ldexp_f32 v22, v19, 1
	v_mul_f32_e32 v19, v19, v20
	v_mul_f32_e32 v19, v19, v21
	v_add_f32_e32 v20, v22, v19
	v_sub_f32_e32 v21, v20, v22
	v_ldexp_f32 v16, v16, 1
	v_sub_f32_e32 v19, v19, v21
	v_add_f32_e32 v16, v16, v19
	v_add_f32_e32 v19, v20, v16
	v_sub_f32_e32 v20, v19, v20
	v_sub_f32_e32 v16, v16, v20
	v_add_f32_e32 v20, v17, v19
	v_sub_f32_e32 v21, v20, v17
	v_sub_f32_e32 v22, v20, v21
	;; [unrolled: 1-line block ×5, first 2 shown]
	v_add_f32_e32 v17, v19, v17
	v_add_f32_e32 v19, v18, v16
	v_sub_f32_e32 v21, v19, v18
	v_sub_f32_e32 v22, v19, v21
	;; [unrolled: 1-line block ×4, first 2 shown]
	v_add_f32_e32 v17, v19, v17
	v_add_f32_e32 v16, v16, v18
	;; [unrolled: 1-line block ×3, first 2 shown]
	v_sub_f32_e32 v19, v18, v20
	v_sub_f32_e32 v17, v17, v19
	v_add_f32_e32 v16, v16, v17
	v_add_f32_e32 v16, v18, v16
	v_cmp_neq_f32_e32 vcc, s31, v15
	v_cndmask_b32_e32 v16, v12, v16, vcc
	v_cmp_ngt_f32_e32 vcc, -1.0, v15
	v_cndmask_b32_e32 v16, v13, v16, vcc
	v_cmp_neq_f32_e32 vcc, -1.0, v15
	v_cndmask_b32_e32 v16, v14, v16, vcc
	v_cmp_lt_f32_e64 vcc, |v15|, s28
	v_cndmask_b32_e32 v17, v16, v15, vcc
	v_add_co_u32_e32 v15, vcc, s26, v1
	v_addc_co_u32_e32 v16, vcc, 0, v2, vcc
	global_store_dword v[15:16], v17, off
	s_branch .LBB208_3
.LBB208_20:
	s_cbranch_execz .LBB208_22
	s_branch .LBB208_25
.LBB208_21:
.LBB208_22:
	v_mov_b32_e32 v1, 0x10000
	v_mov_b32_e32 v2, 0
	v_cmp_lt_i64_e32 vcc, s[14:15], v[1:2]
	v_mov_b32_e32 v2, 0
	s_and_b64 s[0:1], vcc, exec
	s_cselect_b32 s1, s15, 0
	s_cselect_b32 s0, s14, 0x10000
	v_lshlrev_b32_e32 v1, 2, v0
	v_cmp_gt_i64_e32 vcc, s[0:1], v[1:2]
	s_and_saveexec_b64 s[2:3], vcc
	s_cbranch_execz .LBB208_25
; %bb.23:
	s_load_dword s2, s[4:5], 0xd3c
	v_mov_b32_e32 v1, v2
	v_lshlrev_b32_e32 v2, 4, v0
	s_mov_b32 s6, 0x3f2aaaab
	v_mov_b32_e32 v8, 0x3f2aaada
	s_waitcnt lgkmcnt(0)
	s_and_b32 s4, s2, 0xffff
	s_add_u32 s2, s10, s12
	s_addc_u32 s3, s11, s13
	v_mov_b32_e32 v3, s3
	v_add_co_u32_e32 v2, vcc, s2, v2
	v_addc_co_u32_e32 v3, vcc, 0, v3, vcc
	v_add_co_u32_e32 v6, vcc, 8, v2
	v_addc_co_u32_e32 v7, vcc, 0, v3, vcc
	s_lshl_b32 s5, s4, 4
	s_mov_b64 s[2:3], 0
	s_mov_b32 s7, 0x3f317218
	s_mov_b32 s8, 0x7f800000
	v_mov_b32_e32 v9, 0x7f800000
	v_mov_b32_e32 v10, 0x7fc00000
	;; [unrolled: 1-line block ×3, first 2 shown]
	s_mov_b32 s9, 0x33800000
.LBB208_24:                             ; =>This Inner Loop Header: Depth=1
	global_load_dwordx4 v[2:5], v[6:7], off offset:-8
	s_waitcnt vmcnt(0)
	v_add_f32_e32 v13, 1.0, v2
	v_cvt_f64_f32_e32 v[14:15], v13
	v_add_f32_e32 v18, 1.0, v3
	v_cvt_f64_f32_e32 v[16:17], v18
	v_frexp_mant_f32_e32 v19, v13
	v_frexp_exp_i32_f64_e32 v14, v[14:15]
	v_add_f32_e32 v12, -1.0, v13
	v_frexp_exp_i32_f64_e32 v16, v[16:17]
	v_cmp_gt_f32_e32 vcc, s6, v19
	v_add_f32_e32 v20, -1.0, v18
	v_frexp_mant_f32_e32 v21, v18
	v_sub_f32_e32 v22, v12, v13
	v_sub_f32_e32 v12, v2, v12
	v_subbrev_co_u32_e32 v14, vcc, 0, v14, vcc
	v_sub_f32_e32 v23, v20, v18
	v_add_f32_e32 v15, 1.0, v22
	v_cmp_gt_f32_e32 vcc, s6, v21
	v_sub_f32_e32 v20, v3, v20
	v_add_f32_e32 v22, 1.0, v23
	v_add_f32_e32 v15, v12, v15
	v_subbrev_co_u32_e32 v12, vcc, 0, v16, vcc
	v_sub_u32_e32 v16, 0, v14
	v_add_f32_e32 v17, v20, v22
	v_sub_u32_e32 v19, 0, v12
	v_ldexp_f32 v13, v13, v16
	v_cvt_f32_i32_e32 v14, v14
	v_ldexp_f32 v15, v15, v16
	v_ldexp_f32 v16, v18, v19
	;; [unrolled: 1-line block ×3, first 2 shown]
	v_add_f32_e32 v18, -1.0, v13
	v_add_f32_e32 v19, 1.0, v13
	v_add_f32_e32 v22, 1.0, v18
	v_add_f32_e32 v23, -1.0, v19
	v_add_f32_e32 v20, -1.0, v16
	v_add_f32_e32 v21, 1.0, v16
	v_sub_f32_e32 v22, v13, v22
	v_sub_f32_e32 v13, v13, v23
	v_add_f32_e32 v24, 1.0, v20
	v_add_f32_e32 v25, -1.0, v21
	v_add_f32_e32 v13, v15, v13
	v_mul_f32_e32 v23, 0x3f317218, v14
	v_sub_f32_e32 v24, v16, v24
	v_sub_f32_e32 v16, v16, v25
	v_add_f32_e32 v25, v19, v13
	v_add_f32_e32 v22, v15, v22
	v_fma_f32 v15, v14, s7, -v23
	v_rcp_f32_e32 v27, v25
	v_fmac_f32_e32 v15, 0xb102e308, v14
	v_sub_f32_e32 v19, v25, v19
	v_add_f32_e32 v28, v23, v15
	v_add_f32_e32 v24, v17, v24
	v_add_f32_e32 v16, v17, v16
	v_add_f32_e32 v17, v18, v22
	v_sub_f32_e32 v13, v13, v19
	v_sub_f32_e32 v19, v28, v23
	v_add_f32_e32 v14, v20, v24
	v_sub_f32_e32 v18, v17, v18
	v_sub_f32_e32 v15, v15, v19
	v_mul_f32_e32 v19, v17, v27
	v_sub_f32_e32 v20, v14, v20
	v_sub_f32_e32 v18, v22, v18
	v_mul_f32_e32 v22, v25, v19
	v_sub_f32_e32 v20, v24, v20
	v_fma_f32 v24, v19, v25, -v22
	v_fmac_f32_e32 v24, v19, v13
	v_add_f32_e32 v31, v22, v24
	v_sub_f32_e32 v22, v31, v22
	v_sub_f32_e32 v22, v22, v24
	v_sub_f32_e32 v24, v17, v31
	v_sub_f32_e32 v17, v17, v24
	v_sub_f32_e32 v17, v17, v31
	v_add_f32_e32 v17, v18, v17
	v_add_f32_e32 v17, v22, v17
	;; [unrolled: 1-line block ×3, first 2 shown]
	v_mul_f32_e32 v22, v27, v18
	v_sub_f32_e32 v24, v24, v18
	v_add_f32_e32 v17, v17, v24
	v_mul_f32_e32 v24, v25, v22
	v_fma_f32 v25, v22, v25, -v24
	v_fmac_f32_e32 v25, v22, v13
	v_add_f32_e32 v13, v19, v22
	v_sub_f32_e32 v19, v13, v19
	v_sub_f32_e32 v19, v22, v19
	v_add_f32_e32 v22, v24, v25
	v_sub_f32_e32 v24, v22, v24
	v_sub_f32_e32 v24, v24, v25
	;; [unrolled: 1-line block ×5, first 2 shown]
	v_add_f32_e32 v17, v17, v18
	v_add_f32_e32 v17, v24, v17
	;; [unrolled: 1-line block ×3, first 2 shown]
	v_mul_f32_e32 v17, v27, v17
	v_add_f32_e32 v17, v19, v17
	v_add_f32_e32 v18, v13, v17
	v_mov_b32_e32 v22, 0x3ecc95a3
	v_mul_f32_e32 v19, v18, v18
	v_sub_f32_e32 v13, v18, v13
	v_fmac_f32_e32 v22, 0x3e9b6dac, v19
	v_ldexp_f32 v24, v18, 1
	v_sub_f32_e32 v13, v17, v13
	v_mul_f32_e32 v17, v18, v19
	v_fma_f32 v18, v19, v22, v8
	v_mul_f32_e32 v17, v17, v18
	v_add_f32_e32 v18, v24, v17
	v_sub_f32_e32 v19, v18, v24
	v_ldexp_f32 v13, v13, 1
	v_sub_f32_e32 v17, v17, v19
	v_add_f32_e32 v13, v13, v17
	v_add_f32_e32 v17, v18, v13
	v_sub_f32_e32 v18, v17, v18
	v_add_f32_e32 v19, v28, v17
	v_add_f32_e32 v26, v21, v16
	v_sub_f32_e32 v13, v13, v18
	v_sub_f32_e32 v18, v19, v28
	v_rcp_f32_e32 v29, v26
	v_sub_f32_e32 v22, v19, v18
	v_sub_f32_e32 v17, v17, v18
	v_add_f32_e32 v18, v15, v13
	v_sub_f32_e32 v22, v28, v22
	v_sub_f32_e32 v24, v18, v15
	v_add_f32_e32 v17, v17, v22
	v_sub_f32_e32 v22, v18, v24
	v_sub_f32_e32 v21, v26, v21
	;; [unrolled: 1-line block ×4, first 2 shown]
	v_add_f32_e32 v17, v18, v17
	v_sub_f32_e32 v16, v16, v21
	v_mul_f32_e32 v21, v14, v29
	v_add_f32_e32 v13, v13, v15
	v_add_f32_e32 v15, v19, v17
	v_mul_f32_e32 v23, v26, v21
	v_sub_f32_e32 v18, v15, v19
	v_fma_f32 v30, v21, v26, -v23
	v_sub_f32_e32 v17, v17, v18
	v_fmac_f32_e32 v30, v21, v16
	v_add_f32_e32 v13, v13, v17
	v_add_f32_e32 v31, v23, v30
	;; [unrolled: 1-line block ×3, first 2 shown]
	v_cmp_neq_f32_e32 vcc, s8, v2
	v_sub_f32_e32 v32, v14, v31
	v_cndmask_b32_e32 v13, v9, v13, vcc
	v_cmp_ngt_f32_e32 vcc, -1.0, v2
	v_sub_f32_e32 v14, v14, v32
	v_cndmask_b32_e32 v13, v10, v13, vcc
	v_cmp_neq_f32_e32 vcc, -1.0, v2
	v_sub_f32_e32 v23, v31, v23
	v_sub_f32_e32 v14, v14, v31
	v_cndmask_b32_e32 v13, v11, v13, vcc
	v_cmp_lt_f32_e64 vcc, |v2|, s9
	v_cndmask_b32_e32 v2, v13, v2, vcc
	v_add_f32_e32 v13, v20, v14
	v_sub_f32_e32 v14, v23, v30
	v_add_f32_e32 v13, v14, v13
	v_add_f32_e32 v14, v32, v13
	v_mul_f32_e32 v15, v29, v14
	v_mul_f32_e32 v17, v26, v15
	v_fma_f32 v18, v15, v26, -v17
	v_fmac_f32_e32 v18, v15, v16
	v_sub_f32_e32 v16, v32, v14
	v_add_f32_e32 v13, v13, v16
	v_add_f32_e32 v16, v17, v18
	v_sub_f32_e32 v19, v14, v16
	v_sub_f32_e32 v14, v14, v19
	;; [unrolled: 1-line block ×4, first 2 shown]
	v_add_f32_e32 v13, v13, v14
	v_sub_f32_e32 v14, v17, v18
	v_cvt_f32_i32_e32 v12, v12
	v_add_f32_e32 v13, v14, v13
	v_add_f32_e32 v14, v21, v15
	v_add_f32_e32 v13, v19, v13
	v_sub_f32_e32 v16, v14, v21
	v_mul_f32_e32 v13, v29, v13
	v_sub_f32_e32 v15, v15, v16
	v_add_f32_e32 v13, v15, v13
	v_mul_f32_e32 v18, 0x3f317218, v12
	v_add_f32_e32 v15, v14, v13
	v_fma_f32 v19, v12, s7, -v18
	v_mul_f32_e32 v16, v15, v15
	v_mov_b32_e32 v17, 0x3ecc95a3
	v_fmac_f32_e32 v19, 0xb102e308, v12
	v_sub_f32_e32 v12, v15, v14
	v_fmac_f32_e32 v17, 0x3e9b6dac, v16
	v_sub_f32_e32 v12, v13, v12
	v_add_f32_e32 v13, v18, v19
	v_fma_f32 v17, v16, v17, v8
	v_sub_f32_e32 v14, v13, v18
	v_ldexp_f32 v18, v15, 1
	v_mul_f32_e32 v15, v15, v16
	v_mul_f32_e32 v15, v15, v17
	v_add_f32_e32 v16, v18, v15
	v_sub_f32_e32 v17, v16, v18
	v_ldexp_f32 v12, v12, 1
	v_sub_f32_e32 v15, v15, v17
	v_add_f32_e32 v12, v12, v15
	v_add_f32_e32 v15, v16, v12
	v_sub_f32_e32 v16, v15, v16
	v_sub_f32_e32 v12, v12, v16
	v_add_f32_e32 v16, v13, v15
	v_sub_f32_e32 v17, v16, v13
	v_sub_f32_e32 v18, v16, v17
	;; [unrolled: 1-line block ×5, first 2 shown]
	v_add_f32_e32 v13, v15, v13
	v_add_f32_e32 v15, v14, v12
	v_sub_f32_e32 v17, v15, v14
	v_sub_f32_e32 v18, v15, v17
	;; [unrolled: 1-line block ×4, first 2 shown]
	v_add_f32_e32 v13, v15, v13
	v_add_f32_e32 v12, v12, v14
	;; [unrolled: 1-line block ×3, first 2 shown]
	v_sub_f32_e32 v15, v14, v16
	v_sub_f32_e32 v13, v13, v15
	v_add_f32_e32 v12, v12, v13
	v_add_f32_e32 v12, v14, v12
	v_cmp_neq_f32_e32 vcc, s8, v3
	v_cndmask_b32_e32 v12, v9, v12, vcc
	v_cmp_ngt_f32_e32 vcc, -1.0, v3
	v_cndmask_b32_e32 v12, v10, v12, vcc
	v_cmp_neq_f32_e32 vcc, -1.0, v3
	v_add_f32_e32 v15, 1.0, v4
	v_cndmask_b32_e32 v14, v11, v12, vcc
	v_cvt_f64_f32_e32 v[12:13], v15
	v_cmp_lt_f32_e64 vcc, |v3|, s9
	v_cndmask_b32_e32 v3, v14, v3, vcc
	v_add_f32_e32 v14, -1.0, v15
	v_frexp_exp_i32_f64_e32 v12, v[12:13]
	v_sub_f32_e32 v13, v14, v15
	v_add_f32_e32 v13, 1.0, v13
	v_sub_f32_e32 v14, v4, v14
	v_add_f32_e32 v13, v14, v13
	v_frexp_mant_f32_e32 v14, v15
	v_cmp_gt_f32_e32 vcc, s6, v14
	v_subbrev_co_u32_e32 v12, vcc, 0, v12, vcc
	v_sub_u32_e32 v14, 0, v12
	v_ldexp_f32 v15, v15, v14
	v_ldexp_f32 v13, v13, v14
	v_add_f32_e32 v14, -1.0, v15
	v_add_f32_e32 v18, 1.0, v15
	v_add_f32_e32 v16, 1.0, v14
	v_add_f32_e32 v19, -1.0, v18
	v_sub_f32_e32 v16, v15, v16
	v_sub_f32_e32 v15, v15, v19
	v_add_f32_e32 v16, v13, v16
	v_add_f32_e32 v13, v13, v15
	;; [unrolled: 1-line block ×3, first 2 shown]
	v_rcp_f32_e32 v19, v15
	v_add_f32_e32 v17, v14, v16
	v_sub_f32_e32 v14, v17, v14
	v_sub_f32_e32 v14, v16, v14
	;; [unrolled: 1-line block ×4, first 2 shown]
	v_mul_f32_e32 v16, v17, v19
	v_mul_f32_e32 v18, v15, v16
	v_fma_f32 v20, v16, v15, -v18
	v_fmac_f32_e32 v20, v16, v13
	v_add_f32_e32 v21, v18, v20
	v_sub_f32_e32 v22, v17, v21
	v_sub_f32_e32 v17, v17, v22
	;; [unrolled: 1-line block ×4, first 2 shown]
	v_add_f32_e32 v14, v14, v17
	v_sub_f32_e32 v17, v18, v20
	v_add_f32_e32 v14, v17, v14
	v_add_f32_e32 v17, v22, v14
	v_mul_f32_e32 v18, v19, v17
	v_mul_f32_e32 v20, v15, v18
	v_fma_f32 v15, v18, v15, -v20
	v_fmac_f32_e32 v15, v18, v13
	v_sub_f32_e32 v13, v22, v17
	v_add_f32_e32 v13, v14, v13
	v_add_f32_e32 v14, v20, v15
	v_sub_f32_e32 v21, v17, v14
	v_sub_f32_e32 v17, v17, v21
	;; [unrolled: 1-line block ×4, first 2 shown]
	v_add_f32_e32 v13, v13, v14
	v_sub_f32_e32 v14, v20, v15
	v_cvt_f32_i32_e32 v12, v12
	v_add_f32_e32 v13, v14, v13
	v_add_f32_e32 v14, v16, v18
	v_add_f32_e32 v13, v21, v13
	v_sub_f32_e32 v15, v14, v16
	v_mul_f32_e32 v13, v19, v13
	v_sub_f32_e32 v15, v18, v15
	v_add_f32_e32 v13, v15, v13
	v_mul_f32_e32 v18, 0x3f317218, v12
	v_add_f32_e32 v15, v14, v13
	v_fma_f32 v19, v12, s7, -v18
	v_mul_f32_e32 v16, v15, v15
	v_mov_b32_e32 v17, 0x3ecc95a3
	v_fmac_f32_e32 v19, 0xb102e308, v12
	v_sub_f32_e32 v12, v15, v14
	v_fmac_f32_e32 v17, 0x3e9b6dac, v16
	v_sub_f32_e32 v12, v13, v12
	v_add_f32_e32 v13, v18, v19
	v_fma_f32 v17, v16, v17, v8
	v_sub_f32_e32 v14, v13, v18
	v_ldexp_f32 v18, v15, 1
	v_mul_f32_e32 v15, v15, v16
	v_mul_f32_e32 v15, v15, v17
	v_add_f32_e32 v16, v18, v15
	v_sub_f32_e32 v17, v16, v18
	v_ldexp_f32 v12, v12, 1
	v_sub_f32_e32 v15, v15, v17
	v_add_f32_e32 v12, v12, v15
	v_add_f32_e32 v15, v16, v12
	v_sub_f32_e32 v16, v15, v16
	v_sub_f32_e32 v12, v12, v16
	v_add_f32_e32 v16, v13, v15
	v_sub_f32_e32 v17, v16, v13
	v_sub_f32_e32 v18, v16, v17
	;; [unrolled: 1-line block ×5, first 2 shown]
	v_add_f32_e32 v13, v15, v13
	v_add_f32_e32 v15, v14, v12
	v_sub_f32_e32 v17, v15, v14
	v_sub_f32_e32 v18, v15, v17
	;; [unrolled: 1-line block ×4, first 2 shown]
	v_add_f32_e32 v13, v15, v13
	v_add_f32_e32 v12, v12, v14
	;; [unrolled: 1-line block ×3, first 2 shown]
	v_sub_f32_e32 v15, v14, v16
	v_sub_f32_e32 v13, v13, v15
	v_add_f32_e32 v12, v12, v13
	v_add_f32_e32 v12, v14, v12
	v_cmp_neq_f32_e32 vcc, s8, v4
	v_cndmask_b32_e32 v12, v9, v12, vcc
	v_cmp_ngt_f32_e32 vcc, -1.0, v4
	v_cndmask_b32_e32 v12, v10, v12, vcc
	v_cmp_neq_f32_e32 vcc, -1.0, v4
	v_add_f32_e32 v15, 1.0, v5
	v_cndmask_b32_e32 v14, v11, v12, vcc
	v_cvt_f64_f32_e32 v[12:13], v15
	v_cmp_lt_f32_e64 vcc, |v4|, s9
	v_cndmask_b32_e32 v4, v14, v4, vcc
	v_add_f32_e32 v14, -1.0, v15
	v_frexp_exp_i32_f64_e32 v12, v[12:13]
	v_sub_f32_e32 v13, v14, v15
	v_add_f32_e32 v13, 1.0, v13
	v_sub_f32_e32 v14, v5, v14
	v_add_f32_e32 v13, v14, v13
	v_frexp_mant_f32_e32 v14, v15
	v_cmp_gt_f32_e32 vcc, s6, v14
	v_subbrev_co_u32_e32 v12, vcc, 0, v12, vcc
	v_sub_u32_e32 v14, 0, v12
	v_ldexp_f32 v15, v15, v14
	v_ldexp_f32 v13, v13, v14
	v_add_f32_e32 v14, -1.0, v15
	v_add_f32_e32 v18, 1.0, v15
	v_add_f32_e32 v16, 1.0, v14
	v_add_f32_e32 v19, -1.0, v18
	v_sub_f32_e32 v16, v15, v16
	v_sub_f32_e32 v15, v15, v19
	v_add_f32_e32 v16, v13, v16
	v_add_f32_e32 v13, v13, v15
	;; [unrolled: 1-line block ×3, first 2 shown]
	v_rcp_f32_e32 v19, v15
	v_add_f32_e32 v17, v14, v16
	v_sub_f32_e32 v14, v17, v14
	v_sub_f32_e32 v14, v16, v14
	;; [unrolled: 1-line block ×4, first 2 shown]
	v_mul_f32_e32 v16, v17, v19
	v_mul_f32_e32 v18, v15, v16
	v_fma_f32 v20, v16, v15, -v18
	v_fmac_f32_e32 v20, v16, v13
	v_add_f32_e32 v21, v18, v20
	v_sub_f32_e32 v22, v17, v21
	v_sub_f32_e32 v17, v17, v22
	;; [unrolled: 1-line block ×4, first 2 shown]
	v_add_f32_e32 v14, v14, v17
	v_sub_f32_e32 v17, v18, v20
	v_add_f32_e32 v14, v17, v14
	v_add_f32_e32 v17, v22, v14
	v_mul_f32_e32 v18, v19, v17
	v_mul_f32_e32 v20, v15, v18
	v_fma_f32 v15, v18, v15, -v20
	v_fmac_f32_e32 v15, v18, v13
	v_sub_f32_e32 v13, v22, v17
	v_add_f32_e32 v13, v14, v13
	v_add_f32_e32 v14, v20, v15
	v_sub_f32_e32 v21, v17, v14
	v_sub_f32_e32 v17, v17, v21
	;; [unrolled: 1-line block ×4, first 2 shown]
	v_add_f32_e32 v13, v13, v14
	v_sub_f32_e32 v14, v20, v15
	v_cvt_f32_i32_e32 v12, v12
	v_add_f32_e32 v13, v14, v13
	v_add_f32_e32 v14, v16, v18
	;; [unrolled: 1-line block ×3, first 2 shown]
	v_sub_f32_e32 v15, v14, v16
	v_mul_f32_e32 v13, v19, v13
	v_sub_f32_e32 v15, v18, v15
	v_add_f32_e32 v13, v15, v13
	v_mul_f32_e32 v18, 0x3f317218, v12
	v_add_f32_e32 v15, v14, v13
	v_fma_f32 v19, v12, s7, -v18
	v_mul_f32_e32 v16, v15, v15
	v_mov_b32_e32 v17, 0x3ecc95a3
	v_fmac_f32_e32 v19, 0xb102e308, v12
	v_sub_f32_e32 v12, v15, v14
	v_fmac_f32_e32 v17, 0x3e9b6dac, v16
	v_sub_f32_e32 v12, v13, v12
	v_add_f32_e32 v13, v18, v19
	v_fma_f32 v17, v16, v17, v8
	v_sub_f32_e32 v14, v13, v18
	v_ldexp_f32 v18, v15, 1
	v_mul_f32_e32 v15, v15, v16
	v_mul_f32_e32 v15, v15, v17
	v_add_f32_e32 v16, v18, v15
	v_sub_f32_e32 v17, v16, v18
	v_ldexp_f32 v12, v12, 1
	v_sub_f32_e32 v15, v15, v17
	v_add_f32_e32 v12, v12, v15
	v_add_f32_e32 v15, v16, v12
	v_sub_f32_e32 v16, v15, v16
	v_sub_f32_e32 v12, v12, v16
	v_add_f32_e32 v16, v13, v15
	v_sub_f32_e32 v17, v16, v13
	v_sub_f32_e32 v18, v16, v17
	;; [unrolled: 1-line block ×5, first 2 shown]
	v_add_f32_e32 v13, v15, v13
	v_add_f32_e32 v15, v14, v12
	v_sub_f32_e32 v17, v15, v14
	v_sub_f32_e32 v18, v15, v17
	v_sub_f32_e32 v14, v14, v18
	v_sub_f32_e32 v12, v12, v17
	v_add_f32_e32 v13, v15, v13
	v_add_f32_e32 v12, v12, v14
	;; [unrolled: 1-line block ×3, first 2 shown]
	v_sub_f32_e32 v15, v14, v16
	v_sub_f32_e32 v13, v13, v15
	v_add_f32_e32 v12, v12, v13
	v_add_f32_e32 v12, v14, v12
	v_cmp_neq_f32_e32 vcc, s8, v5
	v_cndmask_b32_e32 v12, v9, v12, vcc
	v_cmp_ngt_f32_e32 vcc, -1.0, v5
	v_cndmask_b32_e32 v12, v10, v12, vcc
	v_cmp_neq_f32_e32 vcc, -1.0, v5
	v_cndmask_b32_e32 v14, v11, v12, vcc
	v_add_co_u32_e32 v0, vcc, s4, v0
	v_addc_co_u32_e32 v1, vcc, 0, v1, vcc
	v_lshlrev_b64 v[12:13], 2, v[0:1]
	v_cmp_lt_f32_e64 vcc, |v5|, s9
	v_cndmask_b32_e32 v5, v14, v5, vcc
	v_cmp_le_i64_e32 vcc, s[0:1], v[12:13]
	global_store_dwordx4 v[6:7], v[2:5], off offset:-8
	s_or_b64 s[2:3], vcc, s[2:3]
	v_add_co_u32_e32 v6, vcc, s5, v6
	v_addc_co_u32_e32 v7, vcc, 0, v7, vcc
	s_andn2_b64 exec, exec, s[2:3]
	s_cbranch_execnz .LBB208_24
.LBB208_25:
	s_endpgm
	.section	.rodata,"a",@progbits
	.p2align	6, 0x0
	.amdhsa_kernel _ZN2at6native12_GLOBAL__N_125multi_tensor_apply_kernelINS1_18TensorListMetadataILi1EEENS1_14UnaryOpFunctorIfLi1ELi1ELi0EEEJNS0_5Log1pIfEEEEEvT_T0_DpT1_
		.amdhsa_group_segment_fixed_size 0
		.amdhsa_private_segment_fixed_size 0
		.amdhsa_kernarg_size 3632
		.amdhsa_user_sgpr_count 6
		.amdhsa_user_sgpr_private_segment_buffer 1
		.amdhsa_user_sgpr_dispatch_ptr 0
		.amdhsa_user_sgpr_queue_ptr 0
		.amdhsa_user_sgpr_kernarg_segment_ptr 1
		.amdhsa_user_sgpr_dispatch_id 0
		.amdhsa_user_sgpr_flat_scratch_init 0
		.amdhsa_user_sgpr_private_segment_size 0
		.amdhsa_uses_dynamic_stack 0
		.amdhsa_system_sgpr_private_segment_wavefront_offset 0
		.amdhsa_system_sgpr_workgroup_id_x 1
		.amdhsa_system_sgpr_workgroup_id_y 0
		.amdhsa_system_sgpr_workgroup_id_z 0
		.amdhsa_system_sgpr_workgroup_info 0
		.amdhsa_system_vgpr_workitem_id 0
		.amdhsa_next_free_vgpr 33
		.amdhsa_next_free_sgpr 32
		.amdhsa_reserve_vcc 1
		.amdhsa_reserve_flat_scratch 0
		.amdhsa_float_round_mode_32 0
		.amdhsa_float_round_mode_16_64 0
		.amdhsa_float_denorm_mode_32 3
		.amdhsa_float_denorm_mode_16_64 3
		.amdhsa_dx10_clamp 1
		.amdhsa_ieee_mode 1
		.amdhsa_fp16_overflow 0
		.amdhsa_exception_fp_ieee_invalid_op 0
		.amdhsa_exception_fp_denorm_src 0
		.amdhsa_exception_fp_ieee_div_zero 0
		.amdhsa_exception_fp_ieee_overflow 0
		.amdhsa_exception_fp_ieee_underflow 0
		.amdhsa_exception_fp_ieee_inexact 0
		.amdhsa_exception_int_div_zero 0
	.end_amdhsa_kernel
	.section	.text._ZN2at6native12_GLOBAL__N_125multi_tensor_apply_kernelINS1_18TensorListMetadataILi1EEENS1_14UnaryOpFunctorIfLi1ELi1ELi0EEEJNS0_5Log1pIfEEEEEvT_T0_DpT1_,"axG",@progbits,_ZN2at6native12_GLOBAL__N_125multi_tensor_apply_kernelINS1_18TensorListMetadataILi1EEENS1_14UnaryOpFunctorIfLi1ELi1ELi0EEEJNS0_5Log1pIfEEEEEvT_T0_DpT1_,comdat
.Lfunc_end208:
	.size	_ZN2at6native12_GLOBAL__N_125multi_tensor_apply_kernelINS1_18TensorListMetadataILi1EEENS1_14UnaryOpFunctorIfLi1ELi1ELi0EEEJNS0_5Log1pIfEEEEEvT_T0_DpT1_, .Lfunc_end208-_ZN2at6native12_GLOBAL__N_125multi_tensor_apply_kernelINS1_18TensorListMetadataILi1EEENS1_14UnaryOpFunctorIfLi1ELi1ELi0EEEJNS0_5Log1pIfEEEEEvT_T0_DpT1_
                                        ; -- End function
	.set _ZN2at6native12_GLOBAL__N_125multi_tensor_apply_kernelINS1_18TensorListMetadataILi1EEENS1_14UnaryOpFunctorIfLi1ELi1ELi0EEEJNS0_5Log1pIfEEEEEvT_T0_DpT1_.num_vgpr, 33
	.set _ZN2at6native12_GLOBAL__N_125multi_tensor_apply_kernelINS1_18TensorListMetadataILi1EEENS1_14UnaryOpFunctorIfLi1ELi1ELi0EEEJNS0_5Log1pIfEEEEEvT_T0_DpT1_.num_agpr, 0
	.set _ZN2at6native12_GLOBAL__N_125multi_tensor_apply_kernelINS1_18TensorListMetadataILi1EEENS1_14UnaryOpFunctorIfLi1ELi1ELi0EEEJNS0_5Log1pIfEEEEEvT_T0_DpT1_.numbered_sgpr, 32
	.set _ZN2at6native12_GLOBAL__N_125multi_tensor_apply_kernelINS1_18TensorListMetadataILi1EEENS1_14UnaryOpFunctorIfLi1ELi1ELi0EEEJNS0_5Log1pIfEEEEEvT_T0_DpT1_.num_named_barrier, 0
	.set _ZN2at6native12_GLOBAL__N_125multi_tensor_apply_kernelINS1_18TensorListMetadataILi1EEENS1_14UnaryOpFunctorIfLi1ELi1ELi0EEEJNS0_5Log1pIfEEEEEvT_T0_DpT1_.private_seg_size, 0
	.set _ZN2at6native12_GLOBAL__N_125multi_tensor_apply_kernelINS1_18TensorListMetadataILi1EEENS1_14UnaryOpFunctorIfLi1ELi1ELi0EEEJNS0_5Log1pIfEEEEEvT_T0_DpT1_.uses_vcc, 1
	.set _ZN2at6native12_GLOBAL__N_125multi_tensor_apply_kernelINS1_18TensorListMetadataILi1EEENS1_14UnaryOpFunctorIfLi1ELi1ELi0EEEJNS0_5Log1pIfEEEEEvT_T0_DpT1_.uses_flat_scratch, 0
	.set _ZN2at6native12_GLOBAL__N_125multi_tensor_apply_kernelINS1_18TensorListMetadataILi1EEENS1_14UnaryOpFunctorIfLi1ELi1ELi0EEEJNS0_5Log1pIfEEEEEvT_T0_DpT1_.has_dyn_sized_stack, 0
	.set _ZN2at6native12_GLOBAL__N_125multi_tensor_apply_kernelINS1_18TensorListMetadataILi1EEENS1_14UnaryOpFunctorIfLi1ELi1ELi0EEEJNS0_5Log1pIfEEEEEvT_T0_DpT1_.has_recursion, 0
	.set _ZN2at6native12_GLOBAL__N_125multi_tensor_apply_kernelINS1_18TensorListMetadataILi1EEENS1_14UnaryOpFunctorIfLi1ELi1ELi0EEEJNS0_5Log1pIfEEEEEvT_T0_DpT1_.has_indirect_call, 0
	.section	.AMDGPU.csdata,"",@progbits
; Kernel info:
; codeLenInByte = 5200
; TotalNumSgprs: 36
; NumVgprs: 33
; ScratchSize: 0
; MemoryBound: 0
; FloatMode: 240
; IeeeMode: 1
; LDSByteSize: 0 bytes/workgroup (compile time only)
; SGPRBlocks: 4
; VGPRBlocks: 8
; NumSGPRsForWavesPerEU: 36
; NumVGPRsForWavesPerEU: 33
; Occupancy: 7
; WaveLimiterHint : 0
; COMPUTE_PGM_RSRC2:SCRATCH_EN: 0
; COMPUTE_PGM_RSRC2:USER_SGPR: 6
; COMPUTE_PGM_RSRC2:TRAP_HANDLER: 0
; COMPUTE_PGM_RSRC2:TGID_X_EN: 1
; COMPUTE_PGM_RSRC2:TGID_Y_EN: 0
; COMPUTE_PGM_RSRC2:TGID_Z_EN: 0
; COMPUTE_PGM_RSRC2:TIDIG_COMP_CNT: 0
	.section	.text._ZN2at6native12_GLOBAL__N_125multi_tensor_apply_kernelINS1_18TensorListMetadataILi1EEENS1_14UnaryOpFunctorIN3c107complexIdEELi1ELi1ELi0EEEJNS0_5Log1pIS8_EEEEEvT_T0_DpT1_,"axG",@progbits,_ZN2at6native12_GLOBAL__N_125multi_tensor_apply_kernelINS1_18TensorListMetadataILi1EEENS1_14UnaryOpFunctorIN3c107complexIdEELi1ELi1ELi0EEEJNS0_5Log1pIS8_EEEEEvT_T0_DpT1_,comdat
	.globl	_ZN2at6native12_GLOBAL__N_125multi_tensor_apply_kernelINS1_18TensorListMetadataILi1EEENS1_14UnaryOpFunctorIN3c107complexIdEELi1ELi1ELi0EEEJNS0_5Log1pIS8_EEEEEvT_T0_DpT1_ ; -- Begin function _ZN2at6native12_GLOBAL__N_125multi_tensor_apply_kernelINS1_18TensorListMetadataILi1EEENS1_14UnaryOpFunctorIN3c107complexIdEELi1ELi1ELi0EEEJNS0_5Log1pIS8_EEEEEvT_T0_DpT1_
	.p2align	8
	.type	_ZN2at6native12_GLOBAL__N_125multi_tensor_apply_kernelINS1_18TensorListMetadataILi1EEENS1_14UnaryOpFunctorIN3c107complexIdEELi1ELi1ELi0EEEJNS0_5Log1pIS8_EEEEEvT_T0_DpT1_,@function
_ZN2at6native12_GLOBAL__N_125multi_tensor_apply_kernelINS1_18TensorListMetadataILi1EEENS1_14UnaryOpFunctorIN3c107complexIdEELi1ELi1ELi0EEEJNS0_5Log1pIS8_EEEEEvT_T0_DpT1_: ; @_ZN2at6native12_GLOBAL__N_125multi_tensor_apply_kernelINS1_18TensorListMetadataILi1EEENS1_14UnaryOpFunctorIN3c107complexIdEELi1ELi1ELi0EEEJNS0_5Log1pIS8_EEEEEvT_T0_DpT1_
; %bb.0:
	v_mov_b32_e32 v1, s6
	global_load_ubyte v1, v1, s[4:5] offset:1760
	s_add_u32 s0, s4, s6
	s_mul_hi_u32 s1, s6, 3
	s_mul_i32 s6, s6, 3
	s_addc_u32 s2, s5, 0
	s_add_u32 s0, s0, s6
	s_addc_u32 s1, s2, s1
	s_load_dword s0, s[0:1], 0x820
                                        ; implicit-def: $vgpr85 : SGPR spill to VGPR lane
	s_waitcnt vmcnt(0)
	v_readfirstlane_b32 s1, v1
	s_lshl_b32 s1, s1, 3
	s_load_dwordx2 s[6:7], s[4:5], s1 offset:0x0
	v_writelane_b32 v85, s4, 0
	s_load_dwordx2 s[2:3], s[4:5], s1 offset:0x370
                                        ; kill: killed $sgpr1
	s_waitcnt lgkmcnt(0)
	s_ashr_i32 s1, s0, 31
	v_writelane_b32 v85, s5, 1
	s_lshl_b64 s[8:9], s[0:1], 20
	s_add_u32 s33, s6, s8
	v_writelane_b32 v85, s6, 2
	v_writelane_b32 v85, s7, 3
	;; [unrolled: 1-line block ×3, first 2 shown]
	s_addc_u32 s60, s7, s9
	s_lshl_b64 s[0:1], s[0:1], 16
	s_and_b32 s4, s33, 63
	s_mov_b32 s5, 0
	s_sub_u32 s6, s2, s0
	s_subb_u32 s7, s3, s1
	s_and_b32 s0, s2, 3
	s_mov_b32 s1, s5
	s_or_b64 s[0:1], s[4:5], s[0:1]
	s_cmp_eq_u64 s[0:1], 0
	v_writelane_b32 v85, s9, 5
	s_cbranch_scc1 .LBB209_45
; %bb.1:
	v_writelane_b32 v85, s6, 6
	v_cmp_lt_i64_e64 s[0:1], s[6:7], 1
	v_writelane_b32 v85, s7, 7
	s_and_b64 vcc, exec, s[0:1]
	s_cbranch_vccnz .LBB209_44
; %bb.2:
	v_readlane_b32 s0, v85, 0
	v_readlane_b32 s1, v85, 1
	v_mov_b32_e32 v1, 0x10000
	v_readlane_b32 s4, v85, 6
	s_load_dword s2, s[0:1], 0xd3c
	v_mov_b32_e32 v2, 0
	v_readlane_b32 s5, v85, 7
	v_cmp_lt_i64_e32 vcc, s[4:5], v[1:2]
	v_mov_b32_e32 v18, 0
	s_and_b64 s[0:1], vcc, exec
	v_cmp_lt_u64_e32 vcc, s[4:5], v[1:2]
	s_cselect_b32 s27, s5, 0
	s_cselect_b32 s26, s4, 0x10000
	s_waitcnt lgkmcnt(0)
	s_and_b32 s2, s2, 0xffff
	s_and_b64 s[0:1], vcc, exec
	s_cselect_b32 s28, s4, 0x10000
	s_mul_i32 s4, s2, 3
	v_add_co_u32_e32 v50, vcc, s2, v0
	v_lshlrev_b32_e32 v17, 4, v0
	v_addc_co_u32_e64 v51, s[0:1], 0, 0, vcc
	v_add_co_u32_e32 v52, vcc, s4, v0
	v_mad_u64_u32 v[18:19], s[0:1], s2, 48, v[17:18]
	v_addc_co_u32_e64 v53, s[0:1], 0, 0, vcc
	s_cselect_b32 s29, s5, 0
	s_lshl_b32 s0, s2, 5
	s_lshl_b32 s3, s2, 1
	v_add_co_u32_e32 v1, vcc, s0, v17
	v_addc_co_u32_e64 v55, s[0:1], 0, 0, vcc
	v_add_co_u32_e32 v57, vcc, s3, v0
	s_mov_b32 s30, 0x55555555
	s_mov_b32 s34, 0xbf559e2b
	s_mov_b32 s36, 0xd7f4df2e
	s_mov_b32 s38, 0x16291751
	s_mov_b32 s40, 0x9b27acf1
	s_mov_b32 s42, 0x998ef7b6
	s_mov_b32 s44, 0xfefa39ef
	s_mov_b32 s46, 0x3b39803f
	s_mov_b32 s48, 0x54442d18
	s_mov_b32 s64, 0x5711927a
	s_mov_b32 s66, 0xe82d3ff0
	s_mov_b32 s68, 0x6ef28734
	s_mov_b32 s70, 0x6a214619
	s_mov_b32 s72, 0x8427b883
	s_mov_b32 s74, 0x8b207f05
	s_mov_b32 s76, 0x57b87036
	s_mov_b32 s78, 0x19378e4f
	s_mov_b32 s80, 0x17e1913c
	s_mov_b32 s82, 0x92376b7d
	s_mov_b32 s84, 0x999952cc
	s_mov_b32 s86, 0x55555523
	s_lshl_b32 s63, s2, 2
	s_lshl_b32 s58, s2, 6
	v_or_b32_e32 v18, 8, v18
	v_lshlrev_b32_e32 v54, 4, v50
	v_or_b32_e32 v56, 8, v1
	v_addc_co_u32_e64 v58, s[0:1], 0, 0, vcc
	s_mov_b32 s31, 0x3fe55555
	s_mov_b32 s35, 0x3fc3ab76
	;; [unrolled: 1-line block ×18, first 2 shown]
	v_mov_b32_e32 v59, 0x7ff80000
	v_mov_b32_e32 v60, 0x7ff00000
	;; [unrolled: 1-line block ×7, first 2 shown]
	s_mov_b32 s83, 0xbfc24924
	v_mov_b32_e32 v20, 0x6b47b09a
	s_mov_b32 s85, 0x3fc99999
	v_mov_b32_e32 v22, 0xbd3237f4
	;; [unrolled: 2-line block ×3, first 2 shown]
	v_mov_b32_e32 v23, 0xbf23e260
	s_movk_i32 s61, 0x204
	s_brev_b32 s62, -2
	s_mov_b64 s[88:89], 0
	s_mov_b32 s90, 0x55555780
	s_mov_b32 s95, 0x400921fb
	s_branch .LBB209_4
.LBB209_3:                              ;   in Loop: Header=BB209_4 Depth=1
	s_or_b64 exec, exec, s[2:3]
	s_add_u32 s88, s88, s63
	v_mov_b32_e32 v1, s26
	s_addc_u32 s89, s89, 0
	v_mov_b32_e32 v2, s27
	v_cmp_ge_i64_e32 vcc, s[88:89], v[1:2]
	s_add_u32 s33, s33, s58
	s_addc_u32 s60, s60, 0
	s_cbranch_vccnz .LBB209_44
.LBB209_4:                              ; =>This Inner Loop Header: Depth=1
	v_mov_b32_e32 v2, s89
	v_add_co_u32_e32 v1, vcc, s88, v0
	v_addc_co_u32_e32 v2, vcc, 0, v2, vcc
	v_cmp_gt_u64_e32 vcc, s[28:29], v[1:2]
	v_mov_b32_e32 v11, 0
	v_mov_b32_e32 v15, 0
	;; [unrolled: 1-line block ×6, first 2 shown]
	s_and_saveexec_b64 s[2:3], vcc
	s_cbranch_execz .LBB209_6
; %bb.5:                                ;   in Loop: Header=BB209_4 Depth=1
	v_mov_b32_e32 v2, s60
	v_add_co_u32_e64 v1, s[0:1], s33, v17
	v_addc_co_u32_e64 v2, s[0:1], 0, v2, s[0:1]
	global_load_dwordx4 v[13:16], v[1:2], off
.LBB209_6:                              ;   in Loop: Header=BB209_4 Depth=1
	s_or_b64 exec, exec, s[2:3]
	v_mov_b32_e32 v2, s89
	v_add_co_u32_e64 v1, s[0:1], s88, v50
	v_addc_co_u32_e64 v2, s[0:1], v51, v2, s[0:1]
	v_cmp_gt_u64_e64 s[6:7], s[28:29], v[1:2]
	v_mov_b32_e32 v9, 0
	v_mov_b32_e32 v10, 0
	s_and_saveexec_b64 s[2:3], s[6:7]
	s_cbranch_execz .LBB209_8
; %bb.7:                                ;   in Loop: Header=BB209_4 Depth=1
	v_mov_b32_e32 v2, s60
	v_add_co_u32_e64 v1, s[0:1], s33, v54
	v_addc_co_u32_e64 v2, s[0:1], 0, v2, s[0:1]
	global_load_dwordx4 v[9:12], v[1:2], off
.LBB209_8:                              ;   in Loop: Header=BB209_4 Depth=1
	s_or_b64 exec, exec, s[2:3]
	v_mov_b32_e32 v2, s89
	v_add_co_u32_e64 v1, s[0:1], s88, v57
	v_addc_co_u32_e64 v2, s[0:1], v58, v2, s[0:1]
	v_cmp_gt_u64_e64 s[2:3], s[28:29], v[1:2]
	v_mov_b32_e32 v3, 0
	v_mov_b32_e32 v7, 0
	;; [unrolled: 1-line block ×6, first 2 shown]
	s_and_saveexec_b64 s[4:5], s[2:3]
	s_cbranch_execz .LBB209_10
; %bb.9:                                ;   in Loop: Header=BB209_4 Depth=1
	v_mov_b32_e32 v2, s60
	v_add_co_u32_e64 v1, s[0:1], s33, v56
	v_addc_co_u32_e64 v2, s[0:1], v2, v55, s[0:1]
	global_load_dwordx4 v[5:8], v[1:2], off offset:-8
.LBB209_10:                             ;   in Loop: Header=BB209_4 Depth=1
	s_or_b64 exec, exec, s[4:5]
	v_mov_b32_e32 v2, s89
	v_add_co_u32_e64 v1, s[0:1], s88, v52
	v_addc_co_u32_e64 v2, s[0:1], v53, v2, s[0:1]
	v_cmp_gt_u64_e64 s[0:1], s[28:29], v[1:2]
	v_mov_b32_e32 v1, 0
	v_mov_b32_e32 v2, 0
	s_and_saveexec_b64 s[4:5], s[0:1]
	s_cbranch_execz .LBB209_12
; %bb.11:                               ;   in Loop: Header=BB209_4 Depth=1
	v_mov_b32_e32 v2, s60
	v_add_co_u32_e64 v1, s[8:9], s33, v18
	v_addc_co_u32_e64 v2, s[8:9], v2, v19, s[8:9]
	global_load_dwordx4 v[1:4], v[1:2], off offset:-8
.LBB209_12:                             ;   in Loop: Header=BB209_4 Depth=1
	s_or_b64 exec, exec, s[4:5]
	s_waitcnt vmcnt(0)
	v_max_f64 v[24:25], |v[13:14]|, |v[13:14]|
	v_max_f64 v[26:27], |v[15:16]|, |v[15:16]|
	v_cmp_class_f64_e64 s[4:5], v[13:14], s61
	v_cmp_class_f64_e64 s[20:21], v[15:16], s61
	v_cmp_u_f64_e64 s[10:11], v[13:14], v[15:16]
	v_max_f64 v[24:25], v[24:25], v[26:27]
	s_or_b64 s[4:5], s[20:21], s[4:5]
	s_or_b64 s[4:5], s[4:5], s[10:11]
	v_frexp_exp_i32_f64_e32 v34, v[24:25]
	v_sub_u32_e32 v28, 0, v34
	v_ldexp_f64 v[24:25], |v[15:16]|, v28
	v_ldexp_f64 v[28:29], |v[13:14]|, v28
	v_mul_f64 v[24:25], v[24:25], v[24:25]
	v_fma_f64 v[28:29], v[28:29], v[28:29], v[24:25]
	v_rsq_f64_e32 v[24:25], v[28:29]
	v_cmp_eq_f64_e64 s[8:9], 0, v[28:29]
	v_mul_f64 v[30:31], v[28:29], v[24:25]
	v_mul_f64 v[24:25], v[24:25], 0.5
	v_fma_f64 v[32:33], -v[24:25], v[30:31], 0.5
	v_fma_f64 v[30:31], v[30:31], v[32:33], v[30:31]
	v_fma_f64 v[24:25], v[24:25], v[32:33], v[24:25]
	v_fma_f64 v[32:33], -v[30:31], v[30:31], v[28:29]
	v_fma_f64 v[30:31], v[32:33], v[24:25], v[30:31]
	v_add_f64 v[24:25], v[13:14], 1.0
	v_cndmask_b32_e64 v29, v31, v29, s[8:9]
	v_cndmask_b32_e64 v28, v30, v28, s[8:9]
	v_ldexp_f64 v[30:31], v[28:29], v34
	v_max_f64 v[28:29], |v[24:25]|, v[26:27]
	v_cmp_u_f64_e64 s[8:9], v[24:25], v[15:16]
	v_cmp_class_f64_e64 s[22:23], v[24:25], s61
	v_cmp_ngt_f64_e64 s[12:13], 0.5, v[30:31]
	s_or_b64 s[4:5], s[4:5], s[12:13]
	s_and_saveexec_b64 s[10:11], s[4:5]
	s_xor_b64 s[4:5], exec, s[10:11]
	s_cbranch_execz .LBB209_14
; %bb.13:                               ;   in Loop: Header=BB209_4 Depth=1
	v_frexp_exp_i32_f64_e32 v36, v[28:29]
	s_mov_b32 s91, s31
	v_sub_u32_e32 v30, 0, v36
	v_ldexp_f64 v[13:14], |v[15:16]|, v30
	v_ldexp_f64 v[30:31], |v[24:25]|, v30
	v_mul_f64 v[13:14], v[13:14], v[13:14]
	v_fma_f64 v[13:14], v[30:31], v[30:31], v[13:14]
	v_rsq_f64_e32 v[30:31], v[13:14]
	v_cmp_eq_f64_e64 s[10:11], 0, v[13:14]
	v_mul_f64 v[32:33], v[13:14], v[30:31]
	v_mul_f64 v[30:31], v[30:31], 0.5
	v_fma_f64 v[34:35], -v[30:31], v[32:33], 0.5
	v_fma_f64 v[32:33], v[32:33], v[34:35], v[32:33]
	v_fma_f64 v[30:31], v[30:31], v[34:35], v[30:31]
	v_fma_f64 v[34:35], -v[32:33], v[32:33], v[13:14]
	v_fma_f64 v[30:31], v[34:35], v[30:31], v[32:33]
	v_cndmask_b32_e64 v14, v31, v14, s[10:11]
	v_cndmask_b32_e64 v13, v30, v13, s[10:11]
	v_ldexp_f64 v[13:14], v[13:14], v36
	s_or_b64 s[10:11], s[20:21], s[22:23]
	v_cndmask_b32_e64 v14, v14, v59, s[8:9]
	v_cndmask_b32_e64 v31, v14, v60, s[10:11]
	s_or_b64 s[10:11], s[10:11], s[8:9]
	v_cndmask_b32_e64 v30, v13, 0, s[10:11]
	v_frexp_mant_f64_e32 v[13:14], v[30:31]
	v_cmp_gt_f64_e64 s[10:11], s[30:31], v[13:14]
	v_cndmask_b32_e64 v32, 0, 1, s[10:11]
	v_ldexp_f64 v[13:14], v[13:14], v32
	v_add_f64 v[32:33], v[13:14], 1.0
	v_add_f64 v[38:39], v[13:14], -1.0
	v_rcp_f64_e32 v[34:35], v[32:33]
	v_add_f64 v[40:41], v[32:33], -1.0
	v_add_f64 v[13:14], v[13:14], -v[40:41]
	v_fma_f64 v[36:37], -v[32:33], v[34:35], 1.0
	v_fma_f64 v[34:35], v[36:37], v[34:35], v[34:35]
	v_fma_f64 v[36:37], -v[32:33], v[34:35], 1.0
	v_fma_f64 v[34:35], v[36:37], v[34:35], v[34:35]
	v_mul_f64 v[36:37], v[38:39], v[34:35]
	v_mul_f64 v[42:43], v[32:33], v[36:37]
	v_fma_f64 v[32:33], v[36:37], v[32:33], -v[42:43]
	v_fma_f64 v[13:14], v[36:37], v[13:14], v[32:33]
	v_add_f64 v[32:33], v[42:43], v[13:14]
	v_add_f64 v[40:41], v[38:39], -v[32:33]
	v_add_f64 v[42:43], v[32:33], -v[42:43]
	;; [unrolled: 1-line block ×5, first 2 shown]
	v_add_f64 v[13:14], v[13:14], v[32:33]
	v_add_f64 v[13:14], v[40:41], v[13:14]
	v_mul_f64 v[13:14], v[34:35], v[13:14]
	v_add_f64 v[32:33], v[36:37], v[13:14]
	v_mul_f64 v[34:35], v[32:33], v[32:33]
	v_fma_f64 v[38:39], v[34:35], s[34:35], v[20:21]
	v_mul_f64 v[40:41], v[32:33], v[34:35]
	v_fma_f64 v[38:39], v[34:35], v[38:39], s[36:37]
	v_fma_f64 v[38:39], v[34:35], v[38:39], s[38:39]
	;; [unrolled: 1-line block ×5, first 2 shown]
	v_ldexp_f64 v[38:39], v[32:33], 1
	v_add_f64 v[32:33], v[32:33], -v[36:37]
	v_mul_f64 v[34:35], v[40:41], v[34:35]
	v_frexp_exp_i32_f64_e32 v40, v[30:31]
	v_add_f64 v[13:14], v[13:14], -v[32:33]
	v_add_f64 v[36:37], v[38:39], v[34:35]
	v_subbrev_co_u32_e64 v40, s[10:11], 0, v40, s[10:11]
	v_cvt_f64_i32_e32 v[40:41], v40
	v_ldexp_f64 v[13:14], v[13:14], 1
	v_cmp_class_f64_e64 s[10:11], v[30:31], s61
	v_mul_f64 v[42:43], v[40:41], s[44:45]
	v_add_f64 v[32:33], v[36:37], -v[38:39]
	v_fma_f64 v[38:39], v[40:41], s[44:45], -v[42:43]
	v_add_f64 v[32:33], v[34:35], -v[32:33]
	v_fma_f64 v[34:35], v[40:41], s[46:47], v[38:39]
	v_add_f64 v[13:14], v[13:14], v[32:33]
	v_add_f64 v[32:33], v[42:43], v[34:35]
	;; [unrolled: 1-line block ×3, first 2 shown]
	v_add_f64 v[42:43], v[32:33], -v[42:43]
	v_add_f64 v[40:41], v[32:33], v[38:39]
	v_add_f64 v[36:37], v[38:39], -v[36:37]
	v_add_f64 v[34:35], v[34:35], -v[42:43]
	;; [unrolled: 1-line block ×6, first 2 shown]
	v_add_f64 v[38:39], v[34:35], v[13:14]
	v_add_f64 v[32:33], v[32:33], -v[46:47]
	v_add_f64 v[32:33], v[36:37], v[32:33]
	v_add_f64 v[36:37], v[38:39], -v[34:35]
	;; [unrolled: 2-line block ×3, first 2 shown]
	v_add_f64 v[13:14], v[13:14], -v[36:37]
	v_add_f64 v[42:43], v[40:41], v[32:33]
	v_add_f64 v[34:35], v[34:35], -v[38:39]
	v_add_f64 v[36:37], v[42:43], -v[40:41]
	v_add_f64 v[13:14], v[13:14], v[34:35]
	v_add_f64 v[32:33], v[32:33], -v[36:37]
	v_add_f64 v[13:14], v[13:14], v[32:33]
	v_add_f64 v[13:14], v[42:43], v[13:14]
	v_cndmask_b32_e64 v13, v13, v30, s[10:11]
	v_cndmask_b32_e64 v14, v14, v31, s[10:11]
	v_cmp_ngt_f64_e64 s[10:11], 0, v[30:31]
	v_cndmask_b32_e64 v14, v59, v14, s[10:11]
	v_cmp_nge_f64_e64 s[10:11], 0, v[30:31]
	v_cndmask_b32_e64 v13, 0, v13, s[10:11]
	v_cmp_neq_f64_e64 s[10:11], 0, v[30:31]
	v_cndmask_b32_e64 v14, v61, v14, s[10:11]
.LBB209_14:                             ;   in Loop: Header=BB209_4 Depth=1
	s_andn2_saveexec_b64 s[4:5], s[4:5]
	s_cbranch_execz .LBB209_18
; %bb.15:                               ;   in Loop: Header=BB209_4 Depth=1
	v_add_f64 v[30:31], v[13:14], 2.0
	v_mul_f64 v[30:31], v[13:14], v[30:31]
	v_fma_f64 v[30:31], v[15:16], v[15:16], v[30:31]
	v_cmp_neq_f64_e64 s[10:11], 0, v[30:31]
	s_and_saveexec_b64 s[14:15], s[10:11]
	s_cbranch_execz .LBB209_17
; %bb.16:                               ;   in Loop: Header=BB209_4 Depth=1
	v_add_f64 v[13:14], v[30:31], 1.0
	s_mov_b32 s91, s31
	s_mov_b32 s12, 0
	;; [unrolled: 1-line block ×3, first 2 shown]
	v_cmp_neq_f64_e64 s[12:13], s[12:13], v[30:31]
	v_frexp_mant_f64_e32 v[34:35], v[13:14]
	v_frexp_exp_i32_f64_e32 v38, v[13:14]
	v_add_f64 v[32:33], v[13:14], -1.0
	v_cmp_gt_f64_e64 s[10:11], s[30:31], v[34:35]
	v_add_f64 v[36:37], v[32:33], -v[13:14]
	v_add_f64 v[32:33], v[30:31], -v[32:33]
	v_subbrev_co_u32_e64 v68, s[10:11], 0, v38, s[10:11]
	v_sub_u32_e32 v38, 0, v68
	v_ldexp_f64 v[13:14], v[13:14], v38
	v_add_f64 v[34:35], v[36:37], 1.0
	v_cmp_nge_f64_e64 s[10:11], -1.0, v[30:31]
	v_add_f64 v[36:37], v[13:14], 1.0
	v_add_f64 v[32:33], v[32:33], v[34:35]
	v_add_f64 v[42:43], v[13:14], -1.0
	s_and_b64 s[10:11], s[10:11], s[12:13]
	v_add_f64 v[34:35], v[36:37], -1.0
	v_ldexp_f64 v[32:33], v[32:33], v38
	v_add_f64 v[44:45], v[42:43], 1.0
	v_add_f64 v[34:35], v[13:14], -v[34:35]
	v_add_f64 v[13:14], v[13:14], -v[44:45]
	v_add_f64 v[34:35], v[32:33], v[34:35]
	v_add_f64 v[13:14], v[32:33], v[13:14]
	;; [unrolled: 1-line block ×4, first 2 shown]
	v_rcp_f64_e32 v[40:41], v[38:39]
	v_add_f64 v[36:37], v[38:39], -v[36:37]
	v_add_f64 v[42:43], v[44:45], -v[42:43]
	;; [unrolled: 1-line block ×4, first 2 shown]
	v_fma_f64 v[46:47], -v[38:39], v[40:41], 1.0
	v_fma_f64 v[40:41], v[46:47], v[40:41], v[40:41]
	v_fma_f64 v[32:33], -v[38:39], v[40:41], 1.0
	v_fma_f64 v[32:33], v[32:33], v[40:41], v[40:41]
	v_mul_f64 v[40:41], v[44:45], v[32:33]
	v_mul_f64 v[46:47], v[38:39], v[40:41]
	v_fma_f64 v[36:37], v[40:41], v[38:39], -v[46:47]
	v_fma_f64 v[36:37], v[40:41], v[34:35], v[36:37]
	v_add_f64 v[48:49], v[46:47], v[36:37]
	v_add_f64 v[66:67], v[44:45], -v[48:49]
	v_add_f64 v[42:43], v[48:49], -v[46:47]
	;; [unrolled: 1-line block ×5, first 2 shown]
	v_add_f64 v[13:14], v[13:14], v[44:45]
	v_add_f64 v[13:14], v[36:37], v[13:14]
	;; [unrolled: 1-line block ×3, first 2 shown]
	v_mul_f64 v[42:43], v[32:33], v[36:37]
	v_add_f64 v[48:49], v[66:67], -v[36:37]
	v_mul_f64 v[44:45], v[38:39], v[42:43]
	v_add_f64 v[13:14], v[13:14], v[48:49]
	v_fma_f64 v[38:39], v[42:43], v[38:39], -v[44:45]
	v_fma_f64 v[34:35], v[42:43], v[34:35], v[38:39]
	v_add_f64 v[38:39], v[44:45], v[34:35]
	v_add_f64 v[46:47], v[36:37], -v[38:39]
	v_add_f64 v[44:45], v[38:39], -v[44:45]
	;; [unrolled: 1-line block ×5, first 2 shown]
	v_add_f64 v[13:14], v[13:14], v[36:37]
	v_add_f64 v[36:37], v[40:41], v[42:43]
	v_add_f64 v[13:14], v[34:35], v[13:14]
	v_add_f64 v[34:35], v[36:37], -v[40:41]
	v_add_f64 v[13:14], v[46:47], v[13:14]
	v_add_f64 v[34:35], v[42:43], -v[34:35]
	v_mul_f64 v[13:14], v[32:33], v[13:14]
	v_add_f64 v[13:14], v[34:35], v[13:14]
	v_add_f64 v[32:33], v[36:37], v[13:14]
	v_mul_f64 v[34:35], v[32:33], v[32:33]
	v_fma_f64 v[38:39], v[34:35], s[34:35], v[20:21]
	v_mul_f64 v[40:41], v[32:33], v[34:35]
	v_fma_f64 v[38:39], v[34:35], v[38:39], s[36:37]
	v_fma_f64 v[38:39], v[34:35], v[38:39], s[38:39]
	;; [unrolled: 1-line block ×5, first 2 shown]
	v_ldexp_f64 v[38:39], v[32:33], 1
	v_add_f64 v[32:33], v[32:33], -v[36:37]
	v_mul_f64 v[34:35], v[40:41], v[34:35]
	v_cvt_f64_i32_e32 v[40:41], v68
	v_add_f64 v[13:14], v[13:14], -v[32:33]
	v_mul_f64 v[42:43], v[40:41], s[44:45]
	v_add_f64 v[36:37], v[38:39], v[34:35]
	v_ldexp_f64 v[13:14], v[13:14], 1
	v_add_f64 v[32:33], v[36:37], -v[38:39]
	v_fma_f64 v[38:39], v[40:41], s[44:45], -v[42:43]
	v_add_f64 v[32:33], v[34:35], -v[32:33]
	v_fma_f64 v[34:35], v[40:41], s[46:47], v[38:39]
	v_add_f64 v[13:14], v[13:14], v[32:33]
	v_add_f64 v[32:33], v[42:43], v[34:35]
	;; [unrolled: 1-line block ×3, first 2 shown]
	v_add_f64 v[42:43], v[32:33], -v[42:43]
	v_add_f64 v[40:41], v[32:33], v[38:39]
	v_add_f64 v[36:37], v[38:39], -v[36:37]
	v_add_f64 v[34:35], v[34:35], -v[42:43]
	;; [unrolled: 1-line block ×6, first 2 shown]
	v_add_f64 v[38:39], v[34:35], v[13:14]
	v_add_f64 v[32:33], v[32:33], -v[46:47]
	v_add_f64 v[32:33], v[36:37], v[32:33]
	v_add_f64 v[36:37], v[38:39], -v[34:35]
	;; [unrolled: 2-line block ×3, first 2 shown]
	v_add_f64 v[13:14], v[13:14], -v[36:37]
	v_add_f64 v[42:43], v[40:41], v[32:33]
	v_add_f64 v[34:35], v[34:35], -v[38:39]
	v_add_f64 v[36:37], v[42:43], -v[40:41]
	v_add_f64 v[13:14], v[13:14], v[34:35]
	v_add_f64 v[32:33], v[32:33], -v[36:37]
	v_add_f64 v[13:14], v[13:14], v[32:33]
	v_add_f64 v[13:14], v[42:43], v[13:14]
	v_mul_f64 v[13:14], v[13:14], 0.5
	v_cndmask_b32_e64 v13, 0, v13, s[10:11]
	v_cmp_ngt_f64_e64 s[10:11], -1.0, v[30:31]
	v_cndmask_b32_e64 v14, v60, v14, s[12:13]
	v_cndmask_b32_e64 v14, v59, v14, s[10:11]
	v_cmp_neq_f64_e64 s[10:11], -1.0, v[30:31]
	v_cndmask_b32_e64 v14, v61, v14, s[10:11]
.LBB209_17:                             ;   in Loop: Header=BB209_4 Depth=1
	s_or_b64 exec, exec, s[14:15]
.LBB209_18:                             ;   in Loop: Header=BB209_4 Depth=1
	s_or_b64 exec, exec, s[4:5]
	v_max_f64 v[30:31], |v[9:10]|, |v[9:10]|
	v_max_f64 v[32:33], |v[11:12]|, |v[11:12]|
	v_cmp_class_f64_e64 s[16:17], v[9:10], s61
	v_cmp_class_f64_e64 s[92:93], v[11:12], s61
	v_cmp_u_f64_e64 s[12:13], v[9:10], v[11:12]
	v_max_f64 v[30:31], v[30:31], v[32:33]
	s_or_b64 s[16:17], s[92:93], s[16:17]
	s_or_b64 s[12:13], s[16:17], s[12:13]
	v_frexp_exp_i32_f64_e32 v40, v[30:31]
	v_sub_u32_e32 v34, 0, v40
	v_ldexp_f64 v[30:31], |v[11:12]|, v34
	v_ldexp_f64 v[34:35], |v[9:10]|, v34
	v_mul_f64 v[30:31], v[30:31], v[30:31]
	v_fma_f64 v[34:35], v[34:35], v[34:35], v[30:31]
	v_rsq_f64_e32 v[30:31], v[34:35]
	v_cmp_eq_f64_e64 s[10:11], 0, v[34:35]
	v_mul_f64 v[36:37], v[34:35], v[30:31]
	v_mul_f64 v[30:31], v[30:31], 0.5
	v_fma_f64 v[38:39], -v[30:31], v[36:37], 0.5
	v_fma_f64 v[36:37], v[36:37], v[38:39], v[36:37]
	v_fma_f64 v[30:31], v[30:31], v[38:39], v[30:31]
	v_fma_f64 v[38:39], -v[36:37], v[36:37], v[34:35]
	v_fma_f64 v[36:37], v[38:39], v[30:31], v[36:37]
	v_add_f64 v[30:31], v[9:10], 1.0
	v_cndmask_b32_e64 v35, v37, v35, s[10:11]
	v_cndmask_b32_e64 v34, v36, v34, s[10:11]
	v_ldexp_f64 v[36:37], v[34:35], v40
	v_max_f64 v[34:35], |v[30:31]|, v[32:33]
	v_cmp_u_f64_e64 s[10:11], v[30:31], v[11:12]
	v_cmp_class_f64_e64 s[4:5], v[30:31], s61
	v_cmp_ngt_f64_e64 s[14:15], 0.5, v[36:37]
	s_or_b64 s[12:13], s[12:13], s[14:15]
	s_and_saveexec_b64 s[14:15], s[12:13]
	s_xor_b64 s[14:15], exec, s[14:15]
	s_cbranch_execz .LBB209_20
; %bb.19:                               ;   in Loop: Header=BB209_4 Depth=1
	v_frexp_exp_i32_f64_e32 v42, v[34:35]
	s_mov_b32 s91, s31
	v_sub_u32_e32 v36, 0, v42
	v_ldexp_f64 v[9:10], |v[11:12]|, v36
	v_ldexp_f64 v[36:37], |v[30:31]|, v36
	v_mul_f64 v[9:10], v[9:10], v[9:10]
	v_fma_f64 v[9:10], v[36:37], v[36:37], v[9:10]
	v_rsq_f64_e32 v[36:37], v[9:10]
	v_cmp_eq_f64_e64 s[12:13], 0, v[9:10]
	v_mul_f64 v[38:39], v[9:10], v[36:37]
	v_mul_f64 v[36:37], v[36:37], 0.5
	v_fma_f64 v[40:41], -v[36:37], v[38:39], 0.5
	v_fma_f64 v[38:39], v[38:39], v[40:41], v[38:39]
	v_fma_f64 v[36:37], v[36:37], v[40:41], v[36:37]
	v_fma_f64 v[40:41], -v[38:39], v[38:39], v[9:10]
	v_fma_f64 v[36:37], v[40:41], v[36:37], v[38:39]
	v_cndmask_b32_e64 v10, v37, v10, s[12:13]
	v_cndmask_b32_e64 v9, v36, v9, s[12:13]
	v_ldexp_f64 v[9:10], v[9:10], v42
	s_or_b64 s[12:13], s[92:93], s[4:5]
	v_cndmask_b32_e64 v10, v10, v59, s[10:11]
	v_cndmask_b32_e64 v37, v10, v60, s[12:13]
	s_or_b64 s[12:13], s[12:13], s[10:11]
	v_cndmask_b32_e64 v36, v9, 0, s[12:13]
	v_frexp_mant_f64_e32 v[9:10], v[36:37]
	v_cmp_gt_f64_e64 s[12:13], s[30:31], v[9:10]
	v_cndmask_b32_e64 v38, 0, 1, s[12:13]
	v_ldexp_f64 v[9:10], v[9:10], v38
	v_add_f64 v[38:39], v[9:10], 1.0
	v_add_f64 v[44:45], v[9:10], -1.0
	v_rcp_f64_e32 v[40:41], v[38:39]
	v_add_f64 v[46:47], v[38:39], -1.0
	v_add_f64 v[9:10], v[9:10], -v[46:47]
	v_fma_f64 v[42:43], -v[38:39], v[40:41], 1.0
	v_fma_f64 v[40:41], v[42:43], v[40:41], v[40:41]
	v_fma_f64 v[42:43], -v[38:39], v[40:41], 1.0
	v_fma_f64 v[40:41], v[42:43], v[40:41], v[40:41]
	v_mul_f64 v[42:43], v[44:45], v[40:41]
	v_mul_f64 v[48:49], v[38:39], v[42:43]
	v_fma_f64 v[38:39], v[42:43], v[38:39], -v[48:49]
	v_fma_f64 v[9:10], v[42:43], v[9:10], v[38:39]
	v_add_f64 v[38:39], v[48:49], v[9:10]
	v_add_f64 v[46:47], v[44:45], -v[38:39]
	v_add_f64 v[48:49], v[38:39], -v[48:49]
	;; [unrolled: 1-line block ×5, first 2 shown]
	v_add_f64 v[9:10], v[9:10], v[38:39]
	v_add_f64 v[9:10], v[46:47], v[9:10]
	v_mul_f64 v[9:10], v[40:41], v[9:10]
	v_add_f64 v[38:39], v[42:43], v[9:10]
	v_mul_f64 v[40:41], v[38:39], v[38:39]
	v_fma_f64 v[44:45], v[40:41], s[34:35], v[20:21]
	v_mul_f64 v[46:47], v[38:39], v[40:41]
	v_fma_f64 v[44:45], v[40:41], v[44:45], s[36:37]
	v_fma_f64 v[44:45], v[40:41], v[44:45], s[38:39]
	;; [unrolled: 1-line block ×5, first 2 shown]
	v_ldexp_f64 v[44:45], v[38:39], 1
	v_add_f64 v[38:39], v[38:39], -v[42:43]
	v_mul_f64 v[40:41], v[46:47], v[40:41]
	v_frexp_exp_i32_f64_e32 v46, v[36:37]
	v_add_f64 v[9:10], v[9:10], -v[38:39]
	v_add_f64 v[42:43], v[44:45], v[40:41]
	v_subbrev_co_u32_e64 v46, s[12:13], 0, v46, s[12:13]
	v_cvt_f64_i32_e32 v[46:47], v46
	v_ldexp_f64 v[9:10], v[9:10], 1
	v_cmp_class_f64_e64 s[12:13], v[36:37], s61
	v_mul_f64 v[48:49], v[46:47], s[44:45]
	v_add_f64 v[38:39], v[42:43], -v[44:45]
	v_fma_f64 v[44:45], v[46:47], s[44:45], -v[48:49]
	v_add_f64 v[38:39], v[40:41], -v[38:39]
	v_fma_f64 v[40:41], v[46:47], s[46:47], v[44:45]
	v_add_f64 v[9:10], v[9:10], v[38:39]
	v_add_f64 v[38:39], v[48:49], v[40:41]
	;; [unrolled: 1-line block ×3, first 2 shown]
	v_add_f64 v[48:49], v[38:39], -v[48:49]
	v_add_f64 v[46:47], v[38:39], v[44:45]
	v_add_f64 v[42:43], v[44:45], -v[42:43]
	v_add_f64 v[40:41], v[40:41], -v[48:49]
	v_add_f64 v[66:67], v[46:47], -v[38:39]
	v_add_f64 v[9:10], v[9:10], -v[42:43]
	v_add_f64 v[68:69], v[46:47], -v[66:67]
	v_add_f64 v[42:43], v[44:45], -v[66:67]
	v_add_f64 v[44:45], v[40:41], v[9:10]
	v_add_f64 v[38:39], v[38:39], -v[68:69]
	v_add_f64 v[38:39], v[42:43], v[38:39]
	v_add_f64 v[42:43], v[44:45], -v[40:41]
	;; [unrolled: 2-line block ×3, first 2 shown]
	v_add_f64 v[9:10], v[9:10], -v[42:43]
	v_add_f64 v[48:49], v[46:47], v[38:39]
	v_add_f64 v[40:41], v[40:41], -v[44:45]
	v_add_f64 v[42:43], v[48:49], -v[46:47]
	v_add_f64 v[9:10], v[9:10], v[40:41]
	v_add_f64 v[38:39], v[38:39], -v[42:43]
	v_add_f64 v[9:10], v[9:10], v[38:39]
	v_add_f64 v[9:10], v[48:49], v[9:10]
	v_cndmask_b32_e64 v9, v9, v36, s[12:13]
	v_cndmask_b32_e64 v10, v10, v37, s[12:13]
	v_cmp_ngt_f64_e64 s[12:13], 0, v[36:37]
	v_cndmask_b32_e64 v10, v59, v10, s[12:13]
	v_cmp_nge_f64_e64 s[12:13], 0, v[36:37]
	v_cndmask_b32_e64 v9, 0, v9, s[12:13]
	v_cmp_neq_f64_e64 s[12:13], 0, v[36:37]
	v_cndmask_b32_e64 v10, v61, v10, s[12:13]
.LBB209_20:                             ;   in Loop: Header=BB209_4 Depth=1
	s_andn2_saveexec_b64 s[16:17], s[14:15]
	s_cbranch_execz .LBB209_24
; %bb.21:                               ;   in Loop: Header=BB209_4 Depth=1
	v_add_f64 v[36:37], v[9:10], 2.0
	v_mul_f64 v[36:37], v[9:10], v[36:37]
	v_fma_f64 v[36:37], v[11:12], v[11:12], v[36:37]
	v_cmp_neq_f64_e64 s[12:13], 0, v[36:37]
	s_and_saveexec_b64 s[18:19], s[12:13]
	s_cbranch_execz .LBB209_23
; %bb.22:                               ;   in Loop: Header=BB209_4 Depth=1
	v_add_f64 v[9:10], v[36:37], 1.0
	s_mov_b32 s91, s31
	s_mov_b32 s14, 0
	;; [unrolled: 1-line block ×3, first 2 shown]
	v_cmp_neq_f64_e64 s[14:15], s[14:15], v[36:37]
	v_frexp_mant_f64_e32 v[40:41], v[9:10]
	v_frexp_exp_i32_f64_e32 v44, v[9:10]
	v_add_f64 v[38:39], v[9:10], -1.0
	v_cmp_gt_f64_e64 s[12:13], s[30:31], v[40:41]
	v_add_f64 v[42:43], v[38:39], -v[9:10]
	v_add_f64 v[38:39], v[36:37], -v[38:39]
	v_subbrev_co_u32_e64 v74, s[12:13], 0, v44, s[12:13]
	v_sub_u32_e32 v44, 0, v74
	v_ldexp_f64 v[9:10], v[9:10], v44
	v_add_f64 v[40:41], v[42:43], 1.0
	v_cmp_nge_f64_e64 s[12:13], -1.0, v[36:37]
	v_add_f64 v[42:43], v[9:10], 1.0
	v_add_f64 v[38:39], v[38:39], v[40:41]
	v_add_f64 v[48:49], v[9:10], -1.0
	s_and_b64 s[12:13], s[12:13], s[14:15]
	v_add_f64 v[40:41], v[42:43], -1.0
	v_ldexp_f64 v[38:39], v[38:39], v44
	v_add_f64 v[66:67], v[48:49], 1.0
	v_add_f64 v[40:41], v[9:10], -v[40:41]
	v_add_f64 v[9:10], v[9:10], -v[66:67]
	v_add_f64 v[40:41], v[38:39], v[40:41]
	v_add_f64 v[9:10], v[38:39], v[9:10]
	;; [unrolled: 1-line block ×4, first 2 shown]
	v_rcp_f64_e32 v[46:47], v[44:45]
	v_add_f64 v[42:43], v[44:45], -v[42:43]
	v_add_f64 v[48:49], v[66:67], -v[48:49]
	;; [unrolled: 1-line block ×4, first 2 shown]
	v_fma_f64 v[68:69], -v[44:45], v[46:47], 1.0
	v_fma_f64 v[46:47], v[68:69], v[46:47], v[46:47]
	v_fma_f64 v[38:39], -v[44:45], v[46:47], 1.0
	v_fma_f64 v[38:39], v[38:39], v[46:47], v[46:47]
	v_mul_f64 v[46:47], v[66:67], v[38:39]
	v_mul_f64 v[68:69], v[44:45], v[46:47]
	v_fma_f64 v[42:43], v[46:47], v[44:45], -v[68:69]
	v_fma_f64 v[42:43], v[46:47], v[40:41], v[42:43]
	v_add_f64 v[70:71], v[68:69], v[42:43]
	v_add_f64 v[72:73], v[66:67], -v[70:71]
	v_add_f64 v[48:49], v[70:71], -v[68:69]
	;; [unrolled: 1-line block ×5, first 2 shown]
	v_add_f64 v[9:10], v[9:10], v[66:67]
	v_add_f64 v[9:10], v[42:43], v[9:10]
	;; [unrolled: 1-line block ×3, first 2 shown]
	v_mul_f64 v[48:49], v[38:39], v[42:43]
	v_add_f64 v[70:71], v[72:73], -v[42:43]
	v_mul_f64 v[66:67], v[44:45], v[48:49]
	v_add_f64 v[9:10], v[9:10], v[70:71]
	v_fma_f64 v[44:45], v[48:49], v[44:45], -v[66:67]
	v_fma_f64 v[40:41], v[48:49], v[40:41], v[44:45]
	v_add_f64 v[44:45], v[66:67], v[40:41]
	v_add_f64 v[68:69], v[42:43], -v[44:45]
	v_add_f64 v[66:67], v[44:45], -v[66:67]
	;; [unrolled: 1-line block ×5, first 2 shown]
	v_add_f64 v[9:10], v[9:10], v[42:43]
	v_add_f64 v[42:43], v[46:47], v[48:49]
	;; [unrolled: 1-line block ×3, first 2 shown]
	v_add_f64 v[40:41], v[42:43], -v[46:47]
	v_add_f64 v[9:10], v[68:69], v[9:10]
	v_add_f64 v[40:41], v[48:49], -v[40:41]
	v_mul_f64 v[9:10], v[38:39], v[9:10]
	v_add_f64 v[9:10], v[40:41], v[9:10]
	v_add_f64 v[38:39], v[42:43], v[9:10]
	v_mul_f64 v[40:41], v[38:39], v[38:39]
	v_fma_f64 v[44:45], v[40:41], s[34:35], v[20:21]
	v_mul_f64 v[46:47], v[38:39], v[40:41]
	v_fma_f64 v[44:45], v[40:41], v[44:45], s[36:37]
	v_fma_f64 v[44:45], v[40:41], v[44:45], s[38:39]
	;; [unrolled: 1-line block ×5, first 2 shown]
	v_ldexp_f64 v[44:45], v[38:39], 1
	v_add_f64 v[38:39], v[38:39], -v[42:43]
	v_mul_f64 v[40:41], v[46:47], v[40:41]
	v_cvt_f64_i32_e32 v[46:47], v74
	v_add_f64 v[9:10], v[9:10], -v[38:39]
	v_mul_f64 v[48:49], v[46:47], s[44:45]
	v_add_f64 v[42:43], v[44:45], v[40:41]
	v_ldexp_f64 v[9:10], v[9:10], 1
	v_add_f64 v[38:39], v[42:43], -v[44:45]
	v_fma_f64 v[44:45], v[46:47], s[44:45], -v[48:49]
	v_add_f64 v[38:39], v[40:41], -v[38:39]
	v_fma_f64 v[40:41], v[46:47], s[46:47], v[44:45]
	v_add_f64 v[9:10], v[9:10], v[38:39]
	v_add_f64 v[38:39], v[48:49], v[40:41]
	;; [unrolled: 1-line block ×3, first 2 shown]
	v_add_f64 v[48:49], v[38:39], -v[48:49]
	v_add_f64 v[46:47], v[38:39], v[44:45]
	v_add_f64 v[42:43], v[44:45], -v[42:43]
	v_add_f64 v[40:41], v[40:41], -v[48:49]
	;; [unrolled: 1-line block ×6, first 2 shown]
	v_add_f64 v[44:45], v[40:41], v[9:10]
	v_add_f64 v[38:39], v[38:39], -v[68:69]
	v_add_f64 v[38:39], v[42:43], v[38:39]
	v_add_f64 v[42:43], v[44:45], -v[40:41]
	;; [unrolled: 2-line block ×3, first 2 shown]
	v_add_f64 v[9:10], v[9:10], -v[42:43]
	v_add_f64 v[48:49], v[46:47], v[38:39]
	v_add_f64 v[40:41], v[40:41], -v[44:45]
	v_add_f64 v[42:43], v[48:49], -v[46:47]
	v_add_f64 v[9:10], v[9:10], v[40:41]
	v_add_f64 v[38:39], v[38:39], -v[42:43]
	v_add_f64 v[9:10], v[9:10], v[38:39]
	v_add_f64 v[9:10], v[48:49], v[9:10]
	v_mul_f64 v[9:10], v[9:10], 0.5
	v_cndmask_b32_e64 v9, 0, v9, s[12:13]
	v_cmp_ngt_f64_e64 s[12:13], -1.0, v[36:37]
	v_cndmask_b32_e64 v10, v60, v10, s[14:15]
	v_cndmask_b32_e64 v10, v59, v10, s[12:13]
	v_cmp_neq_f64_e64 s[12:13], -1.0, v[36:37]
	v_cndmask_b32_e64 v10, v61, v10, s[12:13]
.LBB209_23:                             ;   in Loop: Header=BB209_4 Depth=1
	s_or_b64 exec, exec, s[18:19]
.LBB209_24:                             ;   in Loop: Header=BB209_4 Depth=1
	s_or_b64 exec, exec, s[16:17]
	v_max_f64 v[36:37], |v[5:6]|, |v[5:6]|
	v_max_f64 v[38:39], |v[7:8]|, |v[7:8]|
	v_cmp_class_f64_e64 s[18:19], v[5:6], s61
	v_cmp_class_f64_e64 s[24:25], v[7:8], s61
	v_cmp_u_f64_e64 s[14:15], v[5:6], v[7:8]
	v_max_f64 v[36:37], v[36:37], v[38:39]
	s_or_b64 s[18:19], s[24:25], s[18:19]
	s_or_b64 s[14:15], s[18:19], s[14:15]
	v_frexp_exp_i32_f64_e32 v46, v[36:37]
	v_sub_u32_e32 v40, 0, v46
	v_ldexp_f64 v[36:37], |v[7:8]|, v40
	v_ldexp_f64 v[40:41], |v[5:6]|, v40
	v_mul_f64 v[36:37], v[36:37], v[36:37]
	v_fma_f64 v[40:41], v[40:41], v[40:41], v[36:37]
	v_rsq_f64_e32 v[36:37], v[40:41]
	v_cmp_eq_f64_e64 s[12:13], 0, v[40:41]
	v_mul_f64 v[42:43], v[40:41], v[36:37]
	v_mul_f64 v[36:37], v[36:37], 0.5
	v_fma_f64 v[44:45], -v[36:37], v[42:43], 0.5
	v_fma_f64 v[42:43], v[42:43], v[44:45], v[42:43]
	v_fma_f64 v[36:37], v[36:37], v[44:45], v[36:37]
	v_fma_f64 v[44:45], -v[42:43], v[42:43], v[40:41]
	v_fma_f64 v[42:43], v[44:45], v[36:37], v[42:43]
	v_add_f64 v[36:37], v[5:6], 1.0
	v_cndmask_b32_e64 v41, v43, v41, s[12:13]
	v_cndmask_b32_e64 v40, v42, v40, s[12:13]
	v_ldexp_f64 v[42:43], v[40:41], v46
	v_max_f64 v[40:41], |v[36:37]|, v[38:39]
	v_cmp_u_f64_e64 s[12:13], v[36:37], v[7:8]
	v_cmp_class_f64_e64 s[50:51], v[36:37], s61
	v_cmp_ngt_f64_e64 s[16:17], 0.5, v[42:43]
	s_or_b64 s[14:15], s[14:15], s[16:17]
	s_and_saveexec_b64 s[16:17], s[14:15]
	s_xor_b64 s[16:17], exec, s[16:17]
	s_cbranch_execz .LBB209_26
; %bb.25:                               ;   in Loop: Header=BB209_4 Depth=1
	v_frexp_exp_i32_f64_e32 v48, v[40:41]
	s_mov_b32 s91, s31
	v_sub_u32_e32 v42, 0, v48
	v_ldexp_f64 v[5:6], |v[7:8]|, v42
	v_ldexp_f64 v[42:43], |v[36:37]|, v42
	v_mul_f64 v[5:6], v[5:6], v[5:6]
	v_fma_f64 v[5:6], v[42:43], v[42:43], v[5:6]
	v_rsq_f64_e32 v[42:43], v[5:6]
	v_cmp_eq_f64_e64 s[14:15], 0, v[5:6]
	v_mul_f64 v[44:45], v[5:6], v[42:43]
	v_mul_f64 v[42:43], v[42:43], 0.5
	v_fma_f64 v[46:47], -v[42:43], v[44:45], 0.5
	v_fma_f64 v[44:45], v[44:45], v[46:47], v[44:45]
	v_fma_f64 v[42:43], v[42:43], v[46:47], v[42:43]
	v_fma_f64 v[46:47], -v[44:45], v[44:45], v[5:6]
	v_fma_f64 v[42:43], v[46:47], v[42:43], v[44:45]
	v_cndmask_b32_e64 v6, v43, v6, s[14:15]
	v_cndmask_b32_e64 v5, v42, v5, s[14:15]
	v_ldexp_f64 v[5:6], v[5:6], v48
	s_or_b64 s[14:15], s[24:25], s[50:51]
	v_cndmask_b32_e64 v6, v6, v59, s[12:13]
	v_cndmask_b32_e64 v43, v6, v60, s[14:15]
	s_or_b64 s[14:15], s[14:15], s[12:13]
	v_cndmask_b32_e64 v42, v5, 0, s[14:15]
	v_frexp_mant_f64_e32 v[5:6], v[42:43]
	v_cmp_gt_f64_e64 s[14:15], s[30:31], v[5:6]
	v_cndmask_b32_e64 v44, 0, 1, s[14:15]
	v_ldexp_f64 v[5:6], v[5:6], v44
	v_add_f64 v[44:45], v[5:6], 1.0
	v_add_f64 v[66:67], v[5:6], -1.0
	v_rcp_f64_e32 v[46:47], v[44:45]
	v_add_f64 v[68:69], v[44:45], -1.0
	v_add_f64 v[5:6], v[5:6], -v[68:69]
	v_fma_f64 v[48:49], -v[44:45], v[46:47], 1.0
	v_fma_f64 v[46:47], v[48:49], v[46:47], v[46:47]
	v_fma_f64 v[48:49], -v[44:45], v[46:47], 1.0
	v_fma_f64 v[46:47], v[48:49], v[46:47], v[46:47]
	v_mul_f64 v[48:49], v[66:67], v[46:47]
	v_mul_f64 v[70:71], v[44:45], v[48:49]
	v_fma_f64 v[44:45], v[48:49], v[44:45], -v[70:71]
	v_fma_f64 v[5:6], v[48:49], v[5:6], v[44:45]
	v_add_f64 v[44:45], v[70:71], v[5:6]
	v_add_f64 v[68:69], v[66:67], -v[44:45]
	v_add_f64 v[70:71], v[44:45], -v[70:71]
	;; [unrolled: 1-line block ×5, first 2 shown]
	v_add_f64 v[5:6], v[5:6], v[44:45]
	v_add_f64 v[5:6], v[68:69], v[5:6]
	v_mul_f64 v[5:6], v[46:47], v[5:6]
	v_add_f64 v[44:45], v[48:49], v[5:6]
	v_mul_f64 v[46:47], v[44:45], v[44:45]
	v_fma_f64 v[66:67], v[46:47], s[34:35], v[20:21]
	v_mul_f64 v[68:69], v[44:45], v[46:47]
	v_fma_f64 v[66:67], v[46:47], v[66:67], s[36:37]
	v_fma_f64 v[66:67], v[46:47], v[66:67], s[38:39]
	;; [unrolled: 1-line block ×5, first 2 shown]
	v_ldexp_f64 v[66:67], v[44:45], 1
	v_add_f64 v[44:45], v[44:45], -v[48:49]
	v_mul_f64 v[46:47], v[68:69], v[46:47]
	v_frexp_exp_i32_f64_e32 v68, v[42:43]
	v_add_f64 v[5:6], v[5:6], -v[44:45]
	v_add_f64 v[48:49], v[66:67], v[46:47]
	v_subbrev_co_u32_e64 v68, s[14:15], 0, v68, s[14:15]
	v_cvt_f64_i32_e32 v[68:69], v68
	v_ldexp_f64 v[5:6], v[5:6], 1
	v_cmp_class_f64_e64 s[14:15], v[42:43], s61
	v_mul_f64 v[70:71], v[68:69], s[44:45]
	v_add_f64 v[44:45], v[48:49], -v[66:67]
	v_fma_f64 v[66:67], v[68:69], s[44:45], -v[70:71]
	v_add_f64 v[44:45], v[46:47], -v[44:45]
	v_fma_f64 v[46:47], v[68:69], s[46:47], v[66:67]
	v_add_f64 v[5:6], v[5:6], v[44:45]
	v_add_f64 v[44:45], v[70:71], v[46:47]
	;; [unrolled: 1-line block ×3, first 2 shown]
	v_add_f64 v[70:71], v[44:45], -v[70:71]
	v_add_f64 v[68:69], v[44:45], v[66:67]
	v_add_f64 v[48:49], v[66:67], -v[48:49]
	v_add_f64 v[46:47], v[46:47], -v[70:71]
	;; [unrolled: 1-line block ×6, first 2 shown]
	v_add_f64 v[66:67], v[46:47], v[5:6]
	v_add_f64 v[44:45], v[44:45], -v[74:75]
	v_add_f64 v[44:45], v[48:49], v[44:45]
	v_add_f64 v[48:49], v[66:67], -v[46:47]
	;; [unrolled: 2-line block ×3, first 2 shown]
	v_add_f64 v[5:6], v[5:6], -v[48:49]
	v_add_f64 v[70:71], v[68:69], v[44:45]
	v_add_f64 v[46:47], v[46:47], -v[66:67]
	v_add_f64 v[48:49], v[70:71], -v[68:69]
	v_add_f64 v[5:6], v[5:6], v[46:47]
	v_add_f64 v[44:45], v[44:45], -v[48:49]
	v_add_f64 v[5:6], v[5:6], v[44:45]
	v_add_f64 v[5:6], v[70:71], v[5:6]
	v_cndmask_b32_e64 v5, v5, v42, s[14:15]
	v_cndmask_b32_e64 v6, v6, v43, s[14:15]
	v_cmp_ngt_f64_e64 s[14:15], 0, v[42:43]
	v_cndmask_b32_e64 v6, v59, v6, s[14:15]
	v_cmp_nge_f64_e64 s[14:15], 0, v[42:43]
	v_cndmask_b32_e64 v5, 0, v5, s[14:15]
	v_cmp_neq_f64_e64 s[14:15], 0, v[42:43]
	v_cndmask_b32_e64 v6, v61, v6, s[14:15]
.LBB209_26:                             ;   in Loop: Header=BB209_4 Depth=1
	s_andn2_saveexec_b64 s[18:19], s[16:17]
	s_cbranch_execz .LBB209_30
; %bb.27:                               ;   in Loop: Header=BB209_4 Depth=1
	v_add_f64 v[42:43], v[5:6], 2.0
	v_mul_f64 v[42:43], v[5:6], v[42:43]
	v_fma_f64 v[42:43], v[7:8], v[7:8], v[42:43]
	v_cmp_neq_f64_e64 s[14:15], 0, v[42:43]
	s_and_saveexec_b64 s[52:53], s[14:15]
	s_cbranch_execz .LBB209_29
; %bb.28:                               ;   in Loop: Header=BB209_4 Depth=1
	v_add_f64 v[5:6], v[42:43], 1.0
	s_mov_b32 s91, s31
	s_mov_b32 s16, 0
	;; [unrolled: 1-line block ×3, first 2 shown]
	v_cmp_neq_f64_e64 s[16:17], s[16:17], v[42:43]
	v_frexp_mant_f64_e32 v[46:47], v[5:6]
	v_frexp_exp_i32_f64_e32 v66, v[5:6]
	v_add_f64 v[44:45], v[5:6], -1.0
	v_cmp_gt_f64_e64 s[14:15], s[30:31], v[46:47]
	v_add_f64 v[48:49], v[44:45], -v[5:6]
	v_add_f64 v[44:45], v[42:43], -v[44:45]
	v_subbrev_co_u32_e64 v80, s[14:15], 0, v66, s[14:15]
	v_sub_u32_e32 v66, 0, v80
	v_ldexp_f64 v[5:6], v[5:6], v66
	v_add_f64 v[46:47], v[48:49], 1.0
	v_cmp_nge_f64_e64 s[14:15], -1.0, v[42:43]
	v_add_f64 v[48:49], v[5:6], 1.0
	v_add_f64 v[44:45], v[44:45], v[46:47]
	v_add_f64 v[70:71], v[5:6], -1.0
	s_and_b64 s[14:15], s[14:15], s[16:17]
	v_add_f64 v[46:47], v[48:49], -1.0
	v_ldexp_f64 v[44:45], v[44:45], v66
	v_add_f64 v[72:73], v[70:71], 1.0
	v_add_f64 v[46:47], v[5:6], -v[46:47]
	v_add_f64 v[5:6], v[5:6], -v[72:73]
	v_add_f64 v[46:47], v[44:45], v[46:47]
	v_add_f64 v[5:6], v[44:45], v[5:6]
	v_add_f64 v[66:67], v[48:49], v[46:47]
	v_add_f64 v[72:73], v[70:71], v[5:6]
	v_rcp_f64_e32 v[68:69], v[66:67]
	v_add_f64 v[48:49], v[66:67], -v[48:49]
	v_add_f64 v[70:71], v[72:73], -v[70:71]
	;; [unrolled: 1-line block ×4, first 2 shown]
	v_fma_f64 v[74:75], -v[66:67], v[68:69], 1.0
	v_fma_f64 v[68:69], v[74:75], v[68:69], v[68:69]
	v_fma_f64 v[44:45], -v[66:67], v[68:69], 1.0
	v_fma_f64 v[44:45], v[44:45], v[68:69], v[68:69]
	v_mul_f64 v[68:69], v[72:73], v[44:45]
	v_mul_f64 v[74:75], v[66:67], v[68:69]
	v_fma_f64 v[48:49], v[68:69], v[66:67], -v[74:75]
	v_fma_f64 v[48:49], v[68:69], v[46:47], v[48:49]
	v_add_f64 v[76:77], v[74:75], v[48:49]
	v_add_f64 v[78:79], v[72:73], -v[76:77]
	v_add_f64 v[70:71], v[76:77], -v[74:75]
	;; [unrolled: 1-line block ×5, first 2 shown]
	v_add_f64 v[5:6], v[5:6], v[72:73]
	v_add_f64 v[5:6], v[48:49], v[5:6]
	;; [unrolled: 1-line block ×3, first 2 shown]
	v_mul_f64 v[70:71], v[44:45], v[48:49]
	v_add_f64 v[76:77], v[78:79], -v[48:49]
	v_mul_f64 v[72:73], v[66:67], v[70:71]
	v_add_f64 v[5:6], v[5:6], v[76:77]
	v_fma_f64 v[66:67], v[70:71], v[66:67], -v[72:73]
	v_fma_f64 v[46:47], v[70:71], v[46:47], v[66:67]
	v_add_f64 v[66:67], v[72:73], v[46:47]
	v_add_f64 v[74:75], v[48:49], -v[66:67]
	v_add_f64 v[72:73], v[66:67], -v[72:73]
	;; [unrolled: 1-line block ×5, first 2 shown]
	v_add_f64 v[5:6], v[5:6], v[48:49]
	v_add_f64 v[48:49], v[68:69], v[70:71]
	;; [unrolled: 1-line block ×3, first 2 shown]
	v_add_f64 v[46:47], v[48:49], -v[68:69]
	v_add_f64 v[5:6], v[74:75], v[5:6]
	v_add_f64 v[46:47], v[70:71], -v[46:47]
	v_mul_f64 v[5:6], v[44:45], v[5:6]
	v_add_f64 v[5:6], v[46:47], v[5:6]
	v_add_f64 v[44:45], v[48:49], v[5:6]
	v_mul_f64 v[46:47], v[44:45], v[44:45]
	v_fma_f64 v[66:67], v[46:47], s[34:35], v[20:21]
	v_mul_f64 v[68:69], v[44:45], v[46:47]
	v_fma_f64 v[66:67], v[46:47], v[66:67], s[36:37]
	v_fma_f64 v[66:67], v[46:47], v[66:67], s[38:39]
	;; [unrolled: 1-line block ×5, first 2 shown]
	v_ldexp_f64 v[66:67], v[44:45], 1
	v_add_f64 v[44:45], v[44:45], -v[48:49]
	v_mul_f64 v[46:47], v[68:69], v[46:47]
	v_cvt_f64_i32_e32 v[68:69], v80
	v_add_f64 v[5:6], v[5:6], -v[44:45]
	v_mul_f64 v[70:71], v[68:69], s[44:45]
	v_add_f64 v[48:49], v[66:67], v[46:47]
	v_ldexp_f64 v[5:6], v[5:6], 1
	v_add_f64 v[44:45], v[48:49], -v[66:67]
	v_fma_f64 v[66:67], v[68:69], s[44:45], -v[70:71]
	v_add_f64 v[44:45], v[46:47], -v[44:45]
	v_fma_f64 v[46:47], v[68:69], s[46:47], v[66:67]
	v_add_f64 v[5:6], v[5:6], v[44:45]
	v_add_f64 v[44:45], v[70:71], v[46:47]
	;; [unrolled: 1-line block ×3, first 2 shown]
	v_add_f64 v[70:71], v[44:45], -v[70:71]
	v_add_f64 v[68:69], v[44:45], v[66:67]
	v_add_f64 v[48:49], v[66:67], -v[48:49]
	v_add_f64 v[46:47], v[46:47], -v[70:71]
	;; [unrolled: 1-line block ×6, first 2 shown]
	v_add_f64 v[66:67], v[46:47], v[5:6]
	v_add_f64 v[44:45], v[44:45], -v[74:75]
	v_add_f64 v[44:45], v[48:49], v[44:45]
	v_add_f64 v[48:49], v[66:67], -v[46:47]
	;; [unrolled: 2-line block ×3, first 2 shown]
	v_add_f64 v[5:6], v[5:6], -v[48:49]
	v_add_f64 v[70:71], v[68:69], v[44:45]
	v_add_f64 v[46:47], v[46:47], -v[66:67]
	v_add_f64 v[48:49], v[70:71], -v[68:69]
	v_add_f64 v[5:6], v[5:6], v[46:47]
	v_add_f64 v[44:45], v[44:45], -v[48:49]
	v_add_f64 v[5:6], v[5:6], v[44:45]
	v_add_f64 v[5:6], v[70:71], v[5:6]
	v_mul_f64 v[5:6], v[5:6], 0.5
	v_cndmask_b32_e64 v5, 0, v5, s[14:15]
	v_cmp_ngt_f64_e64 s[14:15], -1.0, v[42:43]
	v_cndmask_b32_e64 v6, v60, v6, s[16:17]
	v_cndmask_b32_e64 v6, v59, v6, s[14:15]
	v_cmp_neq_f64_e64 s[14:15], -1.0, v[42:43]
	v_cndmask_b32_e64 v6, v61, v6, s[14:15]
.LBB209_29:                             ;   in Loop: Header=BB209_4 Depth=1
	s_or_b64 exec, exec, s[52:53]
.LBB209_30:                             ;   in Loop: Header=BB209_4 Depth=1
	s_or_b64 exec, exec, s[18:19]
	v_max_f64 v[42:43], |v[1:2]|, |v[1:2]|
	v_max_f64 v[44:45], |v[3:4]|, |v[3:4]|
	v_cmp_class_f64_e64 s[56:57], v[1:2], s61
	v_cmp_class_f64_e64 s[52:53], v[3:4], s61
	v_cmp_u_f64_e64 s[16:17], v[1:2], v[3:4]
	v_max_f64 v[42:43], v[42:43], v[44:45]
	s_or_b64 s[56:57], s[52:53], s[56:57]
	s_or_b64 s[16:17], s[56:57], s[16:17]
	v_frexp_exp_i32_f64_e32 v68, v[42:43]
	v_sub_u32_e32 v46, 0, v68
	v_ldexp_f64 v[42:43], |v[3:4]|, v46
	v_ldexp_f64 v[46:47], |v[1:2]|, v46
	v_mul_f64 v[42:43], v[42:43], v[42:43]
	v_fma_f64 v[46:47], v[46:47], v[46:47], v[42:43]
	v_rsq_f64_e32 v[42:43], v[46:47]
	v_cmp_eq_f64_e64 s[14:15], 0, v[46:47]
	v_mul_f64 v[48:49], v[46:47], v[42:43]
	v_mul_f64 v[42:43], v[42:43], 0.5
	v_fma_f64 v[66:67], -v[42:43], v[48:49], 0.5
	v_fma_f64 v[48:49], v[48:49], v[66:67], v[48:49]
	v_fma_f64 v[42:43], v[42:43], v[66:67], v[42:43]
	v_fma_f64 v[66:67], -v[48:49], v[48:49], v[46:47]
	v_fma_f64 v[48:49], v[66:67], v[42:43], v[48:49]
	v_add_f64 v[42:43], v[1:2], 1.0
	v_cndmask_b32_e64 v47, v49, v47, s[14:15]
	v_cndmask_b32_e64 v46, v48, v46, s[14:15]
	v_ldexp_f64 v[48:49], v[46:47], v68
	v_max_f64 v[46:47], |v[42:43]|, v[44:45]
	v_cmp_u_f64_e64 s[14:15], v[42:43], v[3:4]
	v_cmp_class_f64_e64 s[54:55], v[42:43], s61
	v_cmp_ngt_f64_e64 s[18:19], 0.5, v[48:49]
	s_or_b64 s[16:17], s[16:17], s[18:19]
	s_and_saveexec_b64 s[18:19], s[16:17]
	s_xor_b64 s[18:19], exec, s[18:19]
	s_cbranch_execnz .LBB209_36
; %bb.31:                               ;   in Loop: Header=BB209_4 Depth=1
	s_andn2_saveexec_b64 s[56:57], s[18:19]
	s_cbranch_execnz .LBB209_37
.LBB209_32:                             ;   in Loop: Header=BB209_4 Depth=1
	s_or_b64 exec, exec, s[56:57]
	s_and_saveexec_b64 s[16:17], vcc
	s_xor_b64 s[18:19], exec, s[16:17]
	s_cbranch_execnz .LBB209_40
.LBB209_33:                             ;   in Loop: Header=BB209_4 Depth=1
	s_or_b64 exec, exec, s[18:19]
	s_and_saveexec_b64 s[8:9], s[6:7]
	s_cbranch_execnz .LBB209_41
.LBB209_34:                             ;   in Loop: Header=BB209_4 Depth=1
	s_or_b64 exec, exec, s[8:9]
	s_and_saveexec_b64 s[4:5], s[2:3]
	s_cbranch_execnz .LBB209_42
.LBB209_35:                             ;   in Loop: Header=BB209_4 Depth=1
	s_or_b64 exec, exec, s[4:5]
	s_and_saveexec_b64 s[2:3], s[0:1]
	s_cbranch_execz .LBB209_3
	s_branch .LBB209_43
.LBB209_36:                             ;   in Loop: Header=BB209_4 Depth=1
	v_frexp_exp_i32_f64_e32 v70, v[46:47]
	s_mov_b32 s91, s31
	v_sub_u32_e32 v48, 0, v70
	v_ldexp_f64 v[1:2], |v[3:4]|, v48
	v_ldexp_f64 v[48:49], |v[42:43]|, v48
	v_mul_f64 v[1:2], v[1:2], v[1:2]
	v_fma_f64 v[1:2], v[48:49], v[48:49], v[1:2]
	v_rsq_f64_e32 v[48:49], v[1:2]
	v_cmp_eq_f64_e64 s[16:17], 0, v[1:2]
	v_mul_f64 v[66:67], v[1:2], v[48:49]
	v_mul_f64 v[48:49], v[48:49], 0.5
	v_fma_f64 v[68:69], -v[48:49], v[66:67], 0.5
	v_fma_f64 v[66:67], v[66:67], v[68:69], v[66:67]
	v_fma_f64 v[48:49], v[48:49], v[68:69], v[48:49]
	v_fma_f64 v[68:69], -v[66:67], v[66:67], v[1:2]
	v_fma_f64 v[48:49], v[68:69], v[48:49], v[66:67]
	v_cndmask_b32_e64 v2, v49, v2, s[16:17]
	v_cndmask_b32_e64 v1, v48, v1, s[16:17]
	v_ldexp_f64 v[1:2], v[1:2], v70
	s_or_b64 s[16:17], s[52:53], s[54:55]
	v_cndmask_b32_e64 v2, v2, v59, s[14:15]
	v_cndmask_b32_e64 v49, v2, v60, s[16:17]
	s_or_b64 s[16:17], s[16:17], s[14:15]
	v_cndmask_b32_e64 v48, v1, 0, s[16:17]
	v_frexp_mant_f64_e32 v[1:2], v[48:49]
	v_cmp_gt_f64_e64 s[16:17], s[30:31], v[1:2]
	v_cndmask_b32_e64 v66, 0, 1, s[16:17]
	v_ldexp_f64 v[1:2], v[1:2], v66
	v_add_f64 v[66:67], v[1:2], 1.0
	v_add_f64 v[72:73], v[1:2], -1.0
	v_rcp_f64_e32 v[68:69], v[66:67]
	v_add_f64 v[74:75], v[66:67], -1.0
	v_add_f64 v[1:2], v[1:2], -v[74:75]
	v_fma_f64 v[70:71], -v[66:67], v[68:69], 1.0
	v_fma_f64 v[68:69], v[70:71], v[68:69], v[68:69]
	v_fma_f64 v[70:71], -v[66:67], v[68:69], 1.0
	v_fma_f64 v[68:69], v[70:71], v[68:69], v[68:69]
	v_mul_f64 v[70:71], v[72:73], v[68:69]
	v_mul_f64 v[76:77], v[66:67], v[70:71]
	v_fma_f64 v[66:67], v[70:71], v[66:67], -v[76:77]
	v_fma_f64 v[1:2], v[70:71], v[1:2], v[66:67]
	v_add_f64 v[66:67], v[76:77], v[1:2]
	v_add_f64 v[74:75], v[72:73], -v[66:67]
	v_add_f64 v[76:77], v[66:67], -v[76:77]
	;; [unrolled: 1-line block ×5, first 2 shown]
	v_add_f64 v[1:2], v[1:2], v[66:67]
	v_add_f64 v[1:2], v[74:75], v[1:2]
	v_mul_f64 v[1:2], v[68:69], v[1:2]
	v_add_f64 v[66:67], v[70:71], v[1:2]
	v_mul_f64 v[68:69], v[66:67], v[66:67]
	v_fma_f64 v[72:73], v[68:69], s[34:35], v[20:21]
	v_mul_f64 v[74:75], v[66:67], v[68:69]
	v_fma_f64 v[72:73], v[68:69], v[72:73], s[36:37]
	v_fma_f64 v[72:73], v[68:69], v[72:73], s[38:39]
	;; [unrolled: 1-line block ×5, first 2 shown]
	v_ldexp_f64 v[72:73], v[66:67], 1
	v_add_f64 v[66:67], v[66:67], -v[70:71]
	v_mul_f64 v[68:69], v[74:75], v[68:69]
	v_frexp_exp_i32_f64_e32 v74, v[48:49]
	v_add_f64 v[1:2], v[1:2], -v[66:67]
	v_add_f64 v[70:71], v[72:73], v[68:69]
	v_subbrev_co_u32_e64 v74, s[16:17], 0, v74, s[16:17]
	v_cvt_f64_i32_e32 v[74:75], v74
	v_ldexp_f64 v[1:2], v[1:2], 1
	v_cmp_class_f64_e64 s[16:17], v[48:49], s61
	v_mul_f64 v[76:77], v[74:75], s[44:45]
	v_add_f64 v[66:67], v[70:71], -v[72:73]
	v_fma_f64 v[72:73], v[74:75], s[44:45], -v[76:77]
	v_add_f64 v[66:67], v[68:69], -v[66:67]
	v_fma_f64 v[68:69], v[74:75], s[46:47], v[72:73]
	v_add_f64 v[1:2], v[1:2], v[66:67]
	v_add_f64 v[66:67], v[76:77], v[68:69]
	;; [unrolled: 1-line block ×3, first 2 shown]
	v_add_f64 v[76:77], v[66:67], -v[76:77]
	v_add_f64 v[74:75], v[66:67], v[72:73]
	v_add_f64 v[70:71], v[72:73], -v[70:71]
	v_add_f64 v[68:69], v[68:69], -v[76:77]
	;; [unrolled: 1-line block ×6, first 2 shown]
	v_add_f64 v[72:73], v[68:69], v[1:2]
	v_add_f64 v[66:67], v[66:67], -v[80:81]
	v_add_f64 v[66:67], v[70:71], v[66:67]
	v_add_f64 v[70:71], v[72:73], -v[68:69]
	;; [unrolled: 2-line block ×3, first 2 shown]
	v_add_f64 v[1:2], v[1:2], -v[70:71]
	v_add_f64 v[76:77], v[74:75], v[66:67]
	v_add_f64 v[68:69], v[68:69], -v[72:73]
	v_add_f64 v[70:71], v[76:77], -v[74:75]
	v_add_f64 v[1:2], v[1:2], v[68:69]
	v_add_f64 v[66:67], v[66:67], -v[70:71]
	v_add_f64 v[1:2], v[1:2], v[66:67]
	v_add_f64 v[1:2], v[76:77], v[1:2]
	v_cndmask_b32_e64 v1, v1, v48, s[16:17]
	v_cndmask_b32_e64 v2, v2, v49, s[16:17]
	v_cmp_ngt_f64_e64 s[16:17], 0, v[48:49]
	v_cndmask_b32_e64 v2, v59, v2, s[16:17]
	v_cmp_nge_f64_e64 s[16:17], 0, v[48:49]
	v_cndmask_b32_e64 v1, 0, v1, s[16:17]
	v_cmp_neq_f64_e64 s[16:17], 0, v[48:49]
	v_cndmask_b32_e64 v2, v61, v2, s[16:17]
	s_andn2_saveexec_b64 s[56:57], s[18:19]
	s_cbranch_execz .LBB209_32
.LBB209_37:                             ;   in Loop: Header=BB209_4 Depth=1
	v_add_f64 v[48:49], v[1:2], 2.0
	s_mov_b32 s94, s58
	v_mul_f64 v[48:49], v[1:2], v[48:49]
	v_fma_f64 v[48:49], v[3:4], v[3:4], v[48:49]
	v_cmp_neq_f64_e64 s[16:17], 0, v[48:49]
	s_and_saveexec_b64 s[58:59], s[16:17]
	s_cbranch_execz .LBB209_39
; %bb.38:                               ;   in Loop: Header=BB209_4 Depth=1
	v_add_f64 v[1:2], v[48:49], 1.0
	s_mov_b32 s91, s31
	v_cmp_ngt_f64_e64 s[18:19], -1.0, v[48:49]
	v_add_f64 v[66:67], v[1:2], -1.0
	v_frexp_exp_i32_f64_e32 v70, v[1:2]
	v_add_f64 v[68:69], v[66:67], -v[1:2]
	v_add_f64 v[66:67], v[48:49], -v[66:67]
	v_add_f64 v[68:69], v[68:69], 1.0
	v_add_f64 v[66:67], v[66:67], v[68:69]
	v_frexp_mant_f64_e32 v[68:69], v[1:2]
	v_cmp_gt_f64_e64 s[16:17], s[30:31], v[68:69]
	v_subbrev_co_u32_e64 v84, s[16:17], 0, v70, s[16:17]
	v_sub_u32_e32 v68, 0, v84
	v_ldexp_f64 v[1:2], v[1:2], v68
	v_ldexp_f64 v[66:67], v[66:67], v68
	s_mov_b32 s16, 0
	s_mov_b32 s17, 0x7ff00000
	v_cmp_neq_f64_e64 s[16:17], s[16:17], v[48:49]
	v_add_f64 v[68:69], v[1:2], -1.0
	v_add_f64 v[70:71], v[68:69], 1.0
	v_add_f64 v[70:71], v[1:2], -v[70:71]
	v_add_f64 v[70:71], v[66:67], v[70:71]
	v_add_f64 v[72:73], v[68:69], v[70:71]
	v_add_f64 v[68:69], v[72:73], -v[68:69]
	v_add_f64 v[68:69], v[70:71], -v[68:69]
	v_add_f64 v[70:71], v[1:2], 1.0
	v_add_f64 v[74:75], v[70:71], -1.0
	v_add_f64 v[1:2], v[1:2], -v[74:75]
	v_add_f64 v[1:2], v[66:67], v[1:2]
	v_add_f64 v[66:67], v[70:71], v[1:2]
	v_add_f64 v[70:71], v[66:67], -v[70:71]
	v_add_f64 v[1:2], v[1:2], -v[70:71]
	v_rcp_f64_e32 v[70:71], v[66:67]
	v_fma_f64 v[74:75], -v[66:67], v[70:71], 1.0
	v_fma_f64 v[70:71], v[74:75], v[70:71], v[70:71]
	v_fma_f64 v[74:75], -v[66:67], v[70:71], 1.0
	v_fma_f64 v[70:71], v[74:75], v[70:71], v[70:71]
	v_mul_f64 v[74:75], v[72:73], v[70:71]
	v_mul_f64 v[76:77], v[66:67], v[74:75]
	v_fma_f64 v[78:79], v[74:75], v[66:67], -v[76:77]
	v_fma_f64 v[78:79], v[74:75], v[1:2], v[78:79]
	v_add_f64 v[80:81], v[76:77], v[78:79]
	v_add_f64 v[82:83], v[72:73], -v[80:81]
	v_add_f64 v[76:77], v[80:81], -v[76:77]
	;; [unrolled: 1-line block ×4, first 2 shown]
	v_add_f64 v[68:69], v[68:69], v[72:73]
	v_add_f64 v[72:73], v[76:77], -v[78:79]
	v_add_f64 v[68:69], v[72:73], v[68:69]
	v_add_f64 v[72:73], v[82:83], v[68:69]
	v_add_f64 v[76:77], v[82:83], -v[72:73]
	v_add_f64 v[68:69], v[68:69], v[76:77]
	v_mul_f64 v[76:77], v[70:71], v[72:73]
	v_mul_f64 v[78:79], v[66:67], v[76:77]
	v_fma_f64 v[66:67], v[76:77], v[66:67], -v[78:79]
	v_fma_f64 v[1:2], v[76:77], v[1:2], v[66:67]
	v_add_f64 v[66:67], v[78:79], v[1:2]
	v_add_f64 v[80:81], v[72:73], -v[66:67]
	v_add_f64 v[78:79], v[66:67], -v[78:79]
	;; [unrolled: 1-line block ×5, first 2 shown]
	v_cvt_f64_i32_e32 v[72:73], v84
	v_add_f64 v[66:67], v[68:69], v[66:67]
	v_add_f64 v[1:2], v[1:2], v[66:67]
	v_add_f64 v[66:67], v[74:75], v[76:77]
	v_add_f64 v[1:2], v[80:81], v[1:2]
	v_add_f64 v[68:69], v[66:67], -v[74:75]
	v_mul_f64 v[74:75], v[72:73], s[44:45]
	v_mul_f64 v[1:2], v[70:71], v[1:2]
	v_add_f64 v[68:69], v[76:77], -v[68:69]
	v_fma_f64 v[76:77], v[72:73], s[44:45], -v[74:75]
	v_add_f64 v[1:2], v[68:69], v[1:2]
	v_fma_f64 v[72:73], v[72:73], s[46:47], v[76:77]
	v_add_f64 v[68:69], v[66:67], v[1:2]
	v_add_f64 v[76:77], v[74:75], v[72:73]
	v_add_f64 v[66:67], v[68:69], -v[66:67]
	v_add_f64 v[74:75], v[76:77], -v[74:75]
	;; [unrolled: 1-line block ×3, first 2 shown]
	v_mul_f64 v[66:67], v[68:69], v[68:69]
	v_add_f64 v[72:73], v[72:73], -v[74:75]
	v_ldexp_f64 v[74:75], v[68:69], 1
	v_ldexp_f64 v[1:2], v[1:2], 1
	v_fma_f64 v[70:71], v[66:67], s[34:35], v[20:21]
	v_fma_f64 v[70:71], v[66:67], v[70:71], s[36:37]
	;; [unrolled: 1-line block ×6, first 2 shown]
	v_mul_f64 v[66:67], v[68:69], v[66:67]
	v_mul_f64 v[66:67], v[66:67], v[70:71]
	v_add_f64 v[68:69], v[74:75], v[66:67]
	v_add_f64 v[70:71], v[68:69], -v[74:75]
	v_add_f64 v[66:67], v[66:67], -v[70:71]
	v_add_f64 v[1:2], v[1:2], v[66:67]
	v_add_f64 v[66:67], v[68:69], v[1:2]
	v_add_f64 v[68:69], v[66:67], -v[68:69]
	v_add_f64 v[1:2], v[1:2], -v[68:69]
	v_add_f64 v[68:69], v[76:77], v[66:67]
	v_add_f64 v[70:71], v[68:69], -v[76:77]
	v_add_f64 v[74:75], v[68:69], -v[70:71]
	;; [unrolled: 1-line block ×3, first 2 shown]
	v_add_f64 v[70:71], v[72:73], v[1:2]
	v_add_f64 v[74:75], v[76:77], -v[74:75]
	v_add_f64 v[66:67], v[66:67], v[74:75]
	v_add_f64 v[74:75], v[70:71], -v[72:73]
	;; [unrolled: 2-line block ×3, first 2 shown]
	v_add_f64 v[1:2], v[1:2], -v[74:75]
	v_add_f64 v[70:71], v[68:69], v[66:67]
	v_add_f64 v[72:73], v[72:73], -v[76:77]
	v_add_f64 v[68:69], v[70:71], -v[68:69]
	v_add_f64 v[1:2], v[1:2], v[72:73]
	v_add_f64 v[66:67], v[66:67], -v[68:69]
	v_add_f64 v[1:2], v[1:2], v[66:67]
	v_add_f64 v[1:2], v[70:71], v[1:2]
	v_mul_f64 v[1:2], v[1:2], 0.5
	v_cndmask_b32_e64 v2, v60, v2, s[16:17]
	v_cndmask_b32_e64 v2, v59, v2, s[18:19]
	v_cmp_nge_f64_e64 s[18:19], -1.0, v[48:49]
	s_and_b64 s[16:17], s[18:19], s[16:17]
	v_cndmask_b32_e64 v1, 0, v1, s[16:17]
	v_cmp_neq_f64_e64 s[16:17], -1.0, v[48:49]
	v_cndmask_b32_e64 v2, v61, v2, s[16:17]
.LBB209_39:                             ;   in Loop: Header=BB209_4 Depth=1
	s_or_b64 exec, exec, s[58:59]
	s_mov_b32 s58, s94
	s_or_b64 exec, exec, s[56:57]
	s_and_saveexec_b64 s[16:17], vcc
	s_xor_b64 s[18:19], exec, s[16:17]
	s_cbranch_execz .LBB209_33
.LBB209_40:                             ;   in Loop: Header=BB209_4 Depth=1
	v_max_f64 v[48:49], |v[24:25]|, |v[24:25]|
	s_mov_b32 s94, s48
	v_min_f64 v[26:27], v[48:49], v[26:27]
	v_div_scale_f64 v[48:49], s[16:17], v[28:29], v[28:29], v[26:27]
	s_mov_b32 s16, 0xb5e68a13
	s_mov_b32 s17, 0x3eeba404
	v_rcp_f64_e32 v[66:67], v[48:49]
	v_fma_f64 v[68:69], -v[48:49], v[66:67], 1.0
	v_fma_f64 v[66:67], v[66:67], v[68:69], v[66:67]
	v_div_scale_f64 v[68:69], vcc, v[26:27], v[28:29], v[26:27]
	v_fma_f64 v[70:71], -v[48:49], v[66:67], 1.0
	v_fma_f64 v[66:67], v[66:67], v[70:71], v[66:67]
	v_mul_f64 v[70:71], v[68:69], v[66:67]
	v_fma_f64 v[48:49], -v[48:49], v[70:71], v[68:69]
	v_div_fmas_f64 v[48:49], v[48:49], v[66:67], v[70:71]
	v_cmp_lt_f64_e64 vcc, |v[24:25]|, |v[15:16]|
	v_ashrrev_i32_e32 v24, 31, v25
	v_div_fixup_f64 v[26:27], v[48:49], v[28:29], v[26:27]
	v_mul_f64 v[28:29], v[26:27], v[26:27]
	v_fma_f64 v[48:49], v[28:29], s[16:17], v[22:23]
	s_mov_b32 s16, 0x69efb384
	s_mov_b32 s17, 0x3f4b2bb0
	v_fma_f64 v[48:49], v[28:29], v[48:49], s[16:17]
	s_mov_b32 s16, 0xaf56de9b
	s_mov_b32 s17, 0xbf67952d
	v_fma_f64 v[48:49], v[28:29], v[48:49], s[16:17]
	s_mov_b32 s16, 0xa595c56f
	s_mov_b32 s17, 0x3f7d6d43
	v_fma_f64 v[48:49], v[28:29], v[48:49], s[16:17]
	s_mov_b32 s16, 0xa57d9582
	s_mov_b32 s17, 0xbf8c6ea4
	v_fma_f64 v[48:49], v[28:29], v[48:49], s[16:17]
	s_mov_b32 s16, 0x5f08b19f
	s_mov_b32 s17, 0x3f967e29
	v_fma_f64 v[48:49], v[28:29], v[48:49], s[16:17]
	s_mov_b32 s16, 0xfc27006a
	s_mov_b32 s17, 0xbf9e9ae6
	v_fma_f64 v[48:49], v[28:29], v[48:49], s[16:17]
	v_cmp_eq_f64_e64 s[16:17], 0, v[15:16]
	v_fma_f64 v[48:49], v[28:29], v[48:49], s[64:65]
	v_fma_f64 v[48:49], v[28:29], v[48:49], s[66:67]
	;; [unrolled: 1-line block ×12, first 2 shown]
	v_mul_f64 v[28:29], v[28:29], v[48:49]
	v_and_b32_e32 v48, 0x54442d18, v24
	v_and_b32_e32 v24, 0x400921fb, v24
	v_fma_f64 v[26:27], v[26:27], v[28:29], v[26:27]
	v_add_f64 v[28:29], -v[26:27], s[48:49]
	v_cndmask_b32_e32 v27, v27, v29, vcc
	v_cndmask_b32_e32 v26, v26, v28, vcc
	v_add_f64 v[28:29], -v[26:27], s[94:95]
	v_cmp_gt_i32_e32 vcc, 0, v25
	v_cndmask_b32_e32 v25, v62, v63, vcc
	v_cndmask_b32_e32 v15, v64, v65, vcc
	;; [unrolled: 1-line block ×4, first 2 shown]
	v_cndmask_b32_e64 v24, v27, v24, s[16:17]
	s_and_b64 vcc, s[20:21], s[22:23]
	v_cndmask_b32_e32 v24, v24, v15, vcc
	v_cndmask_b32_e64 v26, v26, v48, s[16:17]
	v_cndmask_b32_e64 v24, v24, v59, s[8:9]
	v_mov_b32_e32 v28, s60
	v_cndmask_b32_e32 v15, v26, v25, vcc
	v_bfi_b32 v16, s62, v24, v16
	v_add_co_u32_e32 v24, vcc, s33, v17
	v_cndmask_b32_e64 v15, v15, 0, s[8:9]
	v_addc_co_u32_e32 v25, vcc, 0, v28, vcc
	global_store_dwordx4 v[24:25], v[13:16], off
	s_or_b64 exec, exec, s[18:19]
	s_and_saveexec_b64 s[8:9], s[6:7]
	s_cbranch_execz .LBB209_34
.LBB209_41:                             ;   in Loop: Header=BB209_4 Depth=1
	v_max_f64 v[13:14], |v[30:31]|, |v[30:31]|
	s_mov_b32 s94, s48
	v_min_f64 v[13:14], v[13:14], v[32:33]
	v_div_scale_f64 v[15:16], s[6:7], v[34:35], v[34:35], v[13:14]
	s_mov_b32 s6, 0xb5e68a13
	s_mov_b32 s7, 0x3eeba404
	v_rcp_f64_e32 v[24:25], v[15:16]
	v_fma_f64 v[26:27], -v[15:16], v[24:25], 1.0
	v_fma_f64 v[24:25], v[24:25], v[26:27], v[24:25]
	v_div_scale_f64 v[26:27], vcc, v[13:14], v[34:35], v[13:14]
	v_fma_f64 v[28:29], -v[15:16], v[24:25], 1.0
	v_fma_f64 v[24:25], v[24:25], v[28:29], v[24:25]
	v_mul_f64 v[28:29], v[26:27], v[24:25]
	v_fma_f64 v[15:16], -v[15:16], v[28:29], v[26:27]
	v_div_fmas_f64 v[15:16], v[15:16], v[24:25], v[28:29]
	v_cmp_lt_f64_e64 vcc, |v[30:31]|, |v[11:12]|
	v_div_fixup_f64 v[13:14], v[15:16], v[34:35], v[13:14]
	v_mul_f64 v[15:16], v[13:14], v[13:14]
	v_fma_f64 v[24:25], v[15:16], s[6:7], v[22:23]
	s_mov_b32 s6, 0x69efb384
	s_mov_b32 s7, 0x3f4b2bb0
	v_fma_f64 v[24:25], v[15:16], v[24:25], s[6:7]
	s_mov_b32 s6, 0xaf56de9b
	s_mov_b32 s7, 0xbf67952d
	;; [unrolled: 3-line block ×6, first 2 shown]
	v_fma_f64 v[24:25], v[15:16], v[24:25], s[6:7]
	v_cmp_eq_f64_e64 s[6:7], 0, v[11:12]
	v_fma_f64 v[24:25], v[15:16], v[24:25], s[64:65]
	v_fma_f64 v[24:25], v[15:16], v[24:25], s[66:67]
	v_fma_f64 v[24:25], v[15:16], v[24:25], s[68:69]
	v_fma_f64 v[24:25], v[15:16], v[24:25], s[70:71]
	v_fma_f64 v[24:25], v[15:16], v[24:25], s[72:73]
	v_fma_f64 v[24:25], v[15:16], v[24:25], s[74:75]
	v_fma_f64 v[24:25], v[15:16], v[24:25], s[76:77]
	v_fma_f64 v[24:25], v[15:16], v[24:25], s[78:79]
	v_fma_f64 v[24:25], v[15:16], v[24:25], s[80:81]
	v_fma_f64 v[24:25], v[15:16], v[24:25], s[82:83]
	v_fma_f64 v[24:25], v[15:16], v[24:25], s[84:85]
	v_fma_f64 v[24:25], v[15:16], v[24:25], s[86:87]
	v_mul_f64 v[15:16], v[15:16], v[24:25]
	v_ashrrev_i32_e32 v24, 31, v31
	v_and_b32_e32 v26, 0x54442d18, v24
	v_and_b32_e32 v24, 0x400921fb, v24
	v_fma_f64 v[13:14], v[13:14], v[15:16], v[13:14]
	v_add_f64 v[15:16], -v[13:14], s[48:49]
	v_cndmask_b32_e32 v14, v14, v16, vcc
	v_cndmask_b32_e32 v13, v13, v15, vcc
	v_add_f64 v[15:16], -v[13:14], s[94:95]
	v_cmp_gt_i32_e32 vcc, 0, v31
	v_cndmask_b32_e32 v25, v62, v63, vcc
	v_cndmask_b32_e32 v11, v64, v65, vcc
	;; [unrolled: 1-line block ×4, first 2 shown]
	v_cndmask_b32_e64 v14, v14, v24, s[6:7]
	s_and_b64 vcc, s[92:93], s[4:5]
	v_cndmask_b32_e64 v13, v13, v26, s[6:7]
	v_cndmask_b32_e32 v14, v14, v11, vcc
	v_cndmask_b32_e32 v11, v13, v25, vcc
	v_cndmask_b32_e64 v13, v14, v59, s[10:11]
	v_mov_b32_e32 v15, s60
	v_bfi_b32 v12, s62, v13, v12
	v_add_co_u32_e32 v13, vcc, s33, v54
	v_cndmask_b32_e64 v11, v11, 0, s[10:11]
	v_addc_co_u32_e32 v14, vcc, 0, v15, vcc
	global_store_dwordx4 v[13:14], v[9:12], off
	s_or_b64 exec, exec, s[8:9]
	s_and_saveexec_b64 s[4:5], s[2:3]
	s_cbranch_execz .LBB209_35
.LBB209_42:                             ;   in Loop: Header=BB209_4 Depth=1
	v_max_f64 v[9:10], |v[36:37]|, |v[36:37]|
	s_mov_b32 s94, s48
	v_min_f64 v[9:10], v[9:10], v[38:39]
	v_div_scale_f64 v[11:12], s[2:3], v[40:41], v[40:41], v[9:10]
	s_mov_b32 s2, 0xb5e68a13
	s_mov_b32 s3, 0x3eeba404
	v_rcp_f64_e32 v[13:14], v[11:12]
	v_fma_f64 v[15:16], -v[11:12], v[13:14], 1.0
	v_fma_f64 v[13:14], v[13:14], v[15:16], v[13:14]
	v_div_scale_f64 v[15:16], vcc, v[9:10], v[40:41], v[9:10]
	v_fma_f64 v[24:25], -v[11:12], v[13:14], 1.0
	v_fma_f64 v[13:14], v[13:14], v[24:25], v[13:14]
	v_mul_f64 v[24:25], v[15:16], v[13:14]
	v_fma_f64 v[11:12], -v[11:12], v[24:25], v[15:16]
	v_div_fmas_f64 v[11:12], v[11:12], v[13:14], v[24:25]
	v_cmp_lt_f64_e64 vcc, |v[36:37]|, |v[7:8]|
	v_div_fixup_f64 v[9:10], v[11:12], v[40:41], v[9:10]
	v_mul_f64 v[11:12], v[9:10], v[9:10]
	v_fma_f64 v[13:14], v[11:12], s[2:3], v[22:23]
	s_mov_b32 s2, 0x69efb384
	s_mov_b32 s3, 0x3f4b2bb0
	v_fma_f64 v[13:14], v[11:12], v[13:14], s[2:3]
	s_mov_b32 s2, 0xaf56de9b
	s_mov_b32 s3, 0xbf67952d
	;; [unrolled: 3-line block ×6, first 2 shown]
	v_fma_f64 v[13:14], v[11:12], v[13:14], s[2:3]
	v_cmp_eq_f64_e64 s[2:3], 0, v[7:8]
	v_fma_f64 v[13:14], v[11:12], v[13:14], s[64:65]
	v_fma_f64 v[13:14], v[11:12], v[13:14], s[66:67]
	;; [unrolled: 1-line block ×12, first 2 shown]
	v_mul_f64 v[11:12], v[11:12], v[13:14]
	v_ashrrev_i32_e32 v14, 31, v37
	v_and_b32_e32 v15, 0x54442d18, v14
	v_and_b32_e32 v14, 0x400921fb, v14
	v_fma_f64 v[9:10], v[9:10], v[11:12], v[9:10]
	v_add_f64 v[11:12], -v[9:10], s[48:49]
	v_cndmask_b32_e32 v10, v10, v12, vcc
	v_cndmask_b32_e32 v9, v9, v11, vcc
	v_add_f64 v[11:12], -v[9:10], s[94:95]
	v_cmp_gt_i32_e32 vcc, 0, v37
	v_cndmask_b32_e32 v13, v62, v63, vcc
	v_cndmask_b32_e32 v7, v64, v65, vcc
	;; [unrolled: 1-line block ×4, first 2 shown]
	v_cndmask_b32_e64 v10, v10, v14, s[2:3]
	s_and_b64 vcc, s[24:25], s[50:51]
	v_cndmask_b32_e64 v9, v9, v15, s[2:3]
	v_cndmask_b32_e32 v10, v10, v7, vcc
	v_cndmask_b32_e32 v7, v9, v13, vcc
	v_cndmask_b32_e64 v9, v10, v59, s[12:13]
	v_mov_b32_e32 v11, s60
	v_bfi_b32 v8, s62, v9, v8
	v_add_co_u32_e32 v9, vcc, s33, v56
	v_cndmask_b32_e64 v7, v7, 0, s[12:13]
	v_addc_co_u32_e32 v10, vcc, v11, v55, vcc
	global_store_dwordx4 v[9:10], v[5:8], off offset:-8
	s_or_b64 exec, exec, s[4:5]
	s_and_saveexec_b64 s[2:3], s[0:1]
	s_cbranch_execz .LBB209_3
.LBB209_43:                             ;   in Loop: Header=BB209_4 Depth=1
	v_max_f64 v[5:6], |v[42:43]|, |v[42:43]|
	s_mov_b32 s94, s48
	v_min_f64 v[5:6], v[5:6], v[44:45]
	v_div_scale_f64 v[7:8], s[0:1], v[46:47], v[46:47], v[5:6]
	s_mov_b32 s0, 0xb5e68a13
	s_mov_b32 s1, 0x3eeba404
	v_rcp_f64_e32 v[9:10], v[7:8]
	v_fma_f64 v[11:12], -v[7:8], v[9:10], 1.0
	v_fma_f64 v[9:10], v[9:10], v[11:12], v[9:10]
	v_div_scale_f64 v[11:12], vcc, v[5:6], v[46:47], v[5:6]
	v_fma_f64 v[13:14], -v[7:8], v[9:10], 1.0
	v_fma_f64 v[9:10], v[9:10], v[13:14], v[9:10]
	v_mul_f64 v[13:14], v[11:12], v[9:10]
	v_fma_f64 v[7:8], -v[7:8], v[13:14], v[11:12]
	v_div_fmas_f64 v[7:8], v[7:8], v[9:10], v[13:14]
	v_cmp_lt_f64_e64 vcc, |v[42:43]|, |v[3:4]|
	v_div_fixup_f64 v[5:6], v[7:8], v[46:47], v[5:6]
	v_mul_f64 v[7:8], v[5:6], v[5:6]
	v_fma_f64 v[9:10], v[7:8], s[0:1], v[22:23]
	s_mov_b32 s0, 0x69efb384
	s_mov_b32 s1, 0x3f4b2bb0
	v_fma_f64 v[9:10], v[7:8], v[9:10], s[0:1]
	s_mov_b32 s0, 0xaf56de9b
	s_mov_b32 s1, 0xbf67952d
	;; [unrolled: 3-line block ×6, first 2 shown]
	v_fma_f64 v[9:10], v[7:8], v[9:10], s[0:1]
	v_cmp_eq_f64_e64 s[0:1], 0, v[3:4]
	v_fma_f64 v[9:10], v[7:8], v[9:10], s[64:65]
	v_fma_f64 v[9:10], v[7:8], v[9:10], s[66:67]
	;; [unrolled: 1-line block ×12, first 2 shown]
	v_mul_f64 v[7:8], v[7:8], v[9:10]
	v_ashrrev_i32_e32 v10, 31, v43
	v_and_b32_e32 v11, 0x54442d18, v10
	v_and_b32_e32 v10, 0x400921fb, v10
	v_fma_f64 v[5:6], v[5:6], v[7:8], v[5:6]
	v_add_f64 v[7:8], -v[5:6], s[48:49]
	v_cndmask_b32_e32 v6, v6, v8, vcc
	v_cndmask_b32_e32 v5, v5, v7, vcc
	v_add_f64 v[7:8], -v[5:6], s[94:95]
	v_cmp_gt_i32_e32 vcc, 0, v43
	v_cndmask_b32_e32 v9, v62, v63, vcc
	v_cndmask_b32_e32 v3, v64, v65, vcc
	;; [unrolled: 1-line block ×4, first 2 shown]
	v_cndmask_b32_e64 v6, v6, v10, s[0:1]
	s_and_b64 vcc, s[52:53], s[54:55]
	v_cndmask_b32_e64 v5, v5, v11, s[0:1]
	v_cndmask_b32_e32 v6, v6, v3, vcc
	v_cndmask_b32_e32 v3, v5, v9, vcc
	v_cndmask_b32_e64 v5, v6, v59, s[14:15]
	v_mov_b32_e32 v7, s60
	v_bfi_b32 v4, s62, v5, v4
	v_add_co_u32_e32 v5, vcc, s33, v18
	v_cndmask_b32_e64 v3, v3, 0, s[14:15]
	v_addc_co_u32_e32 v6, vcc, v7, v19, vcc
	global_store_dwordx4 v[5:6], v[1:4], off offset:-8
	s_branch .LBB209_3
.LBB209_44:
	v_readlane_b32 s6, v85, 6
	v_readlane_b32 s7, v85, 7
	s_cbranch_execz .LBB209_46
	s_branch .LBB209_73
.LBB209_45:
.LBB209_46:
	v_mov_b32_e32 v1, 0x10000
	v_mov_b32_e32 v2, 0
	v_cmp_lt_i64_e32 vcc, s[6:7], v[1:2]
	v_mov_b32_e32 v2, 0
	s_and_b64 s[0:1], vcc, exec
	s_cselect_b32 s1, s7, 0
	s_cselect_b32 s0, s6, 0x10000
	v_lshlrev_b32_e32 v1, 2, v0
	v_writelane_b32 v85, s0, 6
	v_cmp_gt_i64_e32 vcc, s[0:1], v[1:2]
	v_writelane_b32 v85, s1, 7
	s_and_saveexec_b64 s[0:1], vcc
	s_cbranch_execz .LBB209_73
; %bb.47:
	v_readlane_b32 s0, v85, 0
	v_readlane_b32 s1, v85, 1
	s_load_dword s0, s[0:1], 0xd3c
	v_readlane_b32 s2, v85, 4
	v_readlane_b32 s3, v85, 5
	v_mov_b32_e32 v1, v2
	v_lshlrev_b32_e32 v2, 6, v0
	s_waitcnt lgkmcnt(0)
	s_and_b32 s39, s0, 0xffff
	v_readlane_b32 s0, v85, 2
	v_readlane_b32 s1, v85, 3
	s_add_u32 s0, s0, s2
	s_addc_u32 s1, s1, s3
	v_mov_b32_e32 v3, s1
	v_add_co_u32_e32 v18, vcc, s0, v2
	s_mov_b32 s34, 0x55555555
	s_mov_b32 s40, 0xd7f4df2e
	;; [unrolled: 1-line block ×27, first 2 shown]
	v_addc_co_u32_e32 v19, vcc, 0, v3, vcc
	s_mov_b32 s35, 0x3fe55555
	s_mov_b32 s41, 0x3fc7474d
	;; [unrolled: 1-line block ×29, first 2 shown]
	v_mov_b32_e32 v48, 0x7ff80000
	v_mov_b32_e32 v49, 0x7ff00000
	;; [unrolled: 1-line block ×9, first 2 shown]
	s_lshl_b32 s0, s39, 6
	s_movk_i32 s33, 0x204
	s_brev_b32 s38, -2
	s_mov_b64 s[54:55], 0
	s_mov_b32 s36, 0x55555780
	v_writelane_b32 v85, s0, 0
	s_branch .LBB209_50
.LBB209_48:                             ;   in Loop: Header=BB209_50 Depth=1
	s_or_b64 exec, exec, s[12:13]
.LBB209_49:                             ;   in Loop: Header=BB209_50 Depth=1
	s_or_b64 exec, exec, s[10:11]
	v_max_f64 v[46:47], |v[34:35]|, |v[34:35]|
	v_max_f64 v[55:56], |v[28:29]|, |v[28:29]|
	;; [unrolled: 1-line block ×3, first 2 shown]
	v_cmp_lt_f64_e64 s[28:29], |v[28:29]|, |v[12:13]|
	s_and_b64 s[14:15], s[14:15], s[20:21]
	v_add_co_u32_e64 v0, s[20:21], s39, v0
	v_addc_co_u32_e64 v1, s[20:21], 0, v1, s[20:21]
	v_min_f64 v[42:43], v[46:47], v[42:43]
	v_min_f64 v[55:56], v[55:56], v[32:33]
	v_max_f64 v[32:33], |v[38:39]|, |v[38:39]|
	v_min_f64 v[26:27], v[57:58], v[26:27]
	s_and_b64 s[20:21], s[26:27], s[30:31]
	v_readlane_b32 s26, v85, 6
	v_readlane_b32 s27, v85, 7
	v_cmp_lt_f64_e64 s[30:31], |v[38:39]|, |v[8:9]|
	v_div_scale_f64 v[46:47], s[8:9], v[36:37], v[36:37], v[42:43]
	v_div_scale_f64 v[57:58], s[8:9], v[30:31], v[30:31], v[55:56]
	v_min_f64 v[44:45], v[32:33], v[44:45]
	v_div_scale_f64 v[32:33], s[8:9], v[24:25], v[24:25], v[26:27]
	v_div_scale_f64 v[65:66], vcc, v[42:43], v[36:37], v[42:43]
	v_div_scale_f64 v[63:64], s[8:9], v[40:41], v[40:41], v[44:45]
	v_rcp_f64_e32 v[59:60], v[46:47]
	v_rcp_f64_e32 v[67:68], v[32:33]
	;; [unrolled: 1-line block ×3, first 2 shown]
	v_fma_f64 v[61:62], -v[46:47], v[59:60], 1.0
	v_fma_f64 v[73:74], -v[32:33], v[67:68], 1.0
	v_fma_f64 v[59:60], v[59:60], v[61:62], v[59:60]
	v_rcp_f64_e32 v[61:62], v[57:58]
	v_fma_f64 v[67:68], v[67:68], v[73:74], v[67:68]
	v_div_scale_f64 v[73:74], s[10:11], v[26:27], v[24:25], v[26:27]
	v_fma_f64 v[69:70], -v[46:47], v[59:60], 1.0
	v_fma_f64 v[59:60], v[59:60], v[69:70], v[59:60]
	v_fma_f64 v[69:70], -v[57:58], v[61:62], 1.0
	v_mul_f64 v[75:76], v[65:66], v[59:60]
	v_fma_f64 v[61:62], v[61:62], v[69:70], v[61:62]
	v_fma_f64 v[69:70], -v[63:64], v[71:72], 1.0
	v_fma_f64 v[46:47], -v[46:47], v[75:76], v[65:66]
	v_div_scale_f64 v[65:66], s[8:9], v[55:56], v[30:31], v[55:56]
	v_fma_f64 v[69:70], v[71:72], v[69:70], v[71:72]
	v_fma_f64 v[71:72], -v[57:58], v[61:62], 1.0
	v_div_fmas_f64 v[46:47], v[46:47], v[59:60], v[75:76]
	v_fma_f64 v[59:60], -v[32:33], v[67:68], 1.0
	v_div_scale_f64 v[75:76], s[12:13], v[44:45], v[40:41], v[44:45]
	v_fma_f64 v[61:62], v[61:62], v[71:72], v[61:62]
	v_fma_f64 v[71:72], -v[63:64], v[69:70], 1.0
	s_mov_b64 vcc, s[8:9]
	s_mov_b32 s8, 0xbd3237f4
	s_mov_b32 s9, 0xbf23e260
	v_fma_f64 v[59:60], v[67:68], v[59:60], v[67:68]
	v_mul_f64 v[67:68], v[65:66], v[61:62]
	v_fma_f64 v[69:70], v[69:70], v[71:72], v[69:70]
	v_mul_f64 v[71:72], v[73:74], v[59:60]
	v_fma_f64 v[57:58], -v[57:58], v[67:68], v[65:66]
	v_mul_f64 v[65:66], v[75:76], v[69:70]
	v_fma_f64 v[32:33], -v[32:33], v[71:72], v[73:74]
	v_div_fmas_f64 v[57:58], v[57:58], v[61:62], v[67:68]
	v_fma_f64 v[63:64], -v[63:64], v[65:66], v[75:76]
	s_mov_b64 vcc, s[10:11]
	v_cmp_gt_i32_e64 s[10:11], 0, v35
	v_cndmask_b32_e64 v38, v53, v54, s[10:11]
	v_div_fmas_f64 v[59:60], v[32:33], v[59:60], v[71:72]
	s_mov_b64 vcc, s[12:13]
	v_div_fixup_f64 v[32:33], v[46:47], v[36:37], v[42:43]
	v_ashrrev_i32_e32 v42, 31, v35
	v_div_fmas_f64 v[61:62], v[63:64], v[69:70], v[65:66]
	s_and_b64 vcc, s[22:23], s[24:25]
	v_cmp_lt_f64_e64 s[24:25], |v[34:35]|, |v[16:17]|
	s_and_b64 s[12:13], s[16:17], s[18:19]
	v_cmp_gt_i32_e64 s[18:19], 0, v29
	v_cmp_gt_i32_e64 s[22:23], 0, v23
	v_mul_f64 v[46:47], v[32:33], v[32:33]
	v_div_fixup_f64 v[30:31], v[57:58], v[30:31], v[55:56]
	v_mov_b32_e32 v56, s9
	v_mov_b32_e32 v55, s8
	v_cmp_eq_f64_e64 s[8:9], 0, v[16:17]
	v_ashrrev_i32_e32 v16, 31, v29
	v_div_fixup_f64 v[24:25], v[59:60], v[24:25], v[26:27]
	v_cmp_eq_f64_e64 s[16:17], 0, v[12:13]
	v_fma_f64 v[57:58], v[46:47], s[56:57], v[55:56]
	v_cndmask_b32_e64 v12, v51, v52, s[10:11]
	v_div_fixup_f64 v[26:27], v[61:62], v[40:41], v[44:45]
	v_mul_f64 v[43:44], v[30:31], v[30:31]
	v_mul_f64 v[36:37], v[24:25], v[24:25]
	v_fma_f64 v[57:58], v[46:47], v[57:58], s[58:59]
	v_mul_f64 v[40:41], v[26:27], v[26:27]
	v_fma_f64 v[59:60], v[43:44], s[56:57], v[55:56]
	v_fma_f64 v[61:62], v[36:37], s[56:57], v[55:56]
	;; [unrolled: 1-line block ×70, first 2 shown]
	v_mul_f64 v[45:46], v[46:47], v[57:58]
	v_fma_f64 v[55:56], v[40:41], v[55:56], s[90:91]
	v_fma_f64 v[59:60], v[43:44], v[59:60], s[92:93]
	;; [unrolled: 1-line block ×4, first 2 shown]
	v_cndmask_b32_e64 v45, v53, v54, s[22:23]
	v_fma_f64 v[28:29], v[40:41], v[55:56], s[92:93]
	v_mul_f64 v[43:44], v[43:44], v[59:60]
	v_mul_f64 v[34:35], v[36:37], v[34:35]
	v_lshlrev_b64 v[36:37], 2, v[0:1]
	v_cmp_le_i64_e64 s[26:27], s[26:27], v[36:37]
	v_mul_f64 v[28:29], v[40:41], v[28:29]
	v_fma_f64 v[30:31], v[30:31], v[43:44], v[30:31]
	s_or_b64 s[54:55], s[26:27], s[54:55]
	v_cmp_lt_f64_e64 s[26:27], |v[22:23]|, |v[4:5]|
	v_fma_f64 v[24:25], v[24:25], v[34:35], v[24:25]
	v_add_f64 v[34:35], -v[32:33], s[52:53]
	v_and_b32_e32 v40, 0x54442d18, v42
	v_and_b32_e32 v43, 0x400921fb, v16
	v_fma_f64 v[26:27], v[26:27], v[28:29], v[26:27]
	v_add_f64 v[28:29], -v[30:31], s[52:53]
	v_and_b32_e32 v16, 0x54442d18, v16
	v_cndmask_b32_e64 v41, v51, v52, s[18:19]
	v_add_f64 v[36:37], -v[24:25], s[52:53]
	v_cndmask_b32_e64 v33, v33, v35, s[24:25]
	v_cndmask_b32_e64 v32, v32, v34, s[24:25]
	v_cmp_eq_f64_e64 s[24:25], 0, v[4:5]
	v_add_f64 v[34:35], -v[26:27], s[52:53]
	v_cndmask_b32_e64 v29, v31, v29, s[28:29]
	v_cndmask_b32_e64 v28, v30, v28, s[28:29]
	v_ashrrev_i32_e32 v4, 31, v23
	v_cndmask_b32_e64 v23, v25, v37, s[26:27]
	v_cndmask_b32_e64 v22, v24, v36, s[26:27]
	v_add_f64 v[30:31], -v[28:29], s[94:95]
	v_cmp_eq_f64_e64 s[26:27], 0, v[8:9]
	v_cndmask_b32_e64 v25, v27, v35, s[30:31]
	v_cndmask_b32_e64 v24, v26, v34, s[30:31]
	v_add_f64 v[26:27], -v[32:33], s[94:95]
	v_add_f64 v[34:35], -v[22:23], s[94:95]
	;; [unrolled: 1-line block ×3, first 2 shown]
	v_cmp_gt_i32_e64 s[28:29], 0, v39
	v_ashrrev_i32_e32 v8, 31, v39
	v_and_b32_e32 v39, 0x400921fb, v42
	v_and_b32_e32 v46, 0x400921fb, v4
	v_and_b32_e32 v4, 0x54442d18, v4
	v_cndmask_b32_e64 v27, v33, v27, s[10:11]
	v_cndmask_b32_e64 v26, v32, v26, s[10:11]
	;; [unrolled: 1-line block ×9, first 2 shown]
	v_and_b32_e32 v56, 0x400921fb, v8
	v_cndmask_b32_e32 v27, v27, v38, vcc
	v_cndmask_b32_e32 v12, v26, v12, vcc
	v_cndmask_b32_e64 v26, v28, v16, s[16:17]
	v_cndmask_b32_e64 v28, v29, v43, s[16:17]
	;; [unrolled: 1-line block ×7, first 2 shown]
	v_and_b32_e32 v8, 0x54442d18, v8
	v_cndmask_b32_e64 v16, v12, 0, s[4:5]
	v_cndmask_b32_e64 v12, v27, v48, s[4:5]
	;; [unrolled: 1-line block ×8, first 2 shown]
	v_bfi_b32 v17, s38, v12, v17
	v_cndmask_b32_e64 v25, v27, v48, s[2:3]
	v_cndmask_b32_e64 v4, v4, v44, s[14:15]
	v_cndmask_b32_e64 v8, v24, v8, s[26:27]
	v_cndmask_b32_e64 v22, v22, v48, s[0:1]
	v_cndmask_b32_e64 v23, v23, v55, s[20:21]
	v_cndmask_b32_e64 v12, v26, 0, s[2:3]
	v_bfi_b32 v13, s38, v25, v13
	v_cndmask_b32_e64 v4, v4, 0, s[0:1]
	v_cndmask_b32_e64 v8, v8, v47, s[20:21]
	global_store_dwordx4 v[18:19], v[14:17], off offset:32
	v_bfi_b32 v5, s38, v22, v5
	v_cndmask_b32_e64 v14, v23, v48, s[6:7]
	v_readlane_b32 s0, v85, 0
	v_cndmask_b32_e64 v8, v8, 0, s[6:7]
	global_store_dwordx4 v[18:19], v[10:13], off offset:16
	v_bfi_b32 v9, s38, v14, v9
	global_store_dwordx4 v[18:19], v[2:5], off
	global_store_dwordx4 v[18:19], v[6:9], off offset:48
	v_add_co_u32_e32 v18, vcc, s0, v18
	v_addc_co_u32_e32 v19, vcc, 0, v19, vcc
	s_andn2_b64 exec, exec, s[54:55]
	s_cbranch_execz .LBB209_73
.LBB209_50:                             ; =>This Inner Loop Header: Depth=1
	global_load_dwordx4 v[2:5], v[18:19], off
	s_waitcnt vmcnt(0)
	v_max_f64 v[6:7], |v[2:3]|, |v[2:3]|
	v_max_f64 v[26:27], |v[4:5]|, |v[4:5]|
	v_cmp_class_f64_e64 s[4:5], v[2:3], s33
	v_cmp_class_f64_e64 s[14:15], v[4:5], s33
	v_max_f64 v[6:7], v[6:7], v[26:27]
	s_or_b64 s[4:5], s[4:5], s[14:15]
	v_frexp_exp_i32_f64_e32 v32, v[6:7]
	v_sub_u32_e32 v8, 0, v32
	v_ldexp_f64 v[6:7], |v[4:5]|, v8
	v_ldexp_f64 v[8:9], |v[2:3]|, v8
	v_mul_f64 v[6:7], v[6:7], v[6:7]
	v_fma_f64 v[24:25], v[8:9], v[8:9], v[6:7]
	global_load_dwordx4 v[10:13], v[18:19], off offset:16
	global_load_dwordx4 v[6:9], v[18:19], off offset:48
	;; [unrolled: 1-line block ×3, first 2 shown]
	v_rsq_f64_e32 v[22:23], v[24:25]
	v_cmp_eq_f64_e32 vcc, 0, v[24:25]
	v_mul_f64 v[28:29], v[24:25], v[22:23]
	v_mul_f64 v[22:23], v[22:23], 0.5
	v_fma_f64 v[30:31], -v[22:23], v[28:29], 0.5
	v_fma_f64 v[28:29], v[28:29], v[30:31], v[28:29]
	v_fma_f64 v[22:23], v[22:23], v[30:31], v[22:23]
	v_fma_f64 v[30:31], -v[28:29], v[28:29], v[24:25]
	v_fma_f64 v[28:29], v[30:31], v[22:23], v[28:29]
	v_add_f64 v[22:23], v[2:3], 1.0
	v_cndmask_b32_e32 v25, v29, v25, vcc
	v_cndmask_b32_e32 v24, v28, v24, vcc
	v_ldexp_f64 v[28:29], v[24:25], v32
	v_cmp_u_f64_e32 vcc, v[2:3], v[4:5]
	v_max_f64 v[24:25], |v[22:23]|, v[26:27]
	v_cmp_u_f64_e64 s[0:1], v[22:23], v[4:5]
	v_cmp_class_f64_e64 s[20:21], v[22:23], s33
	v_cmp_ngt_f64_e64 s[2:3], 0.5, v[28:29]
	s_or_b64 s[4:5], s[4:5], vcc
	s_or_b64 s[2:3], s[4:5], s[2:3]
	s_and_saveexec_b64 s[4:5], s[2:3]
	s_xor_b64 s[2:3], exec, s[4:5]
	s_cbranch_execz .LBB209_52
; %bb.51:                               ;   in Loop: Header=BB209_50 Depth=1
	v_frexp_exp_i32_f64_e32 v34, v[24:25]
	s_mov_b32 s37, s35
	v_sub_u32_e32 v28, 0, v34
	v_ldexp_f64 v[2:3], |v[4:5]|, v28
	v_ldexp_f64 v[28:29], |v[22:23]|, v28
	v_mul_f64 v[2:3], v[2:3], v[2:3]
	v_fma_f64 v[2:3], v[28:29], v[28:29], v[2:3]
	v_rsq_f64_e32 v[28:29], v[2:3]
	v_cmp_eq_f64_e32 vcc, 0, v[2:3]
	v_mul_f64 v[30:31], v[2:3], v[28:29]
	v_mul_f64 v[28:29], v[28:29], 0.5
	v_fma_f64 v[32:33], -v[28:29], v[30:31], 0.5
	v_fma_f64 v[30:31], v[30:31], v[32:33], v[30:31]
	v_fma_f64 v[28:29], v[28:29], v[32:33], v[28:29]
	v_fma_f64 v[32:33], -v[30:31], v[30:31], v[2:3]
	v_fma_f64 v[28:29], v[32:33], v[28:29], v[30:31]
	v_cndmask_b32_e32 v3, v29, v3, vcc
	v_cndmask_b32_e32 v2, v28, v2, vcc
	v_ldexp_f64 v[2:3], v[2:3], v34
	s_or_b64 vcc, s[20:21], s[14:15]
	s_or_b64 s[4:5], vcc, s[0:1]
	v_cndmask_b32_e64 v3, v3, v48, s[0:1]
	v_cndmask_b32_e32 v29, v3, v49, vcc
	v_cndmask_b32_e64 v28, v2, 0, s[4:5]
	v_frexp_mant_f64_e32 v[2:3], v[28:29]
	s_mov_b32 s4, 0xbf559e2b
	s_mov_b32 s5, 0x3fc3ab76
	v_cmp_gt_f64_e32 vcc, s[34:35], v[2:3]
	v_cndmask_b32_e64 v30, 0, 1, vcc
	v_ldexp_f64 v[2:3], v[2:3], v30
	v_add_f64 v[30:31], v[2:3], 1.0
	v_add_f64 v[36:37], v[2:3], -1.0
	v_rcp_f64_e32 v[32:33], v[30:31]
	v_add_f64 v[38:39], v[30:31], -1.0
	v_add_f64 v[2:3], v[2:3], -v[38:39]
	v_fma_f64 v[34:35], -v[30:31], v[32:33], 1.0
	v_fma_f64 v[32:33], v[34:35], v[32:33], v[32:33]
	v_fma_f64 v[34:35], -v[30:31], v[32:33], 1.0
	v_fma_f64 v[32:33], v[34:35], v[32:33], v[32:33]
	v_mul_f64 v[34:35], v[36:37], v[32:33]
	v_mul_f64 v[40:41], v[30:31], v[34:35]
	v_fma_f64 v[30:31], v[34:35], v[30:31], -v[40:41]
	v_fma_f64 v[2:3], v[34:35], v[2:3], v[30:31]
	v_add_f64 v[30:31], v[40:41], v[2:3]
	v_add_f64 v[38:39], v[36:37], -v[30:31]
	v_add_f64 v[40:41], v[30:31], -v[40:41]
	;; [unrolled: 1-line block ×5, first 2 shown]
	v_add_f64 v[2:3], v[2:3], v[30:31]
	v_add_f64 v[2:3], v[38:39], v[2:3]
	v_mul_f64 v[2:3], v[32:33], v[2:3]
	v_add_f64 v[30:31], v[34:35], v[2:3]
	v_mul_f64 v[32:33], v[30:31], v[30:31]
	v_fma_f64 v[36:37], v[32:33], s[4:5], v[20:21]
	v_mul_f64 v[38:39], v[30:31], v[32:33]
	v_fma_f64 v[36:37], v[32:33], v[36:37], s[40:41]
	v_fma_f64 v[36:37], v[32:33], v[36:37], s[42:43]
	;; [unrolled: 1-line block ×5, first 2 shown]
	v_ldexp_f64 v[36:37], v[30:31], 1
	v_add_f64 v[30:31], v[30:31], -v[34:35]
	v_mul_f64 v[32:33], v[38:39], v[32:33]
	v_frexp_exp_i32_f64_e32 v38, v[28:29]
	v_add_f64 v[2:3], v[2:3], -v[30:31]
	v_add_f64 v[34:35], v[36:37], v[32:33]
	v_subbrev_co_u32_e32 v38, vcc, 0, v38, vcc
	v_cvt_f64_i32_e32 v[38:39], v38
	v_ldexp_f64 v[2:3], v[2:3], 1
	v_cmp_class_f64_e64 vcc, v[28:29], s33
	v_mul_f64 v[40:41], v[38:39], s[48:49]
	v_add_f64 v[30:31], v[34:35], -v[36:37]
	v_fma_f64 v[36:37], v[38:39], s[48:49], -v[40:41]
	v_add_f64 v[30:31], v[32:33], -v[30:31]
	v_fma_f64 v[32:33], v[38:39], s[50:51], v[36:37]
	v_add_f64 v[2:3], v[2:3], v[30:31]
	v_add_f64 v[30:31], v[40:41], v[32:33]
	;; [unrolled: 1-line block ×3, first 2 shown]
	v_add_f64 v[40:41], v[30:31], -v[40:41]
	v_add_f64 v[38:39], v[30:31], v[36:37]
	v_add_f64 v[34:35], v[36:37], -v[34:35]
	v_add_f64 v[32:33], v[32:33], -v[40:41]
	;; [unrolled: 1-line block ×6, first 2 shown]
	v_add_f64 v[36:37], v[32:33], v[2:3]
	v_add_f64 v[30:31], v[30:31], -v[44:45]
	v_add_f64 v[30:31], v[34:35], v[30:31]
	v_add_f64 v[34:35], v[36:37], -v[32:33]
	;; [unrolled: 2-line block ×3, first 2 shown]
	v_add_f64 v[2:3], v[2:3], -v[34:35]
	v_add_f64 v[40:41], v[38:39], v[30:31]
	v_add_f64 v[32:33], v[32:33], -v[36:37]
	v_add_f64 v[34:35], v[40:41], -v[38:39]
	v_add_f64 v[2:3], v[2:3], v[32:33]
	v_add_f64 v[30:31], v[30:31], -v[34:35]
	v_add_f64 v[2:3], v[2:3], v[30:31]
	v_add_f64 v[2:3], v[40:41], v[2:3]
	v_cndmask_b32_e32 v2, v2, v28, vcc
	v_cndmask_b32_e32 v3, v3, v29, vcc
	v_cmp_ngt_f64_e32 vcc, 0, v[28:29]
	v_cndmask_b32_e32 v3, v48, v3, vcc
	v_cmp_nge_f64_e32 vcc, 0, v[28:29]
	v_cndmask_b32_e32 v2, 0, v2, vcc
	v_cmp_neq_f64_e32 vcc, 0, v[28:29]
	v_cndmask_b32_e32 v3, v50, v3, vcc
.LBB209_52:                             ;   in Loop: Header=BB209_50 Depth=1
	s_andn2_saveexec_b64 s[4:5], s[2:3]
	s_cbranch_execz .LBB209_56
; %bb.53:                               ;   in Loop: Header=BB209_50 Depth=1
	v_add_f64 v[28:29], v[2:3], 2.0
	v_mul_f64 v[30:31], v[4:5], v[4:5]
	v_fma_f64 v[28:29], v[2:3], v[28:29], v[30:31]
	v_cmp_neq_f64_e32 vcc, 0, v[28:29]
	s_and_saveexec_b64 s[6:7], vcc
	s_cbranch_execz .LBB209_55
; %bb.54:                               ;   in Loop: Header=BB209_50 Depth=1
	v_add_f64 v[2:3], v[28:29], 1.0
	s_mov_b32 s2, 0xbf559e2b
	s_mov_b32 s3, 0x3fc3ab76
	;; [unrolled: 1-line block ×3, first 2 shown]
	v_frexp_mant_f64_e32 v[32:33], v[2:3]
	v_frexp_exp_i32_f64_e32 v36, v[2:3]
	v_add_f64 v[30:31], v[2:3], -1.0
	v_cmp_gt_f64_e32 vcc, s[34:35], v[32:33]
	v_add_f64 v[34:35], v[30:31], -v[2:3]
	v_add_f64 v[30:31], v[28:29], -v[30:31]
	v_subbrev_co_u32_e32 v57, vcc, 0, v36, vcc
	v_sub_u32_e32 v36, 0, v57
	v_ldexp_f64 v[2:3], v[2:3], v36
	v_add_f64 v[32:33], v[34:35], 1.0
	v_cmp_nge_f64_e32 vcc, -1.0, v[28:29]
	v_add_f64 v[34:35], v[2:3], 1.0
	v_add_f64 v[30:31], v[30:31], v[32:33]
	v_add_f64 v[40:41], v[2:3], -1.0
	v_add_f64 v[32:33], v[34:35], -1.0
	v_ldexp_f64 v[30:31], v[30:31], v36
	v_add_f64 v[42:43], v[40:41], 1.0
	v_add_f64 v[32:33], v[2:3], -v[32:33]
	v_add_f64 v[2:3], v[2:3], -v[42:43]
	v_add_f64 v[32:33], v[30:31], v[32:33]
	v_add_f64 v[2:3], v[30:31], v[2:3]
	;; [unrolled: 1-line block ×4, first 2 shown]
	v_rcp_f64_e32 v[38:39], v[36:37]
	v_add_f64 v[34:35], v[36:37], -v[34:35]
	v_add_f64 v[40:41], v[42:43], -v[40:41]
	;; [unrolled: 1-line block ×4, first 2 shown]
	v_fma_f64 v[44:45], -v[36:37], v[38:39], 1.0
	v_fma_f64 v[38:39], v[44:45], v[38:39], v[38:39]
	v_fma_f64 v[30:31], -v[36:37], v[38:39], 1.0
	v_fma_f64 v[30:31], v[30:31], v[38:39], v[38:39]
	v_mul_f64 v[38:39], v[42:43], v[30:31]
	v_mul_f64 v[44:45], v[36:37], v[38:39]
	v_fma_f64 v[34:35], v[38:39], v[36:37], -v[44:45]
	v_fma_f64 v[34:35], v[38:39], v[32:33], v[34:35]
	v_add_f64 v[46:47], v[44:45], v[34:35]
	v_add_f64 v[55:56], v[42:43], -v[46:47]
	v_add_f64 v[40:41], v[46:47], -v[44:45]
	v_add_f64 v[42:43], v[42:43], -v[55:56]
	v_add_f64 v[34:35], v[40:41], -v[34:35]
	v_add_f64 v[42:43], v[42:43], -v[46:47]
	v_add_f64 v[2:3], v[2:3], v[42:43]
	v_add_f64 v[2:3], v[34:35], v[2:3]
	;; [unrolled: 1-line block ×3, first 2 shown]
	v_mul_f64 v[40:41], v[30:31], v[34:35]
	v_add_f64 v[46:47], v[55:56], -v[34:35]
	v_mul_f64 v[42:43], v[36:37], v[40:41]
	v_add_f64 v[2:3], v[2:3], v[46:47]
	v_fma_f64 v[36:37], v[40:41], v[36:37], -v[42:43]
	v_fma_f64 v[32:33], v[40:41], v[32:33], v[36:37]
	v_add_f64 v[36:37], v[42:43], v[32:33]
	v_add_f64 v[44:45], v[34:35], -v[36:37]
	v_add_f64 v[42:43], v[36:37], -v[42:43]
	;; [unrolled: 1-line block ×5, first 2 shown]
	v_add_f64 v[2:3], v[2:3], v[34:35]
	v_add_f64 v[34:35], v[38:39], v[40:41]
	;; [unrolled: 1-line block ×3, first 2 shown]
	v_add_f64 v[32:33], v[34:35], -v[38:39]
	v_add_f64 v[2:3], v[44:45], v[2:3]
	v_add_f64 v[32:33], v[40:41], -v[32:33]
	v_mul_f64 v[2:3], v[30:31], v[2:3]
	v_add_f64 v[2:3], v[32:33], v[2:3]
	v_add_f64 v[30:31], v[34:35], v[2:3]
	v_mul_f64 v[32:33], v[30:31], v[30:31]
	v_fma_f64 v[36:37], v[32:33], s[2:3], v[20:21]
	v_mul_f64 v[38:39], v[30:31], v[32:33]
	s_mov_b32 s2, 0
	s_mov_b32 s3, 0x7ff00000
	v_cmp_neq_f64_e64 s[2:3], s[2:3], v[28:29]
	v_fma_f64 v[36:37], v[32:33], v[36:37], s[40:41]
	s_and_b64 vcc, vcc, s[2:3]
	v_fma_f64 v[36:37], v[32:33], v[36:37], s[42:43]
	v_fma_f64 v[36:37], v[32:33], v[36:37], s[44:45]
	;; [unrolled: 1-line block ×4, first 2 shown]
	v_ldexp_f64 v[36:37], v[30:31], 1
	v_add_f64 v[30:31], v[30:31], -v[34:35]
	v_mul_f64 v[32:33], v[38:39], v[32:33]
	v_cvt_f64_i32_e32 v[38:39], v57
	v_add_f64 v[2:3], v[2:3], -v[30:31]
	v_mul_f64 v[40:41], v[38:39], s[48:49]
	v_add_f64 v[34:35], v[36:37], v[32:33]
	v_ldexp_f64 v[2:3], v[2:3], 1
	v_add_f64 v[30:31], v[34:35], -v[36:37]
	v_fma_f64 v[36:37], v[38:39], s[48:49], -v[40:41]
	v_add_f64 v[30:31], v[32:33], -v[30:31]
	v_fma_f64 v[32:33], v[38:39], s[50:51], v[36:37]
	v_add_f64 v[2:3], v[2:3], v[30:31]
	v_add_f64 v[30:31], v[40:41], v[32:33]
	;; [unrolled: 1-line block ×3, first 2 shown]
	v_add_f64 v[40:41], v[30:31], -v[40:41]
	v_add_f64 v[38:39], v[30:31], v[36:37]
	v_add_f64 v[34:35], v[36:37], -v[34:35]
	v_add_f64 v[32:33], v[32:33], -v[40:41]
	;; [unrolled: 1-line block ×6, first 2 shown]
	v_add_f64 v[36:37], v[32:33], v[2:3]
	v_add_f64 v[30:31], v[30:31], -v[44:45]
	v_add_f64 v[30:31], v[34:35], v[30:31]
	v_add_f64 v[34:35], v[36:37], -v[32:33]
	;; [unrolled: 2-line block ×3, first 2 shown]
	v_add_f64 v[2:3], v[2:3], -v[34:35]
	v_add_f64 v[40:41], v[38:39], v[30:31]
	v_add_f64 v[32:33], v[32:33], -v[36:37]
	v_add_f64 v[34:35], v[40:41], -v[38:39]
	v_add_f64 v[2:3], v[2:3], v[32:33]
	v_add_f64 v[30:31], v[30:31], -v[34:35]
	v_add_f64 v[2:3], v[2:3], v[30:31]
	v_add_f64 v[2:3], v[40:41], v[2:3]
	v_mul_f64 v[2:3], v[2:3], 0.5
	v_cndmask_b32_e32 v2, 0, v2, vcc
	v_cmp_ngt_f64_e32 vcc, -1.0, v[28:29]
	v_cndmask_b32_e64 v3, v49, v3, s[2:3]
	v_cndmask_b32_e32 v3, v48, v3, vcc
	v_cmp_neq_f64_e32 vcc, -1.0, v[28:29]
	v_cndmask_b32_e32 v3, v50, v3, vcc
.LBB209_55:                             ;   in Loop: Header=BB209_50 Depth=1
	s_or_b64 exec, exec, s[6:7]
.LBB209_56:                             ;   in Loop: Header=BB209_50 Depth=1
	s_or_b64 exec, exec, s[4:5]
	s_waitcnt vmcnt(2)
	v_max_f64 v[28:29], |v[10:11]|, |v[10:11]|
	v_max_f64 v[32:33], |v[12:13]|, |v[12:13]|
	v_cmp_class_f64_e64 s[6:7], v[10:11], s33
	v_cmp_class_f64_e64 s[16:17], v[12:13], s33
	v_max_f64 v[28:29], v[28:29], v[32:33]
	s_or_b64 s[6:7], s[6:7], s[16:17]
	v_frexp_exp_i32_f64_e32 v38, v[28:29]
	v_sub_u32_e32 v30, 0, v38
	v_ldexp_f64 v[28:29], |v[12:13]|, v30
	v_ldexp_f64 v[30:31], |v[10:11]|, v30
	v_mul_f64 v[28:29], v[28:29], v[28:29]
	v_fma_f64 v[30:31], v[30:31], v[30:31], v[28:29]
	v_rsq_f64_e32 v[28:29], v[30:31]
	v_cmp_eq_f64_e32 vcc, 0, v[30:31]
	v_mul_f64 v[34:35], v[30:31], v[28:29]
	v_mul_f64 v[28:29], v[28:29], 0.5
	v_fma_f64 v[36:37], -v[28:29], v[34:35], 0.5
	v_fma_f64 v[34:35], v[34:35], v[36:37], v[34:35]
	v_fma_f64 v[28:29], v[28:29], v[36:37], v[28:29]
	v_fma_f64 v[36:37], -v[34:35], v[34:35], v[30:31]
	v_fma_f64 v[34:35], v[36:37], v[28:29], v[34:35]
	v_add_f64 v[28:29], v[10:11], 1.0
	v_cndmask_b32_e32 v31, v35, v31, vcc
	v_cndmask_b32_e32 v30, v34, v30, vcc
	v_ldexp_f64 v[34:35], v[30:31], v38
	v_cmp_u_f64_e32 vcc, v[10:11], v[12:13]
	v_max_f64 v[30:31], |v[28:29]|, v[32:33]
	v_cmp_u_f64_e64 s[2:3], v[28:29], v[12:13]
	v_cmp_class_f64_e64 s[18:19], v[28:29], s33
	v_cmp_ngt_f64_e64 s[4:5], 0.5, v[34:35]
	s_or_b64 s[6:7], s[6:7], vcc
	s_or_b64 s[4:5], s[6:7], s[4:5]
	s_and_saveexec_b64 s[6:7], s[4:5]
	s_xor_b64 s[4:5], exec, s[6:7]
	s_cbranch_execz .LBB209_58
; %bb.57:                               ;   in Loop: Header=BB209_50 Depth=1
	v_frexp_exp_i32_f64_e32 v40, v[30:31]
	s_mov_b32 s37, s35
	v_sub_u32_e32 v34, 0, v40
	v_ldexp_f64 v[10:11], |v[12:13]|, v34
	v_ldexp_f64 v[34:35], |v[28:29]|, v34
	v_mul_f64 v[10:11], v[10:11], v[10:11]
	v_fma_f64 v[10:11], v[34:35], v[34:35], v[10:11]
	v_rsq_f64_e32 v[34:35], v[10:11]
	v_cmp_eq_f64_e32 vcc, 0, v[10:11]
	v_mul_f64 v[36:37], v[10:11], v[34:35]
	v_mul_f64 v[34:35], v[34:35], 0.5
	v_fma_f64 v[38:39], -v[34:35], v[36:37], 0.5
	v_fma_f64 v[36:37], v[36:37], v[38:39], v[36:37]
	v_fma_f64 v[34:35], v[34:35], v[38:39], v[34:35]
	v_fma_f64 v[38:39], -v[36:37], v[36:37], v[10:11]
	v_fma_f64 v[34:35], v[38:39], v[34:35], v[36:37]
	v_cndmask_b32_e32 v11, v35, v11, vcc
	v_cndmask_b32_e32 v10, v34, v10, vcc
	v_ldexp_f64 v[10:11], v[10:11], v40
	s_or_b64 vcc, s[18:19], s[16:17]
	s_or_b64 s[6:7], vcc, s[2:3]
	v_cndmask_b32_e64 v11, v11, v48, s[2:3]
	v_cndmask_b32_e32 v35, v11, v49, vcc
	v_cndmask_b32_e64 v34, v10, 0, s[6:7]
	v_frexp_mant_f64_e32 v[10:11], v[34:35]
	s_mov_b32 s6, 0xbf559e2b
	s_mov_b32 s7, 0x3fc3ab76
	v_cmp_gt_f64_e32 vcc, s[34:35], v[10:11]
	v_cndmask_b32_e64 v36, 0, 1, vcc
	v_ldexp_f64 v[10:11], v[10:11], v36
	v_add_f64 v[36:37], v[10:11], 1.0
	v_add_f64 v[42:43], v[10:11], -1.0
	v_rcp_f64_e32 v[38:39], v[36:37]
	v_add_f64 v[44:45], v[36:37], -1.0
	v_add_f64 v[10:11], v[10:11], -v[44:45]
	v_fma_f64 v[40:41], -v[36:37], v[38:39], 1.0
	v_fma_f64 v[38:39], v[40:41], v[38:39], v[38:39]
	v_fma_f64 v[40:41], -v[36:37], v[38:39], 1.0
	v_fma_f64 v[38:39], v[40:41], v[38:39], v[38:39]
	v_mul_f64 v[40:41], v[42:43], v[38:39]
	v_mul_f64 v[46:47], v[36:37], v[40:41]
	v_fma_f64 v[36:37], v[40:41], v[36:37], -v[46:47]
	v_fma_f64 v[10:11], v[40:41], v[10:11], v[36:37]
	v_add_f64 v[36:37], v[46:47], v[10:11]
	v_add_f64 v[44:45], v[42:43], -v[36:37]
	v_add_f64 v[46:47], v[36:37], -v[46:47]
	;; [unrolled: 1-line block ×5, first 2 shown]
	v_add_f64 v[10:11], v[10:11], v[36:37]
	v_add_f64 v[10:11], v[44:45], v[10:11]
	v_mul_f64 v[10:11], v[38:39], v[10:11]
	v_add_f64 v[36:37], v[40:41], v[10:11]
	v_mul_f64 v[38:39], v[36:37], v[36:37]
	v_fma_f64 v[42:43], v[38:39], s[6:7], v[20:21]
	v_mul_f64 v[44:45], v[36:37], v[38:39]
	v_fma_f64 v[42:43], v[38:39], v[42:43], s[40:41]
	v_fma_f64 v[42:43], v[38:39], v[42:43], s[42:43]
	v_fma_f64 v[42:43], v[38:39], v[42:43], s[44:45]
	v_fma_f64 v[42:43], v[38:39], v[42:43], s[46:47]
	v_fma_f64 v[38:39], v[38:39], v[42:43], s[36:37]
	v_ldexp_f64 v[42:43], v[36:37], 1
	v_add_f64 v[36:37], v[36:37], -v[40:41]
	v_mul_f64 v[38:39], v[44:45], v[38:39]
	v_frexp_exp_i32_f64_e32 v44, v[34:35]
	v_add_f64 v[10:11], v[10:11], -v[36:37]
	v_add_f64 v[40:41], v[42:43], v[38:39]
	v_subbrev_co_u32_e32 v44, vcc, 0, v44, vcc
	v_cvt_f64_i32_e32 v[44:45], v44
	v_ldexp_f64 v[10:11], v[10:11], 1
	v_cmp_class_f64_e64 vcc, v[34:35], s33
	v_mul_f64 v[46:47], v[44:45], s[48:49]
	v_add_f64 v[36:37], v[40:41], -v[42:43]
	v_fma_f64 v[42:43], v[44:45], s[48:49], -v[46:47]
	v_add_f64 v[36:37], v[38:39], -v[36:37]
	v_fma_f64 v[38:39], v[44:45], s[50:51], v[42:43]
	v_add_f64 v[10:11], v[10:11], v[36:37]
	v_add_f64 v[36:37], v[46:47], v[38:39]
	;; [unrolled: 1-line block ×3, first 2 shown]
	v_add_f64 v[46:47], v[36:37], -v[46:47]
	v_add_f64 v[44:45], v[36:37], v[42:43]
	v_add_f64 v[40:41], v[42:43], -v[40:41]
	v_add_f64 v[38:39], v[38:39], -v[46:47]
	;; [unrolled: 1-line block ×6, first 2 shown]
	v_add_f64 v[42:43], v[38:39], v[10:11]
	v_add_f64 v[36:37], v[36:37], -v[57:58]
	v_add_f64 v[36:37], v[40:41], v[36:37]
	v_add_f64 v[40:41], v[42:43], -v[38:39]
	;; [unrolled: 2-line block ×3, first 2 shown]
	v_add_f64 v[10:11], v[10:11], -v[40:41]
	v_add_f64 v[46:47], v[44:45], v[36:37]
	v_add_f64 v[38:39], v[38:39], -v[42:43]
	v_add_f64 v[40:41], v[46:47], -v[44:45]
	v_add_f64 v[10:11], v[10:11], v[38:39]
	v_add_f64 v[36:37], v[36:37], -v[40:41]
	v_add_f64 v[10:11], v[10:11], v[36:37]
	v_add_f64 v[10:11], v[46:47], v[10:11]
	v_cndmask_b32_e32 v10, v10, v34, vcc
	v_cndmask_b32_e32 v11, v11, v35, vcc
	v_cmp_ngt_f64_e32 vcc, 0, v[34:35]
	v_cndmask_b32_e32 v11, v48, v11, vcc
	v_cmp_nge_f64_e32 vcc, 0, v[34:35]
	v_cndmask_b32_e32 v10, 0, v10, vcc
	v_cmp_neq_f64_e32 vcc, 0, v[34:35]
	v_cndmask_b32_e32 v11, v50, v11, vcc
.LBB209_58:                             ;   in Loop: Header=BB209_50 Depth=1
	s_andn2_saveexec_b64 s[6:7], s[4:5]
	s_cbranch_execz .LBB209_62
; %bb.59:                               ;   in Loop: Header=BB209_50 Depth=1
	v_add_f64 v[34:35], v[10:11], 2.0
	v_mul_f64 v[36:37], v[12:13], v[12:13]
	v_fma_f64 v[34:35], v[10:11], v[34:35], v[36:37]
	v_cmp_neq_f64_e32 vcc, 0, v[34:35]
	s_and_saveexec_b64 s[8:9], vcc
	s_cbranch_execz .LBB209_61
; %bb.60:                               ;   in Loop: Header=BB209_50 Depth=1
	v_add_f64 v[10:11], v[34:35], 1.0
	s_mov_b32 s4, 0xbf559e2b
	s_mov_b32 s5, 0x3fc3ab76
	;; [unrolled: 1-line block ×3, first 2 shown]
	v_add_f64 v[36:37], v[10:11], -1.0
	v_frexp_exp_i32_f64_e32 v40, v[10:11]
	v_add_f64 v[38:39], v[36:37], -v[10:11]
	v_add_f64 v[36:37], v[34:35], -v[36:37]
	v_add_f64 v[38:39], v[38:39], 1.0
	v_add_f64 v[36:37], v[36:37], v[38:39]
	v_frexp_mant_f64_e32 v[38:39], v[10:11]
	v_cmp_gt_f64_e32 vcc, s[34:35], v[38:39]
	v_subbrev_co_u32_e32 v61, vcc, 0, v40, vcc
	v_sub_u32_e32 v38, 0, v61
	v_ldexp_f64 v[10:11], v[10:11], v38
	v_ldexp_f64 v[36:37], v[36:37], v38
	v_add_f64 v[38:39], v[10:11], -1.0
	v_add_f64 v[40:41], v[38:39], 1.0
	v_add_f64 v[40:41], v[10:11], -v[40:41]
	v_add_f64 v[40:41], v[36:37], v[40:41]
	v_add_f64 v[42:43], v[38:39], v[40:41]
	v_add_f64 v[38:39], v[42:43], -v[38:39]
	v_add_f64 v[38:39], v[40:41], -v[38:39]
	v_add_f64 v[40:41], v[10:11], 1.0
	v_add_f64 v[44:45], v[40:41], -1.0
	v_add_f64 v[10:11], v[10:11], -v[44:45]
	v_add_f64 v[10:11], v[36:37], v[10:11]
	v_add_f64 v[36:37], v[40:41], v[10:11]
	v_add_f64 v[40:41], v[36:37], -v[40:41]
	v_add_f64 v[10:11], v[10:11], -v[40:41]
	v_rcp_f64_e32 v[40:41], v[36:37]
	v_fma_f64 v[44:45], -v[36:37], v[40:41], 1.0
	v_fma_f64 v[40:41], v[44:45], v[40:41], v[40:41]
	v_fma_f64 v[44:45], -v[36:37], v[40:41], 1.0
	v_fma_f64 v[40:41], v[44:45], v[40:41], v[40:41]
	v_mul_f64 v[44:45], v[42:43], v[40:41]
	v_mul_f64 v[46:47], v[36:37], v[44:45]
	v_fma_f64 v[55:56], v[44:45], v[36:37], -v[46:47]
	v_fma_f64 v[55:56], v[44:45], v[10:11], v[55:56]
	v_add_f64 v[57:58], v[46:47], v[55:56]
	v_add_f64 v[59:60], v[42:43], -v[57:58]
	v_add_f64 v[46:47], v[57:58], -v[46:47]
	;; [unrolled: 1-line block ×4, first 2 shown]
	v_add_f64 v[38:39], v[38:39], v[42:43]
	v_add_f64 v[42:43], v[46:47], -v[55:56]
	v_add_f64 v[38:39], v[42:43], v[38:39]
	v_add_f64 v[42:43], v[59:60], v[38:39]
	v_add_f64 v[46:47], v[59:60], -v[42:43]
	v_add_f64 v[38:39], v[38:39], v[46:47]
	v_mul_f64 v[46:47], v[40:41], v[42:43]
	v_mul_f64 v[55:56], v[36:37], v[46:47]
	v_fma_f64 v[36:37], v[46:47], v[36:37], -v[55:56]
	v_fma_f64 v[10:11], v[46:47], v[10:11], v[36:37]
	v_add_f64 v[36:37], v[55:56], v[10:11]
	v_add_f64 v[57:58], v[42:43], -v[36:37]
	v_add_f64 v[55:56], v[36:37], -v[55:56]
	;; [unrolled: 1-line block ×5, first 2 shown]
	v_cvt_f64_i32_e32 v[42:43], v61
	v_add_f64 v[36:37], v[38:39], v[36:37]
	v_add_f64 v[10:11], v[10:11], v[36:37]
	;; [unrolled: 1-line block ×4, first 2 shown]
	v_add_f64 v[38:39], v[36:37], -v[44:45]
	v_mul_f64 v[44:45], v[42:43], s[48:49]
	v_mul_f64 v[10:11], v[40:41], v[10:11]
	v_add_f64 v[38:39], v[46:47], -v[38:39]
	v_fma_f64 v[46:47], v[42:43], s[48:49], -v[44:45]
	v_add_f64 v[10:11], v[38:39], v[10:11]
	v_fma_f64 v[42:43], v[42:43], s[50:51], v[46:47]
	v_add_f64 v[38:39], v[36:37], v[10:11]
	v_add_f64 v[46:47], v[44:45], v[42:43]
	v_add_f64 v[36:37], v[38:39], -v[36:37]
	v_add_f64 v[44:45], v[46:47], -v[44:45]
	;; [unrolled: 1-line block ×3, first 2 shown]
	v_mul_f64 v[36:37], v[38:39], v[38:39]
	v_add_f64 v[42:43], v[42:43], -v[44:45]
	v_ldexp_f64 v[44:45], v[38:39], 1
	v_ldexp_f64 v[10:11], v[10:11], 1
	v_fma_f64 v[40:41], v[36:37], s[4:5], v[20:21]
	s_mov_b32 s4, 0
	s_mov_b32 s5, 0x7ff00000
	v_cmp_neq_f64_e32 vcc, s[4:5], v[34:35]
	v_cmp_ngt_f64_e64 s[4:5], -1.0, v[34:35]
	v_fma_f64 v[40:41], v[36:37], v[40:41], s[40:41]
	v_fma_f64 v[40:41], v[36:37], v[40:41], s[42:43]
	;; [unrolled: 1-line block ×5, first 2 shown]
	v_mul_f64 v[36:37], v[38:39], v[36:37]
	v_mul_f64 v[36:37], v[36:37], v[40:41]
	v_add_f64 v[38:39], v[44:45], v[36:37]
	v_add_f64 v[40:41], v[38:39], -v[44:45]
	v_add_f64 v[36:37], v[36:37], -v[40:41]
	v_add_f64 v[10:11], v[10:11], v[36:37]
	v_add_f64 v[36:37], v[38:39], v[10:11]
	v_add_f64 v[38:39], v[36:37], -v[38:39]
	v_add_f64 v[10:11], v[10:11], -v[38:39]
	v_add_f64 v[38:39], v[46:47], v[36:37]
	v_add_f64 v[40:41], v[38:39], -v[46:47]
	v_add_f64 v[44:45], v[38:39], -v[40:41]
	;; [unrolled: 1-line block ×3, first 2 shown]
	v_add_f64 v[40:41], v[42:43], v[10:11]
	v_add_f64 v[44:45], v[46:47], -v[44:45]
	v_add_f64 v[36:37], v[36:37], v[44:45]
	v_add_f64 v[44:45], v[40:41], -v[42:43]
	;; [unrolled: 2-line block ×3, first 2 shown]
	v_add_f64 v[10:11], v[10:11], -v[44:45]
	v_add_f64 v[40:41], v[38:39], v[36:37]
	v_add_f64 v[42:43], v[42:43], -v[46:47]
	v_add_f64 v[38:39], v[40:41], -v[38:39]
	v_add_f64 v[10:11], v[10:11], v[42:43]
	v_add_f64 v[36:37], v[36:37], -v[38:39]
	v_add_f64 v[10:11], v[10:11], v[36:37]
	v_add_f64 v[10:11], v[40:41], v[10:11]
	v_mul_f64 v[10:11], v[10:11], 0.5
	v_cndmask_b32_e32 v11, v49, v11, vcc
	v_cndmask_b32_e64 v11, v48, v11, s[4:5]
	v_cmp_nge_f64_e64 s[4:5], -1.0, v[34:35]
	s_and_b64 vcc, s[4:5], vcc
	v_cndmask_b32_e32 v10, 0, v10, vcc
	v_cmp_neq_f64_e32 vcc, -1.0, v[34:35]
	v_cndmask_b32_e32 v11, v50, v11, vcc
.LBB209_61:                             ;   in Loop: Header=BB209_50 Depth=1
	s_or_b64 exec, exec, s[8:9]
.LBB209_62:                             ;   in Loop: Header=BB209_50 Depth=1
	s_or_b64 exec, exec, s[6:7]
	s_waitcnt vmcnt(0)
	v_max_f64 v[34:35], |v[14:15]|, |v[14:15]|
	v_max_f64 v[42:43], |v[16:17]|, |v[16:17]|
	v_cmp_class_f64_e64 s[8:9], v[14:15], s33
	v_cmp_class_f64_e64 s[22:23], v[16:17], s33
	v_max_f64 v[34:35], v[34:35], v[42:43]
	s_or_b64 s[8:9], s[8:9], s[22:23]
	v_frexp_exp_i32_f64_e32 v44, v[34:35]
	v_sub_u32_e32 v36, 0, v44
	v_ldexp_f64 v[34:35], |v[16:17]|, v36
	v_ldexp_f64 v[36:37], |v[14:15]|, v36
	v_mul_f64 v[34:35], v[34:35], v[34:35]
	v_fma_f64 v[36:37], v[36:37], v[36:37], v[34:35]
	v_rsq_f64_e32 v[34:35], v[36:37]
	v_cmp_eq_f64_e32 vcc, 0, v[36:37]
	v_mul_f64 v[38:39], v[36:37], v[34:35]
	v_mul_f64 v[34:35], v[34:35], 0.5
	v_fma_f64 v[40:41], -v[34:35], v[38:39], 0.5
	v_fma_f64 v[38:39], v[38:39], v[40:41], v[38:39]
	v_fma_f64 v[34:35], v[34:35], v[40:41], v[34:35]
	v_fma_f64 v[40:41], -v[38:39], v[38:39], v[36:37]
	v_fma_f64 v[38:39], v[40:41], v[34:35], v[38:39]
	v_add_f64 v[34:35], v[14:15], 1.0
	v_cndmask_b32_e32 v37, v39, v37, vcc
	v_cndmask_b32_e32 v36, v38, v36, vcc
	v_ldexp_f64 v[38:39], v[36:37], v44
	v_cmp_u_f64_e32 vcc, v[14:15], v[16:17]
	v_max_f64 v[36:37], |v[34:35]|, v[42:43]
	v_cmp_u_f64_e64 s[4:5], v[34:35], v[16:17]
	v_cmp_class_f64_e64 s[24:25], v[34:35], s33
	v_cmp_ngt_f64_e64 s[6:7], 0.5, v[38:39]
	s_or_b64 s[8:9], s[8:9], vcc
	s_or_b64 s[6:7], s[8:9], s[6:7]
	s_and_saveexec_b64 s[8:9], s[6:7]
	s_xor_b64 s[6:7], exec, s[8:9]
	s_cbranch_execz .LBB209_64
; %bb.63:                               ;   in Loop: Header=BB209_50 Depth=1
	v_frexp_exp_i32_f64_e32 v46, v[36:37]
	s_mov_b32 s37, s35
	v_sub_u32_e32 v38, 0, v46
	v_ldexp_f64 v[14:15], |v[34:35]|, v38
	v_ldexp_f64 v[38:39], |v[16:17]|, v38
	v_mul_f64 v[38:39], v[38:39], v[38:39]
	v_fma_f64 v[14:15], v[14:15], v[14:15], v[38:39]
	v_rsq_f64_e32 v[38:39], v[14:15]
	v_cmp_eq_f64_e32 vcc, 0, v[14:15]
	v_mul_f64 v[40:41], v[14:15], v[38:39]
	v_mul_f64 v[38:39], v[38:39], 0.5
	v_fma_f64 v[44:45], -v[38:39], v[40:41], 0.5
	v_fma_f64 v[40:41], v[40:41], v[44:45], v[40:41]
	v_fma_f64 v[38:39], v[38:39], v[44:45], v[38:39]
	v_fma_f64 v[44:45], -v[40:41], v[40:41], v[14:15]
	v_fma_f64 v[38:39], v[44:45], v[38:39], v[40:41]
	v_cndmask_b32_e32 v15, v39, v15, vcc
	v_cndmask_b32_e32 v14, v38, v14, vcc
	v_ldexp_f64 v[14:15], v[14:15], v46
	s_or_b64 vcc, s[24:25], s[22:23]
	s_or_b64 s[8:9], vcc, s[4:5]
	v_cndmask_b32_e64 v15, v15, v48, s[4:5]
	v_cndmask_b32_e64 v38, v14, 0, s[8:9]
	v_cndmask_b32_e32 v39, v15, v49, vcc
	v_frexp_mant_f64_e32 v[14:15], v[38:39]
	v_frexp_exp_i32_f64_e32 v40, v[38:39]
	s_mov_b32 s8, 0xbf559e2b
	s_mov_b32 s9, 0x3fc3ab76
	v_cmp_gt_f64_e32 vcc, s[34:35], v[14:15]
	v_cndmask_b32_e64 v41, 0, 1, vcc
	v_ldexp_f64 v[14:15], v[14:15], v41
	v_subbrev_co_u32_e32 v61, vcc, 0, v40, vcc
	v_cmp_class_f64_e64 vcc, v[38:39], s33
	v_add_f64 v[44:45], v[14:15], 1.0
	v_add_f64 v[40:41], v[14:15], -1.0
	v_add_f64 v[46:47], v[44:45], -1.0
	v_add_f64 v[14:15], v[14:15], -v[46:47]
	v_rcp_f64_e32 v[46:47], v[44:45]
	v_fma_f64 v[55:56], -v[44:45], v[46:47], 1.0
	v_fma_f64 v[46:47], v[55:56], v[46:47], v[46:47]
	v_fma_f64 v[55:56], -v[44:45], v[46:47], 1.0
	v_fma_f64 v[46:47], v[55:56], v[46:47], v[46:47]
	v_mul_f64 v[55:56], v[40:41], v[46:47]
	v_mul_f64 v[57:58], v[44:45], v[55:56]
	v_fma_f64 v[44:45], v[55:56], v[44:45], -v[57:58]
	v_fma_f64 v[14:15], v[55:56], v[14:15], v[44:45]
	v_add_f64 v[44:45], v[57:58], v[14:15]
	v_add_f64 v[59:60], v[40:41], -v[44:45]
	v_add_f64 v[57:58], v[44:45], -v[57:58]
	;; [unrolled: 1-line block ×5, first 2 shown]
	v_add_f64 v[14:15], v[14:15], v[40:41]
	v_add_f64 v[14:15], v[59:60], v[14:15]
	v_mul_f64 v[14:15], v[46:47], v[14:15]
	v_add_f64 v[40:41], v[55:56], v[14:15]
	v_add_f64 v[44:45], v[40:41], -v[55:56]
	v_ldexp_f64 v[55:56], v[40:41], 1
	v_add_f64 v[14:15], v[14:15], -v[44:45]
	v_mul_f64 v[44:45], v[40:41], v[40:41]
	v_ldexp_f64 v[14:15], v[14:15], 1
	v_fma_f64 v[46:47], v[44:45], s[8:9], v[20:21]
	v_mul_f64 v[40:41], v[40:41], v[44:45]
	v_fma_f64 v[46:47], v[44:45], v[46:47], s[40:41]
	v_fma_f64 v[46:47], v[44:45], v[46:47], s[42:43]
	;; [unrolled: 1-line block ×5, first 2 shown]
	v_mul_f64 v[40:41], v[40:41], v[46:47]
	v_add_f64 v[44:45], v[55:56], v[40:41]
	v_add_f64 v[46:47], v[44:45], -v[55:56]
	v_add_f64 v[40:41], v[40:41], -v[46:47]
	v_add_f64 v[14:15], v[14:15], v[40:41]
	v_add_f64 v[40:41], v[44:45], v[14:15]
	v_add_f64 v[44:45], v[40:41], -v[44:45]
	v_add_f64 v[14:15], v[14:15], -v[44:45]
	v_cvt_f64_i32_e32 v[44:45], v61
	v_mul_f64 v[46:47], v[44:45], s[48:49]
	v_fma_f64 v[55:56], v[44:45], s[48:49], -v[46:47]
	v_fma_f64 v[44:45], v[44:45], s[50:51], v[55:56]
	v_add_f64 v[55:56], v[46:47], v[44:45]
	v_add_f64 v[46:47], v[55:56], -v[46:47]
	v_add_f64 v[44:45], v[44:45], -v[46:47]
	v_add_f64 v[46:47], v[55:56], v[40:41]
	v_add_f64 v[57:58], v[46:47], -v[55:56]
	v_add_f64 v[59:60], v[46:47], -v[57:58]
	;; [unrolled: 1-line block ×4, first 2 shown]
	v_add_f64 v[40:41], v[40:41], v[55:56]
	v_add_f64 v[55:56], v[44:45], v[14:15]
	v_add_f64 v[57:58], v[55:56], -v[44:45]
	v_add_f64 v[40:41], v[55:56], v[40:41]
	v_add_f64 v[59:60], v[55:56], -v[57:58]
	v_add_f64 v[14:15], v[14:15], -v[57:58]
	;; [unrolled: 1-line block ×3, first 2 shown]
	v_add_f64 v[14:15], v[14:15], v[44:45]
	v_add_f64 v[44:45], v[46:47], v[40:41]
	v_add_f64 v[46:47], v[44:45], -v[46:47]
	v_add_f64 v[40:41], v[40:41], -v[46:47]
	v_add_f64 v[14:15], v[14:15], v[40:41]
	v_add_f64 v[14:15], v[44:45], v[14:15]
	v_cndmask_b32_e32 v14, v14, v38, vcc
	v_cndmask_b32_e32 v15, v15, v39, vcc
	v_cmp_ngt_f64_e32 vcc, 0, v[38:39]
	v_cndmask_b32_e32 v15, v48, v15, vcc
	v_cmp_nge_f64_e32 vcc, 0, v[38:39]
	v_cndmask_b32_e32 v14, 0, v14, vcc
	v_cmp_neq_f64_e32 vcc, 0, v[38:39]
	v_cndmask_b32_e32 v15, v50, v15, vcc
.LBB209_64:                             ;   in Loop: Header=BB209_50 Depth=1
	s_andn2_saveexec_b64 s[8:9], s[6:7]
	s_cbranch_execz .LBB209_68
; %bb.65:                               ;   in Loop: Header=BB209_50 Depth=1
	v_add_f64 v[38:39], v[14:15], 2.0
	v_mul_f64 v[40:41], v[16:17], v[16:17]
	v_fma_f64 v[38:39], v[14:15], v[38:39], v[40:41]
	v_cmp_neq_f64_e32 vcc, 0, v[38:39]
	s_and_saveexec_b64 s[10:11], vcc
	s_cbranch_execz .LBB209_67
; %bb.66:                               ;   in Loop: Header=BB209_50 Depth=1
	v_add_f64 v[14:15], v[38:39], 1.0
	s_mov_b32 s6, 0xbf559e2b
	s_mov_b32 s7, 0x3fc3ab76
	;; [unrolled: 1-line block ×3, first 2 shown]
	v_frexp_mant_f64_e32 v[44:45], v[14:15]
	v_frexp_exp_i32_f64_e32 v55, v[14:15]
	v_add_f64 v[40:41], v[14:15], -1.0
	v_cmp_gt_f64_e32 vcc, s[34:35], v[44:45]
	v_add_f64 v[46:47], v[40:41], -v[14:15]
	v_add_f64 v[40:41], v[38:39], -v[40:41]
	v_subbrev_co_u32_e32 v69, vcc, 0, v55, vcc
	v_sub_u32_e32 v55, 0, v69
	v_ldexp_f64 v[14:15], v[14:15], v55
	v_add_f64 v[44:45], v[46:47], 1.0
	v_cmp_nge_f64_e32 vcc, -1.0, v[38:39]
	v_add_f64 v[46:47], v[14:15], 1.0
	v_add_f64 v[40:41], v[40:41], v[44:45]
	v_add_f64 v[59:60], v[14:15], -1.0
	v_add_f64 v[44:45], v[46:47], -1.0
	v_ldexp_f64 v[40:41], v[40:41], v55
	v_add_f64 v[61:62], v[59:60], 1.0
	v_add_f64 v[44:45], v[14:15], -v[44:45]
	v_add_f64 v[14:15], v[14:15], -v[61:62]
	v_add_f64 v[44:45], v[40:41], v[44:45]
	v_add_f64 v[14:15], v[40:41], v[14:15]
	v_add_f64 v[55:56], v[46:47], v[44:45]
	v_add_f64 v[61:62], v[59:60], v[14:15]
	v_rcp_f64_e32 v[57:58], v[55:56]
	v_add_f64 v[46:47], v[55:56], -v[46:47]
	v_add_f64 v[59:60], v[61:62], -v[59:60]
	;; [unrolled: 1-line block ×4, first 2 shown]
	v_fma_f64 v[63:64], -v[55:56], v[57:58], 1.0
	v_fma_f64 v[57:58], v[63:64], v[57:58], v[57:58]
	v_fma_f64 v[40:41], -v[55:56], v[57:58], 1.0
	v_fma_f64 v[40:41], v[40:41], v[57:58], v[57:58]
	v_mul_f64 v[57:58], v[61:62], v[40:41]
	v_mul_f64 v[63:64], v[55:56], v[57:58]
	v_fma_f64 v[46:47], v[57:58], v[55:56], -v[63:64]
	v_fma_f64 v[46:47], v[57:58], v[44:45], v[46:47]
	v_add_f64 v[65:66], v[63:64], v[46:47]
	v_add_f64 v[67:68], v[61:62], -v[65:66]
	v_add_f64 v[59:60], v[65:66], -v[63:64]
	;; [unrolled: 1-line block ×5, first 2 shown]
	v_add_f64 v[14:15], v[14:15], v[61:62]
	v_add_f64 v[14:15], v[46:47], v[14:15]
	;; [unrolled: 1-line block ×3, first 2 shown]
	v_mul_f64 v[59:60], v[40:41], v[46:47]
	v_add_f64 v[65:66], v[67:68], -v[46:47]
	v_mul_f64 v[61:62], v[55:56], v[59:60]
	v_add_f64 v[14:15], v[14:15], v[65:66]
	v_fma_f64 v[55:56], v[59:60], v[55:56], -v[61:62]
	v_fma_f64 v[44:45], v[59:60], v[44:45], v[55:56]
	v_add_f64 v[55:56], v[61:62], v[44:45]
	v_add_f64 v[63:64], v[46:47], -v[55:56]
	v_add_f64 v[61:62], v[55:56], -v[61:62]
	;; [unrolled: 1-line block ×5, first 2 shown]
	v_add_f64 v[14:15], v[14:15], v[46:47]
	v_add_f64 v[46:47], v[57:58], v[59:60]
	;; [unrolled: 1-line block ×3, first 2 shown]
	v_add_f64 v[44:45], v[46:47], -v[57:58]
	v_add_f64 v[14:15], v[63:64], v[14:15]
	v_add_f64 v[44:45], v[59:60], -v[44:45]
	v_mul_f64 v[14:15], v[40:41], v[14:15]
	v_add_f64 v[14:15], v[44:45], v[14:15]
	v_add_f64 v[40:41], v[46:47], v[14:15]
	v_mul_f64 v[44:45], v[40:41], v[40:41]
	v_fma_f64 v[55:56], v[44:45], s[6:7], v[20:21]
	v_mul_f64 v[57:58], v[40:41], v[44:45]
	s_mov_b32 s6, 0
	s_mov_b32 s7, 0x7ff00000
	v_cmp_neq_f64_e64 s[6:7], s[6:7], v[38:39]
	v_fma_f64 v[55:56], v[44:45], v[55:56], s[40:41]
	s_and_b64 vcc, vcc, s[6:7]
	v_fma_f64 v[55:56], v[44:45], v[55:56], s[42:43]
	v_fma_f64 v[55:56], v[44:45], v[55:56], s[44:45]
	;; [unrolled: 1-line block ×4, first 2 shown]
	v_ldexp_f64 v[55:56], v[40:41], 1
	v_add_f64 v[40:41], v[40:41], -v[46:47]
	v_mul_f64 v[44:45], v[57:58], v[44:45]
	v_cvt_f64_i32_e32 v[57:58], v69
	v_add_f64 v[14:15], v[14:15], -v[40:41]
	v_mul_f64 v[59:60], v[57:58], s[48:49]
	v_add_f64 v[46:47], v[55:56], v[44:45]
	v_ldexp_f64 v[14:15], v[14:15], 1
	v_add_f64 v[40:41], v[46:47], -v[55:56]
	v_fma_f64 v[55:56], v[57:58], s[48:49], -v[59:60]
	v_add_f64 v[40:41], v[44:45], -v[40:41]
	v_fma_f64 v[44:45], v[57:58], s[50:51], v[55:56]
	v_add_f64 v[14:15], v[14:15], v[40:41]
	v_add_f64 v[40:41], v[59:60], v[44:45]
	;; [unrolled: 1-line block ×3, first 2 shown]
	v_add_f64 v[59:60], v[40:41], -v[59:60]
	v_add_f64 v[57:58], v[40:41], v[55:56]
	v_add_f64 v[46:47], v[55:56], -v[46:47]
	v_add_f64 v[44:45], v[44:45], -v[59:60]
	;; [unrolled: 1-line block ×6, first 2 shown]
	v_add_f64 v[55:56], v[44:45], v[14:15]
	v_add_f64 v[40:41], v[40:41], -v[63:64]
	v_add_f64 v[40:41], v[46:47], v[40:41]
	v_add_f64 v[46:47], v[55:56], -v[44:45]
	;; [unrolled: 2-line block ×3, first 2 shown]
	v_add_f64 v[14:15], v[14:15], -v[46:47]
	v_add_f64 v[59:60], v[57:58], v[40:41]
	v_add_f64 v[44:45], v[44:45], -v[55:56]
	v_add_f64 v[46:47], v[59:60], -v[57:58]
	v_add_f64 v[14:15], v[14:15], v[44:45]
	v_add_f64 v[40:41], v[40:41], -v[46:47]
	v_add_f64 v[14:15], v[14:15], v[40:41]
	v_add_f64 v[14:15], v[59:60], v[14:15]
	v_mul_f64 v[14:15], v[14:15], 0.5
	v_cndmask_b32_e32 v14, 0, v14, vcc
	v_cmp_ngt_f64_e32 vcc, -1.0, v[38:39]
	v_cndmask_b32_e64 v15, v49, v15, s[6:7]
	v_cndmask_b32_e32 v15, v48, v15, vcc
	v_cmp_neq_f64_e32 vcc, -1.0, v[38:39]
	v_cndmask_b32_e32 v15, v50, v15, vcc
.LBB209_67:                             ;   in Loop: Header=BB209_50 Depth=1
	s_or_b64 exec, exec, s[10:11]
.LBB209_68:                             ;   in Loop: Header=BB209_50 Depth=1
	s_or_b64 exec, exec, s[8:9]
	v_max_f64 v[38:39], |v[6:7]|, |v[6:7]|
	v_max_f64 v[44:45], |v[8:9]|, |v[8:9]|
	v_cmp_class_f64_e64 s[10:11], v[6:7], s33
	v_cmp_class_f64_e64 s[26:27], v[8:9], s33
	v_max_f64 v[38:39], v[38:39], v[44:45]
	s_or_b64 s[10:11], s[10:11], s[26:27]
	v_frexp_exp_i32_f64_e32 v57, v[38:39]
	v_sub_u32_e32 v40, 0, v57
	v_ldexp_f64 v[38:39], |v[8:9]|, v40
	v_ldexp_f64 v[40:41], |v[6:7]|, v40
	v_mul_f64 v[38:39], v[38:39], v[38:39]
	v_fma_f64 v[40:41], v[40:41], v[40:41], v[38:39]
	v_rsq_f64_e32 v[38:39], v[40:41]
	v_cmp_eq_f64_e32 vcc, 0, v[40:41]
	v_mul_f64 v[46:47], v[40:41], v[38:39]
	v_mul_f64 v[38:39], v[38:39], 0.5
	v_fma_f64 v[55:56], -v[38:39], v[46:47], 0.5
	v_fma_f64 v[46:47], v[46:47], v[55:56], v[46:47]
	v_fma_f64 v[38:39], v[38:39], v[55:56], v[38:39]
	v_fma_f64 v[55:56], -v[46:47], v[46:47], v[40:41]
	v_fma_f64 v[46:47], v[55:56], v[38:39], v[46:47]
	v_add_f64 v[38:39], v[6:7], 1.0
	v_cndmask_b32_e32 v41, v47, v41, vcc
	v_cndmask_b32_e32 v40, v46, v40, vcc
	v_ldexp_f64 v[46:47], v[40:41], v57
	v_cmp_u_f64_e32 vcc, v[6:7], v[8:9]
	v_max_f64 v[40:41], |v[38:39]|, v[44:45]
	v_cmp_u_f64_e64 s[6:7], v[38:39], v[8:9]
	v_cmp_class_f64_e64 s[30:31], v[38:39], s33
	v_cmp_ngt_f64_e64 s[8:9], 0.5, v[46:47]
	s_or_b64 s[10:11], s[10:11], vcc
	s_or_b64 s[8:9], s[10:11], s[8:9]
	s_and_saveexec_b64 s[10:11], s[8:9]
	s_xor_b64 s[8:9], exec, s[10:11]
	s_cbranch_execz .LBB209_70
; %bb.69:                               ;   in Loop: Header=BB209_50 Depth=1
	v_frexp_exp_i32_f64_e32 v59, v[40:41]
	s_mov_b32 s37, s35
	v_sub_u32_e32 v46, 0, v59
	v_ldexp_f64 v[6:7], |v[8:9]|, v46
	v_ldexp_f64 v[46:47], |v[38:39]|, v46
	v_mul_f64 v[6:7], v[6:7], v[6:7]
	v_fma_f64 v[6:7], v[46:47], v[46:47], v[6:7]
	v_rsq_f64_e32 v[46:47], v[6:7]
	v_cmp_eq_f64_e32 vcc, 0, v[6:7]
	v_mul_f64 v[55:56], v[6:7], v[46:47]
	v_mul_f64 v[46:47], v[46:47], 0.5
	v_fma_f64 v[57:58], -v[46:47], v[55:56], 0.5
	v_fma_f64 v[55:56], v[55:56], v[57:58], v[55:56]
	v_fma_f64 v[46:47], v[46:47], v[57:58], v[46:47]
	v_fma_f64 v[57:58], -v[55:56], v[55:56], v[6:7]
	v_fma_f64 v[46:47], v[57:58], v[46:47], v[55:56]
	v_cndmask_b32_e32 v7, v47, v7, vcc
	v_cndmask_b32_e32 v6, v46, v6, vcc
	v_ldexp_f64 v[6:7], v[6:7], v59
	s_or_b64 vcc, s[30:31], s[26:27]
	s_or_b64 s[10:11], vcc, s[6:7]
	v_cndmask_b32_e64 v7, v7, v48, s[6:7]
	v_cndmask_b32_e32 v47, v7, v49, vcc
	v_cndmask_b32_e64 v46, v6, 0, s[10:11]
	v_frexp_mant_f64_e32 v[6:7], v[46:47]
	s_mov_b32 s10, 0xbf559e2b
	s_mov_b32 s11, 0x3fc3ab76
	v_cmp_gt_f64_e32 vcc, s[34:35], v[6:7]
	v_cndmask_b32_e64 v55, 0, 1, vcc
	v_ldexp_f64 v[6:7], v[6:7], v55
	v_add_f64 v[55:56], v[6:7], 1.0
	v_add_f64 v[61:62], v[6:7], -1.0
	v_rcp_f64_e32 v[57:58], v[55:56]
	v_add_f64 v[63:64], v[55:56], -1.0
	v_add_f64 v[6:7], v[6:7], -v[63:64]
	v_fma_f64 v[59:60], -v[55:56], v[57:58], 1.0
	v_fma_f64 v[57:58], v[59:60], v[57:58], v[57:58]
	v_fma_f64 v[59:60], -v[55:56], v[57:58], 1.0
	v_fma_f64 v[57:58], v[59:60], v[57:58], v[57:58]
	v_mul_f64 v[59:60], v[61:62], v[57:58]
	v_mul_f64 v[65:66], v[55:56], v[59:60]
	v_fma_f64 v[55:56], v[59:60], v[55:56], -v[65:66]
	v_fma_f64 v[6:7], v[59:60], v[6:7], v[55:56]
	v_add_f64 v[55:56], v[65:66], v[6:7]
	v_add_f64 v[63:64], v[61:62], -v[55:56]
	v_add_f64 v[65:66], v[55:56], -v[65:66]
	;; [unrolled: 1-line block ×5, first 2 shown]
	v_add_f64 v[6:7], v[6:7], v[55:56]
	v_add_f64 v[6:7], v[63:64], v[6:7]
	v_mul_f64 v[6:7], v[57:58], v[6:7]
	v_add_f64 v[55:56], v[59:60], v[6:7]
	v_mul_f64 v[57:58], v[55:56], v[55:56]
	v_fma_f64 v[61:62], v[57:58], s[10:11], v[20:21]
	v_mul_f64 v[63:64], v[55:56], v[57:58]
	v_fma_f64 v[61:62], v[57:58], v[61:62], s[40:41]
	v_fma_f64 v[61:62], v[57:58], v[61:62], s[42:43]
	;; [unrolled: 1-line block ×5, first 2 shown]
	v_ldexp_f64 v[61:62], v[55:56], 1
	v_add_f64 v[55:56], v[55:56], -v[59:60]
	v_mul_f64 v[57:58], v[63:64], v[57:58]
	v_frexp_exp_i32_f64_e32 v63, v[46:47]
	v_add_f64 v[6:7], v[6:7], -v[55:56]
	v_add_f64 v[59:60], v[61:62], v[57:58]
	v_subbrev_co_u32_e32 v63, vcc, 0, v63, vcc
	v_cvt_f64_i32_e32 v[63:64], v63
	v_ldexp_f64 v[6:7], v[6:7], 1
	v_cmp_class_f64_e64 vcc, v[46:47], s33
	v_mul_f64 v[65:66], v[63:64], s[48:49]
	v_add_f64 v[55:56], v[59:60], -v[61:62]
	v_fma_f64 v[61:62], v[63:64], s[48:49], -v[65:66]
	v_add_f64 v[55:56], v[57:58], -v[55:56]
	v_fma_f64 v[57:58], v[63:64], s[50:51], v[61:62]
	v_add_f64 v[6:7], v[6:7], v[55:56]
	v_add_f64 v[55:56], v[65:66], v[57:58]
	;; [unrolled: 1-line block ×3, first 2 shown]
	v_add_f64 v[65:66], v[55:56], -v[65:66]
	v_add_f64 v[63:64], v[55:56], v[61:62]
	v_add_f64 v[59:60], v[61:62], -v[59:60]
	v_add_f64 v[57:58], v[57:58], -v[65:66]
	;; [unrolled: 1-line block ×6, first 2 shown]
	v_add_f64 v[61:62], v[57:58], v[6:7]
	v_add_f64 v[55:56], v[55:56], -v[69:70]
	v_add_f64 v[55:56], v[59:60], v[55:56]
	v_add_f64 v[59:60], v[61:62], -v[57:58]
	;; [unrolled: 2-line block ×3, first 2 shown]
	v_add_f64 v[6:7], v[6:7], -v[59:60]
	v_add_f64 v[65:66], v[63:64], v[55:56]
	v_add_f64 v[57:58], v[57:58], -v[61:62]
	v_add_f64 v[59:60], v[65:66], -v[63:64]
	v_add_f64 v[6:7], v[6:7], v[57:58]
	v_add_f64 v[55:56], v[55:56], -v[59:60]
	v_add_f64 v[6:7], v[6:7], v[55:56]
	v_add_f64 v[6:7], v[65:66], v[6:7]
	v_cndmask_b32_e32 v6, v6, v46, vcc
	v_cndmask_b32_e32 v7, v7, v47, vcc
	v_cmp_ngt_f64_e32 vcc, 0, v[46:47]
	v_cndmask_b32_e32 v7, v48, v7, vcc
	v_cmp_nge_f64_e32 vcc, 0, v[46:47]
	v_cndmask_b32_e32 v6, 0, v6, vcc
	v_cmp_neq_f64_e32 vcc, 0, v[46:47]
	v_cndmask_b32_e32 v7, v50, v7, vcc
.LBB209_70:                             ;   in Loop: Header=BB209_50 Depth=1
	s_andn2_saveexec_b64 s[10:11], s[8:9]
	s_cbranch_execz .LBB209_49
; %bb.71:                               ;   in Loop: Header=BB209_50 Depth=1
	v_add_f64 v[46:47], v[6:7], 2.0
	v_mul_f64 v[55:56], v[8:9], v[8:9]
	v_fma_f64 v[46:47], v[6:7], v[46:47], v[55:56]
	v_cmp_neq_f64_e32 vcc, 0, v[46:47]
	s_and_saveexec_b64 s[12:13], vcc
	s_cbranch_execz .LBB209_48
; %bb.72:                               ;   in Loop: Header=BB209_50 Depth=1
	v_add_f64 v[6:7], v[46:47], 1.0
	s_mov_b32 s8, 0xbf559e2b
	s_mov_b32 s9, 0x3fc3ab76
	;; [unrolled: 1-line block ×3, first 2 shown]
	v_frexp_mant_f64_e32 v[57:58], v[6:7]
	v_frexp_exp_i32_f64_e32 v61, v[6:7]
	v_add_f64 v[55:56], v[6:7], -1.0
	v_cmp_gt_f64_e32 vcc, s[34:35], v[57:58]
	v_add_f64 v[59:60], v[55:56], -v[6:7]
	v_add_f64 v[55:56], v[46:47], -v[55:56]
	v_subbrev_co_u32_e32 v75, vcc, 0, v61, vcc
	v_sub_u32_e32 v61, 0, v75
	v_ldexp_f64 v[6:7], v[6:7], v61
	v_add_f64 v[57:58], v[59:60], 1.0
	v_cmp_nge_f64_e32 vcc, -1.0, v[46:47]
	v_add_f64 v[59:60], v[6:7], 1.0
	v_add_f64 v[55:56], v[55:56], v[57:58]
	v_add_f64 v[65:66], v[6:7], -1.0
	v_add_f64 v[57:58], v[59:60], -1.0
	v_ldexp_f64 v[55:56], v[55:56], v61
	v_add_f64 v[67:68], v[65:66], 1.0
	v_add_f64 v[57:58], v[6:7], -v[57:58]
	v_add_f64 v[6:7], v[6:7], -v[67:68]
	v_add_f64 v[57:58], v[55:56], v[57:58]
	v_add_f64 v[6:7], v[55:56], v[6:7]
	v_add_f64 v[61:62], v[59:60], v[57:58]
	v_add_f64 v[67:68], v[65:66], v[6:7]
	v_rcp_f64_e32 v[63:64], v[61:62]
	v_add_f64 v[59:60], v[61:62], -v[59:60]
	v_add_f64 v[65:66], v[67:68], -v[65:66]
	;; [unrolled: 1-line block ×4, first 2 shown]
	v_fma_f64 v[69:70], -v[61:62], v[63:64], 1.0
	v_fma_f64 v[63:64], v[69:70], v[63:64], v[63:64]
	v_fma_f64 v[55:56], -v[61:62], v[63:64], 1.0
	v_fma_f64 v[55:56], v[55:56], v[63:64], v[63:64]
	v_mul_f64 v[63:64], v[67:68], v[55:56]
	v_mul_f64 v[69:70], v[61:62], v[63:64]
	v_fma_f64 v[59:60], v[63:64], v[61:62], -v[69:70]
	v_fma_f64 v[59:60], v[63:64], v[57:58], v[59:60]
	v_add_f64 v[71:72], v[69:70], v[59:60]
	v_add_f64 v[73:74], v[67:68], -v[71:72]
	v_add_f64 v[65:66], v[71:72], -v[69:70]
	;; [unrolled: 1-line block ×5, first 2 shown]
	v_add_f64 v[6:7], v[6:7], v[67:68]
	v_add_f64 v[6:7], v[59:60], v[6:7]
	;; [unrolled: 1-line block ×3, first 2 shown]
	v_mul_f64 v[65:66], v[55:56], v[59:60]
	v_add_f64 v[71:72], v[73:74], -v[59:60]
	v_mul_f64 v[67:68], v[61:62], v[65:66]
	v_add_f64 v[6:7], v[6:7], v[71:72]
	v_fma_f64 v[61:62], v[65:66], v[61:62], -v[67:68]
	v_fma_f64 v[57:58], v[65:66], v[57:58], v[61:62]
	v_add_f64 v[61:62], v[67:68], v[57:58]
	v_add_f64 v[69:70], v[59:60], -v[61:62]
	v_add_f64 v[67:68], v[61:62], -v[67:68]
	;; [unrolled: 1-line block ×5, first 2 shown]
	v_add_f64 v[6:7], v[6:7], v[59:60]
	v_add_f64 v[59:60], v[63:64], v[65:66]
	;; [unrolled: 1-line block ×3, first 2 shown]
	v_add_f64 v[57:58], v[59:60], -v[63:64]
	v_add_f64 v[6:7], v[69:70], v[6:7]
	v_add_f64 v[57:58], v[65:66], -v[57:58]
	v_mul_f64 v[6:7], v[55:56], v[6:7]
	v_add_f64 v[6:7], v[57:58], v[6:7]
	v_add_f64 v[55:56], v[59:60], v[6:7]
	v_mul_f64 v[57:58], v[55:56], v[55:56]
	v_fma_f64 v[61:62], v[57:58], s[8:9], v[20:21]
	v_mul_f64 v[63:64], v[55:56], v[57:58]
	s_mov_b32 s8, 0
	s_mov_b32 s9, 0x7ff00000
	v_cmp_neq_f64_e64 s[8:9], s[8:9], v[46:47]
	v_fma_f64 v[61:62], v[57:58], v[61:62], s[40:41]
	s_and_b64 vcc, vcc, s[8:9]
	v_fma_f64 v[61:62], v[57:58], v[61:62], s[42:43]
	v_fma_f64 v[61:62], v[57:58], v[61:62], s[44:45]
	;; [unrolled: 1-line block ×4, first 2 shown]
	v_ldexp_f64 v[61:62], v[55:56], 1
	v_add_f64 v[55:56], v[55:56], -v[59:60]
	v_mul_f64 v[57:58], v[63:64], v[57:58]
	v_cvt_f64_i32_e32 v[63:64], v75
	v_add_f64 v[6:7], v[6:7], -v[55:56]
	v_mul_f64 v[65:66], v[63:64], s[48:49]
	v_add_f64 v[59:60], v[61:62], v[57:58]
	v_ldexp_f64 v[6:7], v[6:7], 1
	v_add_f64 v[55:56], v[59:60], -v[61:62]
	v_fma_f64 v[61:62], v[63:64], s[48:49], -v[65:66]
	v_add_f64 v[55:56], v[57:58], -v[55:56]
	v_fma_f64 v[57:58], v[63:64], s[50:51], v[61:62]
	v_add_f64 v[6:7], v[6:7], v[55:56]
	v_add_f64 v[55:56], v[65:66], v[57:58]
	;; [unrolled: 1-line block ×3, first 2 shown]
	v_add_f64 v[65:66], v[55:56], -v[65:66]
	v_add_f64 v[63:64], v[55:56], v[61:62]
	v_add_f64 v[59:60], v[61:62], -v[59:60]
	v_add_f64 v[57:58], v[57:58], -v[65:66]
	;; [unrolled: 1-line block ×6, first 2 shown]
	v_add_f64 v[61:62], v[57:58], v[6:7]
	v_add_f64 v[55:56], v[55:56], -v[69:70]
	v_add_f64 v[55:56], v[59:60], v[55:56]
	v_add_f64 v[59:60], v[61:62], -v[57:58]
	;; [unrolled: 2-line block ×3, first 2 shown]
	v_add_f64 v[6:7], v[6:7], -v[59:60]
	v_add_f64 v[65:66], v[63:64], v[55:56]
	v_add_f64 v[57:58], v[57:58], -v[61:62]
	v_add_f64 v[59:60], v[65:66], -v[63:64]
	v_add_f64 v[6:7], v[6:7], v[57:58]
	v_add_f64 v[55:56], v[55:56], -v[59:60]
	v_add_f64 v[6:7], v[6:7], v[55:56]
	v_add_f64 v[6:7], v[65:66], v[6:7]
	v_mul_f64 v[6:7], v[6:7], 0.5
	v_cndmask_b32_e32 v6, 0, v6, vcc
	v_cmp_ngt_f64_e32 vcc, -1.0, v[46:47]
	v_cndmask_b32_e64 v7, v49, v7, s[8:9]
	v_cndmask_b32_e32 v7, v48, v7, vcc
	v_cmp_neq_f64_e32 vcc, -1.0, v[46:47]
	v_cndmask_b32_e32 v7, v50, v7, vcc
	s_branch .LBB209_48
.LBB209_73:
	s_endpgm
	.section	.rodata,"a",@progbits
	.p2align	6, 0x0
	.amdhsa_kernel _ZN2at6native12_GLOBAL__N_125multi_tensor_apply_kernelINS1_18TensorListMetadataILi1EEENS1_14UnaryOpFunctorIN3c107complexIdEELi1ELi1ELi0EEEJNS0_5Log1pIS8_EEEEEvT_T0_DpT1_
		.amdhsa_group_segment_fixed_size 0
		.amdhsa_private_segment_fixed_size 0
		.amdhsa_kernarg_size 3632
		.amdhsa_user_sgpr_count 6
		.amdhsa_user_sgpr_private_segment_buffer 1
		.amdhsa_user_sgpr_dispatch_ptr 0
		.amdhsa_user_sgpr_queue_ptr 0
		.amdhsa_user_sgpr_kernarg_segment_ptr 1
		.amdhsa_user_sgpr_dispatch_id 0
		.amdhsa_user_sgpr_flat_scratch_init 0
		.amdhsa_user_sgpr_private_segment_size 0
		.amdhsa_uses_dynamic_stack 0
		.amdhsa_system_sgpr_private_segment_wavefront_offset 0
		.amdhsa_system_sgpr_workgroup_id_x 1
		.amdhsa_system_sgpr_workgroup_id_y 0
		.amdhsa_system_sgpr_workgroup_id_z 0
		.amdhsa_system_sgpr_workgroup_info 0
		.amdhsa_system_vgpr_workitem_id 0
		.amdhsa_next_free_vgpr 86
		.amdhsa_next_free_sgpr 96
		.amdhsa_reserve_vcc 1
		.amdhsa_reserve_flat_scratch 0
		.amdhsa_float_round_mode_32 0
		.amdhsa_float_round_mode_16_64 0
		.amdhsa_float_denorm_mode_32 3
		.amdhsa_float_denorm_mode_16_64 3
		.amdhsa_dx10_clamp 1
		.amdhsa_ieee_mode 1
		.amdhsa_fp16_overflow 0
		.amdhsa_exception_fp_ieee_invalid_op 0
		.amdhsa_exception_fp_denorm_src 0
		.amdhsa_exception_fp_ieee_div_zero 0
		.amdhsa_exception_fp_ieee_overflow 0
		.amdhsa_exception_fp_ieee_underflow 0
		.amdhsa_exception_fp_ieee_inexact 0
		.amdhsa_exception_int_div_zero 0
	.end_amdhsa_kernel
	.section	.text._ZN2at6native12_GLOBAL__N_125multi_tensor_apply_kernelINS1_18TensorListMetadataILi1EEENS1_14UnaryOpFunctorIN3c107complexIdEELi1ELi1ELi0EEEJNS0_5Log1pIS8_EEEEEvT_T0_DpT1_,"axG",@progbits,_ZN2at6native12_GLOBAL__N_125multi_tensor_apply_kernelINS1_18TensorListMetadataILi1EEENS1_14UnaryOpFunctorIN3c107complexIdEELi1ELi1ELi0EEEJNS0_5Log1pIS8_EEEEEvT_T0_DpT1_,comdat
.Lfunc_end209:
	.size	_ZN2at6native12_GLOBAL__N_125multi_tensor_apply_kernelINS1_18TensorListMetadataILi1EEENS1_14UnaryOpFunctorIN3c107complexIdEELi1ELi1ELi0EEEJNS0_5Log1pIS8_EEEEEvT_T0_DpT1_, .Lfunc_end209-_ZN2at6native12_GLOBAL__N_125multi_tensor_apply_kernelINS1_18TensorListMetadataILi1EEENS1_14UnaryOpFunctorIN3c107complexIdEELi1ELi1ELi0EEEJNS0_5Log1pIS8_EEEEEvT_T0_DpT1_
                                        ; -- End function
	.set _ZN2at6native12_GLOBAL__N_125multi_tensor_apply_kernelINS1_18TensorListMetadataILi1EEENS1_14UnaryOpFunctorIN3c107complexIdEELi1ELi1ELi0EEEJNS0_5Log1pIS8_EEEEEvT_T0_DpT1_.num_vgpr, 86
	.set _ZN2at6native12_GLOBAL__N_125multi_tensor_apply_kernelINS1_18TensorListMetadataILi1EEENS1_14UnaryOpFunctorIN3c107complexIdEELi1ELi1ELi0EEEJNS0_5Log1pIS8_EEEEEvT_T0_DpT1_.num_agpr, 0
	.set _ZN2at6native12_GLOBAL__N_125multi_tensor_apply_kernelINS1_18TensorListMetadataILi1EEENS1_14UnaryOpFunctorIN3c107complexIdEELi1ELi1ELi0EEEJNS0_5Log1pIS8_EEEEEvT_T0_DpT1_.numbered_sgpr, 96
	.set _ZN2at6native12_GLOBAL__N_125multi_tensor_apply_kernelINS1_18TensorListMetadataILi1EEENS1_14UnaryOpFunctorIN3c107complexIdEELi1ELi1ELi0EEEJNS0_5Log1pIS8_EEEEEvT_T0_DpT1_.num_named_barrier, 0
	.set _ZN2at6native12_GLOBAL__N_125multi_tensor_apply_kernelINS1_18TensorListMetadataILi1EEENS1_14UnaryOpFunctorIN3c107complexIdEELi1ELi1ELi0EEEJNS0_5Log1pIS8_EEEEEvT_T0_DpT1_.private_seg_size, 0
	.set _ZN2at6native12_GLOBAL__N_125multi_tensor_apply_kernelINS1_18TensorListMetadataILi1EEENS1_14UnaryOpFunctorIN3c107complexIdEELi1ELi1ELi0EEEJNS0_5Log1pIS8_EEEEEvT_T0_DpT1_.uses_vcc, 1
	.set _ZN2at6native12_GLOBAL__N_125multi_tensor_apply_kernelINS1_18TensorListMetadataILi1EEENS1_14UnaryOpFunctorIN3c107complexIdEELi1ELi1ELi0EEEJNS0_5Log1pIS8_EEEEEvT_T0_DpT1_.uses_flat_scratch, 0
	.set _ZN2at6native12_GLOBAL__N_125multi_tensor_apply_kernelINS1_18TensorListMetadataILi1EEENS1_14UnaryOpFunctorIN3c107complexIdEELi1ELi1ELi0EEEJNS0_5Log1pIS8_EEEEEvT_T0_DpT1_.has_dyn_sized_stack, 0
	.set _ZN2at6native12_GLOBAL__N_125multi_tensor_apply_kernelINS1_18TensorListMetadataILi1EEENS1_14UnaryOpFunctorIN3c107complexIdEELi1ELi1ELi0EEEJNS0_5Log1pIS8_EEEEEvT_T0_DpT1_.has_recursion, 0
	.set _ZN2at6native12_GLOBAL__N_125multi_tensor_apply_kernelINS1_18TensorListMetadataILi1EEENS1_14UnaryOpFunctorIN3c107complexIdEELi1ELi1ELi0EEEJNS0_5Log1pIS8_EEEEEvT_T0_DpT1_.has_indirect_call, 0
	.section	.AMDGPU.csdata,"",@progbits
; Kernel info:
; codeLenInByte = 22544
; TotalNumSgprs: 100
; NumVgprs: 86
; ScratchSize: 0
; MemoryBound: 1
; FloatMode: 240
; IeeeMode: 1
; LDSByteSize: 0 bytes/workgroup (compile time only)
; SGPRBlocks: 12
; VGPRBlocks: 21
; NumSGPRsForWavesPerEU: 100
; NumVGPRsForWavesPerEU: 86
; Occupancy: 2
; WaveLimiterHint : 0
; COMPUTE_PGM_RSRC2:SCRATCH_EN: 0
; COMPUTE_PGM_RSRC2:USER_SGPR: 6
; COMPUTE_PGM_RSRC2:TRAP_HANDLER: 0
; COMPUTE_PGM_RSRC2:TGID_X_EN: 1
; COMPUTE_PGM_RSRC2:TGID_Y_EN: 0
; COMPUTE_PGM_RSRC2:TGID_Z_EN: 0
; COMPUTE_PGM_RSRC2:TIDIG_COMP_CNT: 0
	.section	.text._ZN2at6native12_GLOBAL__N_125multi_tensor_apply_kernelINS1_18TensorListMetadataILi1EEENS1_14UnaryOpFunctorIN3c107complexIfEELi1ELi1ELi0EEEJNS0_5Log1pIS8_EEEEEvT_T0_DpT1_,"axG",@progbits,_ZN2at6native12_GLOBAL__N_125multi_tensor_apply_kernelINS1_18TensorListMetadataILi1EEENS1_14UnaryOpFunctorIN3c107complexIfEELi1ELi1ELi0EEEJNS0_5Log1pIS8_EEEEEvT_T0_DpT1_,comdat
	.globl	_ZN2at6native12_GLOBAL__N_125multi_tensor_apply_kernelINS1_18TensorListMetadataILi1EEENS1_14UnaryOpFunctorIN3c107complexIfEELi1ELi1ELi0EEEJNS0_5Log1pIS8_EEEEEvT_T0_DpT1_ ; -- Begin function _ZN2at6native12_GLOBAL__N_125multi_tensor_apply_kernelINS1_18TensorListMetadataILi1EEENS1_14UnaryOpFunctorIN3c107complexIfEELi1ELi1ELi0EEEJNS0_5Log1pIS8_EEEEEvT_T0_DpT1_
	.p2align	8
	.type	_ZN2at6native12_GLOBAL__N_125multi_tensor_apply_kernelINS1_18TensorListMetadataILi1EEENS1_14UnaryOpFunctorIN3c107complexIfEELi1ELi1ELi0EEEJNS0_5Log1pIS8_EEEEEvT_T0_DpT1_,@function
_ZN2at6native12_GLOBAL__N_125multi_tensor_apply_kernelINS1_18TensorListMetadataILi1EEENS1_14UnaryOpFunctorIN3c107complexIfEELi1ELi1ELi0EEEJNS0_5Log1pIS8_EEEEEvT_T0_DpT1_: ; @_ZN2at6native12_GLOBAL__N_125multi_tensor_apply_kernelINS1_18TensorListMetadataILi1EEENS1_14UnaryOpFunctorIN3c107complexIfEELi1ELi1ELi0EEEJNS0_5Log1pIS8_EEEEEvT_T0_DpT1_
; %bb.0:
	v_mov_b32_e32 v1, s6
	global_load_ubyte v1, v1, s[4:5] offset:1760
	s_add_u32 s0, s4, s6
	s_mul_hi_u32 s1, s6, 3
	s_mul_i32 s6, s6, 3
	s_addc_u32 s2, s5, 0
	s_add_u32 s0, s0, s6
	s_addc_u32 s1, s2, s1
	s_load_dword s0, s[0:1], 0x820
	s_mov_b32 s7, 0
	s_waitcnt vmcnt(0)
	v_readfirstlane_b32 s1, v1
	s_lshl_b32 s1, s1, 3
	s_load_dwordx2 s[12:13], s[4:5], s1 offset:0x0
	s_load_dwordx2 s[2:3], s[4:5], s1 offset:0x370
	s_waitcnt lgkmcnt(0)
	s_ashr_i32 s1, s0, 31
	s_lshl_b64 s[14:15], s[0:1], 19
	s_add_u32 s26, s12, s14
	s_addc_u32 s27, s13, s15
	s_lshl_b64 s[0:1], s[0:1], 16
	s_and_b32 s6, s26, 31
	s_sub_u32 s16, s2, s0
	s_subb_u32 s17, s3, s1
	s_and_b32 s0, s2, 3
	s_mov_b32 s1, s7
	s_or_b64 s[0:1], s[6:7], s[0:1]
	s_cmp_eq_u64 s[0:1], 0
	s_cbranch_scc1 .LBB210_45
; %bb.1:
	v_cmp_lt_i64_e64 s[0:1], s[16:17], 1
	s_and_b64 vcc, exec, s[0:1]
	s_cbranch_vccnz .LBB210_44
; %bb.2:
	v_mov_b32_e32 v3, 0x10000
	s_load_dword s2, s[4:5], 0xd3c
	v_mov_b32_e32 v4, 0
	v_cmp_lt_i64_e32 vcc, s[16:17], v[3:4]
	v_mov_b32_e32 v2, 0
	s_and_b64 s[0:1], vcc, exec
	v_cmp_lt_u64_e32 vcc, s[16:17], v[3:4]
	s_cselect_b32 s19, s17, 0
	s_cselect_b32 s18, s16, 0x10000
	s_waitcnt lgkmcnt(0)
	s_and_b32 s2, s2, 0xffff
	s_and_b64 s[0:1], vcc, exec
	s_mul_i32 s6, s2, 3
	v_add_co_u32_e32 v12, vcc, s2, v0
	v_lshlrev_b32_e32 v1, 3, v0
	v_addc_co_u32_e64 v13, s[0:1], 0, 0, vcc
	v_add_co_u32_e32 v14, vcc, s6, v0
	v_mad_u64_u32 v[2:3], s[0:1], s2, 24, v[1:2]
	v_addc_co_u32_e64 v15, s[0:1], 0, 0, vcc
	s_cselect_b32 s21, s17, 0
	s_cselect_b32 s20, s16, 0x10000
	s_lshl_b32 s0, s2, 4
	s_lshl_b32 s3, s2, 1
	v_add_co_u32_e32 v4, vcc, s0, v1
	v_addc_co_u32_e64 v17, s[0:1], 0, 0, vcc
	v_add_co_u32_e32 v19, vcc, s3, v0
	s_lshl_b32 s28, s2, 2
	s_lshl_b32 s29, s2, 5
	v_or_b32_e32 v2, 4, v2
	v_lshlrev_b32_e32 v16, 3, v12
	v_or_b32_e32 v18, 4, v4
	v_addc_co_u32_e64 v20, s[0:1], 0, 0, vcc
	s_mov_b64 s[22:23], 0
	s_mov_b32 s30, 0x7f800000
	s_mov_b32 s31, 0x800000
	;; [unrolled: 1-line block ×4, first 2 shown]
	v_mov_b32_e32 v21, 0x3f2aaada
	s_mov_b32 s35, 0x3f317218
	s_mov_b32 s36, 0x33800000
	s_movk_i32 s37, 0x204
	v_mov_b32_e32 v22, 0x3d29fb3f
	v_mov_b32_e32 v23, 0xbd97d4d7
	;; [unrolled: 1-line block ×4, first 2 shown]
	s_brev_b32 s38, -2
	v_mov_b32_e32 v26, 0x3e4cb8bf
	v_mov_b32_e32 v27, 0xbeaaaa62
	;; [unrolled: 1-line block ×9, first 2 shown]
	s_branch .LBB210_4
.LBB210_3:                              ;   in Loop: Header=BB210_4 Depth=1
	s_or_b64 exec, exec, s[2:3]
	s_add_u32 s22, s22, s28
	v_mov_b32_e32 v4, s18
	s_addc_u32 s23, s23, 0
	v_mov_b32_e32 v5, s19
	v_cmp_ge_i64_e32 vcc, s[22:23], v[4:5]
	s_add_u32 s26, s26, s29
	s_addc_u32 s27, s27, 0
	s_cbranch_vccnz .LBB210_44
.LBB210_4:                              ; =>This Inner Loop Header: Depth=1
	v_mov_b32_e32 v5, s23
	v_add_co_u32_e32 v4, vcc, s22, v0
	v_addc_co_u32_e32 v5, vcc, 0, v5, vcc
	v_cmp_gt_u64_e64 s[6:7], s[20:21], v[4:5]
	v_mov_b32_e32 v11, 0
	v_mov_b32_e32 v10, 0
	s_and_saveexec_b64 s[0:1], s[6:7]
	s_cbranch_execz .LBB210_6
; %bb.5:                                ;   in Loop: Header=BB210_4 Depth=1
	v_mov_b32_e32 v5, s27
	v_add_co_u32_e32 v4, vcc, s26, v1
	v_addc_co_u32_e32 v5, vcc, 0, v5, vcc
	global_load_dwordx2 v[10:11], v[4:5], off
.LBB210_6:                              ;   in Loop: Header=BB210_4 Depth=1
	s_or_b64 exec, exec, s[0:1]
	v_mov_b32_e32 v5, s23
	v_add_co_u32_e32 v4, vcc, s22, v12
	v_addc_co_u32_e32 v5, vcc, v13, v5, vcc
	v_cmp_gt_u64_e64 s[2:3], s[20:21], v[4:5]
	v_mov_b32_e32 v7, 0
	v_mov_b32_e32 v9, 0
	;; [unrolled: 1-line block ×3, first 2 shown]
	s_and_saveexec_b64 s[0:1], s[2:3]
	s_cbranch_execz .LBB210_8
; %bb.7:                                ;   in Loop: Header=BB210_4 Depth=1
	v_mov_b32_e32 v5, s27
	v_add_co_u32_e32 v4, vcc, s26, v16
	v_addc_co_u32_e32 v5, vcc, 0, v5, vcc
	global_load_dwordx2 v[8:9], v[4:5], off
.LBB210_8:                              ;   in Loop: Header=BB210_4 Depth=1
	s_or_b64 exec, exec, s[0:1]
	v_mov_b32_e32 v5, s23
	v_add_co_u32_e32 v4, vcc, s22, v19
	v_addc_co_u32_e32 v5, vcc, v20, v5, vcc
	v_cmp_gt_u64_e64 s[0:1], s[20:21], v[4:5]
	v_mov_b32_e32 v6, 0
	s_and_saveexec_b64 s[8:9], s[0:1]
	s_cbranch_execz .LBB210_10
; %bb.9:                                ;   in Loop: Header=BB210_4 Depth=1
	v_mov_b32_e32 v5, s27
	v_add_co_u32_e32 v4, vcc, s26, v18
	v_addc_co_u32_e32 v5, vcc, v5, v17, vcc
	global_load_dwordx2 v[6:7], v[4:5], off offset:-4
.LBB210_10:                             ;   in Loop: Header=BB210_4 Depth=1
	s_or_b64 exec, exec, s[8:9]
	v_mov_b32_e32 v5, s23
	v_add_co_u32_e32 v4, vcc, s22, v14
	v_addc_co_u32_e32 v5, vcc, v15, v5, vcc
	v_cmp_gt_u64_e32 vcc, s[20:21], v[4:5]
	v_mov_b32_e32 v5, 0
	v_mov_b32_e32 v4, 0
	s_and_saveexec_b64 s[10:11], vcc
	s_cbranch_execz .LBB210_12
; %bb.11:                               ;   in Loop: Header=BB210_4 Depth=1
	v_mov_b32_e32 v5, s27
	v_add_co_u32_e64 v4, s[8:9], s26, v2
	v_addc_co_u32_e64 v5, s[8:9], v5, v3, s[8:9]
	global_load_dwordx2 v[4:5], v[4:5], off offset:-4
.LBB210_12:                             ;   in Loop: Header=BB210_4 Depth=1
	s_or_b64 exec, exec, s[10:11]
	s_waitcnt vmcnt(0)
	v_max_f32_e64 v35, |v10|, |v10|
	v_max_f32_e64 v36, |v11|, |v11|
	v_max_f32_e32 v39, v35, v36
	v_cvt_f64_f32_e32 v[37:38], v39
	v_cmp_eq_f32_e64 s[8:9], s30, v39
	v_frexp_exp_i32_f64_e32 v37, v[37:38]
	v_sub_u32_e32 v35, 0, v37
	v_ldexp_f32 v38, |v10|, v35
	v_ldexp_f32 v35, |v11|, v35
	v_mul_f32_e32 v35, v35, v35
	v_fmac_f32_e32 v35, v38, v38
	v_sqrt_f32_e32 v38, v35
	v_add_f32_e32 v35, 1.0, v10
	v_ldexp_f32 v38, v38, v37
	v_cmp_ngt_f32_e64 s[10:11], 0.5, v38
	v_max_f32_e64 v37, |v35|, v36
	s_or_b64 s[8:9], s[8:9], s[10:11]
	s_and_saveexec_b64 s[10:11], s[8:9]
	s_xor_b64 s[24:25], exec, s[10:11]
	s_cbranch_execz .LBB210_14
; %bb.13:                               ;   in Loop: Header=BB210_4 Depth=1
	v_cvt_f64_f32_e32 v[38:39], v37
	v_cmp_neq_f32_e64 s[8:9], s30, v37
	v_frexp_exp_i32_f64_e32 v10, v[38:39]
	v_sub_u32_e32 v38, 0, v10
	v_ldexp_f32 v39, |v35|, v38
	v_ldexp_f32 v38, |v11|, v38
	v_mul_f32_e32 v38, v38, v38
	v_fmac_f32_e32 v38, v39, v39
	v_sqrt_f32_e32 v38, v38
	v_ldexp_f32 v10, v38, v10
	v_cndmask_b32_e64 v10, v28, v10, s[8:9]
	v_cmp_gt_f32_e64 s[8:9], s31, v10
	v_cndmask_b32_e64 v38, 0, 32, s[8:9]
	v_ldexp_f32 v10, v10, v38
	v_log_f32_e32 v10, v10
	v_mul_f32_e32 v38, 0x3f317217, v10
	v_fma_f32 v38, v10, s33, -v38
	v_fmac_f32_e32 v38, 0x3377d1cf, v10
	v_fmac_f32_e32 v38, 0x3f317217, v10
	v_cmp_lt_f32_e64 s[10:11], |v10|, s30
	v_cndmask_b32_e64 v10, v10, v38, s[10:11]
	v_cndmask_b32_e64 v38, 0, v29, s[8:9]
	v_sub_f32_e32 v10, v10, v38
.LBB210_14:                             ;   in Loop: Header=BB210_4 Depth=1
	s_andn2_saveexec_b64 s[10:11], s[24:25]
	s_cbranch_execz .LBB210_18
; %bb.15:                               ;   in Loop: Header=BB210_4 Depth=1
	v_add_f32_e32 v38, 2.0, v10
	v_mul_f32_e32 v38, v10, v38
	v_fmac_f32_e32 v38, v11, v11
	v_cmp_neq_f32_e64 s[8:9], 0, v38
	s_and_saveexec_b64 s[24:25], s[8:9]
	s_cbranch_execz .LBB210_17
; %bb.16:                               ;   in Loop: Header=BB210_4 Depth=1
	v_add_f32_e32 v10, 1.0, v38
	v_cvt_f64_f32_e32 v[39:40], v10
	v_add_f32_e32 v41, -1.0, v10
	v_sub_f32_e32 v42, v41, v10
	v_sub_f32_e32 v41, v38, v41
	v_frexp_exp_i32_f64_e32 v39, v[39:40]
	v_frexp_mant_f32_e32 v40, v10
	v_cmp_gt_f32_e64 s[8:9], s34, v40
	v_add_f32_e32 v42, 1.0, v42
	v_add_f32_e32 v41, v41, v42
	v_subbrev_co_u32_e64 v39, s[8:9], 0, v39, s[8:9]
	v_sub_u32_e32 v40, 0, v39
	v_ldexp_f32 v10, v10, v40
	v_ldexp_f32 v40, v41, v40
	v_add_f32_e32 v41, -1.0, v10
	v_add_f32_e32 v42, 1.0, v10
	v_add_f32_e32 v43, 1.0, v41
	v_add_f32_e32 v45, -1.0, v42
	v_sub_f32_e32 v43, v10, v43
	v_sub_f32_e32 v10, v10, v45
	v_add_f32_e32 v10, v40, v10
	v_add_f32_e32 v43, v40, v43
	;; [unrolled: 1-line block ×3, first 2 shown]
	v_rcp_f32_e32 v45, v40
	v_add_f32_e32 v44, v41, v43
	v_sub_f32_e32 v42, v40, v42
	v_sub_f32_e32 v41, v44, v41
	;; [unrolled: 1-line block ×3, first 2 shown]
	v_mul_f32_e32 v42, v44, v45
	v_sub_f32_e32 v41, v43, v41
	v_mul_f32_e32 v43, v40, v42
	v_fma_f32 v46, v42, v40, -v43
	v_fmac_f32_e32 v46, v42, v10
	v_add_f32_e32 v47, v43, v46
	v_sub_f32_e32 v48, v44, v47
	v_sub_f32_e32 v44, v44, v48
	;; [unrolled: 1-line block ×4, first 2 shown]
	v_add_f32_e32 v41, v41, v44
	v_sub_f32_e32 v43, v43, v46
	v_add_f32_e32 v41, v43, v41
	v_add_f32_e32 v43, v48, v41
	v_mul_f32_e32 v44, v45, v43
	v_mul_f32_e32 v46, v40, v44
	v_fma_f32 v40, v44, v40, -v46
	v_fmac_f32_e32 v40, v44, v10
	v_sub_f32_e32 v10, v48, v43
	v_add_f32_e32 v10, v41, v10
	v_add_f32_e32 v41, v46, v40
	v_sub_f32_e32 v47, v43, v41
	v_sub_f32_e32 v43, v43, v47
	;; [unrolled: 1-line block ×4, first 2 shown]
	v_add_f32_e32 v10, v10, v41
	v_sub_f32_e32 v40, v46, v40
	v_cvt_f32_i32_e32 v39, v39
	v_add_f32_e32 v10, v40, v10
	v_add_f32_e32 v40, v42, v44
	;; [unrolled: 1-line block ×3, first 2 shown]
	v_sub_f32_e32 v41, v40, v42
	v_mul_f32_e32 v10, v45, v10
	v_sub_f32_e32 v41, v44, v41
	v_add_f32_e32 v10, v41, v10
	v_mul_f32_e32 v44, 0x3f317218, v39
	v_add_f32_e32 v41, v40, v10
	v_fma_f32 v45, v39, s35, -v44
	v_mul_f32_e32 v42, v41, v41
	v_mov_b32_e32 v43, 0x3ecc95a3
	v_fmac_f32_e32 v45, 0xb102e308, v39
	v_sub_f32_e32 v39, v41, v40
	v_fmac_f32_e32 v43, 0x3e9b6dac, v42
	v_sub_f32_e32 v10, v10, v39
	v_add_f32_e32 v39, v44, v45
	v_fma_f32 v43, v42, v43, v21
	v_sub_f32_e32 v40, v39, v44
	v_ldexp_f32 v44, v41, 1
	v_mul_f32_e32 v41, v41, v42
	v_mul_f32_e32 v41, v41, v43
	v_add_f32_e32 v42, v44, v41
	v_sub_f32_e32 v43, v42, v44
	v_ldexp_f32 v10, v10, 1
	v_sub_f32_e32 v41, v41, v43
	v_add_f32_e32 v10, v10, v41
	v_add_f32_e32 v41, v42, v10
	v_sub_f32_e32 v42, v41, v42
	v_sub_f32_e32 v10, v10, v42
	v_add_f32_e32 v42, v39, v41
	v_sub_f32_e32 v43, v42, v39
	v_sub_f32_e32 v44, v42, v43
	v_sub_f32_e32 v40, v45, v40
	v_sub_f32_e32 v39, v39, v44
	v_sub_f32_e32 v41, v41, v43
	v_add_f32_e32 v39, v41, v39
	v_add_f32_e32 v41, v40, v10
	v_sub_f32_e32 v43, v41, v40
	v_sub_f32_e32 v44, v41, v43
	v_sub_f32_e32 v40, v40, v44
	v_sub_f32_e32 v10, v10, v43
	v_add_f32_e32 v39, v41, v39
	v_add_f32_e32 v10, v10, v40
	;; [unrolled: 1-line block ×3, first 2 shown]
	v_sub_f32_e32 v41, v40, v42
	v_sub_f32_e32 v39, v39, v41
	v_add_f32_e32 v10, v10, v39
	v_add_f32_e32 v10, v40, v10
	v_cmp_neq_f32_e64 s[8:9], s30, v38
	v_cndmask_b32_e64 v10, v28, v10, s[8:9]
	v_cmp_ngt_f32_e64 s[8:9], -1.0, v38
	v_cndmask_b32_e64 v10, v30, v10, s[8:9]
	v_cmp_neq_f32_e64 s[8:9], -1.0, v38
	v_cndmask_b32_e64 v10, v31, v10, s[8:9]
	v_cmp_lt_f32_e64 s[8:9], |v38|, s36
	v_cndmask_b32_e64 v10, v10, v38, s[8:9]
	v_mul_f32_e32 v10, 0.5, v10
.LBB210_17:                             ;   in Loop: Header=BB210_4 Depth=1
	s_or_b64 exec, exec, s[24:25]
.LBB210_18:                             ;   in Loop: Header=BB210_4 Depth=1
	s_or_b64 exec, exec, s[10:11]
	v_max_f32_e64 v38, |v8|, |v8|
	v_max_f32_e64 v39, |v9|, |v9|
	v_max_f32_e32 v42, v38, v39
	v_cvt_f64_f32_e32 v[40:41], v42
	v_cmp_eq_f32_e64 s[8:9], s30, v42
	v_frexp_exp_i32_f64_e32 v40, v[40:41]
	v_sub_u32_e32 v38, 0, v40
	v_ldexp_f32 v41, |v8|, v38
	v_ldexp_f32 v38, |v9|, v38
	v_mul_f32_e32 v38, v38, v38
	v_fmac_f32_e32 v38, v41, v41
	v_sqrt_f32_e32 v41, v38
	v_add_f32_e32 v38, 1.0, v8
	v_ldexp_f32 v41, v41, v40
	v_cmp_ngt_f32_e64 s[10:11], 0.5, v41
	v_max_f32_e64 v40, |v38|, v39
	s_or_b64 s[8:9], s[8:9], s[10:11]
	s_and_saveexec_b64 s[10:11], s[8:9]
	s_xor_b64 s[24:25], exec, s[10:11]
	s_cbranch_execz .LBB210_20
; %bb.19:                               ;   in Loop: Header=BB210_4 Depth=1
	v_cvt_f64_f32_e32 v[41:42], v40
	v_cmp_neq_f32_e64 s[8:9], s30, v40
	v_frexp_exp_i32_f64_e32 v8, v[41:42]
	v_sub_u32_e32 v41, 0, v8
	v_ldexp_f32 v42, |v38|, v41
	v_ldexp_f32 v41, |v9|, v41
	v_mul_f32_e32 v41, v41, v41
	v_fmac_f32_e32 v41, v42, v42
	v_sqrt_f32_e32 v41, v41
	v_ldexp_f32 v8, v41, v8
	v_cndmask_b32_e64 v8, v28, v8, s[8:9]
	v_cmp_gt_f32_e64 s[8:9], s31, v8
	v_cndmask_b32_e64 v41, 0, 32, s[8:9]
	v_ldexp_f32 v8, v8, v41
	v_log_f32_e32 v8, v8
	v_mul_f32_e32 v41, 0x3f317217, v8
	v_fma_f32 v41, v8, s33, -v41
	v_fmac_f32_e32 v41, 0x3377d1cf, v8
	v_fmac_f32_e32 v41, 0x3f317217, v8
	v_cmp_lt_f32_e64 s[10:11], |v8|, s30
	v_cndmask_b32_e64 v8, v8, v41, s[10:11]
	v_cndmask_b32_e64 v41, 0, v29, s[8:9]
	v_sub_f32_e32 v8, v8, v41
.LBB210_20:                             ;   in Loop: Header=BB210_4 Depth=1
	s_andn2_saveexec_b64 s[10:11], s[24:25]
	s_cbranch_execz .LBB210_24
; %bb.21:                               ;   in Loop: Header=BB210_4 Depth=1
	v_add_f32_e32 v41, 2.0, v8
	v_mul_f32_e32 v41, v8, v41
	v_fmac_f32_e32 v41, v9, v9
	v_cmp_neq_f32_e64 s[8:9], 0, v41
	s_and_saveexec_b64 s[24:25], s[8:9]
	s_cbranch_execz .LBB210_23
; %bb.22:                               ;   in Loop: Header=BB210_4 Depth=1
	v_add_f32_e32 v8, 1.0, v41
	v_cvt_f64_f32_e32 v[42:43], v8
	v_add_f32_e32 v44, -1.0, v8
	v_sub_f32_e32 v45, v44, v8
	v_sub_f32_e32 v44, v41, v44
	v_frexp_exp_i32_f64_e32 v42, v[42:43]
	v_frexp_mant_f32_e32 v43, v8
	v_cmp_gt_f32_e64 s[8:9], s34, v43
	v_add_f32_e32 v45, 1.0, v45
	v_add_f32_e32 v44, v44, v45
	v_subbrev_co_u32_e64 v42, s[8:9], 0, v42, s[8:9]
	v_sub_u32_e32 v43, 0, v42
	v_ldexp_f32 v8, v8, v43
	v_ldexp_f32 v43, v44, v43
	v_add_f32_e32 v44, -1.0, v8
	v_add_f32_e32 v45, 1.0, v8
	v_add_f32_e32 v46, 1.0, v44
	v_add_f32_e32 v48, -1.0, v45
	v_sub_f32_e32 v46, v8, v46
	v_sub_f32_e32 v8, v8, v48
	v_add_f32_e32 v8, v43, v8
	v_add_f32_e32 v46, v43, v46
	;; [unrolled: 1-line block ×3, first 2 shown]
	v_rcp_f32_e32 v48, v43
	v_add_f32_e32 v47, v44, v46
	v_sub_f32_e32 v45, v43, v45
	v_sub_f32_e32 v44, v47, v44
	;; [unrolled: 1-line block ×3, first 2 shown]
	v_mul_f32_e32 v45, v47, v48
	v_sub_f32_e32 v44, v46, v44
	v_mul_f32_e32 v46, v43, v45
	v_fma_f32 v49, v45, v43, -v46
	v_fmac_f32_e32 v49, v45, v8
	v_add_f32_e32 v50, v46, v49
	v_sub_f32_e32 v51, v47, v50
	v_sub_f32_e32 v47, v47, v51
	;; [unrolled: 1-line block ×4, first 2 shown]
	v_add_f32_e32 v44, v44, v47
	v_sub_f32_e32 v46, v46, v49
	v_add_f32_e32 v44, v46, v44
	v_add_f32_e32 v46, v51, v44
	v_mul_f32_e32 v47, v48, v46
	v_mul_f32_e32 v49, v43, v47
	v_fma_f32 v43, v47, v43, -v49
	v_fmac_f32_e32 v43, v47, v8
	v_sub_f32_e32 v8, v51, v46
	v_add_f32_e32 v8, v44, v8
	v_add_f32_e32 v44, v49, v43
	v_sub_f32_e32 v50, v46, v44
	v_sub_f32_e32 v46, v46, v50
	;; [unrolled: 1-line block ×4, first 2 shown]
	v_add_f32_e32 v8, v8, v44
	v_sub_f32_e32 v43, v49, v43
	v_cvt_f32_i32_e32 v42, v42
	v_add_f32_e32 v8, v43, v8
	v_add_f32_e32 v43, v45, v47
	;; [unrolled: 1-line block ×3, first 2 shown]
	v_sub_f32_e32 v44, v43, v45
	v_mul_f32_e32 v8, v48, v8
	v_sub_f32_e32 v44, v47, v44
	v_add_f32_e32 v8, v44, v8
	v_mul_f32_e32 v47, 0x3f317218, v42
	v_add_f32_e32 v44, v43, v8
	v_fma_f32 v48, v42, s35, -v47
	v_mul_f32_e32 v45, v44, v44
	v_mov_b32_e32 v46, 0x3ecc95a3
	v_fmac_f32_e32 v48, 0xb102e308, v42
	v_sub_f32_e32 v42, v44, v43
	v_fmac_f32_e32 v46, 0x3e9b6dac, v45
	v_sub_f32_e32 v8, v8, v42
	v_add_f32_e32 v42, v47, v48
	v_fma_f32 v46, v45, v46, v21
	v_sub_f32_e32 v43, v42, v47
	v_ldexp_f32 v47, v44, 1
	v_mul_f32_e32 v44, v44, v45
	v_mul_f32_e32 v44, v44, v46
	v_add_f32_e32 v45, v47, v44
	v_sub_f32_e32 v46, v45, v47
	v_ldexp_f32 v8, v8, 1
	v_sub_f32_e32 v44, v44, v46
	v_add_f32_e32 v8, v8, v44
	v_add_f32_e32 v44, v45, v8
	v_sub_f32_e32 v45, v44, v45
	v_sub_f32_e32 v8, v8, v45
	v_add_f32_e32 v45, v42, v44
	v_sub_f32_e32 v46, v45, v42
	v_sub_f32_e32 v47, v45, v46
	;; [unrolled: 1-line block ×5, first 2 shown]
	v_add_f32_e32 v42, v44, v42
	v_add_f32_e32 v44, v43, v8
	v_sub_f32_e32 v46, v44, v43
	v_sub_f32_e32 v47, v44, v46
	;; [unrolled: 1-line block ×4, first 2 shown]
	v_add_f32_e32 v42, v44, v42
	v_add_f32_e32 v8, v8, v43
	;; [unrolled: 1-line block ×3, first 2 shown]
	v_sub_f32_e32 v44, v43, v45
	v_sub_f32_e32 v42, v42, v44
	v_add_f32_e32 v8, v8, v42
	v_add_f32_e32 v8, v43, v8
	v_cmp_neq_f32_e64 s[8:9], s30, v41
	v_cndmask_b32_e64 v8, v28, v8, s[8:9]
	v_cmp_ngt_f32_e64 s[8:9], -1.0, v41
	v_cndmask_b32_e64 v8, v30, v8, s[8:9]
	v_cmp_neq_f32_e64 s[8:9], -1.0, v41
	v_cndmask_b32_e64 v8, v31, v8, s[8:9]
	v_cmp_lt_f32_e64 s[8:9], |v41|, s36
	v_cndmask_b32_e64 v8, v8, v41, s[8:9]
	v_mul_f32_e32 v8, 0.5, v8
.LBB210_23:                             ;   in Loop: Header=BB210_4 Depth=1
	s_or_b64 exec, exec, s[24:25]
.LBB210_24:                             ;   in Loop: Header=BB210_4 Depth=1
	s_or_b64 exec, exec, s[10:11]
	v_max_f32_e64 v41, |v6|, |v6|
	v_max_f32_e64 v42, |v7|, |v7|
	v_max_f32_e32 v45, v41, v42
	v_cvt_f64_f32_e32 v[43:44], v45
	v_cmp_eq_f32_e64 s[8:9], s30, v45
	v_frexp_exp_i32_f64_e32 v43, v[43:44]
	v_sub_u32_e32 v41, 0, v43
	v_ldexp_f32 v44, |v6|, v41
	v_ldexp_f32 v41, |v7|, v41
	v_mul_f32_e32 v41, v41, v41
	v_fmac_f32_e32 v41, v44, v44
	v_sqrt_f32_e32 v44, v41
	v_add_f32_e32 v41, 1.0, v6
	v_ldexp_f32 v44, v44, v43
	v_cmp_ngt_f32_e64 s[10:11], 0.5, v44
	v_max_f32_e64 v43, |v41|, v42
	s_or_b64 s[8:9], s[8:9], s[10:11]
	s_and_saveexec_b64 s[10:11], s[8:9]
	s_xor_b64 s[24:25], exec, s[10:11]
	s_cbranch_execz .LBB210_26
; %bb.25:                               ;   in Loop: Header=BB210_4 Depth=1
	v_cvt_f64_f32_e32 v[44:45], v43
	v_cmp_neq_f32_e64 s[8:9], s30, v43
	v_frexp_exp_i32_f64_e32 v6, v[44:45]
	v_sub_u32_e32 v44, 0, v6
	v_ldexp_f32 v45, |v41|, v44
	v_ldexp_f32 v44, |v7|, v44
	v_mul_f32_e32 v44, v44, v44
	v_fmac_f32_e32 v44, v45, v45
	v_sqrt_f32_e32 v44, v44
	v_ldexp_f32 v6, v44, v6
	v_cndmask_b32_e64 v6, v28, v6, s[8:9]
	v_cmp_gt_f32_e64 s[8:9], s31, v6
	v_cndmask_b32_e64 v44, 0, 32, s[8:9]
	v_ldexp_f32 v6, v6, v44
	v_log_f32_e32 v6, v6
	v_mul_f32_e32 v44, 0x3f317217, v6
	v_fma_f32 v44, v6, s33, -v44
	v_fmac_f32_e32 v44, 0x3377d1cf, v6
	v_fmac_f32_e32 v44, 0x3f317217, v6
	v_cmp_lt_f32_e64 s[10:11], |v6|, s30
	v_cndmask_b32_e64 v6, v6, v44, s[10:11]
	v_cndmask_b32_e64 v44, 0, v29, s[8:9]
	v_sub_f32_e32 v6, v6, v44
.LBB210_26:                             ;   in Loop: Header=BB210_4 Depth=1
	s_andn2_saveexec_b64 s[10:11], s[24:25]
	s_cbranch_execz .LBB210_30
; %bb.27:                               ;   in Loop: Header=BB210_4 Depth=1
	v_add_f32_e32 v44, 2.0, v6
	v_mul_f32_e32 v44, v6, v44
	v_fmac_f32_e32 v44, v7, v7
	v_cmp_neq_f32_e64 s[8:9], 0, v44
	s_and_saveexec_b64 s[24:25], s[8:9]
	s_cbranch_execz .LBB210_29
; %bb.28:                               ;   in Loop: Header=BB210_4 Depth=1
	v_add_f32_e32 v6, 1.0, v44
	v_cvt_f64_f32_e32 v[45:46], v6
	v_add_f32_e32 v47, -1.0, v6
	v_sub_f32_e32 v48, v47, v6
	v_sub_f32_e32 v47, v44, v47
	v_frexp_exp_i32_f64_e32 v45, v[45:46]
	v_frexp_mant_f32_e32 v46, v6
	v_cmp_gt_f32_e64 s[8:9], s34, v46
	v_add_f32_e32 v48, 1.0, v48
	v_add_f32_e32 v47, v47, v48
	v_subbrev_co_u32_e64 v45, s[8:9], 0, v45, s[8:9]
	v_sub_u32_e32 v46, 0, v45
	v_ldexp_f32 v6, v6, v46
	v_ldexp_f32 v46, v47, v46
	v_add_f32_e32 v47, -1.0, v6
	v_add_f32_e32 v48, 1.0, v6
	v_add_f32_e32 v49, 1.0, v47
	v_add_f32_e32 v51, -1.0, v48
	v_sub_f32_e32 v49, v6, v49
	v_sub_f32_e32 v6, v6, v51
	v_add_f32_e32 v6, v46, v6
	v_add_f32_e32 v49, v46, v49
	;; [unrolled: 1-line block ×3, first 2 shown]
	v_rcp_f32_e32 v51, v46
	v_add_f32_e32 v50, v47, v49
	v_sub_f32_e32 v48, v46, v48
	v_sub_f32_e32 v47, v50, v47
	v_sub_f32_e32 v6, v6, v48
	v_mul_f32_e32 v48, v50, v51
	v_sub_f32_e32 v47, v49, v47
	v_mul_f32_e32 v49, v46, v48
	v_fma_f32 v52, v48, v46, -v49
	v_fmac_f32_e32 v52, v48, v6
	v_add_f32_e32 v53, v49, v52
	v_sub_f32_e32 v54, v50, v53
	v_sub_f32_e32 v50, v50, v54
	v_sub_f32_e32 v49, v53, v49
	v_sub_f32_e32 v50, v50, v53
	v_add_f32_e32 v47, v47, v50
	v_sub_f32_e32 v49, v49, v52
	v_add_f32_e32 v47, v49, v47
	v_add_f32_e32 v49, v54, v47
	v_mul_f32_e32 v50, v51, v49
	v_mul_f32_e32 v52, v46, v50
	v_fma_f32 v46, v50, v46, -v52
	v_fmac_f32_e32 v46, v50, v6
	v_sub_f32_e32 v6, v54, v49
	v_add_f32_e32 v6, v47, v6
	v_add_f32_e32 v47, v52, v46
	v_sub_f32_e32 v53, v49, v47
	v_sub_f32_e32 v49, v49, v53
	;; [unrolled: 1-line block ×4, first 2 shown]
	v_add_f32_e32 v6, v6, v47
	v_sub_f32_e32 v46, v52, v46
	v_cvt_f32_i32_e32 v45, v45
	v_add_f32_e32 v6, v46, v6
	v_add_f32_e32 v46, v48, v50
	;; [unrolled: 1-line block ×3, first 2 shown]
	v_sub_f32_e32 v47, v46, v48
	v_mul_f32_e32 v6, v51, v6
	v_sub_f32_e32 v47, v50, v47
	v_add_f32_e32 v6, v47, v6
	v_mul_f32_e32 v50, 0x3f317218, v45
	v_add_f32_e32 v47, v46, v6
	v_fma_f32 v51, v45, s35, -v50
	v_mul_f32_e32 v48, v47, v47
	v_mov_b32_e32 v49, 0x3ecc95a3
	v_fmac_f32_e32 v51, 0xb102e308, v45
	v_sub_f32_e32 v45, v47, v46
	v_fmac_f32_e32 v49, 0x3e9b6dac, v48
	v_sub_f32_e32 v6, v6, v45
	v_add_f32_e32 v45, v50, v51
	v_fma_f32 v49, v48, v49, v21
	v_sub_f32_e32 v46, v45, v50
	v_ldexp_f32 v50, v47, 1
	v_mul_f32_e32 v47, v47, v48
	v_mul_f32_e32 v47, v47, v49
	v_add_f32_e32 v48, v50, v47
	v_sub_f32_e32 v49, v48, v50
	v_ldexp_f32 v6, v6, 1
	v_sub_f32_e32 v47, v47, v49
	v_add_f32_e32 v6, v6, v47
	v_add_f32_e32 v47, v48, v6
	v_sub_f32_e32 v48, v47, v48
	v_sub_f32_e32 v6, v6, v48
	v_add_f32_e32 v48, v45, v47
	v_sub_f32_e32 v49, v48, v45
	v_sub_f32_e32 v50, v48, v49
	;; [unrolled: 1-line block ×5, first 2 shown]
	v_add_f32_e32 v45, v47, v45
	v_add_f32_e32 v47, v46, v6
	v_sub_f32_e32 v49, v47, v46
	v_sub_f32_e32 v50, v47, v49
	;; [unrolled: 1-line block ×4, first 2 shown]
	v_add_f32_e32 v45, v47, v45
	v_add_f32_e32 v6, v6, v46
	;; [unrolled: 1-line block ×3, first 2 shown]
	v_sub_f32_e32 v47, v46, v48
	v_sub_f32_e32 v45, v45, v47
	v_add_f32_e32 v6, v6, v45
	v_add_f32_e32 v6, v46, v6
	v_cmp_neq_f32_e64 s[8:9], s30, v44
	v_cndmask_b32_e64 v6, v28, v6, s[8:9]
	v_cmp_ngt_f32_e64 s[8:9], -1.0, v44
	v_cndmask_b32_e64 v6, v30, v6, s[8:9]
	v_cmp_neq_f32_e64 s[8:9], -1.0, v44
	v_cndmask_b32_e64 v6, v31, v6, s[8:9]
	v_cmp_lt_f32_e64 s[8:9], |v44|, s36
	v_cndmask_b32_e64 v6, v6, v44, s[8:9]
	v_mul_f32_e32 v6, 0.5, v6
.LBB210_29:                             ;   in Loop: Header=BB210_4 Depth=1
	s_or_b64 exec, exec, s[24:25]
.LBB210_30:                             ;   in Loop: Header=BB210_4 Depth=1
	s_or_b64 exec, exec, s[10:11]
	v_max_f32_e64 v44, |v4|, |v4|
	v_max_f32_e64 v45, |v5|, |v5|
	v_max_f32_e32 v48, v44, v45
	v_cvt_f64_f32_e32 v[46:47], v48
	v_cmp_eq_f32_e64 s[8:9], s30, v48
	v_frexp_exp_i32_f64_e32 v46, v[46:47]
	v_sub_u32_e32 v44, 0, v46
	v_ldexp_f32 v47, |v4|, v44
	v_ldexp_f32 v44, |v5|, v44
	v_mul_f32_e32 v44, v44, v44
	v_fmac_f32_e32 v44, v47, v47
	v_sqrt_f32_e32 v47, v44
	v_add_f32_e32 v44, 1.0, v4
	v_ldexp_f32 v47, v47, v46
	v_cmp_ngt_f32_e64 s[10:11], 0.5, v47
	v_max_f32_e64 v46, |v44|, v45
	s_or_b64 s[8:9], s[8:9], s[10:11]
	s_and_saveexec_b64 s[10:11], s[8:9]
	s_xor_b64 s[24:25], exec, s[10:11]
	s_cbranch_execnz .LBB210_36
; %bb.31:                               ;   in Loop: Header=BB210_4 Depth=1
	s_andn2_saveexec_b64 s[10:11], s[24:25]
	s_cbranch_execnz .LBB210_37
.LBB210_32:                             ;   in Loop: Header=BB210_4 Depth=1
	s_or_b64 exec, exec, s[10:11]
	s_and_saveexec_b64 s[8:9], s[6:7]
	s_xor_b64 s[10:11], exec, s[8:9]
	s_cbranch_execnz .LBB210_40
.LBB210_33:                             ;   in Loop: Header=BB210_4 Depth=1
	s_or_b64 exec, exec, s[10:11]
	s_and_saveexec_b64 s[8:9], s[2:3]
	s_cbranch_execnz .LBB210_41
.LBB210_34:                             ;   in Loop: Header=BB210_4 Depth=1
	s_or_b64 exec, exec, s[8:9]
	s_and_saveexec_b64 s[6:7], s[0:1]
	s_cbranch_execnz .LBB210_42
.LBB210_35:                             ;   in Loop: Header=BB210_4 Depth=1
	s_or_b64 exec, exec, s[6:7]
	s_and_saveexec_b64 s[2:3], vcc
	s_cbranch_execz .LBB210_3
	s_branch .LBB210_43
.LBB210_36:                             ;   in Loop: Header=BB210_4 Depth=1
	v_cvt_f64_f32_e32 v[47:48], v46
	v_cmp_neq_f32_e64 s[8:9], s30, v46
	v_frexp_exp_i32_f64_e32 v4, v[47:48]
	v_sub_u32_e32 v47, 0, v4
	v_ldexp_f32 v48, |v44|, v47
	v_ldexp_f32 v47, |v5|, v47
	v_mul_f32_e32 v47, v47, v47
	v_fmac_f32_e32 v47, v48, v48
	v_sqrt_f32_e32 v47, v47
	v_ldexp_f32 v4, v47, v4
	v_cndmask_b32_e64 v4, v28, v4, s[8:9]
	v_cmp_gt_f32_e64 s[8:9], s31, v4
	v_cndmask_b32_e64 v47, 0, 32, s[8:9]
	v_ldexp_f32 v4, v4, v47
	v_log_f32_e32 v4, v4
	v_mul_f32_e32 v47, 0x3f317217, v4
	v_fma_f32 v47, v4, s33, -v47
	v_fmac_f32_e32 v47, 0x3377d1cf, v4
	v_fmac_f32_e32 v47, 0x3f317217, v4
	v_cmp_lt_f32_e64 s[10:11], |v4|, s30
	v_cndmask_b32_e64 v4, v4, v47, s[10:11]
	v_cndmask_b32_e64 v47, 0, v29, s[8:9]
	v_sub_f32_e32 v4, v4, v47
	s_andn2_saveexec_b64 s[10:11], s[24:25]
	s_cbranch_execz .LBB210_32
.LBB210_37:                             ;   in Loop: Header=BB210_4 Depth=1
	v_add_f32_e32 v47, 2.0, v4
	v_mul_f32_e32 v47, v4, v47
	v_fmac_f32_e32 v47, v5, v5
	v_cmp_neq_f32_e64 s[8:9], 0, v47
	s_and_saveexec_b64 s[24:25], s[8:9]
	s_cbranch_execz .LBB210_39
; %bb.38:                               ;   in Loop: Header=BB210_4 Depth=1
	v_add_f32_e32 v4, 1.0, v47
	v_cvt_f64_f32_e32 v[48:49], v4
	v_add_f32_e32 v50, -1.0, v4
	v_sub_f32_e32 v51, v50, v4
	v_sub_f32_e32 v50, v47, v50
	v_frexp_exp_i32_f64_e32 v48, v[48:49]
	v_frexp_mant_f32_e32 v49, v4
	v_cmp_gt_f32_e64 s[8:9], s34, v49
	v_add_f32_e32 v51, 1.0, v51
	v_add_f32_e32 v50, v50, v51
	v_subbrev_co_u32_e64 v48, s[8:9], 0, v48, s[8:9]
	v_sub_u32_e32 v49, 0, v48
	v_ldexp_f32 v4, v4, v49
	v_ldexp_f32 v49, v50, v49
	v_add_f32_e32 v50, -1.0, v4
	v_add_f32_e32 v51, 1.0, v4
	v_add_f32_e32 v52, 1.0, v50
	v_add_f32_e32 v54, -1.0, v51
	v_sub_f32_e32 v52, v4, v52
	v_sub_f32_e32 v4, v4, v54
	v_add_f32_e32 v4, v49, v4
	v_add_f32_e32 v52, v49, v52
	;; [unrolled: 1-line block ×3, first 2 shown]
	v_rcp_f32_e32 v54, v49
	v_add_f32_e32 v53, v50, v52
	v_sub_f32_e32 v51, v49, v51
	v_sub_f32_e32 v50, v53, v50
	;; [unrolled: 1-line block ×3, first 2 shown]
	v_mul_f32_e32 v51, v53, v54
	v_sub_f32_e32 v50, v52, v50
	v_mul_f32_e32 v52, v49, v51
	v_fma_f32 v55, v51, v49, -v52
	v_fmac_f32_e32 v55, v51, v4
	v_add_f32_e32 v56, v52, v55
	v_sub_f32_e32 v57, v53, v56
	v_sub_f32_e32 v53, v53, v57
	;; [unrolled: 1-line block ×4, first 2 shown]
	v_add_f32_e32 v50, v50, v53
	v_sub_f32_e32 v52, v52, v55
	v_add_f32_e32 v50, v52, v50
	v_add_f32_e32 v52, v57, v50
	v_mul_f32_e32 v53, v54, v52
	v_mul_f32_e32 v55, v49, v53
	v_fma_f32 v49, v53, v49, -v55
	v_fmac_f32_e32 v49, v53, v4
	v_sub_f32_e32 v4, v57, v52
	v_add_f32_e32 v4, v50, v4
	v_add_f32_e32 v50, v55, v49
	v_sub_f32_e32 v56, v52, v50
	v_sub_f32_e32 v52, v52, v56
	;; [unrolled: 1-line block ×4, first 2 shown]
	v_add_f32_e32 v4, v4, v50
	v_sub_f32_e32 v49, v55, v49
	v_cvt_f32_i32_e32 v48, v48
	v_add_f32_e32 v4, v49, v4
	v_add_f32_e32 v49, v51, v53
	v_add_f32_e32 v4, v56, v4
	v_sub_f32_e32 v50, v49, v51
	v_mul_f32_e32 v4, v54, v4
	v_sub_f32_e32 v50, v53, v50
	v_add_f32_e32 v4, v50, v4
	v_mul_f32_e32 v53, 0x3f317218, v48
	v_add_f32_e32 v50, v49, v4
	v_fma_f32 v54, v48, s35, -v53
	v_mul_f32_e32 v51, v50, v50
	v_mov_b32_e32 v52, 0x3ecc95a3
	v_fmac_f32_e32 v54, 0xb102e308, v48
	v_sub_f32_e32 v48, v50, v49
	v_fmac_f32_e32 v52, 0x3e9b6dac, v51
	v_sub_f32_e32 v4, v4, v48
	v_add_f32_e32 v48, v53, v54
	v_fma_f32 v52, v51, v52, v21
	v_sub_f32_e32 v49, v48, v53
	v_ldexp_f32 v53, v50, 1
	v_mul_f32_e32 v50, v50, v51
	v_mul_f32_e32 v50, v50, v52
	v_add_f32_e32 v51, v53, v50
	v_sub_f32_e32 v52, v51, v53
	v_ldexp_f32 v4, v4, 1
	v_sub_f32_e32 v50, v50, v52
	v_add_f32_e32 v4, v4, v50
	v_add_f32_e32 v50, v51, v4
	v_sub_f32_e32 v51, v50, v51
	v_sub_f32_e32 v4, v4, v51
	v_add_f32_e32 v51, v48, v50
	v_sub_f32_e32 v52, v51, v48
	v_sub_f32_e32 v53, v51, v52
	v_sub_f32_e32 v49, v54, v49
	v_sub_f32_e32 v48, v48, v53
	v_sub_f32_e32 v50, v50, v52
	v_add_f32_e32 v48, v50, v48
	v_add_f32_e32 v50, v49, v4
	v_sub_f32_e32 v52, v50, v49
	v_sub_f32_e32 v53, v50, v52
	;; [unrolled: 1-line block ×4, first 2 shown]
	v_add_f32_e32 v48, v50, v48
	v_add_f32_e32 v4, v4, v49
	;; [unrolled: 1-line block ×3, first 2 shown]
	v_sub_f32_e32 v50, v49, v51
	v_sub_f32_e32 v48, v48, v50
	v_add_f32_e32 v4, v4, v48
	v_add_f32_e32 v4, v49, v4
	v_cmp_neq_f32_e64 s[8:9], s30, v47
	v_cndmask_b32_e64 v4, v28, v4, s[8:9]
	v_cmp_ngt_f32_e64 s[8:9], -1.0, v47
	v_cndmask_b32_e64 v4, v30, v4, s[8:9]
	v_cmp_neq_f32_e64 s[8:9], -1.0, v47
	v_cndmask_b32_e64 v4, v31, v4, s[8:9]
	v_cmp_lt_f32_e64 s[8:9], |v47|, s36
	v_cndmask_b32_e64 v4, v4, v47, s[8:9]
	v_mul_f32_e32 v4, 0.5, v4
.LBB210_39:                             ;   in Loop: Header=BB210_4 Depth=1
	s_or_b64 exec, exec, s[24:25]
	s_or_b64 exec, exec, s[10:11]
	s_and_saveexec_b64 s[8:9], s[6:7]
	s_xor_b64 s[10:11], exec, s[8:9]
	s_cbranch_execz .LBB210_33
.LBB210_40:                             ;   in Loop: Header=BB210_4 Depth=1
	v_max_f32_e64 v49, |v35|, |v35|
	v_min_f32_e32 v36, v49, v36
	v_frexp_mant_f32_e32 v49, v37
	v_rcp_f32_e32 v49, v49
	v_frexp_exp_i32_f32_e32 v37, v37
	v_frexp_exp_i32_f32_e32 v50, v36
	v_frexp_mant_f32_e32 v36, v36
	v_mul_f32_e32 v36, v36, v49
	v_sub_u32_e32 v37, v50, v37
	v_ldexp_f32 v36, v36, v37
	v_mul_f32_e32 v37, v36, v36
	v_mov_b32_e32 v49, 0xbc7a590c
	v_fmac_f32_e32 v49, 0x3b2d2a58, v37
	v_fma_f32 v49, v37, v49, v22
	v_fma_f32 v49, v37, v49, v23
	;; [unrolled: 1-line block ×6, first 2 shown]
	v_mul_f32_e32 v37, v37, v49
	v_cmp_gt_i32_e64 s[8:9], 0, v35
	v_fmac_f32_e32 v36, v36, v37
	v_cndmask_b32_e64 v48, 0, v34, s[8:9]
	v_sub_f32_e32 v37, 0x3fc90fdb, v36
	v_cmp_gt_f32_e64 s[8:9], |v11|, |v35|
	v_cndmask_b32_e64 v36, v36, v37, s[8:9]
	v_cmp_gt_f32_e64 s[6:7], 0, v35
	v_sub_f32_e32 v37, 0x40490fdb, v36
	v_cmp_class_f32_e64 s[24:25], v11, s37
	v_cmp_class_f32_e64 s[40:41], v35, s37
	v_cndmask_b32_e64 v47, v32, v33, s[6:7]
	v_cndmask_b32_e64 v36, v36, v37, s[6:7]
	v_cmp_eq_f32_e64 s[6:7], 0, v11
	v_cndmask_b32_e64 v36, v36, v48, s[6:7]
	s_and_b64 s[6:7], s[24:25], s[40:41]
	v_cndmask_b32_e64 v36, v36, v47, s[6:7]
	v_cmp_o_f32_e64 s[6:7], v35, v11
	v_cndmask_b32_e64 v35, v30, v36, s[6:7]
	v_bfi_b32 v11, s38, v35, v11
	v_mov_b32_e32 v36, s27
	v_add_co_u32_e64 v35, s[6:7], s26, v1
	v_addc_co_u32_e64 v36, s[6:7], 0, v36, s[6:7]
	global_store_dwordx2 v[35:36], v[10:11], off
	s_or_b64 exec, exec, s[10:11]
	s_and_saveexec_b64 s[8:9], s[2:3]
	s_cbranch_execz .LBB210_34
.LBB210_41:                             ;   in Loop: Header=BB210_4 Depth=1
	v_frexp_mant_f32_e32 v36, v40
	v_rcp_f32_e32 v36, v36
	v_max_f32_e64 v35, |v38|, |v38|
	v_min_f32_e32 v35, v35, v39
	v_frexp_exp_i32_f32_e32 v37, v40
	v_frexp_exp_i32_f32_e32 v39, v35
	v_frexp_mant_f32_e32 v35, v35
	v_mul_f32_e32 v35, v35, v36
	v_sub_u32_e32 v36, v39, v37
	v_ldexp_f32 v35, v35, v36
	v_mul_f32_e32 v36, v35, v35
	v_mov_b32_e32 v37, 0xbc7a590c
	v_fmac_f32_e32 v37, 0x3b2d2a58, v36
	v_fma_f32 v37, v36, v37, v22
	v_fma_f32 v37, v36, v37, v23
	;; [unrolled: 1-line block ×6, first 2 shown]
	v_mul_f32_e32 v36, v36, v37
	v_cmp_gt_i32_e64 s[6:7], 0, v38
	v_fmac_f32_e32 v35, v35, v36
	v_cndmask_b32_e64 v11, 0, v34, s[6:7]
	v_sub_f32_e32 v36, 0x3fc90fdb, v35
	v_cmp_gt_f32_e64 s[6:7], |v9|, |v38|
	v_cndmask_b32_e64 v35, v35, v36, s[6:7]
	v_cmp_gt_f32_e64 s[2:3], 0, v38
	v_sub_f32_e32 v36, 0x40490fdb, v35
	v_cmp_class_f32_e64 s[10:11], v9, s37
	v_cmp_class_f32_e64 s[24:25], v38, s37
	v_cndmask_b32_e64 v10, v32, v33, s[2:3]
	v_cndmask_b32_e64 v35, v35, v36, s[2:3]
	v_cmp_eq_f32_e64 s[2:3], 0, v9
	v_cndmask_b32_e64 v11, v35, v11, s[2:3]
	s_and_b64 s[2:3], s[10:11], s[24:25]
	v_cndmask_b32_e64 v10, v11, v10, s[2:3]
	v_cmp_o_f32_e64 s[2:3], v38, v9
	v_cndmask_b32_e64 v10, v30, v10, s[2:3]
	v_bfi_b32 v9, s38, v10, v9
	v_mov_b32_e32 v11, s27
	v_add_co_u32_e64 v10, s[2:3], s26, v16
	v_addc_co_u32_e64 v11, s[2:3], 0, v11, s[2:3]
	global_store_dwordx2 v[10:11], v[8:9], off
	s_or_b64 exec, exec, s[8:9]
	s_and_saveexec_b64 s[6:7], s[0:1]
	s_cbranch_execz .LBB210_35
.LBB210_42:                             ;   in Loop: Header=BB210_4 Depth=1
	v_frexp_mant_f32_e32 v11, v43
	v_rcp_f32_e32 v11, v11
	v_max_f32_e64 v10, |v41|, |v41|
	v_min_f32_e32 v10, v10, v42
	v_frexp_exp_i32_f32_e32 v35, v43
	v_frexp_exp_i32_f32_e32 v36, v10
	v_frexp_mant_f32_e32 v10, v10
	v_mul_f32_e32 v10, v10, v11
	v_sub_u32_e32 v11, v36, v35
	v_ldexp_f32 v10, v10, v11
	v_mul_f32_e32 v11, v10, v10
	v_mov_b32_e32 v35, 0xbc7a590c
	v_fmac_f32_e32 v35, 0x3b2d2a58, v11
	v_fma_f32 v35, v11, v35, v22
	v_fma_f32 v35, v11, v35, v23
	v_fma_f32 v35, v11, v35, v24
	v_fma_f32 v35, v11, v35, v25
	v_fma_f32 v35, v11, v35, v26
	v_fma_f32 v35, v11, v35, v27
	v_mul_f32_e32 v11, v11, v35
	v_cmp_gt_i32_e64 s[2:3], 0, v41
	v_fmac_f32_e32 v10, v10, v11
	v_cndmask_b32_e64 v9, 0, v34, s[2:3]
	v_sub_f32_e32 v11, 0x3fc90fdb, v10
	v_cmp_gt_f32_e64 s[2:3], |v7|, |v41|
	v_cndmask_b32_e64 v10, v10, v11, s[2:3]
	v_cmp_gt_f32_e64 s[0:1], 0, v41
	v_sub_f32_e32 v11, 0x40490fdb, v10
	v_cmp_class_f32_e64 s[8:9], v7, s37
	v_cmp_class_f32_e64 s[10:11], v41, s37
	v_cndmask_b32_e64 v8, v32, v33, s[0:1]
	v_cndmask_b32_e64 v10, v10, v11, s[0:1]
	v_cmp_eq_f32_e64 s[0:1], 0, v7
	v_cndmask_b32_e64 v9, v10, v9, s[0:1]
	s_and_b64 s[0:1], s[8:9], s[10:11]
	v_cndmask_b32_e64 v8, v9, v8, s[0:1]
	v_cmp_o_f32_e64 s[0:1], v41, v7
	v_cndmask_b32_e64 v8, v30, v8, s[0:1]
	v_bfi_b32 v7, s38, v8, v7
	v_mov_b32_e32 v9, s27
	v_add_co_u32_e64 v8, s[0:1], s26, v18
	v_addc_co_u32_e64 v9, s[0:1], v9, v17, s[0:1]
	global_store_dwordx2 v[8:9], v[6:7], off offset:-4
	s_or_b64 exec, exec, s[6:7]
	s_and_saveexec_b64 s[2:3], vcc
	s_cbranch_execz .LBB210_3
.LBB210_43:                             ;   in Loop: Header=BB210_4 Depth=1
	v_frexp_mant_f32_e32 v9, v46
	v_rcp_f32_e32 v9, v9
	v_max_f32_e64 v8, |v44|, |v44|
	v_min_f32_e32 v8, v8, v45
	v_frexp_exp_i32_f32_e32 v10, v46
	v_frexp_exp_i32_f32_e32 v11, v8
	v_frexp_mant_f32_e32 v8, v8
	v_mul_f32_e32 v8, v8, v9
	v_sub_u32_e32 v9, v11, v10
	v_ldexp_f32 v8, v8, v9
	v_mul_f32_e32 v9, v8, v8
	v_mov_b32_e32 v10, 0xbc7a590c
	v_fmac_f32_e32 v10, 0x3b2d2a58, v9
	v_fma_f32 v10, v9, v10, v22
	v_fma_f32 v10, v9, v10, v23
	;; [unrolled: 1-line block ×6, first 2 shown]
	v_mul_f32_e32 v9, v9, v10
	v_cmp_gt_i32_e64 s[0:1], 0, v44
	v_fmac_f32_e32 v8, v8, v9
	v_cndmask_b32_e64 v7, 0, v34, s[0:1]
	v_sub_f32_e32 v9, 0x3fc90fdb, v8
	v_cmp_gt_f32_e64 s[0:1], |v5|, |v44|
	v_cndmask_b32_e64 v8, v8, v9, s[0:1]
	v_cmp_gt_f32_e32 vcc, 0, v44
	v_sub_f32_e32 v9, 0x40490fdb, v8
	v_cmp_class_f32_e64 s[6:7], v5, s37
	v_cmp_class_f32_e64 s[8:9], v44, s37
	v_cndmask_b32_e32 v6, v32, v33, vcc
	v_cndmask_b32_e32 v8, v8, v9, vcc
	v_cmp_eq_f32_e32 vcc, 0, v5
	v_cndmask_b32_e32 v7, v8, v7, vcc
	s_and_b64 vcc, s[6:7], s[8:9]
	v_cndmask_b32_e32 v6, v7, v6, vcc
	v_cmp_o_f32_e32 vcc, v44, v5
	v_cndmask_b32_e32 v6, v30, v6, vcc
	v_bfi_b32 v5, s38, v6, v5
	v_mov_b32_e32 v7, s27
	v_add_co_u32_e32 v6, vcc, s26, v2
	v_addc_co_u32_e32 v7, vcc, v7, v3, vcc
	global_store_dwordx2 v[6:7], v[4:5], off offset:-4
	s_branch .LBB210_3
.LBB210_44:
	s_cbranch_execz .LBB210_46
	s_branch .LBB210_73
.LBB210_45:
.LBB210_46:
	v_mov_b32_e32 v1, 0x10000
	v_mov_b32_e32 v2, 0
	v_cmp_lt_i64_e32 vcc, s[16:17], v[1:2]
	v_mov_b32_e32 v2, 0
	s_and_b64 s[0:1], vcc, exec
	s_cselect_b32 s3, s17, 0
	s_cselect_b32 s2, s16, 0x10000
	v_lshlrev_b32_e32 v1, 2, v0
	v_cmp_gt_i64_e32 vcc, s[2:3], v[1:2]
	s_and_saveexec_b64 s[0:1], vcc
	s_cbranch_execz .LBB210_73
; %bb.47:
	s_load_dword s0, s[4:5], 0xd3c
	v_mov_b32_e32 v1, v2
	v_lshlrev_b32_e32 v2, 5, v0
	s_mov_b64 s[4:5], 0
	s_mov_b32 s10, 0x7f800000
	s_waitcnt lgkmcnt(0)
	s_and_b32 s8, s0, 0xffff
	s_add_u32 s0, s12, s14
	s_addc_u32 s1, s13, s15
	v_mov_b32_e32 v3, s1
	v_add_co_u32_e32 v18, vcc, s0, v2
	v_addc_co_u32_e32 v19, vcc, 0, v3, vcc
	s_lshl_b32 s9, s8, 5
	s_mov_b32 s11, 0x800000
	s_mov_b32 s12, 0x3f317217
	;; [unrolled: 1-line block ×3, first 2 shown]
	v_mov_b32_e32 v20, 0x3f2aaada
	s_mov_b32 s14, 0x3f317218
	s_mov_b32 s15, 0x33800000
	s_movk_i32 s16, 0x204
	v_mov_b32_e32 v21, 0x3d29fb3f
	v_mov_b32_e32 v22, 0xbd97d4d7
	;; [unrolled: 1-line block ×6, first 2 shown]
	s_brev_b32 s17, -2
	v_mov_b32_e32 v27, 0x7f800000
	v_mov_b32_e32 v28, 0x41b17218
	;; [unrolled: 1-line block ×7, first 2 shown]
	s_branch .LBB210_50
.LBB210_48:                             ;   in Loop: Header=BB210_50 Depth=1
	s_or_b64 exec, exec, s[6:7]
	v_mov_b32_e32 v16, v4
.LBB210_49:                             ;   in Loop: Header=BB210_50 Depth=1
	s_or_b64 exec, exec, s[0:1]
	v_max_f32_e64 v40, |v8|, |v8|
	v_min_f32_e32 v15, v40, v15
	v_frexp_mant_f32_e32 v40, v36
	v_rcp_f32_e32 v40, v40
	v_frexp_exp_i32_f32_e32 v36, v36
	v_frexp_exp_i32_f32_e32 v41, v15
	v_frexp_mant_f32_e32 v15, v15
	v_mul_f32_e32 v15, v15, v40
	v_sub_u32_e32 v36, v41, v36
	v_ldexp_f32 v15, v15, v36
	v_mul_f32_e32 v36, v15, v15
	v_mov_b32_e32 v40, 0xbc7a590c
	v_fmac_f32_e32 v40, 0x3b2d2a58, v36
	v_fma_f32 v40, v36, v40, v21
	v_fma_f32 v40, v36, v40, v22
	;; [unrolled: 1-line block ×6, first 2 shown]
	v_mul_f32_e32 v36, v36, v40
	v_cmp_gt_i32_e64 s[0:1], 0, v8
	v_fmac_f32_e32 v15, v15, v36
	v_cndmask_b32_e64 v39, 0, v33, s[0:1]
	v_sub_f32_e32 v36, 0x3fc90fdb, v15
	v_cmp_gt_f32_e64 s[0:1], |v3|, |v8|
	v_cndmask_b32_e64 v15, v15, v36, s[0:1]
	v_cmp_gt_f32_e32 vcc, 0, v8
	v_sub_f32_e32 v36, 0x40490fdb, v15
	v_cmp_class_f32_e64 s[6:7], v3, s16
	v_cmp_class_f32_e64 s[18:19], v8, s16
	v_cndmask_b32_e32 v4, v31, v32, vcc
	v_cndmask_b32_e32 v15, v15, v36, vcc
	v_cmp_eq_f32_e32 vcc, 0, v3
	v_cndmask_b32_e32 v15, v15, v39, vcc
	s_and_b64 vcc, s[6:7], s[18:19]
	v_cndmask_b32_e32 v4, v15, v4, vcc
	v_cmp_o_f32_e32 vcc, v8, v3
	v_max_f32_e64 v8, |v6|, |v6|
	v_min_f32_e32 v8, v8, v13
	v_frexp_mant_f32_e32 v13, v35
	v_rcp_f32_e32 v13, v13
	v_frexp_exp_i32_f32_e32 v35, v35
	v_frexp_exp_i32_f32_e32 v36, v8
	v_frexp_mant_f32_e32 v8, v8
	v_mul_f32_e32 v8, v8, v13
	v_sub_u32_e32 v13, v36, v35
	v_ldexp_f32 v8, v8, v13
	v_mul_f32_e32 v13, v8, v8
	v_mov_b32_e32 v35, 0xbc7a590c
	v_fmac_f32_e32 v35, 0x3b2d2a58, v13
	v_fma_f32 v35, v13, v35, v21
	v_fma_f32 v35, v13, v35, v22
	;; [unrolled: 1-line block ×6, first 2 shown]
	v_mul_f32_e32 v13, v13, v35
	v_cndmask_b32_e32 v4, v29, v4, vcc
	v_cmp_gt_i32_e64 s[0:1], 0, v6
	v_fmac_f32_e32 v8, v8, v13
	v_bfi_b32 v15, s17, v4, v3
	v_cndmask_b32_e64 v4, 0, v33, s[0:1]
	v_sub_f32_e32 v13, 0x3fc90fdb, v8
	v_cmp_gt_f32_e64 s[0:1], |v9|, |v6|
	v_cndmask_b32_e64 v8, v8, v13, s[0:1]
	v_cmp_gt_f32_e32 vcc, 0, v6
	v_sub_f32_e32 v13, 0x40490fdb, v8
	v_cndmask_b32_e32 v3, v31, v32, vcc
	v_cndmask_b32_e32 v8, v8, v13, vcc
	v_cmp_eq_f32_e32 vcc, 0, v9
	v_cmp_class_f32_e64 s[6:7], v9, s16
	v_cmp_class_f32_e64 s[18:19], v6, s16
	v_cndmask_b32_e32 v4, v8, v4, vcc
	v_frexp_mant_f32_e32 v8, v34
	s_and_b64 vcc, s[6:7], s[18:19]
	v_rcp_f32_e32 v8, v8
	v_cndmask_b32_e32 v3, v4, v3, vcc
	v_cmp_o_f32_e32 vcc, v6, v9
	v_max_f32_e64 v6, |v11|, |v11|
	v_cndmask_b32_e32 v3, v29, v3, vcc
	v_min_f32_e32 v6, v6, v17
	v_bfi_b32 v13, s17, v3, v9
	v_frexp_exp_i32_f32_e32 v9, v34
	v_frexp_exp_i32_f32_e32 v17, v6
	v_frexp_mant_f32_e32 v6, v6
	v_mul_f32_e32 v6, v6, v8
	v_sub_u32_e32 v8, v17, v9
	v_ldexp_f32 v6, v6, v8
	v_mul_f32_e32 v8, v6, v6
	v_mov_b32_e32 v9, 0xbc7a590c
	v_fmac_f32_e32 v9, 0x3b2d2a58, v8
	v_fma_f32 v9, v8, v9, v21
	v_fma_f32 v9, v8, v9, v22
	;; [unrolled: 1-line block ×6, first 2 shown]
	v_mul_f32_e32 v8, v8, v9
	v_cmp_gt_i32_e64 s[0:1], 0, v11
	v_fmac_f32_e32 v6, v6, v8
	v_cndmask_b32_e64 v4, 0, v33, s[0:1]
	v_sub_f32_e32 v8, 0x3fc90fdb, v6
	v_cmp_gt_f32_e64 s[0:1], |v7|, |v11|
	v_cndmask_b32_e64 v6, v6, v8, s[0:1]
	v_cmp_gt_f32_e32 vcc, 0, v11
	v_sub_f32_e32 v8, 0x40490fdb, v6
	v_cmp_class_f32_e64 s[6:7], v7, s16
	v_cmp_class_f32_e64 s[18:19], v11, s16
	v_cndmask_b32_e32 v3, v31, v32, vcc
	v_cndmask_b32_e32 v6, v6, v8, vcc
	v_cmp_eq_f32_e32 vcc, 0, v7
	v_cndmask_b32_e32 v4, v6, v4, vcc
	s_and_b64 vcc, s[6:7], s[18:19]
	v_cndmask_b32_e32 v3, v4, v3, vcc
	v_cmp_o_f32_e32 vcc, v11, v7
	v_cndmask_b32_e32 v3, v29, v3, vcc
	v_bfi_b32 v11, s17, v3, v7
	v_frexp_mant_f32_e32 v7, v38
	v_rcp_f32_e32 v7, v7
	v_max_f32_e64 v6, |v2|, |v2|
	v_min_f32_e32 v6, v6, v37
	v_frexp_exp_i32_f32_e32 v8, v38
	v_frexp_exp_i32_f32_e32 v9, v6
	v_frexp_mant_f32_e32 v6, v6
	v_mul_f32_e32 v6, v6, v7
	v_sub_u32_e32 v7, v9, v8
	v_ldexp_f32 v6, v6, v7
	v_mul_f32_e32 v7, v6, v6
	v_mov_b32_e32 v8, 0xbc7a590c
	v_fmac_f32_e32 v8, 0x3b2d2a58, v7
	v_fma_f32 v8, v7, v8, v21
	v_fma_f32 v8, v7, v8, v22
	;; [unrolled: 1-line block ×6, first 2 shown]
	v_mul_f32_e32 v7, v7, v8
	v_cmp_gt_i32_e64 s[0:1], 0, v2
	v_fmac_f32_e32 v6, v6, v7
	v_cndmask_b32_e64 v4, 0, v33, s[0:1]
	v_sub_f32_e32 v7, 0x3fc90fdb, v6
	v_cmp_gt_f32_e64 s[0:1], |v5|, |v2|
	v_cndmask_b32_e64 v6, v6, v7, s[0:1]
	v_cmp_gt_f32_e32 vcc, 0, v2
	v_sub_f32_e32 v7, 0x40490fdb, v6
	v_cmp_class_f32_e64 s[6:7], v5, s16
	v_cmp_class_f32_e64 s[18:19], v2, s16
	v_cndmask_b32_e32 v3, v31, v32, vcc
	v_cndmask_b32_e32 v6, v6, v7, vcc
	v_cmp_eq_f32_e32 vcc, 0, v5
	v_cndmask_b32_e32 v4, v6, v4, vcc
	s_and_b64 vcc, s[6:7], s[18:19]
	v_cndmask_b32_e32 v3, v4, v3, vcc
	v_cmp_o_f32_e32 vcc, v2, v5
	v_cndmask_b32_e32 v2, v29, v3, vcc
	v_add_co_u32_e32 v0, vcc, s8, v0
	v_addc_co_u32_e32 v1, vcc, 0, v1, vcc
	v_bfi_b32 v17, s17, v2, v5
	v_lshlrev_b64 v[2:3], 2, v[0:1]
	global_store_dwordx4 v[18:19], v[10:13], off
	v_cmp_le_i64_e32 vcc, s[2:3], v[2:3]
	global_store_dwordx4 v[18:19], v[14:17], off offset:16
	s_or_b64 s[4:5], vcc, s[4:5]
	v_add_co_u32_e32 v18, vcc, s9, v18
	v_addc_co_u32_e32 v19, vcc, 0, v19, vcc
	s_andn2_b64 exec, exec, s[4:5]
	s_cbranch_execz .LBB210_73
.LBB210_50:                             ; =>This Inner Loop Header: Depth=1
	global_load_dwordx4 v[6:9], v[18:19], off
	global_load_dwordx4 v[2:5], v[18:19], off offset:16
	s_waitcnt vmcnt(1)
	v_max_f32_e64 v10, |v6|, |v6|
	v_max_f32_e64 v17, |v7|, |v7|
	v_max_f32_e32 v12, v10, v17
	v_cvt_f64_f32_e32 v[10:11], v12
	v_cmp_eq_f32_e32 vcc, s10, v12
	v_frexp_exp_i32_f64_e32 v10, v[10:11]
	v_sub_u32_e32 v11, 0, v10
	v_ldexp_f32 v13, |v6|, v11
	v_ldexp_f32 v11, |v7|, v11
	v_mul_f32_e32 v11, v11, v11
	v_fmac_f32_e32 v11, v13, v13
	v_sqrt_f32_e32 v13, v11
	v_add_f32_e32 v11, 1.0, v6
	v_max_f32_e64 v34, |v11|, v17
	v_ldexp_f32 v10, v13, v10
	v_cmp_ngt_f32_e64 s[0:1], 0.5, v10
	s_or_b64 s[0:1], vcc, s[0:1]
                                        ; implicit-def: $vgpr10
	s_and_saveexec_b64 s[6:7], s[0:1]
	s_xor_b64 s[6:7], exec, s[6:7]
	s_cbranch_execz .LBB210_52
; %bb.51:                               ;   in Loop: Header=BB210_50 Depth=1
	v_cvt_f64_f32_e32 v[12:13], v34
	v_cmp_neq_f32_e32 vcc, s10, v34
	v_frexp_exp_i32_f64_e32 v10, v[12:13]
	v_sub_u32_e32 v12, 0, v10
	v_ldexp_f32 v13, |v11|, v12
	v_ldexp_f32 v12, |v7|, v12
	v_mul_f32_e32 v12, v12, v12
	v_fmac_f32_e32 v12, v13, v13
	v_sqrt_f32_e32 v12, v12
	v_ldexp_f32 v10, v12, v10
	v_cndmask_b32_e32 v10, v27, v10, vcc
	v_cmp_gt_f32_e32 vcc, s11, v10
	v_cndmask_b32_e64 v12, 0, 32, vcc
	v_ldexp_f32 v10, v10, v12
	v_log_f32_e32 v10, v10
	v_mul_f32_e32 v12, 0x3f317217, v10
	v_fma_f32 v12, v10, s12, -v12
	v_fmac_f32_e32 v12, 0x3377d1cf, v10
	v_fmac_f32_e32 v12, 0x3f317217, v10
	v_cmp_lt_f32_e64 s[0:1], |v10|, s10
	v_cndmask_b32_e64 v10, v10, v12, s[0:1]
	v_cndmask_b32_e32 v12, 0, v28, vcc
	v_sub_f32_e32 v10, v10, v12
.LBB210_52:                             ;   in Loop: Header=BB210_50 Depth=1
	s_andn2_saveexec_b64 s[0:1], s[6:7]
	s_cbranch_execz .LBB210_56
; %bb.53:                               ;   in Loop: Header=BB210_50 Depth=1
	v_add_f32_e32 v10, 2.0, v6
	v_mul_f32_e32 v10, v6, v10
	v_fmac_f32_e32 v10, v7, v7
	v_cmp_neq_f32_e32 vcc, 0, v10
	s_and_saveexec_b64 s[6:7], vcc
	s_cbranch_execz .LBB210_55
; %bb.54:                               ;   in Loop: Header=BB210_50 Depth=1
	v_add_f32_e32 v6, 1.0, v10
	v_cvt_f64_f32_e32 v[12:13], v6
	v_add_f32_e32 v14, -1.0, v6
	v_sub_f32_e32 v15, v14, v6
	v_sub_f32_e32 v14, v10, v14
	v_frexp_exp_i32_f64_e32 v12, v[12:13]
	v_frexp_mant_f32_e32 v13, v6
	v_cmp_gt_f32_e32 vcc, s13, v13
	v_add_f32_e32 v15, 1.0, v15
	v_add_f32_e32 v14, v14, v15
	v_subbrev_co_u32_e32 v12, vcc, 0, v12, vcc
	v_sub_u32_e32 v13, 0, v12
	v_ldexp_f32 v6, v6, v13
	v_ldexp_f32 v13, v14, v13
	v_add_f32_e32 v14, -1.0, v6
	v_add_f32_e32 v15, 1.0, v6
	v_add_f32_e32 v16, 1.0, v14
	v_add_f32_e32 v36, -1.0, v15
	v_sub_f32_e32 v16, v6, v16
	v_sub_f32_e32 v6, v6, v36
	v_add_f32_e32 v6, v13, v6
	v_add_f32_e32 v16, v13, v16
	;; [unrolled: 1-line block ×3, first 2 shown]
	v_rcp_f32_e32 v36, v13
	v_add_f32_e32 v35, v14, v16
	v_sub_f32_e32 v15, v13, v15
	v_sub_f32_e32 v14, v35, v14
	;; [unrolled: 1-line block ×3, first 2 shown]
	v_mul_f32_e32 v15, v35, v36
	v_sub_f32_e32 v14, v16, v14
	v_mul_f32_e32 v16, v13, v15
	v_fma_f32 v37, v15, v13, -v16
	v_fmac_f32_e32 v37, v15, v6
	v_add_f32_e32 v38, v16, v37
	v_sub_f32_e32 v39, v35, v38
	v_sub_f32_e32 v35, v35, v39
	;; [unrolled: 1-line block ×4, first 2 shown]
	v_add_f32_e32 v14, v14, v35
	v_sub_f32_e32 v16, v16, v37
	v_add_f32_e32 v14, v16, v14
	v_add_f32_e32 v16, v39, v14
	v_mul_f32_e32 v35, v36, v16
	v_mul_f32_e32 v37, v13, v35
	v_fma_f32 v13, v35, v13, -v37
	v_fmac_f32_e32 v13, v35, v6
	v_sub_f32_e32 v6, v39, v16
	v_add_f32_e32 v6, v14, v6
	v_add_f32_e32 v14, v37, v13
	v_sub_f32_e32 v38, v16, v14
	v_sub_f32_e32 v16, v16, v38
	;; [unrolled: 1-line block ×4, first 2 shown]
	v_add_f32_e32 v6, v6, v14
	v_sub_f32_e32 v13, v37, v13
	v_cvt_f32_i32_e32 v12, v12
	v_add_f32_e32 v6, v13, v6
	v_add_f32_e32 v13, v15, v35
	;; [unrolled: 1-line block ×3, first 2 shown]
	v_sub_f32_e32 v14, v13, v15
	v_mul_f32_e32 v6, v36, v6
	v_sub_f32_e32 v14, v35, v14
	v_add_f32_e32 v6, v14, v6
	v_mul_f32_e32 v35, 0x3f317218, v12
	v_add_f32_e32 v14, v13, v6
	v_fma_f32 v36, v12, s14, -v35
	v_mul_f32_e32 v15, v14, v14
	v_mov_b32_e32 v16, 0x3ecc95a3
	v_fmac_f32_e32 v36, 0xb102e308, v12
	v_sub_f32_e32 v12, v14, v13
	v_fmac_f32_e32 v16, 0x3e9b6dac, v15
	v_sub_f32_e32 v6, v6, v12
	v_add_f32_e32 v12, v35, v36
	v_fma_f32 v16, v15, v16, v20
	v_sub_f32_e32 v13, v12, v35
	v_ldexp_f32 v35, v14, 1
	v_mul_f32_e32 v14, v14, v15
	v_mul_f32_e32 v14, v14, v16
	v_add_f32_e32 v15, v35, v14
	v_sub_f32_e32 v16, v15, v35
	v_ldexp_f32 v6, v6, 1
	v_sub_f32_e32 v14, v14, v16
	v_add_f32_e32 v6, v6, v14
	v_add_f32_e32 v14, v15, v6
	v_sub_f32_e32 v15, v14, v15
	v_sub_f32_e32 v6, v6, v15
	v_add_f32_e32 v15, v12, v14
	v_sub_f32_e32 v16, v15, v12
	v_sub_f32_e32 v35, v15, v16
	;; [unrolled: 1-line block ×5, first 2 shown]
	v_add_f32_e32 v12, v14, v12
	v_add_f32_e32 v14, v13, v6
	v_sub_f32_e32 v16, v14, v13
	v_sub_f32_e32 v35, v14, v16
	;; [unrolled: 1-line block ×4, first 2 shown]
	v_add_f32_e32 v12, v14, v12
	v_add_f32_e32 v6, v6, v13
	;; [unrolled: 1-line block ×3, first 2 shown]
	v_sub_f32_e32 v14, v13, v15
	v_sub_f32_e32 v12, v12, v14
	v_add_f32_e32 v6, v6, v12
	v_add_f32_e32 v6, v13, v6
	v_cmp_neq_f32_e32 vcc, s10, v10
	v_cndmask_b32_e32 v6, v27, v6, vcc
	v_cmp_ngt_f32_e32 vcc, -1.0, v10
	v_cndmask_b32_e32 v6, v29, v6, vcc
	v_cmp_neq_f32_e32 vcc, -1.0, v10
	v_cndmask_b32_e32 v6, v30, v6, vcc
	v_cmp_lt_f32_e64 vcc, |v10|, s15
	v_cndmask_b32_e32 v6, v6, v10, vcc
	v_mul_f32_e32 v6, 0.5, v6
.LBB210_55:                             ;   in Loop: Header=BB210_50 Depth=1
	s_or_b64 exec, exec, s[6:7]
	v_mov_b32_e32 v10, v6
.LBB210_56:                             ;   in Loop: Header=BB210_50 Depth=1
	s_or_b64 exec, exec, s[0:1]
	v_max_f32_e64 v6, |v8|, |v8|
	v_max_f32_e64 v13, |v9|, |v9|
	v_max_f32_e32 v12, v6, v13
	v_cvt_f64_f32_e32 v[14:15], v12
	v_cmp_eq_f32_e32 vcc, s10, v12
	v_frexp_exp_i32_f64_e32 v14, v[14:15]
	v_sub_u32_e32 v6, 0, v14
	v_ldexp_f32 v15, |v8|, v6
	v_ldexp_f32 v6, |v9|, v6
	v_mul_f32_e32 v6, v6, v6
	v_fmac_f32_e32 v6, v15, v15
	v_sqrt_f32_e32 v15, v6
	v_add_f32_e32 v6, 1.0, v8
	v_max_f32_e64 v35, |v6|, v13
	v_ldexp_f32 v12, v15, v14
	v_cmp_ngt_f32_e64 s[0:1], 0.5, v12
	s_or_b64 s[0:1], vcc, s[0:1]
	s_and_saveexec_b64 s[6:7], s[0:1]
	s_xor_b64 s[6:7], exec, s[6:7]
	s_cbranch_execz .LBB210_58
; %bb.57:                               ;   in Loop: Header=BB210_50 Depth=1
	v_cvt_f64_f32_e32 v[14:15], v35
	v_cmp_neq_f32_e32 vcc, s10, v35
	v_frexp_exp_i32_f64_e32 v12, v[14:15]
	v_sub_u32_e32 v14, 0, v12
	v_ldexp_f32 v15, |v6|, v14
	v_ldexp_f32 v14, |v9|, v14
	v_mul_f32_e32 v14, v14, v14
	v_fmac_f32_e32 v14, v15, v15
	v_sqrt_f32_e32 v14, v14
	v_ldexp_f32 v12, v14, v12
	v_cndmask_b32_e32 v12, v27, v12, vcc
	v_cmp_gt_f32_e32 vcc, s11, v12
	v_cndmask_b32_e64 v14, 0, 32, vcc
	v_ldexp_f32 v12, v12, v14
	v_log_f32_e32 v12, v12
	v_mul_f32_e32 v14, 0x3f317217, v12
	v_fma_f32 v14, v12, s12, -v14
	v_fmac_f32_e32 v14, 0x3377d1cf, v12
	v_fmac_f32_e32 v14, 0x3f317217, v12
	v_cmp_lt_f32_e64 s[0:1], |v12|, s10
	v_cndmask_b32_e64 v12, v12, v14, s[0:1]
	v_cndmask_b32_e32 v14, 0, v28, vcc
	v_sub_f32_e32 v12, v12, v14
.LBB210_58:                             ;   in Loop: Header=BB210_50 Depth=1
	s_andn2_saveexec_b64 s[0:1], s[6:7]
	s_cbranch_execz .LBB210_62
; %bb.59:                               ;   in Loop: Header=BB210_50 Depth=1
	v_add_f32_e32 v12, 2.0, v8
	v_mul_f32_e32 v12, v8, v12
	v_fmac_f32_e32 v12, v9, v9
	v_cmp_neq_f32_e32 vcc, 0, v12
	s_and_saveexec_b64 s[6:7], vcc
	s_cbranch_execz .LBB210_61
; %bb.60:                               ;   in Loop: Header=BB210_50 Depth=1
	v_add_f32_e32 v8, 1.0, v12
	v_cvt_f64_f32_e32 v[14:15], v8
	v_add_f32_e32 v16, -1.0, v8
	v_sub_f32_e32 v36, v16, v8
	v_sub_f32_e32 v16, v12, v16
	v_frexp_exp_i32_f64_e32 v14, v[14:15]
	v_frexp_mant_f32_e32 v15, v8
	v_cmp_gt_f32_e32 vcc, s13, v15
	v_add_f32_e32 v36, 1.0, v36
	v_add_f32_e32 v16, v16, v36
	v_subbrev_co_u32_e32 v14, vcc, 0, v14, vcc
	v_sub_u32_e32 v15, 0, v14
	v_ldexp_f32 v8, v8, v15
	v_ldexp_f32 v15, v16, v15
	v_add_f32_e32 v16, -1.0, v8
	v_add_f32_e32 v36, 1.0, v8
	v_add_f32_e32 v37, 1.0, v16
	v_add_f32_e32 v39, -1.0, v36
	v_sub_f32_e32 v37, v8, v37
	v_sub_f32_e32 v8, v8, v39
	v_add_f32_e32 v8, v15, v8
	v_add_f32_e32 v37, v15, v37
	;; [unrolled: 1-line block ×3, first 2 shown]
	v_rcp_f32_e32 v39, v15
	v_add_f32_e32 v38, v16, v37
	v_sub_f32_e32 v36, v15, v36
	v_sub_f32_e32 v16, v38, v16
	;; [unrolled: 1-line block ×3, first 2 shown]
	v_mul_f32_e32 v36, v38, v39
	v_sub_f32_e32 v16, v37, v16
	v_mul_f32_e32 v37, v15, v36
	v_fma_f32 v40, v36, v15, -v37
	v_fmac_f32_e32 v40, v36, v8
	v_add_f32_e32 v41, v37, v40
	v_sub_f32_e32 v42, v38, v41
	v_sub_f32_e32 v38, v38, v42
	;; [unrolled: 1-line block ×4, first 2 shown]
	v_add_f32_e32 v16, v16, v38
	v_sub_f32_e32 v37, v37, v40
	v_add_f32_e32 v16, v37, v16
	v_add_f32_e32 v37, v42, v16
	v_mul_f32_e32 v38, v39, v37
	v_mul_f32_e32 v40, v15, v38
	v_fma_f32 v15, v38, v15, -v40
	v_fmac_f32_e32 v15, v38, v8
	v_sub_f32_e32 v8, v42, v37
	v_add_f32_e32 v8, v16, v8
	v_add_f32_e32 v16, v40, v15
	v_sub_f32_e32 v41, v37, v16
	v_sub_f32_e32 v37, v37, v41
	;; [unrolled: 1-line block ×4, first 2 shown]
	v_add_f32_e32 v8, v8, v16
	v_sub_f32_e32 v15, v40, v15
	v_cvt_f32_i32_e32 v14, v14
	v_add_f32_e32 v8, v15, v8
	v_add_f32_e32 v15, v36, v38
	;; [unrolled: 1-line block ×3, first 2 shown]
	v_sub_f32_e32 v16, v15, v36
	v_mul_f32_e32 v8, v39, v8
	v_sub_f32_e32 v16, v38, v16
	v_add_f32_e32 v8, v16, v8
	v_mul_f32_e32 v38, 0x3f317218, v14
	v_add_f32_e32 v16, v15, v8
	v_fma_f32 v39, v14, s14, -v38
	v_mul_f32_e32 v36, v16, v16
	v_mov_b32_e32 v37, 0x3ecc95a3
	v_fmac_f32_e32 v39, 0xb102e308, v14
	v_sub_f32_e32 v14, v16, v15
	v_fmac_f32_e32 v37, 0x3e9b6dac, v36
	v_sub_f32_e32 v8, v8, v14
	v_add_f32_e32 v14, v38, v39
	v_fma_f32 v37, v36, v37, v20
	v_sub_f32_e32 v15, v14, v38
	v_ldexp_f32 v38, v16, 1
	v_mul_f32_e32 v16, v16, v36
	v_mul_f32_e32 v16, v16, v37
	v_add_f32_e32 v36, v38, v16
	v_sub_f32_e32 v37, v36, v38
	v_ldexp_f32 v8, v8, 1
	v_sub_f32_e32 v16, v16, v37
	v_add_f32_e32 v8, v8, v16
	v_add_f32_e32 v16, v36, v8
	v_sub_f32_e32 v36, v16, v36
	v_sub_f32_e32 v8, v8, v36
	v_add_f32_e32 v36, v14, v16
	v_sub_f32_e32 v37, v36, v14
	v_sub_f32_e32 v38, v36, v37
	v_sub_f32_e32 v15, v39, v15
	v_sub_f32_e32 v14, v14, v38
	v_sub_f32_e32 v16, v16, v37
	v_add_f32_e32 v14, v16, v14
	v_add_f32_e32 v16, v15, v8
	v_sub_f32_e32 v37, v16, v15
	v_sub_f32_e32 v38, v16, v37
	;; [unrolled: 1-line block ×4, first 2 shown]
	v_add_f32_e32 v14, v16, v14
	v_add_f32_e32 v8, v8, v15
	v_add_f32_e32 v15, v36, v14
	v_sub_f32_e32 v16, v15, v36
	v_sub_f32_e32 v14, v14, v16
	v_add_f32_e32 v8, v8, v14
	v_add_f32_e32 v8, v15, v8
	v_cmp_neq_f32_e32 vcc, s10, v12
	v_cndmask_b32_e32 v8, v27, v8, vcc
	v_cmp_ngt_f32_e32 vcc, -1.0, v12
	v_cndmask_b32_e32 v8, v29, v8, vcc
	v_cmp_neq_f32_e32 vcc, -1.0, v12
	v_cndmask_b32_e32 v8, v30, v8, vcc
	v_cmp_lt_f32_e64 vcc, |v12|, s15
	v_cndmask_b32_e32 v8, v8, v12, vcc
	v_mul_f32_e32 v8, 0.5, v8
.LBB210_61:                             ;   in Loop: Header=BB210_50 Depth=1
	s_or_b64 exec, exec, s[6:7]
	v_mov_b32_e32 v12, v8
.LBB210_62:                             ;   in Loop: Header=BB210_50 Depth=1
	s_or_b64 exec, exec, s[0:1]
	s_waitcnt vmcnt(0)
	v_max_f32_e64 v8, |v2|, |v2|
	v_max_f32_e64 v15, |v3|, |v3|
	v_max_f32_e32 v14, v8, v15
	v_cvt_f64_f32_e32 v[36:37], v14
	v_cmp_eq_f32_e32 vcc, s10, v14
	v_frexp_exp_i32_f64_e32 v16, v[36:37]
	v_sub_u32_e32 v8, 0, v16
	v_ldexp_f32 v36, |v2|, v8
	v_ldexp_f32 v8, |v3|, v8
	v_mul_f32_e32 v8, v8, v8
	v_fmac_f32_e32 v8, v36, v36
	v_sqrt_f32_e32 v36, v8
	v_add_f32_e32 v8, 1.0, v2
	v_ldexp_f32 v14, v36, v16
	v_cmp_ngt_f32_e64 s[0:1], 0.5, v14
	v_max_f32_e64 v36, |v8|, v15
	s_or_b64 s[0:1], vcc, s[0:1]
                                        ; implicit-def: $vgpr14
	s_and_saveexec_b64 s[6:7], s[0:1]
	s_xor_b64 s[6:7], exec, s[6:7]
	s_cbranch_execz .LBB210_64
; %bb.63:                               ;   in Loop: Header=BB210_50 Depth=1
	v_cvt_f64_f32_e32 v[37:38], v36
	v_cmp_neq_f32_e32 vcc, s10, v36
	v_frexp_exp_i32_f64_e32 v14, v[37:38]
	v_sub_u32_e32 v16, 0, v14
	v_ldexp_f32 v37, |v8|, v16
	v_ldexp_f32 v16, |v3|, v16
	v_mul_f32_e32 v16, v16, v16
	v_fmac_f32_e32 v16, v37, v37
	v_sqrt_f32_e32 v16, v16
	v_ldexp_f32 v14, v16, v14
	v_cndmask_b32_e32 v14, v27, v14, vcc
	v_cmp_gt_f32_e32 vcc, s11, v14
	v_cndmask_b32_e64 v16, 0, 32, vcc
	v_ldexp_f32 v14, v14, v16
	v_log_f32_e32 v14, v14
	v_mul_f32_e32 v16, 0x3f317217, v14
	v_fma_f32 v16, v14, s12, -v16
	v_fmac_f32_e32 v16, 0x3377d1cf, v14
	v_fmac_f32_e32 v16, 0x3f317217, v14
	v_cmp_lt_f32_e64 s[0:1], |v14|, s10
	v_cndmask_b32_e64 v14, v14, v16, s[0:1]
	v_cndmask_b32_e32 v16, 0, v28, vcc
	v_sub_f32_e32 v14, v14, v16
.LBB210_64:                             ;   in Loop: Header=BB210_50 Depth=1
	s_andn2_saveexec_b64 s[0:1], s[6:7]
	s_cbranch_execz .LBB210_68
; %bb.65:                               ;   in Loop: Header=BB210_50 Depth=1
	v_add_f32_e32 v14, 2.0, v2
	v_mul_f32_e32 v14, v2, v14
	v_fmac_f32_e32 v14, v3, v3
	v_cmp_neq_f32_e32 vcc, 0, v14
	s_and_saveexec_b64 s[6:7], vcc
	s_cbranch_execz .LBB210_67
; %bb.66:                               ;   in Loop: Header=BB210_50 Depth=1
	v_add_f32_e32 v2, 1.0, v14
	v_cvt_f64_f32_e32 v[37:38], v2
	v_add_f32_e32 v16, -1.0, v2
	v_sub_f32_e32 v39, v16, v2
	v_sub_f32_e32 v16, v14, v16
	v_frexp_exp_i32_f64_e32 v37, v[37:38]
	v_frexp_mant_f32_e32 v38, v2
	v_cmp_gt_f32_e32 vcc, s13, v38
	v_add_f32_e32 v39, 1.0, v39
	v_add_f32_e32 v16, v16, v39
	v_subbrev_co_u32_e32 v37, vcc, 0, v37, vcc
	v_sub_u32_e32 v38, 0, v37
	v_ldexp_f32 v2, v2, v38
	v_ldexp_f32 v16, v16, v38
	v_add_f32_e32 v38, -1.0, v2
	v_add_f32_e32 v39, 1.0, v2
	v_add_f32_e32 v40, 1.0, v38
	v_add_f32_e32 v42, -1.0, v39
	v_sub_f32_e32 v40, v2, v40
	v_sub_f32_e32 v2, v2, v42
	v_add_f32_e32 v2, v16, v2
	v_add_f32_e32 v40, v16, v40
	;; [unrolled: 1-line block ×3, first 2 shown]
	v_rcp_f32_e32 v42, v16
	v_add_f32_e32 v41, v38, v40
	v_sub_f32_e32 v39, v16, v39
	v_sub_f32_e32 v38, v41, v38
	;; [unrolled: 1-line block ×3, first 2 shown]
	v_mul_f32_e32 v39, v41, v42
	v_sub_f32_e32 v38, v40, v38
	v_mul_f32_e32 v40, v16, v39
	v_fma_f32 v43, v39, v16, -v40
	v_fmac_f32_e32 v43, v39, v2
	v_add_f32_e32 v44, v40, v43
	v_sub_f32_e32 v45, v41, v44
	v_sub_f32_e32 v41, v41, v45
	;; [unrolled: 1-line block ×4, first 2 shown]
	v_add_f32_e32 v38, v38, v41
	v_sub_f32_e32 v40, v40, v43
	v_add_f32_e32 v38, v40, v38
	v_add_f32_e32 v40, v45, v38
	v_mul_f32_e32 v41, v42, v40
	v_mul_f32_e32 v43, v16, v41
	v_fma_f32 v16, v41, v16, -v43
	v_fmac_f32_e32 v16, v41, v2
	v_sub_f32_e32 v2, v45, v40
	v_add_f32_e32 v2, v38, v2
	v_add_f32_e32 v38, v43, v16
	v_sub_f32_e32 v44, v40, v38
	v_sub_f32_e32 v40, v40, v44
	;; [unrolled: 1-line block ×4, first 2 shown]
	v_add_f32_e32 v2, v2, v38
	v_sub_f32_e32 v16, v43, v16
	v_cvt_f32_i32_e32 v37, v37
	v_add_f32_e32 v2, v16, v2
	v_add_f32_e32 v16, v39, v41
	;; [unrolled: 1-line block ×3, first 2 shown]
	v_sub_f32_e32 v38, v16, v39
	v_mul_f32_e32 v2, v42, v2
	v_sub_f32_e32 v38, v41, v38
	v_add_f32_e32 v2, v38, v2
	v_mul_f32_e32 v41, 0x3f317218, v37
	v_add_f32_e32 v38, v16, v2
	v_fma_f32 v42, v37, s14, -v41
	v_mul_f32_e32 v39, v38, v38
	v_mov_b32_e32 v40, 0x3ecc95a3
	v_fmac_f32_e32 v42, 0xb102e308, v37
	v_sub_f32_e32 v16, v38, v16
	v_fmac_f32_e32 v40, 0x3e9b6dac, v39
	v_sub_f32_e32 v2, v2, v16
	v_add_f32_e32 v16, v41, v42
	v_fma_f32 v40, v39, v40, v20
	v_sub_f32_e32 v37, v16, v41
	v_ldexp_f32 v41, v38, 1
	v_mul_f32_e32 v38, v38, v39
	v_mul_f32_e32 v38, v38, v40
	v_add_f32_e32 v39, v41, v38
	v_sub_f32_e32 v40, v39, v41
	v_ldexp_f32 v2, v2, 1
	v_sub_f32_e32 v38, v38, v40
	v_add_f32_e32 v2, v2, v38
	v_add_f32_e32 v38, v39, v2
	v_sub_f32_e32 v39, v38, v39
	v_sub_f32_e32 v2, v2, v39
	v_add_f32_e32 v39, v16, v38
	v_sub_f32_e32 v40, v39, v16
	v_sub_f32_e32 v41, v39, v40
	;; [unrolled: 1-line block ×5, first 2 shown]
	v_add_f32_e32 v16, v38, v16
	v_add_f32_e32 v38, v37, v2
	v_sub_f32_e32 v40, v38, v37
	v_sub_f32_e32 v41, v38, v40
	;; [unrolled: 1-line block ×4, first 2 shown]
	v_add_f32_e32 v16, v38, v16
	v_add_f32_e32 v2, v2, v37
	;; [unrolled: 1-line block ×3, first 2 shown]
	v_sub_f32_e32 v38, v37, v39
	v_sub_f32_e32 v16, v16, v38
	v_add_f32_e32 v2, v2, v16
	v_add_f32_e32 v2, v37, v2
	v_cmp_neq_f32_e32 vcc, s10, v14
	v_cndmask_b32_e32 v2, v27, v2, vcc
	v_cmp_ngt_f32_e32 vcc, -1.0, v14
	v_cndmask_b32_e32 v2, v29, v2, vcc
	v_cmp_neq_f32_e32 vcc, -1.0, v14
	v_cndmask_b32_e32 v2, v30, v2, vcc
	v_cmp_lt_f32_e64 vcc, |v14|, s15
	v_cndmask_b32_e32 v2, v2, v14, vcc
	v_mul_f32_e32 v2, 0.5, v2
.LBB210_67:                             ;   in Loop: Header=BB210_50 Depth=1
	s_or_b64 exec, exec, s[6:7]
	v_mov_b32_e32 v14, v2
.LBB210_68:                             ;   in Loop: Header=BB210_50 Depth=1
	s_or_b64 exec, exec, s[0:1]
	v_max_f32_e64 v2, |v4|, |v4|
	v_max_f32_e64 v37, |v5|, |v5|
	v_max_f32_e32 v16, v2, v37
	v_cvt_f64_f32_e32 v[38:39], v16
	v_cmp_eq_f32_e32 vcc, s10, v16
	v_frexp_exp_i32_f64_e32 v38, v[38:39]
	v_sub_u32_e32 v2, 0, v38
	v_ldexp_f32 v39, |v4|, v2
	v_ldexp_f32 v2, |v5|, v2
	v_mul_f32_e32 v2, v2, v2
	v_fmac_f32_e32 v2, v39, v39
	v_sqrt_f32_e32 v39, v2
	v_add_f32_e32 v2, 1.0, v4
	v_ldexp_f32 v16, v39, v38
	v_cmp_ngt_f32_e64 s[0:1], 0.5, v16
	v_max_f32_e64 v38, |v2|, v37
	s_or_b64 s[0:1], vcc, s[0:1]
	s_and_saveexec_b64 s[6:7], s[0:1]
	s_xor_b64 s[6:7], exec, s[6:7]
	s_cbranch_execz .LBB210_70
; %bb.69:                               ;   in Loop: Header=BB210_50 Depth=1
	v_cvt_f64_f32_e32 v[39:40], v38
	v_cmp_neq_f32_e32 vcc, s10, v38
	v_frexp_exp_i32_f64_e32 v16, v[39:40]
	v_sub_u32_e32 v39, 0, v16
	v_ldexp_f32 v40, |v2|, v39
	v_ldexp_f32 v39, |v5|, v39
	v_mul_f32_e32 v39, v39, v39
	v_fmac_f32_e32 v39, v40, v40
	v_sqrt_f32_e32 v39, v39
	v_ldexp_f32 v16, v39, v16
	v_cndmask_b32_e32 v16, v27, v16, vcc
	v_cmp_gt_f32_e32 vcc, s11, v16
	v_cndmask_b32_e64 v39, 0, 32, vcc
	v_ldexp_f32 v16, v16, v39
	v_log_f32_e32 v16, v16
	v_mul_f32_e32 v39, 0x3f317217, v16
	v_fma_f32 v39, v16, s12, -v39
	v_fmac_f32_e32 v39, 0x3377d1cf, v16
	v_fmac_f32_e32 v39, 0x3f317217, v16
	v_cmp_lt_f32_e64 s[0:1], |v16|, s10
	v_cndmask_b32_e64 v16, v16, v39, s[0:1]
	v_cndmask_b32_e32 v39, 0, v28, vcc
	v_sub_f32_e32 v16, v16, v39
.LBB210_70:                             ;   in Loop: Header=BB210_50 Depth=1
	s_andn2_saveexec_b64 s[0:1], s[6:7]
	s_cbranch_execz .LBB210_49
; %bb.71:                               ;   in Loop: Header=BB210_50 Depth=1
	v_add_f32_e32 v16, 2.0, v4
	v_mul_f32_e32 v16, v4, v16
	v_fmac_f32_e32 v16, v5, v5
	v_cmp_neq_f32_e32 vcc, 0, v16
	s_and_saveexec_b64 s[6:7], vcc
	s_cbranch_execz .LBB210_48
; %bb.72:                               ;   in Loop: Header=BB210_50 Depth=1
	v_add_f32_e32 v4, 1.0, v16
	v_cvt_f64_f32_e32 v[39:40], v4
	v_add_f32_e32 v41, -1.0, v4
	v_sub_f32_e32 v42, v41, v4
	v_sub_f32_e32 v41, v16, v41
	v_frexp_exp_i32_f64_e32 v39, v[39:40]
	v_frexp_mant_f32_e32 v40, v4
	v_cmp_gt_f32_e32 vcc, s13, v40
	v_add_f32_e32 v40, 1.0, v42
	v_add_f32_e32 v40, v41, v40
	v_subbrev_co_u32_e32 v39, vcc, 0, v39, vcc
	v_sub_u32_e32 v41, 0, v39
	v_ldexp_f32 v4, v4, v41
	v_ldexp_f32 v40, v40, v41
	v_add_f32_e32 v41, -1.0, v4
	v_add_f32_e32 v42, 1.0, v4
	v_add_f32_e32 v43, 1.0, v41
	v_add_f32_e32 v45, -1.0, v42
	v_sub_f32_e32 v43, v4, v43
	v_sub_f32_e32 v4, v4, v45
	v_add_f32_e32 v4, v40, v4
	v_add_f32_e32 v43, v40, v43
	;; [unrolled: 1-line block ×3, first 2 shown]
	v_rcp_f32_e32 v45, v40
	v_add_f32_e32 v44, v41, v43
	v_sub_f32_e32 v42, v40, v42
	v_sub_f32_e32 v41, v44, v41
	v_sub_f32_e32 v4, v4, v42
	v_mul_f32_e32 v42, v44, v45
	v_sub_f32_e32 v41, v43, v41
	v_mul_f32_e32 v43, v40, v42
	v_fma_f32 v46, v42, v40, -v43
	v_fmac_f32_e32 v46, v42, v4
	v_add_f32_e32 v47, v43, v46
	v_sub_f32_e32 v48, v44, v47
	v_sub_f32_e32 v44, v44, v48
	;; [unrolled: 1-line block ×4, first 2 shown]
	v_add_f32_e32 v41, v41, v44
	v_sub_f32_e32 v43, v43, v46
	v_add_f32_e32 v41, v43, v41
	v_add_f32_e32 v43, v48, v41
	v_mul_f32_e32 v44, v45, v43
	v_mul_f32_e32 v46, v40, v44
	v_fma_f32 v40, v44, v40, -v46
	v_fmac_f32_e32 v40, v44, v4
	v_sub_f32_e32 v4, v48, v43
	v_add_f32_e32 v4, v41, v4
	v_add_f32_e32 v41, v46, v40
	v_sub_f32_e32 v47, v43, v41
	v_sub_f32_e32 v43, v43, v47
	;; [unrolled: 1-line block ×4, first 2 shown]
	v_add_f32_e32 v4, v4, v41
	v_sub_f32_e32 v40, v46, v40
	v_cvt_f32_i32_e32 v39, v39
	v_add_f32_e32 v4, v40, v4
	v_add_f32_e32 v40, v42, v44
	;; [unrolled: 1-line block ×3, first 2 shown]
	v_sub_f32_e32 v41, v40, v42
	v_mul_f32_e32 v4, v45, v4
	v_sub_f32_e32 v41, v44, v41
	v_add_f32_e32 v4, v41, v4
	v_mul_f32_e32 v44, 0x3f317218, v39
	v_add_f32_e32 v41, v40, v4
	v_fma_f32 v45, v39, s14, -v44
	v_mul_f32_e32 v42, v41, v41
	v_mov_b32_e32 v43, 0x3ecc95a3
	v_fmac_f32_e32 v45, 0xb102e308, v39
	v_sub_f32_e32 v39, v41, v40
	v_fmac_f32_e32 v43, 0x3e9b6dac, v42
	v_sub_f32_e32 v4, v4, v39
	v_add_f32_e32 v39, v44, v45
	v_fma_f32 v43, v42, v43, v20
	v_sub_f32_e32 v40, v39, v44
	v_ldexp_f32 v44, v41, 1
	v_mul_f32_e32 v41, v41, v42
	v_mul_f32_e32 v41, v41, v43
	v_add_f32_e32 v42, v44, v41
	v_sub_f32_e32 v43, v42, v44
	v_ldexp_f32 v4, v4, 1
	v_sub_f32_e32 v41, v41, v43
	v_add_f32_e32 v4, v4, v41
	v_add_f32_e32 v41, v42, v4
	v_sub_f32_e32 v42, v41, v42
	v_sub_f32_e32 v4, v4, v42
	v_add_f32_e32 v42, v39, v41
	v_sub_f32_e32 v43, v42, v39
	v_sub_f32_e32 v44, v42, v43
	;; [unrolled: 1-line block ×5, first 2 shown]
	v_add_f32_e32 v39, v41, v39
	v_add_f32_e32 v41, v40, v4
	v_sub_f32_e32 v43, v41, v40
	v_sub_f32_e32 v44, v41, v43
	;; [unrolled: 1-line block ×4, first 2 shown]
	v_add_f32_e32 v39, v41, v39
	v_add_f32_e32 v4, v4, v40
	;; [unrolled: 1-line block ×3, first 2 shown]
	v_sub_f32_e32 v41, v40, v42
	v_sub_f32_e32 v39, v39, v41
	v_add_f32_e32 v4, v4, v39
	v_add_f32_e32 v4, v40, v4
	v_cmp_neq_f32_e32 vcc, s10, v16
	v_cndmask_b32_e32 v4, v27, v4, vcc
	v_cmp_ngt_f32_e32 vcc, -1.0, v16
	v_cndmask_b32_e32 v4, v29, v4, vcc
	v_cmp_neq_f32_e32 vcc, -1.0, v16
	v_cndmask_b32_e32 v4, v30, v4, vcc
	v_cmp_lt_f32_e64 vcc, |v16|, s15
	v_cndmask_b32_e32 v4, v4, v16, vcc
	v_mul_f32_e32 v4, 0.5, v4
	s_branch .LBB210_48
.LBB210_73:
	s_endpgm
	.section	.rodata,"a",@progbits
	.p2align	6, 0x0
	.amdhsa_kernel _ZN2at6native12_GLOBAL__N_125multi_tensor_apply_kernelINS1_18TensorListMetadataILi1EEENS1_14UnaryOpFunctorIN3c107complexIfEELi1ELi1ELi0EEEJNS0_5Log1pIS8_EEEEEvT_T0_DpT1_
		.amdhsa_group_segment_fixed_size 0
		.amdhsa_private_segment_fixed_size 0
		.amdhsa_kernarg_size 3632
		.amdhsa_user_sgpr_count 6
		.amdhsa_user_sgpr_private_segment_buffer 1
		.amdhsa_user_sgpr_dispatch_ptr 0
		.amdhsa_user_sgpr_queue_ptr 0
		.amdhsa_user_sgpr_kernarg_segment_ptr 1
		.amdhsa_user_sgpr_dispatch_id 0
		.amdhsa_user_sgpr_flat_scratch_init 0
		.amdhsa_user_sgpr_private_segment_size 0
		.amdhsa_uses_dynamic_stack 0
		.amdhsa_system_sgpr_private_segment_wavefront_offset 0
		.amdhsa_system_sgpr_workgroup_id_x 1
		.amdhsa_system_sgpr_workgroup_id_y 0
		.amdhsa_system_sgpr_workgroup_id_z 0
		.amdhsa_system_sgpr_workgroup_info 0
		.amdhsa_system_vgpr_workitem_id 0
		.amdhsa_next_free_vgpr 58
		.amdhsa_next_free_sgpr 42
		.amdhsa_reserve_vcc 1
		.amdhsa_reserve_flat_scratch 0
		.amdhsa_float_round_mode_32 0
		.amdhsa_float_round_mode_16_64 0
		.amdhsa_float_denorm_mode_32 3
		.amdhsa_float_denorm_mode_16_64 3
		.amdhsa_dx10_clamp 1
		.amdhsa_ieee_mode 1
		.amdhsa_fp16_overflow 0
		.amdhsa_exception_fp_ieee_invalid_op 0
		.amdhsa_exception_fp_denorm_src 0
		.amdhsa_exception_fp_ieee_div_zero 0
		.amdhsa_exception_fp_ieee_overflow 0
		.amdhsa_exception_fp_ieee_underflow 0
		.amdhsa_exception_fp_ieee_inexact 0
		.amdhsa_exception_int_div_zero 0
	.end_amdhsa_kernel
	.section	.text._ZN2at6native12_GLOBAL__N_125multi_tensor_apply_kernelINS1_18TensorListMetadataILi1EEENS1_14UnaryOpFunctorIN3c107complexIfEELi1ELi1ELi0EEEJNS0_5Log1pIS8_EEEEEvT_T0_DpT1_,"axG",@progbits,_ZN2at6native12_GLOBAL__N_125multi_tensor_apply_kernelINS1_18TensorListMetadataILi1EEENS1_14UnaryOpFunctorIN3c107complexIfEELi1ELi1ELi0EEEJNS0_5Log1pIS8_EEEEEvT_T0_DpT1_,comdat
.Lfunc_end210:
	.size	_ZN2at6native12_GLOBAL__N_125multi_tensor_apply_kernelINS1_18TensorListMetadataILi1EEENS1_14UnaryOpFunctorIN3c107complexIfEELi1ELi1ELi0EEEJNS0_5Log1pIS8_EEEEEvT_T0_DpT1_, .Lfunc_end210-_ZN2at6native12_GLOBAL__N_125multi_tensor_apply_kernelINS1_18TensorListMetadataILi1EEENS1_14UnaryOpFunctorIN3c107complexIfEELi1ELi1ELi0EEEJNS0_5Log1pIS8_EEEEEvT_T0_DpT1_
                                        ; -- End function
	.set _ZN2at6native12_GLOBAL__N_125multi_tensor_apply_kernelINS1_18TensorListMetadataILi1EEENS1_14UnaryOpFunctorIN3c107complexIfEELi1ELi1ELi0EEEJNS0_5Log1pIS8_EEEEEvT_T0_DpT1_.num_vgpr, 58
	.set _ZN2at6native12_GLOBAL__N_125multi_tensor_apply_kernelINS1_18TensorListMetadataILi1EEENS1_14UnaryOpFunctorIN3c107complexIfEELi1ELi1ELi0EEEJNS0_5Log1pIS8_EEEEEvT_T0_DpT1_.num_agpr, 0
	.set _ZN2at6native12_GLOBAL__N_125multi_tensor_apply_kernelINS1_18TensorListMetadataILi1EEENS1_14UnaryOpFunctorIN3c107complexIfEELi1ELi1ELi0EEEJNS0_5Log1pIS8_EEEEEvT_T0_DpT1_.numbered_sgpr, 42
	.set _ZN2at6native12_GLOBAL__N_125multi_tensor_apply_kernelINS1_18TensorListMetadataILi1EEENS1_14UnaryOpFunctorIN3c107complexIfEELi1ELi1ELi0EEEJNS0_5Log1pIS8_EEEEEvT_T0_DpT1_.num_named_barrier, 0
	.set _ZN2at6native12_GLOBAL__N_125multi_tensor_apply_kernelINS1_18TensorListMetadataILi1EEENS1_14UnaryOpFunctorIN3c107complexIfEELi1ELi1ELi0EEEJNS0_5Log1pIS8_EEEEEvT_T0_DpT1_.private_seg_size, 0
	.set _ZN2at6native12_GLOBAL__N_125multi_tensor_apply_kernelINS1_18TensorListMetadataILi1EEENS1_14UnaryOpFunctorIN3c107complexIfEELi1ELi1ELi0EEEJNS0_5Log1pIS8_EEEEEvT_T0_DpT1_.uses_vcc, 1
	.set _ZN2at6native12_GLOBAL__N_125multi_tensor_apply_kernelINS1_18TensorListMetadataILi1EEENS1_14UnaryOpFunctorIN3c107complexIfEELi1ELi1ELi0EEEJNS0_5Log1pIS8_EEEEEvT_T0_DpT1_.uses_flat_scratch, 0
	.set _ZN2at6native12_GLOBAL__N_125multi_tensor_apply_kernelINS1_18TensorListMetadataILi1EEENS1_14UnaryOpFunctorIN3c107complexIfEELi1ELi1ELi0EEEJNS0_5Log1pIS8_EEEEEvT_T0_DpT1_.has_dyn_sized_stack, 0
	.set _ZN2at6native12_GLOBAL__N_125multi_tensor_apply_kernelINS1_18TensorListMetadataILi1EEENS1_14UnaryOpFunctorIN3c107complexIfEELi1ELi1ELi0EEEJNS0_5Log1pIS8_EEEEEvT_T0_DpT1_.has_recursion, 0
	.set _ZN2at6native12_GLOBAL__N_125multi_tensor_apply_kernelINS1_18TensorListMetadataILi1EEENS1_14UnaryOpFunctorIN3c107complexIfEELi1ELi1ELi0EEEJNS0_5Log1pIS8_EEEEEvT_T0_DpT1_.has_indirect_call, 0
	.section	.AMDGPU.csdata,"",@progbits
; Kernel info:
; codeLenInByte = 9916
; TotalNumSgprs: 46
; NumVgprs: 58
; ScratchSize: 0
; MemoryBound: 0
; FloatMode: 240
; IeeeMode: 1
; LDSByteSize: 0 bytes/workgroup (compile time only)
; SGPRBlocks: 5
; VGPRBlocks: 14
; NumSGPRsForWavesPerEU: 46
; NumVGPRsForWavesPerEU: 58
; Occupancy: 4
; WaveLimiterHint : 0
; COMPUTE_PGM_RSRC2:SCRATCH_EN: 0
; COMPUTE_PGM_RSRC2:USER_SGPR: 6
; COMPUTE_PGM_RSRC2:TRAP_HANDLER: 0
; COMPUTE_PGM_RSRC2:TGID_X_EN: 1
; COMPUTE_PGM_RSRC2:TGID_Y_EN: 0
; COMPUTE_PGM_RSRC2:TGID_Z_EN: 0
; COMPUTE_PGM_RSRC2:TIDIG_COMP_CNT: 0
	.section	.text._ZN2at6native12_GLOBAL__N_125multi_tensor_apply_kernelINS1_18TensorListMetadataILi1EEENS1_14UnaryOpFunctorIN3c104HalfELi1ELi1ELi0EEEJNS0_5Log1pIfEEEEEvT_T0_DpT1_,"axG",@progbits,_ZN2at6native12_GLOBAL__N_125multi_tensor_apply_kernelINS1_18TensorListMetadataILi1EEENS1_14UnaryOpFunctorIN3c104HalfELi1ELi1ELi0EEEJNS0_5Log1pIfEEEEEvT_T0_DpT1_,comdat
	.globl	_ZN2at6native12_GLOBAL__N_125multi_tensor_apply_kernelINS1_18TensorListMetadataILi1EEENS1_14UnaryOpFunctorIN3c104HalfELi1ELi1ELi0EEEJNS0_5Log1pIfEEEEEvT_T0_DpT1_ ; -- Begin function _ZN2at6native12_GLOBAL__N_125multi_tensor_apply_kernelINS1_18TensorListMetadataILi1EEENS1_14UnaryOpFunctorIN3c104HalfELi1ELi1ELi0EEEJNS0_5Log1pIfEEEEEvT_T0_DpT1_
	.p2align	8
	.type	_ZN2at6native12_GLOBAL__N_125multi_tensor_apply_kernelINS1_18TensorListMetadataILi1EEENS1_14UnaryOpFunctorIN3c104HalfELi1ELi1ELi0EEEJNS0_5Log1pIfEEEEEvT_T0_DpT1_,@function
_ZN2at6native12_GLOBAL__N_125multi_tensor_apply_kernelINS1_18TensorListMetadataILi1EEENS1_14UnaryOpFunctorIN3c104HalfELi1ELi1ELi0EEEJNS0_5Log1pIfEEEEEvT_T0_DpT1_: ; @_ZN2at6native12_GLOBAL__N_125multi_tensor_apply_kernelINS1_18TensorListMetadataILi1EEENS1_14UnaryOpFunctorIN3c104HalfELi1ELi1ELi0EEEJNS0_5Log1pIfEEEEEvT_T0_DpT1_
; %bb.0:
	v_mov_b32_e32 v1, s6
	global_load_ubyte v1, v1, s[4:5] offset:1760
	s_add_u32 s0, s4, s6
	s_mul_hi_u32 s1, s6, 3
	s_mul_i32 s6, s6, 3
	s_addc_u32 s2, s5, 0
	s_add_u32 s0, s0, s6
	s_addc_u32 s1, s2, s1
	s_load_dword s0, s[0:1], 0x820
	s_mov_b32 s7, 0
	s_waitcnt vmcnt(0)
	v_readfirstlane_b32 s1, v1
	s_lshl_b32 s1, s1, 3
	s_load_dwordx2 s[2:3], s[4:5], s1 offset:0x370
	s_load_dwordx2 s[10:11], s[4:5], s1 offset:0x0
	s_waitcnt lgkmcnt(0)
	s_ashr_i32 s1, s0, 31
	s_lshl_b64 s[12:13], s[0:1], 17
	s_lshl_b64 s[0:1], s[0:1], 16
	s_and_b32 s6, s10, 7
	s_sub_u32 s14, s2, s0
	s_subb_u32 s15, s3, s1
	s_and_b32 s0, s2, 3
	s_mov_b32 s1, s7
	s_or_b64 s[0:1], s[6:7], s[0:1]
	s_cmp_eq_u64 s[0:1], 0
	s_cbranch_scc1 .LBB211_21
; %bb.1:
	v_cmp_lt_i64_e64 s[0:1], s[14:15], 1
	s_and_b64 vcc, exec, s[0:1]
	s_cbranch_vccnz .LBB211_20
; %bb.2:
	v_mov_b32_e32 v1, 0x10000
	s_load_dword s2, s[4:5], 0xd3c
	v_mov_b32_e32 v2, 0
	v_cmp_lt_i64_e32 vcc, s[14:15], v[1:2]
	s_mov_b64 s[20:21], 0
	s_and_b64 s[0:1], vcc, exec
	v_cmp_lt_u64_e32 vcc, s[14:15], v[1:2]
	s_cselect_b32 s17, s15, 0
	s_cselect_b32 s16, s14, 0x10000
	s_waitcnt lgkmcnt(0)
	s_and_b32 s2, s2, 0xffff
	s_and_b64 s[0:1], vcc, exec
	s_cselect_b32 s19, s15, 0
	s_cselect_b32 s18, s14, 0x10000
	s_lshl_b32 s3, s2, 1
	s_lshl_b32 s24, s2, 2
	s_add_u32 s6, s10, s12
	v_lshlrev_b32_e32 v1, 1, v0
	s_addc_u32 s7, s11, s13
	v_mov_b32_e32 v2, s7
	v_add_co_u32_e32 v1, vcc, s6, v1
	s_mul_i32 s0, s2, 3
	v_addc_co_u32_e32 v2, vcc, 0, v2, vcc
	v_add_co_u32_e32 v5, vcc, s0, v0
	v_addc_co_u32_e64 v6, s[0:1], 0, 0, vcc
	v_add_co_u32_e32 v7, vcc, s3, v0
	v_addc_co_u32_e64 v8, s[0:1], 0, 0, vcc
	v_add_co_u32_e32 v9, vcc, s2, v0
	v_lshlrev_b32_e32 v3, 1, v9
	v_addc_co_u32_e64 v10, s[0:1], 0, 0, vcc
	v_mov_b32_e32 v4, s7
	v_add_co_u32_e32 v3, vcc, s6, v3
	s_lshl_b32 s25, s2, 3
	s_mul_i32 s26, s2, 6
	v_addc_co_u32_e32 v4, vcc, 0, v4, vcc
	s_mov_b32 s27, 0x33800000
	s_mov_b32 s28, 0x3f2aaaab
	;; [unrolled: 1-line block ×3, first 2 shown]
	v_mov_b32_e32 v11, 0x3f2aaada
	s_movk_i32 s30, 0x7c00
	v_mov_b32_e32 v12, 0x7c00
	v_mov_b32_e32 v13, 0x7e00
	;; [unrolled: 1-line block ×3, first 2 shown]
	s_branch .LBB211_4
.LBB211_3:                              ;   in Loop: Header=BB211_4 Depth=1
	s_or_b64 exec, exec, s[0:1]
	s_add_u32 s20, s20, s24
	v_add_co_u32_e32 v1, vcc, s25, v1
	s_waitcnt vmcnt(0)
	v_mov_b32_e32 v15, s16
	s_addc_u32 s21, s21, 0
	v_addc_co_u32_e32 v2, vcc, 0, v2, vcc
	v_mov_b32_e32 v16, s17
	v_cmp_lt_i64_e32 vcc, s[20:21], v[15:16]
	v_add_co_u32_e64 v3, s[0:1], s25, v3
	v_addc_co_u32_e64 v4, s[0:1], 0, v4, s[0:1]
	s_cbranch_vccz .LBB211_20
.LBB211_4:                              ; =>This Inner Loop Header: Depth=1
	v_mov_b32_e32 v16, s21
	v_add_co_u32_e32 v15, vcc, s20, v0
	v_addc_co_u32_e32 v16, vcc, 0, v16, vcc
	v_cmp_gt_u64_e64 s[6:7], s[18:19], v[15:16]
	v_mov_b32_e32 v18, 0
	s_and_saveexec_b64 s[0:1], s[6:7]
	s_cbranch_execz .LBB211_6
; %bb.5:                                ;   in Loop: Header=BB211_4 Depth=1
	global_load_ushort v18, v[1:2], off
.LBB211_6:                              ;   in Loop: Header=BB211_4 Depth=1
	s_or_b64 exec, exec, s[0:1]
	v_mov_b32_e32 v16, s21
	v_add_co_u32_e32 v15, vcc, s20, v9
	v_addc_co_u32_e32 v16, vcc, v10, v16, vcc
	v_cmp_gt_u64_e64 s[2:3], s[18:19], v[15:16]
	v_mov_b32_e32 v16, 0
	v_mov_b32_e32 v17, 0
	s_and_saveexec_b64 s[0:1], s[2:3]
	s_cbranch_execz .LBB211_8
; %bb.7:                                ;   in Loop: Header=BB211_4 Depth=1
	global_load_ushort v17, v[3:4], off
.LBB211_8:                              ;   in Loop: Header=BB211_4 Depth=1
	s_or_b64 exec, exec, s[0:1]
	v_mov_b32_e32 v15, s21
	v_add_co_u32_e32 v19, vcc, s20, v7
	v_addc_co_u32_e32 v20, vcc, v8, v15, vcc
	v_cmp_gt_u64_e64 s[0:1], s[18:19], v[19:20]
	s_and_saveexec_b64 s[8:9], s[0:1]
	s_cbranch_execz .LBB211_10
; %bb.9:                                ;   in Loop: Header=BB211_4 Depth=1
	v_add_co_u32_e32 v15, vcc, s24, v1
	v_addc_co_u32_e32 v16, vcc, 0, v2, vcc
	global_load_ushort v16, v[15:16], off
.LBB211_10:                             ;   in Loop: Header=BB211_4 Depth=1
	s_or_b64 exec, exec, s[8:9]
	v_mov_b32_e32 v15, s21
	v_add_co_u32_e32 v19, vcc, s20, v5
	v_addc_co_u32_e32 v20, vcc, v6, v15, vcc
	v_cmp_gt_u64_e32 vcc, s[18:19], v[19:20]
	v_mov_b32_e32 v15, 0
	s_and_saveexec_b64 s[22:23], vcc
	s_cbranch_execnz .LBB211_15
; %bb.11:                               ;   in Loop: Header=BB211_4 Depth=1
	s_or_b64 exec, exec, s[22:23]
	s_and_saveexec_b64 s[8:9], s[6:7]
	s_cbranch_execnz .LBB211_16
.LBB211_12:                             ;   in Loop: Header=BB211_4 Depth=1
	s_or_b64 exec, exec, s[8:9]
	s_and_saveexec_b64 s[6:7], s[2:3]
	s_cbranch_execnz .LBB211_17
.LBB211_13:                             ;   in Loop: Header=BB211_4 Depth=1
	s_or_b64 exec, exec, s[6:7]
	s_and_saveexec_b64 s[2:3], s[0:1]
	s_cbranch_execnz .LBB211_18
.LBB211_14:                             ;   in Loop: Header=BB211_4 Depth=1
	s_or_b64 exec, exec, s[2:3]
	s_and_saveexec_b64 s[0:1], vcc
	s_cbranch_execz .LBB211_3
	s_branch .LBB211_19
.LBB211_15:                             ;   in Loop: Header=BB211_4 Depth=1
	v_add_co_u32_e64 v19, s[8:9], s26, v1
	v_addc_co_u32_e64 v20, s[8:9], 0, v2, s[8:9]
	global_load_ushort v15, v[19:20], off
	s_or_b64 exec, exec, s[22:23]
	s_and_saveexec_b64 s[8:9], s[6:7]
	s_cbranch_execz .LBB211_12
.LBB211_16:                             ;   in Loop: Header=BB211_4 Depth=1
	s_waitcnt vmcnt(0)
	v_cvt_f32_f16_e32 v21, v18
	v_add_f32_e32 v22, 1.0, v21
	v_cvt_f64_f32_e32 v[19:20], v22
	v_frexp_mant_f32_e32 v23, v22
	v_cmp_gt_f32_e64 s[6:7], s28, v23
	v_frexp_exp_i32_f64_e32 v19, v[19:20]
	v_add_f32_e32 v20, -1.0, v22
	v_sub_f32_e32 v24, v21, v20
	v_sub_f32_e32 v20, v20, v22
	v_add_f32_e32 v20, 1.0, v20
	v_add_f32_e32 v20, v24, v20
	v_subbrev_co_u32_e64 v19, s[6:7], 0, v19, s[6:7]
	v_cvt_f32_i32_e32 v23, v19
	v_sub_u32_e32 v19, 0, v19
	v_ldexp_f32 v22, v22, v19
	v_add_f32_e32 v24, 1.0, v22
	v_add_f32_e32 v26, -1.0, v24
	v_ldexp_f32 v19, v20, v19
	v_sub_f32_e32 v26, v22, v26
	v_add_f32_e32 v26, v19, v26
	v_add_f32_e32 v20, -1.0, v22
	v_add_f32_e32 v29, v24, v26
	v_add_f32_e32 v25, 1.0, v20
	v_rcp_f32_e32 v30, v29
	v_sub_f32_e32 v22, v22, v25
	v_add_f32_e32 v19, v19, v22
	v_add_f32_e32 v22, v20, v19
	v_mul_f32_e32 v25, v22, v30
	v_mul_f32_e32 v31, v29, v25
	v_sub_f32_e32 v24, v29, v24
	v_sub_f32_e32 v24, v26, v24
	v_fma_f32 v26, v25, v29, -v31
	v_fmac_f32_e32 v26, v25, v24
	v_add_f32_e32 v32, v31, v26
	v_sub_f32_e32 v31, v32, v31
	v_sub_f32_e32 v26, v31, v26
	v_sub_f32_e32 v31, v22, v32
	v_sub_f32_e32 v20, v22, v20
	v_sub_f32_e32 v19, v19, v20
	v_sub_f32_e32 v20, v22, v31
	v_sub_f32_e32 v20, v20, v32
	v_add_f32_e32 v19, v19, v20
	v_add_f32_e32 v19, v26, v19
	;; [unrolled: 1-line block ×3, first 2 shown]
	v_mul_f32_e32 v22, v30, v20
	v_mul_f32_e32 v32, v29, v22
	v_add_f32_e32 v26, v25, v22
	v_fma_f32 v29, v22, v29, -v32
	v_sub_f32_e32 v25, v26, v25
	v_fmac_f32_e32 v29, v22, v24
	v_sub_f32_e32 v25, v22, v25
	v_add_f32_e32 v22, v32, v29
	v_sub_f32_e32 v24, v20, v22
	v_sub_f32_e32 v31, v31, v20
	;; [unrolled: 1-line block ×4, first 2 shown]
	v_add_f32_e32 v19, v19, v31
	v_sub_f32_e32 v20, v20, v22
	v_sub_f32_e32 v29, v32, v29
	v_add_f32_e32 v19, v19, v20
	v_add_f32_e32 v19, v29, v19
	;; [unrolled: 1-line block ×3, first 2 shown]
	v_mul_f32_e32 v19, v30, v19
	v_add_f32_e32 v19, v25, v19
	v_add_f32_e32 v20, v26, v19
	v_mul_f32_e32 v24, v20, v20
	v_mov_b32_e32 v29, 0x3ecc95a3
	v_fmac_f32_e32 v29, 0x3e9b6dac, v24
	v_mul_f32_e32 v25, v20, v24
	v_fma_f32 v24, v24, v29, v11
	v_ldexp_f32 v22, v20, 1
	v_mul_f32_e32 v24, v25, v24
	v_add_f32_e32 v25, v22, v24
	v_sub_f32_e32 v20, v20, v26
	v_mul_f32_e32 v27, 0x3f317218, v23
	v_sub_f32_e32 v19, v19, v20
	v_sub_f32_e32 v20, v25, v22
	v_fma_f32 v28, v23, s29, -v27
	v_ldexp_f32 v19, v19, 1
	v_sub_f32_e32 v20, v24, v20
	v_fmac_f32_e32 v28, 0xb102e308, v23
	v_add_f32_e32 v19, v19, v20
	v_add_f32_e32 v23, v27, v28
	;; [unrolled: 1-line block ×4, first 2 shown]
	v_sub_f32_e32 v26, v22, v23
	v_sub_f32_e32 v24, v23, v27
	;; [unrolled: 1-line block ×8, first 2 shown]
	v_add_f32_e32 v25, v24, v19
	v_add_f32_e32 v20, v20, v23
	;; [unrolled: 1-line block ×3, first 2 shown]
	v_sub_f32_e32 v26, v25, v24
	v_add_f32_e32 v23, v22, v20
	v_sub_f32_e32 v25, v25, v26
	v_sub_f32_e32 v19, v19, v26
	;; [unrolled: 1-line block ×4, first 2 shown]
	v_add_f32_e32 v19, v19, v24
	v_sub_f32_e32 v20, v20, v22
	v_add_f32_e32 v19, v19, v20
	v_add_f32_e32 v19, v23, v19
	v_cvt_f16_f32_e32 v19, v19
	v_cmp_neq_f16_e64 s[6:7], s30, v18
	v_cndmask_b32_e64 v19, v12, v19, s[6:7]
	v_cmp_ngt_f16_e64 s[6:7], -1.0, v18
	v_cndmask_b32_e64 v19, v13, v19, s[6:7]
	v_cmp_neq_f16_e64 s[6:7], -1.0, v18
	v_cndmask_b32_e64 v19, v14, v19, s[6:7]
	v_cmp_lt_f32_e64 s[6:7], |v21|, s27
	v_cndmask_b32_e64 v18, v19, v18, s[6:7]
	global_store_short v[1:2], v18, off
	s_or_b64 exec, exec, s[8:9]
	s_and_saveexec_b64 s[6:7], s[2:3]
	s_cbranch_execz .LBB211_13
.LBB211_17:                             ;   in Loop: Header=BB211_4 Depth=1
	s_waitcnt vmcnt(0)
	v_cvt_f32_f16_e32 v20, v17
	v_add_f32_e32 v21, 1.0, v20
	v_cvt_f64_f32_e32 v[18:19], v21
	v_add_f32_e32 v22, -1.0, v21
	v_sub_f32_e32 v23, v22, v21
	v_sub_f32_e32 v22, v20, v22
	v_frexp_exp_i32_f64_e32 v18, v[18:19]
	v_frexp_mant_f32_e32 v19, v21
	v_cmp_gt_f32_e64 s[2:3], s28, v19
	v_add_f32_e32 v23, 1.0, v23
	v_add_f32_e32 v22, v22, v23
	v_subbrev_co_u32_e64 v18, s[2:3], 0, v18, s[2:3]
	v_sub_u32_e32 v19, 0, v18
	v_ldexp_f32 v21, v21, v19
	v_ldexp_f32 v19, v22, v19
	v_add_f32_e32 v22, -1.0, v21
	v_add_f32_e32 v23, 1.0, v21
	v_add_f32_e32 v24, 1.0, v22
	v_add_f32_e32 v25, -1.0, v23
	v_sub_f32_e32 v24, v21, v24
	v_sub_f32_e32 v21, v21, v25
	v_add_f32_e32 v24, v19, v24
	v_add_f32_e32 v19, v19, v21
	;; [unrolled: 1-line block ×3, first 2 shown]
	v_rcp_f32_e32 v26, v25
	v_add_f32_e32 v21, v22, v24
	v_sub_f32_e32 v23, v25, v23
	v_sub_f32_e32 v22, v21, v22
	;; [unrolled: 1-line block ×3, first 2 shown]
	v_mul_f32_e32 v23, v21, v26
	v_sub_f32_e32 v22, v24, v22
	v_mul_f32_e32 v24, v25, v23
	v_fma_f32 v27, v23, v25, -v24
	v_fmac_f32_e32 v27, v23, v19
	v_add_f32_e32 v28, v24, v27
	v_sub_f32_e32 v29, v21, v28
	v_sub_f32_e32 v21, v21, v29
	;; [unrolled: 1-line block ×4, first 2 shown]
	v_add_f32_e32 v21, v22, v21
	v_sub_f32_e32 v22, v24, v27
	v_add_f32_e32 v21, v22, v21
	v_add_f32_e32 v22, v29, v21
	v_mul_f32_e32 v24, v26, v22
	v_mul_f32_e32 v27, v25, v24
	v_fma_f32 v25, v24, v25, -v27
	v_fmac_f32_e32 v25, v24, v19
	v_sub_f32_e32 v19, v29, v22
	v_add_f32_e32 v19, v21, v19
	v_add_f32_e32 v21, v27, v25
	v_sub_f32_e32 v28, v22, v21
	v_sub_f32_e32 v22, v22, v28
	;; [unrolled: 1-line block ×4, first 2 shown]
	v_add_f32_e32 v19, v19, v21
	v_sub_f32_e32 v21, v27, v25
	v_cvt_f32_i32_e32 v18, v18
	v_add_f32_e32 v19, v21, v19
	v_add_f32_e32 v21, v23, v24
	;; [unrolled: 1-line block ×3, first 2 shown]
	v_sub_f32_e32 v22, v21, v23
	v_mul_f32_e32 v19, v26, v19
	v_sub_f32_e32 v22, v24, v22
	v_add_f32_e32 v19, v22, v19
	v_mul_f32_e32 v25, 0x3f317218, v18
	v_add_f32_e32 v22, v21, v19
	v_fma_f32 v26, v18, s29, -v25
	v_mul_f32_e32 v23, v22, v22
	v_mov_b32_e32 v24, 0x3ecc95a3
	v_fmac_f32_e32 v26, 0xb102e308, v18
	v_sub_f32_e32 v18, v22, v21
	v_fmac_f32_e32 v24, 0x3e9b6dac, v23
	v_sub_f32_e32 v18, v19, v18
	v_add_f32_e32 v19, v25, v26
	v_fma_f32 v24, v23, v24, v11
	v_sub_f32_e32 v21, v19, v25
	v_ldexp_f32 v25, v22, 1
	v_mul_f32_e32 v22, v22, v23
	v_mul_f32_e32 v22, v22, v24
	v_add_f32_e32 v23, v25, v22
	v_sub_f32_e32 v24, v23, v25
	v_ldexp_f32 v18, v18, 1
	v_sub_f32_e32 v22, v22, v24
	v_add_f32_e32 v18, v18, v22
	v_add_f32_e32 v22, v23, v18
	v_sub_f32_e32 v23, v22, v23
	v_sub_f32_e32 v18, v18, v23
	v_add_f32_e32 v23, v19, v22
	v_sub_f32_e32 v24, v23, v19
	v_sub_f32_e32 v25, v23, v24
	;; [unrolled: 1-line block ×5, first 2 shown]
	v_add_f32_e32 v19, v22, v19
	v_add_f32_e32 v22, v21, v18
	v_sub_f32_e32 v24, v22, v21
	v_sub_f32_e32 v25, v22, v24
	;; [unrolled: 1-line block ×4, first 2 shown]
	v_add_f32_e32 v19, v22, v19
	v_add_f32_e32 v18, v18, v21
	;; [unrolled: 1-line block ×3, first 2 shown]
	v_sub_f32_e32 v22, v21, v23
	v_sub_f32_e32 v19, v19, v22
	v_add_f32_e32 v18, v18, v19
	v_add_f32_e32 v18, v21, v18
	v_cvt_f16_f32_e32 v18, v18
	v_cmp_neq_f16_e64 s[2:3], s30, v17
	v_cndmask_b32_e64 v18, v12, v18, s[2:3]
	v_cmp_ngt_f16_e64 s[2:3], -1.0, v17
	v_cndmask_b32_e64 v18, v13, v18, s[2:3]
	v_cmp_neq_f16_e64 s[2:3], -1.0, v17
	v_cndmask_b32_e64 v18, v14, v18, s[2:3]
	v_cmp_lt_f32_e64 s[2:3], |v20|, s27
	v_cndmask_b32_e64 v17, v18, v17, s[2:3]
	global_store_short v[3:4], v17, off
	s_or_b64 exec, exec, s[6:7]
	s_and_saveexec_b64 s[2:3], s[0:1]
	s_cbranch_execz .LBB211_14
.LBB211_18:                             ;   in Loop: Header=BB211_4 Depth=1
	s_waitcnt vmcnt(0)
	v_cvt_f32_f16_e32 v19, v16
	v_add_f32_e32 v20, 1.0, v19
	v_cvt_f64_f32_e32 v[17:18], v20
	v_add_f32_e32 v21, -1.0, v20
	v_sub_f32_e32 v22, v21, v20
	v_sub_f32_e32 v21, v19, v21
	v_frexp_exp_i32_f64_e32 v17, v[17:18]
	v_frexp_mant_f32_e32 v18, v20
	v_cmp_gt_f32_e64 s[0:1], s28, v18
	v_add_f32_e32 v22, 1.0, v22
	v_add_f32_e32 v21, v21, v22
	v_subbrev_co_u32_e64 v17, s[0:1], 0, v17, s[0:1]
	v_sub_u32_e32 v18, 0, v17
	v_ldexp_f32 v20, v20, v18
	v_ldexp_f32 v18, v21, v18
	v_add_f32_e32 v21, -1.0, v20
	v_add_f32_e32 v22, 1.0, v20
	v_add_f32_e32 v23, 1.0, v21
	v_add_f32_e32 v24, -1.0, v22
	v_sub_f32_e32 v23, v20, v23
	v_sub_f32_e32 v20, v20, v24
	v_add_f32_e32 v23, v18, v23
	v_add_f32_e32 v18, v18, v20
	;; [unrolled: 1-line block ×3, first 2 shown]
	v_rcp_f32_e32 v25, v24
	v_add_f32_e32 v20, v21, v23
	v_sub_f32_e32 v22, v24, v22
	v_sub_f32_e32 v21, v20, v21
	;; [unrolled: 1-line block ×3, first 2 shown]
	v_mul_f32_e32 v22, v20, v25
	v_sub_f32_e32 v21, v23, v21
	v_mul_f32_e32 v23, v24, v22
	v_fma_f32 v26, v22, v24, -v23
	v_fmac_f32_e32 v26, v22, v18
	v_add_f32_e32 v27, v23, v26
	v_sub_f32_e32 v28, v20, v27
	v_sub_f32_e32 v20, v20, v28
	;; [unrolled: 1-line block ×4, first 2 shown]
	v_add_f32_e32 v20, v21, v20
	v_sub_f32_e32 v21, v23, v26
	v_add_f32_e32 v20, v21, v20
	v_add_f32_e32 v21, v28, v20
	v_mul_f32_e32 v23, v25, v21
	v_mul_f32_e32 v26, v24, v23
	v_fma_f32 v24, v23, v24, -v26
	v_fmac_f32_e32 v24, v23, v18
	v_sub_f32_e32 v18, v28, v21
	v_add_f32_e32 v18, v20, v18
	v_add_f32_e32 v20, v26, v24
	v_sub_f32_e32 v27, v21, v20
	v_sub_f32_e32 v21, v21, v27
	;; [unrolled: 1-line block ×4, first 2 shown]
	v_add_f32_e32 v18, v18, v20
	v_sub_f32_e32 v20, v26, v24
	v_cvt_f32_i32_e32 v17, v17
	v_add_f32_e32 v18, v20, v18
	v_add_f32_e32 v20, v22, v23
	;; [unrolled: 1-line block ×3, first 2 shown]
	v_sub_f32_e32 v21, v20, v22
	v_mul_f32_e32 v18, v25, v18
	v_sub_f32_e32 v21, v23, v21
	v_add_f32_e32 v18, v21, v18
	v_mul_f32_e32 v24, 0x3f317218, v17
	v_add_f32_e32 v21, v20, v18
	v_fma_f32 v25, v17, s29, -v24
	v_mul_f32_e32 v22, v21, v21
	v_mov_b32_e32 v23, 0x3ecc95a3
	v_fmac_f32_e32 v25, 0xb102e308, v17
	v_sub_f32_e32 v17, v21, v20
	v_fmac_f32_e32 v23, 0x3e9b6dac, v22
	v_sub_f32_e32 v17, v18, v17
	v_add_f32_e32 v18, v24, v25
	v_fma_f32 v23, v22, v23, v11
	v_sub_f32_e32 v20, v18, v24
	v_ldexp_f32 v24, v21, 1
	v_mul_f32_e32 v21, v21, v22
	v_mul_f32_e32 v21, v21, v23
	v_add_f32_e32 v22, v24, v21
	v_sub_f32_e32 v23, v22, v24
	v_ldexp_f32 v17, v17, 1
	v_sub_f32_e32 v21, v21, v23
	v_add_f32_e32 v17, v17, v21
	v_add_f32_e32 v21, v22, v17
	v_sub_f32_e32 v22, v21, v22
	v_sub_f32_e32 v17, v17, v22
	v_add_f32_e32 v22, v18, v21
	v_sub_f32_e32 v23, v22, v18
	v_sub_f32_e32 v24, v22, v23
	;; [unrolled: 1-line block ×5, first 2 shown]
	v_add_f32_e32 v18, v21, v18
	v_add_f32_e32 v21, v20, v17
	v_sub_f32_e32 v23, v21, v20
	v_sub_f32_e32 v24, v21, v23
	;; [unrolled: 1-line block ×4, first 2 shown]
	v_add_f32_e32 v18, v21, v18
	v_add_f32_e32 v17, v17, v20
	;; [unrolled: 1-line block ×3, first 2 shown]
	v_sub_f32_e32 v21, v20, v22
	v_sub_f32_e32 v18, v18, v21
	v_add_f32_e32 v17, v17, v18
	v_add_f32_e32 v17, v20, v17
	v_cvt_f16_f32_e32 v17, v17
	v_cmp_neq_f16_e64 s[0:1], s30, v16
	v_cndmask_b32_e64 v17, v12, v17, s[0:1]
	v_cmp_ngt_f16_e64 s[0:1], -1.0, v16
	v_cndmask_b32_e64 v17, v13, v17, s[0:1]
	v_cmp_neq_f16_e64 s[0:1], -1.0, v16
	v_cndmask_b32_e64 v17, v14, v17, s[0:1]
	v_cmp_lt_f32_e64 s[0:1], |v19|, s27
	v_cndmask_b32_e64 v18, v17, v16, s[0:1]
	v_add_co_u32_e64 v16, s[0:1], s24, v1
	v_addc_co_u32_e64 v17, s[0:1], 0, v2, s[0:1]
	global_store_short v[16:17], v18, off
	s_or_b64 exec, exec, s[2:3]
	s_and_saveexec_b64 s[0:1], vcc
	s_cbranch_execz .LBB211_3
.LBB211_19:                             ;   in Loop: Header=BB211_4 Depth=1
	s_waitcnt vmcnt(0)
	v_cvt_f32_f16_e32 v18, v15
	v_add_f32_e32 v19, 1.0, v18
	v_cvt_f64_f32_e32 v[16:17], v19
	v_add_f32_e32 v20, -1.0, v19
	v_sub_f32_e32 v21, v20, v19
	v_sub_f32_e32 v20, v18, v20
	v_frexp_exp_i32_f64_e32 v16, v[16:17]
	v_frexp_mant_f32_e32 v17, v19
	v_cmp_gt_f32_e32 vcc, s28, v17
	v_add_f32_e32 v21, 1.0, v21
	v_add_f32_e32 v20, v20, v21
	v_subbrev_co_u32_e32 v16, vcc, 0, v16, vcc
	v_sub_u32_e32 v17, 0, v16
	v_ldexp_f32 v19, v19, v17
	v_ldexp_f32 v17, v20, v17
	v_add_f32_e32 v20, -1.0, v19
	v_add_f32_e32 v21, 1.0, v19
	v_add_f32_e32 v22, 1.0, v20
	v_add_f32_e32 v23, -1.0, v21
	v_sub_f32_e32 v22, v19, v22
	v_sub_f32_e32 v19, v19, v23
	v_add_f32_e32 v22, v17, v22
	v_add_f32_e32 v17, v17, v19
	;; [unrolled: 1-line block ×3, first 2 shown]
	v_rcp_f32_e32 v24, v23
	v_add_f32_e32 v19, v20, v22
	v_sub_f32_e32 v21, v23, v21
	v_sub_f32_e32 v20, v19, v20
	;; [unrolled: 1-line block ×3, first 2 shown]
	v_mul_f32_e32 v21, v19, v24
	v_sub_f32_e32 v20, v22, v20
	v_mul_f32_e32 v22, v23, v21
	v_fma_f32 v25, v21, v23, -v22
	v_fmac_f32_e32 v25, v21, v17
	v_add_f32_e32 v26, v22, v25
	v_sub_f32_e32 v27, v19, v26
	v_sub_f32_e32 v19, v19, v27
	;; [unrolled: 1-line block ×4, first 2 shown]
	v_add_f32_e32 v19, v20, v19
	v_sub_f32_e32 v20, v22, v25
	v_add_f32_e32 v19, v20, v19
	v_add_f32_e32 v20, v27, v19
	v_mul_f32_e32 v22, v24, v20
	v_mul_f32_e32 v25, v23, v22
	v_fma_f32 v23, v22, v23, -v25
	v_fmac_f32_e32 v23, v22, v17
	v_sub_f32_e32 v17, v27, v20
	v_add_f32_e32 v17, v19, v17
	v_add_f32_e32 v19, v25, v23
	v_sub_f32_e32 v26, v20, v19
	v_sub_f32_e32 v20, v20, v26
	;; [unrolled: 1-line block ×4, first 2 shown]
	v_add_f32_e32 v17, v17, v19
	v_sub_f32_e32 v19, v25, v23
	v_cvt_f32_i32_e32 v16, v16
	v_add_f32_e32 v17, v19, v17
	v_add_f32_e32 v19, v21, v22
	;; [unrolled: 1-line block ×3, first 2 shown]
	v_sub_f32_e32 v20, v19, v21
	v_mul_f32_e32 v17, v24, v17
	v_sub_f32_e32 v20, v22, v20
	v_add_f32_e32 v17, v20, v17
	v_mul_f32_e32 v23, 0x3f317218, v16
	v_add_f32_e32 v20, v19, v17
	v_fma_f32 v24, v16, s29, -v23
	v_mul_f32_e32 v21, v20, v20
	v_mov_b32_e32 v22, 0x3ecc95a3
	v_fmac_f32_e32 v24, 0xb102e308, v16
	v_sub_f32_e32 v16, v20, v19
	v_fmac_f32_e32 v22, 0x3e9b6dac, v21
	v_sub_f32_e32 v16, v17, v16
	v_add_f32_e32 v17, v23, v24
	v_fma_f32 v22, v21, v22, v11
	v_sub_f32_e32 v19, v17, v23
	v_ldexp_f32 v23, v20, 1
	v_mul_f32_e32 v20, v20, v21
	v_mul_f32_e32 v20, v20, v22
	v_add_f32_e32 v21, v23, v20
	v_sub_f32_e32 v22, v21, v23
	v_ldexp_f32 v16, v16, 1
	v_sub_f32_e32 v20, v20, v22
	v_add_f32_e32 v16, v16, v20
	v_add_f32_e32 v20, v21, v16
	v_sub_f32_e32 v21, v20, v21
	v_sub_f32_e32 v16, v16, v21
	v_add_f32_e32 v21, v17, v20
	v_sub_f32_e32 v22, v21, v17
	v_sub_f32_e32 v23, v21, v22
	;; [unrolled: 1-line block ×5, first 2 shown]
	v_add_f32_e32 v17, v20, v17
	v_add_f32_e32 v20, v19, v16
	v_sub_f32_e32 v22, v20, v19
	v_sub_f32_e32 v23, v20, v22
	;; [unrolled: 1-line block ×4, first 2 shown]
	v_add_f32_e32 v17, v20, v17
	v_add_f32_e32 v16, v16, v19
	;; [unrolled: 1-line block ×3, first 2 shown]
	v_sub_f32_e32 v20, v19, v21
	v_sub_f32_e32 v17, v17, v20
	v_add_f32_e32 v16, v16, v17
	v_add_f32_e32 v16, v19, v16
	v_cvt_f16_f32_e32 v16, v16
	v_cmp_neq_f16_e32 vcc, s30, v15
	v_cndmask_b32_e32 v16, v12, v16, vcc
	v_cmp_ngt_f16_e32 vcc, -1.0, v15
	v_cndmask_b32_e32 v16, v13, v16, vcc
	v_cmp_neq_f16_e32 vcc, -1.0, v15
	v_cndmask_b32_e32 v16, v14, v16, vcc
	v_cmp_lt_f32_e64 vcc, |v18|, s27
	v_cndmask_b32_e32 v17, v16, v15, vcc
	v_add_co_u32_e32 v15, vcc, s26, v1
	v_addc_co_u32_e32 v16, vcc, 0, v2, vcc
	global_store_short v[15:16], v17, off
	s_branch .LBB211_3
.LBB211_20:
	s_cbranch_execz .LBB211_22
	s_branch .LBB211_25
.LBB211_21:
.LBB211_22:
	v_mov_b32_e32 v1, 0x10000
	v_mov_b32_e32 v2, 0
	v_cmp_lt_i64_e32 vcc, s[14:15], v[1:2]
	v_mov_b32_e32 v2, 0
	s_and_b64 s[0:1], vcc, exec
	s_cselect_b32 s1, s15, 0
	s_cselect_b32 s0, s14, 0x10000
	v_lshlrev_b32_e32 v1, 2, v0
	v_cmp_gt_i64_e32 vcc, s[0:1], v[1:2]
	s_and_saveexec_b64 s[2:3], vcc
	s_cbranch_execz .LBB211_25
; %bb.23:
	s_load_dword s2, s[4:5], 0xd3c
	v_mov_b32_e32 v1, v2
	v_lshlrev_b32_e32 v2, 3, v0
	s_mov_b32 s6, 0x3f2aaaab
	v_mov_b32_e32 v6, 0x3f2aaada
	s_waitcnt lgkmcnt(0)
	s_and_b32 s4, s2, 0xffff
	s_add_u32 s2, s10, s12
	s_addc_u32 s3, s11, s13
	v_mov_b32_e32 v3, s3
	v_add_co_u32_e32 v2, vcc, s2, v2
	v_addc_co_u32_e32 v3, vcc, 0, v3, vcc
	v_add_co_u32_e32 v2, vcc, 4, v2
	v_addc_co_u32_e32 v3, vcc, 0, v3, vcc
	s_lshl_b32 s5, s4, 3
	s_mov_b64 s[2:3], 0
	s_mov_b32 s7, 0x3f317218
	s_mov_b32 s8, 0x33800000
	s_movk_i32 s9, 0x7c00
	v_mov_b32_e32 v7, 0x7c00
	v_mov_b32_e32 v8, 0x7e00
	;; [unrolled: 1-line block ×3, first 2 shown]
	s_mov_b32 s10, 0x5040100
.LBB211_24:                             ; =>This Inner Loop Header: Depth=1
	global_load_dwordx2 v[4:5], v[2:3], off offset:-4
	s_waitcnt vmcnt(0)
	v_cvt_f32_f16_e32 v11, v4
	v_lshrrev_b32_e32 v10, 16, v4
	v_cvt_f32_f16_e32 v13, v10
	v_add_f32_e32 v12, 1.0, v11
	v_cvt_f64_f32_e32 v[14:15], v12
	v_add_f32_e32 v16, -1.0, v12
	v_add_f32_e32 v19, 1.0, v13
	v_sub_f32_e32 v20, v16, v12
	v_sub_f32_e32 v21, v11, v16
	v_cvt_f64_f32_e32 v[16:17], v19
	v_frexp_exp_i32_f64_e32 v14, v[14:15]
	v_frexp_mant_f32_e32 v18, v12
	v_cmp_gt_f32_e32 vcc, s6, v18
	v_frexp_exp_i32_f64_e32 v16, v[16:17]
	v_add_f32_e32 v22, -1.0, v19
	v_frexp_mant_f32_e32 v23, v19
	v_add_f32_e32 v20, 1.0, v20
	v_sub_f32_e32 v24, v22, v19
	v_subbrev_co_u32_e32 v14, vcc, 0, v14, vcc
	v_sub_u32_e32 v17, 0, v14
	v_cmp_gt_f32_e32 vcc, s6, v23
	v_sub_f32_e32 v15, v13, v22
	v_add_f32_e32 v20, v21, v20
	v_add_f32_e32 v21, 1.0, v24
	v_cvt_f32_i32_e32 v18, v14
	v_subbrev_co_u32_e32 v14, vcc, 0, v16, vcc
	v_ldexp_f32 v12, v12, v17
	v_add_f32_e32 v15, v15, v21
	v_ldexp_f32 v16, v20, v17
	v_sub_u32_e32 v17, 0, v14
	v_add_f32_e32 v20, -1.0, v12
	v_add_f32_e32 v21, 1.0, v12
	v_ldexp_f32 v19, v19, v17
	v_ldexp_f32 v15, v15, v17
	v_add_f32_e32 v17, 1.0, v20
	v_add_f32_e32 v22, -1.0, v21
	v_add_f32_e32 v23, -1.0, v19
	v_add_f32_e32 v24, 1.0, v19
	v_sub_f32_e32 v17, v12, v17
	v_sub_f32_e32 v12, v12, v22
	v_mul_f32_e32 v22, 0x3f317218, v18
	v_add_f32_e32 v25, 1.0, v23
	v_add_f32_e32 v26, -1.0, v24
	v_add_f32_e32 v17, v16, v17
	v_add_f32_e32 v12, v16, v12
	v_fma_f32 v16, v18, s7, -v22
	v_sub_f32_e32 v25, v19, v25
	v_sub_f32_e32 v19, v19, v26
	v_add_f32_e32 v26, v20, v17
	v_add_f32_e32 v27, v21, v12
	v_fmac_f32_e32 v16, 0xb102e308, v18
	v_add_f32_e32 v18, v15, v25
	v_add_f32_e32 v15, v15, v19
	v_sub_f32_e32 v19, v26, v20
	v_sub_f32_e32 v20, v27, v21
	v_rcp_f32_e32 v21, v27
	v_add_f32_e32 v25, v22, v16
	v_add_f32_e32 v28, v23, v18
	v_sub_f32_e32 v17, v17, v19
	v_sub_f32_e32 v19, v25, v22
	;; [unrolled: 1-line block ×5, first 2 shown]
	v_mul_f32_e32 v19, v26, v21
	v_add_f32_e32 v29, v24, v15
	v_sub_f32_e32 v18, v18, v20
	v_mul_f32_e32 v20, v27, v19
	v_sub_f32_e32 v22, v29, v24
	v_rcp_f32_e32 v23, v29
	v_fma_f32 v24, v19, v27, -v20
	v_fmac_f32_e32 v24, v19, v12
	v_add_f32_e32 v31, v20, v24
	v_sub_f32_e32 v20, v31, v20
	v_sub_f32_e32 v15, v15, v22
	v_mul_f32_e32 v22, v28, v23
	v_sub_f32_e32 v20, v20, v24
	v_sub_f32_e32 v24, v26, v31
	v_mul_f32_e32 v30, v29, v22
	v_sub_f32_e32 v26, v26, v24
	v_sub_f32_e32 v26, v26, v31
	v_fma_f32 v31, v22, v29, -v30
	v_fmac_f32_e32 v31, v22, v15
	v_add_f32_e32 v32, v30, v31
	v_add_f32_e32 v17, v17, v26
	v_sub_f32_e32 v26, v28, v32
	v_sub_f32_e32 v28, v28, v26
	v_add_f32_e32 v17, v20, v17
	v_sub_f32_e32 v28, v28, v32
	v_add_f32_e32 v20, v24, v17
	v_add_f32_e32 v18, v18, v28
	v_mul_f32_e32 v28, v21, v20
	v_sub_f32_e32 v24, v24, v20
	v_add_f32_e32 v17, v17, v24
	v_mul_f32_e32 v24, v27, v28
	v_sub_f32_e32 v30, v32, v30
	v_fma_f32 v27, v28, v27, -v24
	v_add_f32_e32 v32, v19, v28
	v_fmac_f32_e32 v27, v28, v12
	v_sub_f32_e32 v12, v32, v19
	v_sub_f32_e32 v19, v28, v12
	v_add_f32_e32 v12, v24, v27
	v_sub_f32_e32 v24, v12, v24
	v_sub_f32_e32 v24, v24, v27
	;; [unrolled: 1-line block ×5, first 2 shown]
	v_add_f32_e32 v17, v17, v20
	v_add_f32_e32 v17, v24, v17
	;; [unrolled: 1-line block ×3, first 2 shown]
	v_mul_f32_e32 v17, v21, v17
	v_add_f32_e32 v17, v19, v17
	v_add_f32_e32 v19, v32, v17
	v_sub_f32_e32 v30, v30, v31
	v_mov_b32_e32 v31, 0x3ecc95a3
	v_mul_f32_e32 v20, v19, v19
	v_fmac_f32_e32 v31, 0x3e9b6dac, v20
	v_sub_f32_e32 v21, v19, v32
	v_ldexp_f32 v24, v19, 1
	v_mul_f32_e32 v19, v19, v20
	v_fma_f32 v20, v20, v31, v6
	v_mul_f32_e32 v19, v19, v20
	v_add_f32_e32 v20, v24, v19
	v_sub_f32_e32 v17, v17, v21
	v_sub_f32_e32 v21, v20, v24
	v_ldexp_f32 v17, v17, 1
	v_sub_f32_e32 v19, v19, v21
	v_add_f32_e32 v17, v17, v19
	v_add_f32_e32 v19, v20, v17
	v_sub_f32_e32 v20, v19, v20
	v_add_f32_e32 v21, v25, v19
	v_sub_f32_e32 v17, v17, v20
	v_sub_f32_e32 v20, v21, v25
	;; [unrolled: 1-line block ×4, first 2 shown]
	v_add_f32_e32 v20, v16, v17
	v_sub_f32_e32 v24, v25, v24
	v_sub_f32_e32 v25, v20, v16
	v_add_f32_e32 v19, v19, v24
	v_sub_f32_e32 v24, v20, v25
	v_sub_f32_e32 v17, v17, v25
	;; [unrolled: 1-line block ×3, first 2 shown]
	v_add_f32_e32 v19, v20, v19
	v_add_f32_e32 v16, v17, v16
	;; [unrolled: 1-line block ×3, first 2 shown]
	v_sub_f32_e32 v20, v17, v21
	v_sub_f32_e32 v19, v19, v20
	v_add_f32_e32 v16, v16, v19
	v_add_f32_e32 v16, v17, v16
	;; [unrolled: 1-line block ×4, first 2 shown]
	v_mul_f32_e32 v19, v23, v18
	v_mul_f32_e32 v20, v29, v19
	v_fma_f32 v21, v19, v29, -v20
	v_fmac_f32_e32 v21, v19, v15
	v_sub_f32_e32 v15, v26, v18
	v_add_f32_e32 v15, v17, v15
	v_add_f32_e32 v17, v20, v21
	v_sub_f32_e32 v24, v18, v17
	v_sub_f32_e32 v18, v18, v24
	;; [unrolled: 1-line block ×4, first 2 shown]
	v_add_f32_e32 v15, v15, v17
	v_sub_f32_e32 v17, v20, v21
	v_cvt_f32_i32_e32 v14, v14
	v_add_f32_e32 v15, v17, v15
	v_add_f32_e32 v17, v22, v19
	;; [unrolled: 1-line block ×3, first 2 shown]
	v_sub_f32_e32 v18, v17, v22
	v_mul_f32_e32 v15, v23, v15
	v_sub_f32_e32 v18, v19, v18
	v_add_f32_e32 v15, v18, v15
	v_mul_f32_e32 v21, 0x3f317218, v14
	v_add_f32_e32 v18, v17, v15
	v_fma_f32 v22, v14, s7, -v21
	v_mul_f32_e32 v19, v18, v18
	v_mov_b32_e32 v20, 0x3ecc95a3
	v_fmac_f32_e32 v22, 0xb102e308, v14
	v_sub_f32_e32 v14, v18, v17
	v_fmac_f32_e32 v20, 0x3e9b6dac, v19
	v_sub_f32_e32 v14, v15, v14
	v_add_f32_e32 v15, v21, v22
	v_fma_f32 v20, v19, v20, v6
	v_sub_f32_e32 v17, v15, v21
	v_ldexp_f32 v21, v18, 1
	v_mul_f32_e32 v18, v18, v19
	v_mul_f32_e32 v18, v18, v20
	v_add_f32_e32 v19, v21, v18
	v_sub_f32_e32 v20, v19, v21
	v_ldexp_f32 v14, v14, 1
	v_sub_f32_e32 v18, v18, v20
	v_add_f32_e32 v14, v14, v18
	v_add_f32_e32 v18, v19, v14
	v_sub_f32_e32 v19, v18, v19
	v_sub_f32_e32 v14, v14, v19
	v_add_f32_e32 v19, v15, v18
	v_sub_f32_e32 v20, v19, v15
	v_sub_f32_e32 v21, v19, v20
	;; [unrolled: 1-line block ×5, first 2 shown]
	v_add_f32_e32 v15, v18, v15
	v_add_f32_e32 v18, v17, v14
	v_sub_f32_e32 v20, v18, v17
	v_sub_f32_e32 v21, v18, v20
	v_cvt_f16_f32_e32 v16, v16
	v_sub_f32_e32 v17, v17, v21
	v_sub_f32_e32 v14, v14, v20
	v_add_f32_e32 v15, v18, v15
	v_add_f32_e32 v14, v14, v17
	;; [unrolled: 1-line block ×3, first 2 shown]
	v_sub_f32_e32 v18, v17, v19
	v_cmp_neq_f16_e32 vcc, s9, v4
	v_sub_f32_e32 v15, v15, v18
	v_cndmask_b32_e32 v16, v7, v16, vcc
	v_cmp_ngt_f16_e32 vcc, -1.0, v4
	v_add_f32_e32 v14, v14, v15
	v_cndmask_b32_e32 v16, v8, v16, vcc
	v_cmp_neq_f16_e32 vcc, -1.0, v4
	v_add_f32_e32 v14, v17, v14
	v_cndmask_b32_e32 v16, v9, v16, vcc
	v_cvt_f16_f32_e32 v14, v14
	v_cmp_lt_f32_e64 vcc, |v11|, s8
	v_cvt_f32_f16_e32 v11, v5
	v_cndmask_b32_e32 v4, v16, v4, vcc
	v_cmp_neq_f16_e32 vcc, s9, v10
	v_cndmask_b32_e32 v14, v7, v14, vcc
	v_cmp_ngt_f16_e32 vcc, -1.0, v10
	v_add_f32_e32 v17, 1.0, v11
	v_cndmask_b32_e32 v16, v8, v14, vcc
	v_cvt_f64_f32_e32 v[14:15], v17
	v_add_f32_e32 v18, -1.0, v17
	v_cmp_neq_f16_e32 vcc, -1.0, v10
	v_cndmask_b32_e32 v16, v9, v16, vcc
	v_frexp_exp_i32_f64_e32 v14, v[14:15]
	v_sub_f32_e32 v15, v18, v17
	v_add_f32_e32 v15, 1.0, v15
	v_sub_f32_e32 v18, v11, v18
	v_add_f32_e32 v15, v18, v15
	v_frexp_mant_f32_e32 v18, v17
	v_cmp_gt_f32_e32 vcc, s6, v18
	v_lshrrev_b32_e32 v12, 16, v5
	v_subbrev_co_u32_e32 v14, vcc, 0, v14, vcc
	v_sub_u32_e32 v18, 0, v14
	v_ldexp_f32 v17, v17, v18
	v_ldexp_f32 v15, v15, v18
	v_add_f32_e32 v18, -1.0, v17
	v_add_f32_e32 v21, 1.0, v17
	v_add_f32_e32 v19, 1.0, v18
	v_add_f32_e32 v22, -1.0, v21
	v_sub_f32_e32 v19, v17, v19
	v_sub_f32_e32 v17, v17, v22
	v_add_f32_e32 v19, v15, v19
	v_add_f32_e32 v15, v15, v17
	;; [unrolled: 1-line block ×3, first 2 shown]
	v_rcp_f32_e32 v22, v17
	v_add_f32_e32 v20, v18, v19
	v_sub_f32_e32 v18, v20, v18
	v_sub_f32_e32 v18, v19, v18
	;; [unrolled: 1-line block ×4, first 2 shown]
	v_mul_f32_e32 v19, v20, v22
	v_mul_f32_e32 v21, v17, v19
	v_fma_f32 v23, v19, v17, -v21
	v_fmac_f32_e32 v23, v19, v15
	v_add_f32_e32 v24, v21, v23
	v_sub_f32_e32 v25, v20, v24
	v_sub_f32_e32 v20, v20, v25
	;; [unrolled: 1-line block ×4, first 2 shown]
	v_add_f32_e32 v18, v18, v20
	v_sub_f32_e32 v20, v21, v23
	v_add_f32_e32 v18, v20, v18
	v_add_f32_e32 v20, v25, v18
	v_mul_f32_e32 v21, v22, v20
	v_mul_f32_e32 v23, v17, v21
	v_fma_f32 v17, v21, v17, -v23
	v_fmac_f32_e32 v17, v21, v15
	v_sub_f32_e32 v15, v25, v20
	v_add_f32_e32 v15, v18, v15
	v_add_f32_e32 v18, v23, v17
	v_sub_f32_e32 v24, v20, v18
	v_sub_f32_e32 v20, v20, v24
	;; [unrolled: 1-line block ×4, first 2 shown]
	v_add_f32_e32 v15, v15, v18
	v_sub_f32_e32 v17, v23, v17
	v_cvt_f32_i32_e32 v14, v14
	v_add_f32_e32 v15, v17, v15
	v_add_f32_e32 v17, v19, v21
	;; [unrolled: 1-line block ×3, first 2 shown]
	v_sub_f32_e32 v18, v17, v19
	v_mul_f32_e32 v15, v22, v15
	v_sub_f32_e32 v18, v21, v18
	v_add_f32_e32 v15, v18, v15
	v_mul_f32_e32 v21, 0x3f317218, v14
	v_add_f32_e32 v18, v17, v15
	v_fma_f32 v22, v14, s7, -v21
	v_mul_f32_e32 v19, v18, v18
	v_mov_b32_e32 v20, 0x3ecc95a3
	v_fmac_f32_e32 v22, 0xb102e308, v14
	v_sub_f32_e32 v14, v18, v17
	v_fmac_f32_e32 v20, 0x3e9b6dac, v19
	v_sub_f32_e32 v14, v15, v14
	v_add_f32_e32 v15, v21, v22
	v_fma_f32 v20, v19, v20, v6
	v_sub_f32_e32 v17, v15, v21
	v_ldexp_f32 v21, v18, 1
	v_mul_f32_e32 v18, v18, v19
	v_mul_f32_e32 v18, v18, v20
	v_add_f32_e32 v19, v21, v18
	v_sub_f32_e32 v20, v19, v21
	v_ldexp_f32 v14, v14, 1
	v_sub_f32_e32 v18, v18, v20
	v_add_f32_e32 v14, v14, v18
	v_add_f32_e32 v18, v19, v14
	v_sub_f32_e32 v19, v18, v19
	v_sub_f32_e32 v14, v14, v19
	v_add_f32_e32 v19, v15, v18
	v_sub_f32_e32 v20, v19, v15
	v_sub_f32_e32 v21, v19, v20
	;; [unrolled: 1-line block ×5, first 2 shown]
	v_add_f32_e32 v15, v18, v15
	v_add_f32_e32 v18, v17, v14
	v_sub_f32_e32 v20, v18, v17
	v_sub_f32_e32 v21, v18, v20
	;; [unrolled: 1-line block ×4, first 2 shown]
	v_add_f32_e32 v15, v18, v15
	v_add_f32_e32 v14, v14, v17
	;; [unrolled: 1-line block ×3, first 2 shown]
	v_sub_f32_e32 v18, v17, v19
	v_sub_f32_e32 v15, v15, v18
	v_add_f32_e32 v14, v14, v15
	v_add_f32_e32 v14, v17, v14
	v_cmp_lt_f32_e64 vcc, |v13|, s8
	v_cvt_f16_f32_e32 v14, v14
	v_cndmask_b32_e32 v15, v16, v10, vcc
	v_cvt_f32_f16_e32 v10, v12
	v_cmp_neq_f16_e32 vcc, s9, v5
	v_cndmask_b32_e32 v13, v7, v14, vcc
	v_cmp_ngt_f16_e32 vcc, -1.0, v5
	v_add_f32_e32 v17, 1.0, v10
	v_cndmask_b32_e32 v16, v8, v13, vcc
	v_cvt_f64_f32_e32 v[13:14], v17
	v_add_f32_e32 v18, -1.0, v17
	v_cmp_neq_f16_e32 vcc, -1.0, v5
	v_cndmask_b32_e32 v16, v9, v16, vcc
	v_frexp_exp_i32_f64_e32 v13, v[13:14]
	v_sub_f32_e32 v14, v18, v17
	v_add_f32_e32 v14, 1.0, v14
	v_sub_f32_e32 v18, v10, v18
	v_add_f32_e32 v14, v18, v14
	v_frexp_mant_f32_e32 v18, v17
	v_cmp_gt_f32_e32 vcc, s6, v18
	v_perm_b32 v4, v15, v4, s10
	v_subbrev_co_u32_e32 v13, vcc, 0, v13, vcc
	v_sub_u32_e32 v18, 0, v13
	v_ldexp_f32 v17, v17, v18
	v_ldexp_f32 v14, v14, v18
	v_add_f32_e32 v18, -1.0, v17
	v_add_f32_e32 v21, 1.0, v17
	v_add_f32_e32 v19, 1.0, v18
	v_add_f32_e32 v22, -1.0, v21
	v_sub_f32_e32 v19, v17, v19
	v_sub_f32_e32 v17, v17, v22
	v_add_f32_e32 v19, v14, v19
	v_add_f32_e32 v14, v14, v17
	v_add_f32_e32 v17, v21, v14
	v_rcp_f32_e32 v22, v17
	v_add_f32_e32 v20, v18, v19
	v_sub_f32_e32 v18, v20, v18
	v_sub_f32_e32 v18, v19, v18
	;; [unrolled: 1-line block ×4, first 2 shown]
	v_mul_f32_e32 v19, v20, v22
	v_mul_f32_e32 v21, v17, v19
	v_fma_f32 v23, v19, v17, -v21
	v_fmac_f32_e32 v23, v19, v14
	v_add_f32_e32 v24, v21, v23
	v_sub_f32_e32 v25, v20, v24
	v_sub_f32_e32 v20, v20, v25
	;; [unrolled: 1-line block ×4, first 2 shown]
	v_add_f32_e32 v18, v18, v20
	v_sub_f32_e32 v20, v21, v23
	v_add_f32_e32 v18, v20, v18
	v_add_f32_e32 v20, v25, v18
	v_mul_f32_e32 v21, v22, v20
	v_mul_f32_e32 v23, v17, v21
	v_fma_f32 v17, v21, v17, -v23
	v_fmac_f32_e32 v17, v21, v14
	v_sub_f32_e32 v14, v25, v20
	v_add_f32_e32 v14, v18, v14
	v_add_f32_e32 v18, v23, v17
	v_sub_f32_e32 v24, v20, v18
	v_sub_f32_e32 v20, v20, v24
	;; [unrolled: 1-line block ×4, first 2 shown]
	v_add_f32_e32 v14, v14, v18
	v_sub_f32_e32 v17, v23, v17
	v_cvt_f32_i32_e32 v13, v13
	v_add_f32_e32 v14, v17, v14
	v_add_f32_e32 v17, v19, v21
	;; [unrolled: 1-line block ×3, first 2 shown]
	v_sub_f32_e32 v18, v17, v19
	v_mul_f32_e32 v14, v22, v14
	v_sub_f32_e32 v18, v21, v18
	v_add_f32_e32 v14, v18, v14
	v_mul_f32_e32 v21, 0x3f317218, v13
	v_add_f32_e32 v18, v17, v14
	v_fma_f32 v22, v13, s7, -v21
	v_mul_f32_e32 v19, v18, v18
	v_mov_b32_e32 v20, 0x3ecc95a3
	v_fmac_f32_e32 v22, 0xb102e308, v13
	v_sub_f32_e32 v13, v18, v17
	v_fmac_f32_e32 v20, 0x3e9b6dac, v19
	v_sub_f32_e32 v13, v14, v13
	v_add_f32_e32 v14, v21, v22
	v_fma_f32 v20, v19, v20, v6
	v_sub_f32_e32 v17, v14, v21
	v_ldexp_f32 v21, v18, 1
	v_mul_f32_e32 v18, v18, v19
	v_mul_f32_e32 v18, v18, v20
	v_add_f32_e32 v19, v21, v18
	v_sub_f32_e32 v20, v19, v21
	v_ldexp_f32 v13, v13, 1
	v_sub_f32_e32 v18, v18, v20
	v_add_f32_e32 v13, v13, v18
	v_add_f32_e32 v18, v19, v13
	v_sub_f32_e32 v19, v18, v19
	v_sub_f32_e32 v13, v13, v19
	v_add_f32_e32 v19, v14, v18
	v_sub_f32_e32 v20, v19, v14
	v_sub_f32_e32 v21, v19, v20
	;; [unrolled: 1-line block ×5, first 2 shown]
	v_add_f32_e32 v14, v18, v14
	v_add_f32_e32 v18, v17, v13
	v_sub_f32_e32 v20, v18, v17
	v_sub_f32_e32 v21, v18, v20
	;; [unrolled: 1-line block ×4, first 2 shown]
	v_add_f32_e32 v14, v18, v14
	v_add_f32_e32 v13, v13, v17
	;; [unrolled: 1-line block ×3, first 2 shown]
	v_sub_f32_e32 v18, v17, v19
	v_sub_f32_e32 v14, v14, v18
	v_add_f32_e32 v13, v13, v14
	v_add_f32_e32 v13, v17, v13
	v_cvt_f16_f32_e32 v13, v13
	v_cmp_lt_f32_e64 vcc, |v11|, s8
	v_cndmask_b32_e32 v5, v16, v5, vcc
	v_cmp_neq_f16_e32 vcc, s9, v12
	v_cndmask_b32_e32 v11, v7, v13, vcc
	v_cmp_ngt_f16_e32 vcc, -1.0, v12
	v_cndmask_b32_e32 v11, v8, v11, vcc
	v_cmp_neq_f16_e32 vcc, -1.0, v12
	v_cndmask_b32_e32 v11, v9, v11, vcc
	v_cmp_lt_f32_e64 vcc, |v10|, s8
	v_cndmask_b32_e32 v10, v11, v12, vcc
	v_add_co_u32_e32 v0, vcc, s4, v0
	v_addc_co_u32_e32 v1, vcc, 0, v1, vcc
	v_perm_b32 v5, v10, v5, s10
	v_lshlrev_b64 v[10:11], 2, v[0:1]
	global_store_dwordx2 v[2:3], v[4:5], off offset:-4
	v_cmp_le_i64_e32 vcc, s[0:1], v[10:11]
	s_or_b64 s[2:3], vcc, s[2:3]
	v_add_co_u32_e32 v2, vcc, s5, v2
	v_addc_co_u32_e32 v3, vcc, 0, v3, vcc
	s_andn2_b64 exec, exec, s[2:3]
	s_cbranch_execnz .LBB211_24
.LBB211_25:
	s_endpgm
	.section	.rodata,"a",@progbits
	.p2align	6, 0x0
	.amdhsa_kernel _ZN2at6native12_GLOBAL__N_125multi_tensor_apply_kernelINS1_18TensorListMetadataILi1EEENS1_14UnaryOpFunctorIN3c104HalfELi1ELi1ELi0EEEJNS0_5Log1pIfEEEEEvT_T0_DpT1_
		.amdhsa_group_segment_fixed_size 0
		.amdhsa_private_segment_fixed_size 0
		.amdhsa_kernarg_size 3632
		.amdhsa_user_sgpr_count 6
		.amdhsa_user_sgpr_private_segment_buffer 1
		.amdhsa_user_sgpr_dispatch_ptr 0
		.amdhsa_user_sgpr_queue_ptr 0
		.amdhsa_user_sgpr_kernarg_segment_ptr 1
		.amdhsa_user_sgpr_dispatch_id 0
		.amdhsa_user_sgpr_flat_scratch_init 0
		.amdhsa_user_sgpr_private_segment_size 0
		.amdhsa_uses_dynamic_stack 0
		.amdhsa_system_sgpr_private_segment_wavefront_offset 0
		.amdhsa_system_sgpr_workgroup_id_x 1
		.amdhsa_system_sgpr_workgroup_id_y 0
		.amdhsa_system_sgpr_workgroup_id_z 0
		.amdhsa_system_sgpr_workgroup_info 0
		.amdhsa_system_vgpr_workitem_id 0
		.amdhsa_next_free_vgpr 33
		.amdhsa_next_free_sgpr 31
		.amdhsa_reserve_vcc 1
		.amdhsa_reserve_flat_scratch 0
		.amdhsa_float_round_mode_32 0
		.amdhsa_float_round_mode_16_64 0
		.amdhsa_float_denorm_mode_32 3
		.amdhsa_float_denorm_mode_16_64 3
		.amdhsa_dx10_clamp 1
		.amdhsa_ieee_mode 1
		.amdhsa_fp16_overflow 0
		.amdhsa_exception_fp_ieee_invalid_op 0
		.amdhsa_exception_fp_denorm_src 0
		.amdhsa_exception_fp_ieee_div_zero 0
		.amdhsa_exception_fp_ieee_overflow 0
		.amdhsa_exception_fp_ieee_underflow 0
		.amdhsa_exception_fp_ieee_inexact 0
		.amdhsa_exception_int_div_zero 0
	.end_amdhsa_kernel
	.section	.text._ZN2at6native12_GLOBAL__N_125multi_tensor_apply_kernelINS1_18TensorListMetadataILi1EEENS1_14UnaryOpFunctorIN3c104HalfELi1ELi1ELi0EEEJNS0_5Log1pIfEEEEEvT_T0_DpT1_,"axG",@progbits,_ZN2at6native12_GLOBAL__N_125multi_tensor_apply_kernelINS1_18TensorListMetadataILi1EEENS1_14UnaryOpFunctorIN3c104HalfELi1ELi1ELi0EEEJNS0_5Log1pIfEEEEEvT_T0_DpT1_,comdat
.Lfunc_end211:
	.size	_ZN2at6native12_GLOBAL__N_125multi_tensor_apply_kernelINS1_18TensorListMetadataILi1EEENS1_14UnaryOpFunctorIN3c104HalfELi1ELi1ELi0EEEJNS0_5Log1pIfEEEEEvT_T0_DpT1_, .Lfunc_end211-_ZN2at6native12_GLOBAL__N_125multi_tensor_apply_kernelINS1_18TensorListMetadataILi1EEENS1_14UnaryOpFunctorIN3c104HalfELi1ELi1ELi0EEEJNS0_5Log1pIfEEEEEvT_T0_DpT1_
                                        ; -- End function
	.set _ZN2at6native12_GLOBAL__N_125multi_tensor_apply_kernelINS1_18TensorListMetadataILi1EEENS1_14UnaryOpFunctorIN3c104HalfELi1ELi1ELi0EEEJNS0_5Log1pIfEEEEEvT_T0_DpT1_.num_vgpr, 33
	.set _ZN2at6native12_GLOBAL__N_125multi_tensor_apply_kernelINS1_18TensorListMetadataILi1EEENS1_14UnaryOpFunctorIN3c104HalfELi1ELi1ELi0EEEJNS0_5Log1pIfEEEEEvT_T0_DpT1_.num_agpr, 0
	.set _ZN2at6native12_GLOBAL__N_125multi_tensor_apply_kernelINS1_18TensorListMetadataILi1EEENS1_14UnaryOpFunctorIN3c104HalfELi1ELi1ELi0EEEJNS0_5Log1pIfEEEEEvT_T0_DpT1_.numbered_sgpr, 31
	.set _ZN2at6native12_GLOBAL__N_125multi_tensor_apply_kernelINS1_18TensorListMetadataILi1EEENS1_14UnaryOpFunctorIN3c104HalfELi1ELi1ELi0EEEJNS0_5Log1pIfEEEEEvT_T0_DpT1_.num_named_barrier, 0
	.set _ZN2at6native12_GLOBAL__N_125multi_tensor_apply_kernelINS1_18TensorListMetadataILi1EEENS1_14UnaryOpFunctorIN3c104HalfELi1ELi1ELi0EEEJNS0_5Log1pIfEEEEEvT_T0_DpT1_.private_seg_size, 0
	.set _ZN2at6native12_GLOBAL__N_125multi_tensor_apply_kernelINS1_18TensorListMetadataILi1EEENS1_14UnaryOpFunctorIN3c104HalfELi1ELi1ELi0EEEJNS0_5Log1pIfEEEEEvT_T0_DpT1_.uses_vcc, 1
	.set _ZN2at6native12_GLOBAL__N_125multi_tensor_apply_kernelINS1_18TensorListMetadataILi1EEENS1_14UnaryOpFunctorIN3c104HalfELi1ELi1ELi0EEEJNS0_5Log1pIfEEEEEvT_T0_DpT1_.uses_flat_scratch, 0
	.set _ZN2at6native12_GLOBAL__N_125multi_tensor_apply_kernelINS1_18TensorListMetadataILi1EEENS1_14UnaryOpFunctorIN3c104HalfELi1ELi1ELi0EEEJNS0_5Log1pIfEEEEEvT_T0_DpT1_.has_dyn_sized_stack, 0
	.set _ZN2at6native12_GLOBAL__N_125multi_tensor_apply_kernelINS1_18TensorListMetadataILi1EEENS1_14UnaryOpFunctorIN3c104HalfELi1ELi1ELi0EEEJNS0_5Log1pIfEEEEEvT_T0_DpT1_.has_recursion, 0
	.set _ZN2at6native12_GLOBAL__N_125multi_tensor_apply_kernelINS1_18TensorListMetadataILi1EEENS1_14UnaryOpFunctorIN3c104HalfELi1ELi1ELi0EEEJNS0_5Log1pIfEEEEEvT_T0_DpT1_.has_indirect_call, 0
	.section	.AMDGPU.csdata,"",@progbits
; Kernel info:
; codeLenInByte = 5284
; TotalNumSgprs: 35
; NumVgprs: 33
; ScratchSize: 0
; MemoryBound: 0
; FloatMode: 240
; IeeeMode: 1
; LDSByteSize: 0 bytes/workgroup (compile time only)
; SGPRBlocks: 4
; VGPRBlocks: 8
; NumSGPRsForWavesPerEU: 35
; NumVGPRsForWavesPerEU: 33
; Occupancy: 7
; WaveLimiterHint : 0
; COMPUTE_PGM_RSRC2:SCRATCH_EN: 0
; COMPUTE_PGM_RSRC2:USER_SGPR: 6
; COMPUTE_PGM_RSRC2:TRAP_HANDLER: 0
; COMPUTE_PGM_RSRC2:TGID_X_EN: 1
; COMPUTE_PGM_RSRC2:TGID_Y_EN: 0
; COMPUTE_PGM_RSRC2:TGID_Z_EN: 0
; COMPUTE_PGM_RSRC2:TIDIG_COMP_CNT: 0
	.section	.text._ZN2at6native12_GLOBAL__N_125multi_tensor_apply_kernelINS1_18TensorListMetadataILi1EEENS1_14UnaryOpFunctorIN3c108BFloat16ELi1ELi1ELi0EEEJNS0_5Log1pIfEEEEEvT_T0_DpT1_,"axG",@progbits,_ZN2at6native12_GLOBAL__N_125multi_tensor_apply_kernelINS1_18TensorListMetadataILi1EEENS1_14UnaryOpFunctorIN3c108BFloat16ELi1ELi1ELi0EEEJNS0_5Log1pIfEEEEEvT_T0_DpT1_,comdat
	.globl	_ZN2at6native12_GLOBAL__N_125multi_tensor_apply_kernelINS1_18TensorListMetadataILi1EEENS1_14UnaryOpFunctorIN3c108BFloat16ELi1ELi1ELi0EEEJNS0_5Log1pIfEEEEEvT_T0_DpT1_ ; -- Begin function _ZN2at6native12_GLOBAL__N_125multi_tensor_apply_kernelINS1_18TensorListMetadataILi1EEENS1_14UnaryOpFunctorIN3c108BFloat16ELi1ELi1ELi0EEEJNS0_5Log1pIfEEEEEvT_T0_DpT1_
	.p2align	8
	.type	_ZN2at6native12_GLOBAL__N_125multi_tensor_apply_kernelINS1_18TensorListMetadataILi1EEENS1_14UnaryOpFunctorIN3c108BFloat16ELi1ELi1ELi0EEEJNS0_5Log1pIfEEEEEvT_T0_DpT1_,@function
_ZN2at6native12_GLOBAL__N_125multi_tensor_apply_kernelINS1_18TensorListMetadataILi1EEENS1_14UnaryOpFunctorIN3c108BFloat16ELi1ELi1ELi0EEEJNS0_5Log1pIfEEEEEvT_T0_DpT1_: ; @_ZN2at6native12_GLOBAL__N_125multi_tensor_apply_kernelINS1_18TensorListMetadataILi1EEENS1_14UnaryOpFunctorIN3c108BFloat16ELi1ELi1ELi0EEEJNS0_5Log1pIfEEEEEvT_T0_DpT1_
; %bb.0:
	v_mov_b32_e32 v1, s6
	global_load_ubyte v1, v1, s[4:5] offset:1760
	s_add_u32 s0, s4, s6
	s_mul_hi_u32 s1, s6, 3
	s_mul_i32 s6, s6, 3
	s_addc_u32 s2, s5, 0
	s_add_u32 s0, s0, s6
	s_addc_u32 s1, s2, s1
	s_load_dword s0, s[0:1], 0x820
	s_mov_b32 s7, 0
	s_waitcnt vmcnt(0)
	v_readfirstlane_b32 s1, v1
	s_lshl_b32 s1, s1, 3
	s_load_dwordx2 s[2:3], s[4:5], s1 offset:0x370
	s_load_dwordx2 s[10:11], s[4:5], s1 offset:0x0
	s_waitcnt lgkmcnt(0)
	s_ashr_i32 s1, s0, 31
	s_lshl_b64 s[12:13], s[0:1], 17
	s_lshl_b64 s[0:1], s[0:1], 16
	s_and_b32 s6, s10, 7
	s_sub_u32 s14, s2, s0
	s_subb_u32 s15, s3, s1
	s_and_b32 s0, s2, 3
	s_mov_b32 s1, s7
	s_or_b64 s[0:1], s[6:7], s[0:1]
	s_cmp_eq_u64 s[0:1], 0
	s_cbranch_scc1 .LBB212_21
; %bb.1:
	v_cmp_lt_i64_e64 s[0:1], s[14:15], 1
	s_and_b64 vcc, exec, s[0:1]
	s_cbranch_vccnz .LBB212_20
; %bb.2:
	v_mov_b32_e32 v1, 0x10000
	s_load_dword s2, s[4:5], 0xd3c
	v_mov_b32_e32 v2, 0
	v_cmp_lt_i64_e32 vcc, s[14:15], v[1:2]
	s_mov_b64 s[20:21], 0
	s_and_b64 s[0:1], vcc, exec
	v_cmp_lt_u64_e32 vcc, s[14:15], v[1:2]
	s_cselect_b32 s17, s15, 0
	s_cselect_b32 s16, s14, 0x10000
	s_waitcnt lgkmcnt(0)
	s_and_b32 s2, s2, 0xffff
	s_and_b64 s[0:1], vcc, exec
	s_cselect_b32 s19, s15, 0
	s_cselect_b32 s18, s14, 0x10000
	s_lshl_b32 s3, s2, 1
	s_lshl_b32 s24, s2, 2
	s_add_u32 s6, s10, s12
	v_lshlrev_b32_e32 v1, 1, v0
	s_addc_u32 s7, s11, s13
	v_mov_b32_e32 v2, s7
	v_add_co_u32_e32 v1, vcc, s6, v1
	s_mul_i32 s0, s2, 3
	v_addc_co_u32_e32 v2, vcc, 0, v2, vcc
	v_add_co_u32_e32 v5, vcc, s0, v0
	v_addc_co_u32_e64 v6, s[0:1], 0, 0, vcc
	v_add_co_u32_e32 v7, vcc, s3, v0
	v_addc_co_u32_e64 v8, s[0:1], 0, 0, vcc
	v_add_co_u32_e32 v9, vcc, s2, v0
	v_lshlrev_b32_e32 v3, 1, v9
	v_addc_co_u32_e64 v10, s[0:1], 0, 0, vcc
	v_mov_b32_e32 v4, s7
	v_add_co_u32_e32 v3, vcc, s6, v3
	s_lshl_b32 s25, s2, 3
	s_mul_i32 s26, s2, 6
	v_addc_co_u32_e32 v4, vcc, 0, v4, vcc
	s_mov_b32 s27, 0x33800000
	s_mov_b32 s28, 0x3f2aaaab
	;; [unrolled: 1-line block ×3, first 2 shown]
	v_mov_b32_e32 v11, 0x3f2aaada
	s_mov_b32 s30, 0x7f800000
	s_movk_i32 s31, 0x7fff
	v_mov_b32_e32 v12, 0x7f800000
	v_mov_b32_e32 v13, 0x7fc00000
	;; [unrolled: 1-line block ×4, first 2 shown]
	s_branch .LBB212_4
.LBB212_3:                              ;   in Loop: Header=BB212_4 Depth=1
	s_or_b64 exec, exec, s[2:3]
	s_add_u32 s20, s20, s24
	v_add_co_u32_e32 v1, vcc, s25, v1
	v_mov_b32_e32 v16, s16
	s_addc_u32 s21, s21, 0
	v_addc_co_u32_e32 v2, vcc, 0, v2, vcc
	v_mov_b32_e32 v17, s17
	v_cmp_lt_i64_e32 vcc, s[20:21], v[16:17]
	v_add_co_u32_e64 v3, s[0:1], s25, v3
	v_addc_co_u32_e64 v4, s[0:1], 0, v4, s[0:1]
	s_cbranch_vccz .LBB212_20
.LBB212_4:                              ; =>This Inner Loop Header: Depth=1
	v_mov_b32_e32 v17, s21
	v_add_co_u32_e32 v16, vcc, s20, v0
	v_addc_co_u32_e32 v17, vcc, 0, v17, vcc
	v_cmp_gt_u64_e32 vcc, s[18:19], v[16:17]
	v_mov_b32_e32 v19, 0
	s_and_saveexec_b64 s[0:1], vcc
	s_cbranch_execz .LBB212_6
; %bb.5:                                ;   in Loop: Header=BB212_4 Depth=1
	global_load_ushort v16, v[1:2], off
	s_waitcnt vmcnt(0)
	v_lshlrev_b32_e32 v19, 16, v16
.LBB212_6:                              ;   in Loop: Header=BB212_4 Depth=1
	s_or_b64 exec, exec, s[0:1]
	v_mov_b32_e32 v17, s21
	v_add_co_u32_e64 v16, s[0:1], s20, v9
	v_addc_co_u32_e64 v17, s[0:1], v10, v17, s[0:1]
	v_cmp_gt_u64_e64 s[6:7], s[18:19], v[16:17]
	v_mov_b32_e32 v17, 0
	v_mov_b32_e32 v18, 0
	s_and_saveexec_b64 s[0:1], s[6:7]
	s_cbranch_execz .LBB212_8
; %bb.7:                                ;   in Loop: Header=BB212_4 Depth=1
	global_load_ushort v16, v[3:4], off
	s_waitcnt vmcnt(0)
	v_lshlrev_b32_e32 v18, 16, v16
.LBB212_8:                              ;   in Loop: Header=BB212_4 Depth=1
	s_or_b64 exec, exec, s[0:1]
	v_mov_b32_e32 v16, s21
	v_add_co_u32_e64 v20, s[0:1], s20, v7
	v_addc_co_u32_e64 v21, s[0:1], v8, v16, s[0:1]
	v_cmp_gt_u64_e64 s[2:3], s[18:19], v[20:21]
	s_and_saveexec_b64 s[8:9], s[2:3]
	s_cbranch_execz .LBB212_10
; %bb.9:                                ;   in Loop: Header=BB212_4 Depth=1
	v_add_co_u32_e64 v16, s[0:1], s24, v1
	v_addc_co_u32_e64 v17, s[0:1], 0, v2, s[0:1]
	global_load_ushort v16, v[16:17], off
	s_waitcnt vmcnt(0)
	v_lshlrev_b32_e32 v17, 16, v16
.LBB212_10:                             ;   in Loop: Header=BB212_4 Depth=1
	s_or_b64 exec, exec, s[8:9]
	v_mov_b32_e32 v16, s21
	v_add_co_u32_e64 v20, s[0:1], s20, v5
	v_addc_co_u32_e64 v21, s[0:1], v6, v16, s[0:1]
	v_cmp_gt_u64_e64 s[0:1], s[18:19], v[20:21]
	v_mov_b32_e32 v16, 0
	s_and_saveexec_b64 s[22:23], s[0:1]
	s_cbranch_execnz .LBB212_15
; %bb.11:                               ;   in Loop: Header=BB212_4 Depth=1
	s_or_b64 exec, exec, s[22:23]
	s_and_saveexec_b64 s[8:9], vcc
	s_cbranch_execnz .LBB212_16
.LBB212_12:                             ;   in Loop: Header=BB212_4 Depth=1
	s_or_b64 exec, exec, s[8:9]
	s_and_saveexec_b64 s[8:9], s[6:7]
	s_cbranch_execnz .LBB212_17
.LBB212_13:                             ;   in Loop: Header=BB212_4 Depth=1
	s_or_b64 exec, exec, s[8:9]
	s_and_saveexec_b64 s[6:7], s[2:3]
	s_cbranch_execnz .LBB212_18
.LBB212_14:                             ;   in Loop: Header=BB212_4 Depth=1
	s_or_b64 exec, exec, s[6:7]
	s_and_saveexec_b64 s[2:3], s[0:1]
	s_cbranch_execz .LBB212_3
	s_branch .LBB212_19
.LBB212_15:                             ;   in Loop: Header=BB212_4 Depth=1
	v_add_co_u32_e64 v20, s[8:9], s26, v1
	v_addc_co_u32_e64 v21, s[8:9], 0, v2, s[8:9]
	global_load_ushort v16, v[20:21], off
	s_waitcnt vmcnt(0)
	v_lshlrev_b32_e32 v16, 16, v16
	s_or_b64 exec, exec, s[22:23]
	s_and_saveexec_b64 s[8:9], vcc
	s_cbranch_execz .LBB212_12
.LBB212_16:                             ;   in Loop: Header=BB212_4 Depth=1
	v_add_f32_e32 v22, 1.0, v19
	v_cvt_f64_f32_e32 v[20:21], v22
	v_frexp_mant_f32_e32 v23, v22
	v_cmp_gt_f32_e32 vcc, s28, v23
	v_frexp_exp_i32_f64_e32 v20, v[20:21]
	v_add_f32_e32 v21, -1.0, v22
	v_sub_f32_e32 v24, v19, v21
	v_sub_f32_e32 v21, v21, v22
	v_add_f32_e32 v21, 1.0, v21
	v_add_f32_e32 v21, v24, v21
	v_subbrev_co_u32_e32 v20, vcc, 0, v20, vcc
	v_cvt_f32_i32_e32 v23, v20
	v_sub_u32_e32 v20, 0, v20
	v_ldexp_f32 v22, v22, v20
	v_add_f32_e32 v27, 1.0, v22
	v_add_f32_e32 v28, -1.0, v27
	v_ldexp_f32 v20, v21, v20
	v_sub_f32_e32 v28, v22, v28
	v_add_f32_e32 v28, v20, v28
	v_add_f32_e32 v21, -1.0, v22
	v_add_f32_e32 v29, v27, v28
	v_add_f32_e32 v24, 1.0, v21
	v_rcp_f32_e32 v30, v29
	v_sub_f32_e32 v22, v22, v24
	v_add_f32_e32 v20, v20, v22
	v_add_f32_e32 v22, v21, v20
	v_mul_f32_e32 v24, v22, v30
	v_mul_f32_e32 v31, v29, v24
	v_sub_f32_e32 v27, v29, v27
	v_sub_f32_e32 v27, v28, v27
	v_fma_f32 v28, v24, v29, -v31
	v_fmac_f32_e32 v28, v24, v27
	v_add_f32_e32 v32, v31, v28
	v_sub_f32_e32 v31, v32, v31
	v_sub_f32_e32 v28, v31, v28
	;; [unrolled: 1-line block ×7, first 2 shown]
	v_add_f32_e32 v20, v20, v21
	v_add_f32_e32 v20, v28, v20
	;; [unrolled: 1-line block ×3, first 2 shown]
	v_mul_f32_e32 v22, v30, v21
	v_mul_f32_e32 v32, v29, v22
	v_add_f32_e32 v28, v24, v22
	v_fma_f32 v29, v22, v29, -v32
	v_sub_f32_e32 v24, v28, v24
	v_fmac_f32_e32 v29, v22, v27
	v_sub_f32_e32 v24, v22, v24
	v_add_f32_e32 v22, v32, v29
	v_sub_f32_e32 v27, v21, v22
	v_sub_f32_e32 v31, v31, v21
	;; [unrolled: 1-line block ×4, first 2 shown]
	v_add_f32_e32 v20, v20, v31
	v_sub_f32_e32 v21, v21, v22
	v_sub_f32_e32 v29, v32, v29
	v_add_f32_e32 v20, v20, v21
	v_add_f32_e32 v20, v29, v20
	;; [unrolled: 1-line block ×3, first 2 shown]
	v_mul_f32_e32 v20, v30, v20
	v_add_f32_e32 v20, v24, v20
	v_add_f32_e32 v21, v28, v20
	v_mul_f32_e32 v24, v21, v21
	v_mov_b32_e32 v29, 0x3ecc95a3
	v_fmac_f32_e32 v29, 0x3e9b6dac, v24
	v_mul_f32_e32 v27, v21, v24
	v_fma_f32 v24, v24, v29, v11
	v_ldexp_f32 v22, v21, 1
	v_mul_f32_e32 v24, v27, v24
	v_add_f32_e32 v27, v22, v24
	v_sub_f32_e32 v21, v21, v28
	v_mul_f32_e32 v25, 0x3f317218, v23
	v_sub_f32_e32 v20, v20, v21
	v_sub_f32_e32 v21, v27, v22
	v_fma_f32 v26, v23, s29, -v25
	v_ldexp_f32 v20, v20, 1
	v_sub_f32_e32 v21, v24, v21
	v_fmac_f32_e32 v26, 0xb102e308, v23
	v_add_f32_e32 v20, v20, v21
	v_add_f32_e32 v23, v25, v26
	;; [unrolled: 1-line block ×4, first 2 shown]
	v_sub_f32_e32 v24, v23, v25
	v_sub_f32_e32 v24, v26, v24
	;; [unrolled: 1-line block ×8, first 2 shown]
	v_add_f32_e32 v25, v24, v20
	v_add_f32_e32 v21, v21, v23
	;; [unrolled: 1-line block ×3, first 2 shown]
	v_sub_f32_e32 v26, v25, v24
	v_add_f32_e32 v23, v22, v21
	v_sub_f32_e32 v25, v25, v26
	v_sub_f32_e32 v20, v20, v26
	;; [unrolled: 1-line block ×4, first 2 shown]
	v_add_f32_e32 v20, v20, v24
	v_sub_f32_e32 v21, v21, v22
	v_add_f32_e32 v20, v20, v21
	v_add_f32_e32 v20, v23, v20
	v_cmp_neq_f32_e32 vcc, s30, v19
	v_cndmask_b32_e32 v20, v12, v20, vcc
	v_cmp_ngt_f32_e32 vcc, -1.0, v19
	v_cndmask_b32_e32 v20, v13, v20, vcc
	v_cmp_neq_f32_e32 vcc, -1.0, v19
	v_cndmask_b32_e32 v20, v14, v20, vcc
	v_cmp_lt_f32_e64 vcc, |v19|, s27
	v_cndmask_b32_e32 v19, v20, v19, vcc
	v_bfe_u32 v20, v19, 16, 1
	v_add3_u32 v20, v19, v20, s31
	v_cmp_o_f32_e32 vcc, v19, v19
	v_cndmask_b32_sdwa v19, v15, v20, vcc dst_sel:DWORD dst_unused:UNUSED_PAD src0_sel:DWORD src1_sel:WORD_1
	global_store_short v[1:2], v19, off
	s_or_b64 exec, exec, s[8:9]
	s_and_saveexec_b64 s[8:9], s[6:7]
	s_cbranch_execz .LBB212_13
.LBB212_17:                             ;   in Loop: Header=BB212_4 Depth=1
	v_add_f32_e32 v21, 1.0, v18
	v_cvt_f64_f32_e32 v[19:20], v21
	v_add_f32_e32 v22, -1.0, v21
	v_sub_f32_e32 v23, v22, v21
	v_sub_f32_e32 v22, v18, v22
	v_frexp_exp_i32_f64_e32 v19, v[19:20]
	v_frexp_mant_f32_e32 v20, v21
	v_cmp_gt_f32_e32 vcc, s28, v20
	v_add_f32_e32 v23, 1.0, v23
	v_add_f32_e32 v22, v22, v23
	v_subbrev_co_u32_e32 v19, vcc, 0, v19, vcc
	v_sub_u32_e32 v20, 0, v19
	v_ldexp_f32 v21, v21, v20
	v_ldexp_f32 v20, v22, v20
	v_add_f32_e32 v22, -1.0, v21
	v_add_f32_e32 v23, 1.0, v21
	v_add_f32_e32 v24, 1.0, v22
	v_add_f32_e32 v26, -1.0, v23
	v_sub_f32_e32 v24, v21, v24
	v_sub_f32_e32 v21, v21, v26
	v_add_f32_e32 v24, v20, v24
	v_add_f32_e32 v20, v20, v21
	v_add_f32_e32 v21, v23, v20
	v_rcp_f32_e32 v26, v21
	v_add_f32_e32 v25, v22, v24
	v_sub_f32_e32 v23, v21, v23
	v_sub_f32_e32 v22, v25, v22
	;; [unrolled: 1-line block ×3, first 2 shown]
	v_mul_f32_e32 v23, v25, v26
	v_sub_f32_e32 v22, v24, v22
	v_mul_f32_e32 v24, v21, v23
	v_fma_f32 v27, v23, v21, -v24
	v_fmac_f32_e32 v27, v23, v20
	v_add_f32_e32 v28, v24, v27
	v_sub_f32_e32 v29, v25, v28
	v_sub_f32_e32 v25, v25, v29
	;; [unrolled: 1-line block ×4, first 2 shown]
	v_add_f32_e32 v22, v22, v25
	v_sub_f32_e32 v24, v24, v27
	v_add_f32_e32 v22, v24, v22
	v_add_f32_e32 v24, v29, v22
	v_mul_f32_e32 v25, v26, v24
	v_mul_f32_e32 v27, v21, v25
	v_fma_f32 v21, v25, v21, -v27
	v_fmac_f32_e32 v21, v25, v20
	v_sub_f32_e32 v20, v29, v24
	v_add_f32_e32 v20, v22, v20
	v_add_f32_e32 v22, v27, v21
	v_sub_f32_e32 v28, v24, v22
	v_sub_f32_e32 v24, v24, v28
	;; [unrolled: 1-line block ×4, first 2 shown]
	v_add_f32_e32 v20, v20, v22
	v_sub_f32_e32 v21, v27, v21
	v_cvt_f32_i32_e32 v19, v19
	v_add_f32_e32 v20, v21, v20
	v_add_f32_e32 v21, v23, v25
	;; [unrolled: 1-line block ×3, first 2 shown]
	v_sub_f32_e32 v22, v21, v23
	v_mul_f32_e32 v20, v26, v20
	v_sub_f32_e32 v22, v25, v22
	v_add_f32_e32 v20, v22, v20
	v_mul_f32_e32 v25, 0x3f317218, v19
	v_add_f32_e32 v22, v21, v20
	v_fma_f32 v26, v19, s29, -v25
	v_mul_f32_e32 v23, v22, v22
	v_mov_b32_e32 v24, 0x3ecc95a3
	v_fmac_f32_e32 v26, 0xb102e308, v19
	v_sub_f32_e32 v19, v22, v21
	v_fmac_f32_e32 v24, 0x3e9b6dac, v23
	v_sub_f32_e32 v19, v20, v19
	v_add_f32_e32 v20, v25, v26
	v_fma_f32 v24, v23, v24, v11
	v_sub_f32_e32 v21, v20, v25
	v_ldexp_f32 v25, v22, 1
	v_mul_f32_e32 v22, v22, v23
	v_mul_f32_e32 v22, v22, v24
	v_add_f32_e32 v23, v25, v22
	v_sub_f32_e32 v24, v23, v25
	v_ldexp_f32 v19, v19, 1
	v_sub_f32_e32 v22, v22, v24
	v_add_f32_e32 v19, v19, v22
	v_add_f32_e32 v22, v23, v19
	v_sub_f32_e32 v23, v22, v23
	v_sub_f32_e32 v19, v19, v23
	v_add_f32_e32 v23, v20, v22
	v_sub_f32_e32 v24, v23, v20
	v_sub_f32_e32 v25, v23, v24
	;; [unrolled: 1-line block ×5, first 2 shown]
	v_add_f32_e32 v20, v22, v20
	v_add_f32_e32 v22, v21, v19
	v_sub_f32_e32 v24, v22, v21
	v_sub_f32_e32 v25, v22, v24
	;; [unrolled: 1-line block ×4, first 2 shown]
	v_add_f32_e32 v20, v22, v20
	v_add_f32_e32 v19, v19, v21
	;; [unrolled: 1-line block ×3, first 2 shown]
	v_sub_f32_e32 v22, v21, v23
	v_sub_f32_e32 v20, v20, v22
	v_add_f32_e32 v19, v19, v20
	v_add_f32_e32 v19, v21, v19
	v_cmp_neq_f32_e32 vcc, s30, v18
	v_cndmask_b32_e32 v19, v12, v19, vcc
	v_cmp_ngt_f32_e32 vcc, -1.0, v18
	v_cndmask_b32_e32 v19, v13, v19, vcc
	v_cmp_neq_f32_e32 vcc, -1.0, v18
	v_cndmask_b32_e32 v19, v14, v19, vcc
	v_cmp_lt_f32_e64 vcc, |v18|, s27
	v_cndmask_b32_e32 v18, v19, v18, vcc
	v_bfe_u32 v19, v18, 16, 1
	v_add3_u32 v19, v18, v19, s31
	v_cmp_o_f32_e32 vcc, v18, v18
	v_cndmask_b32_sdwa v18, v15, v19, vcc dst_sel:DWORD dst_unused:UNUSED_PAD src0_sel:DWORD src1_sel:WORD_1
	global_store_short v[3:4], v18, off
	s_or_b64 exec, exec, s[8:9]
	s_and_saveexec_b64 s[6:7], s[2:3]
	s_cbranch_execz .LBB212_14
.LBB212_18:                             ;   in Loop: Header=BB212_4 Depth=1
	v_add_f32_e32 v20, 1.0, v17
	v_cvt_f64_f32_e32 v[18:19], v20
	v_add_f32_e32 v21, -1.0, v20
	v_sub_f32_e32 v22, v21, v20
	v_sub_f32_e32 v21, v17, v21
	v_frexp_exp_i32_f64_e32 v18, v[18:19]
	v_frexp_mant_f32_e32 v19, v20
	v_cmp_gt_f32_e32 vcc, s28, v19
	v_add_f32_e32 v22, 1.0, v22
	v_add_f32_e32 v21, v21, v22
	v_subbrev_co_u32_e32 v18, vcc, 0, v18, vcc
	v_sub_u32_e32 v19, 0, v18
	v_ldexp_f32 v20, v20, v19
	v_ldexp_f32 v19, v21, v19
	v_add_f32_e32 v21, -1.0, v20
	v_add_f32_e32 v22, 1.0, v20
	v_add_f32_e32 v23, 1.0, v21
	v_add_f32_e32 v25, -1.0, v22
	v_sub_f32_e32 v23, v20, v23
	v_sub_f32_e32 v20, v20, v25
	v_add_f32_e32 v23, v19, v23
	v_add_f32_e32 v19, v19, v20
	;; [unrolled: 1-line block ×3, first 2 shown]
	v_rcp_f32_e32 v25, v20
	v_add_f32_e32 v24, v21, v23
	v_sub_f32_e32 v22, v20, v22
	v_sub_f32_e32 v21, v24, v21
	;; [unrolled: 1-line block ×3, first 2 shown]
	v_mul_f32_e32 v22, v24, v25
	v_sub_f32_e32 v21, v23, v21
	v_mul_f32_e32 v23, v20, v22
	v_fma_f32 v26, v22, v20, -v23
	v_fmac_f32_e32 v26, v22, v19
	v_add_f32_e32 v27, v23, v26
	v_sub_f32_e32 v28, v24, v27
	v_sub_f32_e32 v24, v24, v28
	;; [unrolled: 1-line block ×4, first 2 shown]
	v_add_f32_e32 v21, v21, v24
	v_sub_f32_e32 v23, v23, v26
	v_add_f32_e32 v21, v23, v21
	v_add_f32_e32 v23, v28, v21
	v_mul_f32_e32 v24, v25, v23
	v_mul_f32_e32 v26, v20, v24
	v_fma_f32 v20, v24, v20, -v26
	v_fmac_f32_e32 v20, v24, v19
	v_sub_f32_e32 v19, v28, v23
	v_add_f32_e32 v19, v21, v19
	v_add_f32_e32 v21, v26, v20
	v_sub_f32_e32 v27, v23, v21
	v_sub_f32_e32 v23, v23, v27
	;; [unrolled: 1-line block ×4, first 2 shown]
	v_add_f32_e32 v19, v19, v21
	v_sub_f32_e32 v20, v26, v20
	v_cvt_f32_i32_e32 v18, v18
	v_add_f32_e32 v19, v20, v19
	v_add_f32_e32 v20, v22, v24
	v_add_f32_e32 v19, v27, v19
	v_sub_f32_e32 v21, v20, v22
	v_mul_f32_e32 v19, v25, v19
	v_sub_f32_e32 v21, v24, v21
	v_add_f32_e32 v19, v21, v19
	v_mul_f32_e32 v24, 0x3f317218, v18
	v_add_f32_e32 v21, v20, v19
	v_fma_f32 v25, v18, s29, -v24
	v_mul_f32_e32 v22, v21, v21
	v_mov_b32_e32 v23, 0x3ecc95a3
	v_fmac_f32_e32 v25, 0xb102e308, v18
	v_sub_f32_e32 v18, v21, v20
	v_fmac_f32_e32 v23, 0x3e9b6dac, v22
	v_sub_f32_e32 v18, v19, v18
	v_add_f32_e32 v19, v24, v25
	v_fma_f32 v23, v22, v23, v11
	v_sub_f32_e32 v20, v19, v24
	v_ldexp_f32 v24, v21, 1
	v_mul_f32_e32 v21, v21, v22
	v_mul_f32_e32 v21, v21, v23
	v_add_f32_e32 v22, v24, v21
	v_sub_f32_e32 v23, v22, v24
	v_ldexp_f32 v18, v18, 1
	v_sub_f32_e32 v21, v21, v23
	v_add_f32_e32 v18, v18, v21
	v_add_f32_e32 v21, v22, v18
	v_sub_f32_e32 v22, v21, v22
	v_sub_f32_e32 v18, v18, v22
	v_add_f32_e32 v22, v19, v21
	v_sub_f32_e32 v23, v22, v19
	v_sub_f32_e32 v24, v22, v23
	;; [unrolled: 1-line block ×5, first 2 shown]
	v_add_f32_e32 v19, v21, v19
	v_add_f32_e32 v21, v20, v18
	v_sub_f32_e32 v23, v21, v20
	v_sub_f32_e32 v24, v21, v23
	;; [unrolled: 1-line block ×4, first 2 shown]
	v_add_f32_e32 v19, v21, v19
	v_add_f32_e32 v18, v18, v20
	;; [unrolled: 1-line block ×3, first 2 shown]
	v_sub_f32_e32 v21, v20, v22
	v_sub_f32_e32 v19, v19, v21
	v_add_f32_e32 v18, v18, v19
	v_add_f32_e32 v18, v20, v18
	v_cmp_neq_f32_e32 vcc, s30, v17
	v_cndmask_b32_e32 v18, v12, v18, vcc
	v_cmp_ngt_f32_e32 vcc, -1.0, v17
	v_cndmask_b32_e32 v18, v13, v18, vcc
	v_cmp_neq_f32_e32 vcc, -1.0, v17
	v_cndmask_b32_e32 v18, v14, v18, vcc
	v_cmp_lt_f32_e64 vcc, |v17|, s27
	v_cndmask_b32_e32 v17, v18, v17, vcc
	v_bfe_u32 v18, v17, 16, 1
	v_add3_u32 v18, v17, v18, s31
	v_cmp_o_f32_e32 vcc, v17, v17
	v_cndmask_b32_sdwa v19, v15, v18, vcc dst_sel:DWORD dst_unused:UNUSED_PAD src0_sel:DWORD src1_sel:WORD_1
	v_add_co_u32_e32 v17, vcc, s24, v1
	v_addc_co_u32_e32 v18, vcc, 0, v2, vcc
	global_store_short v[17:18], v19, off
	s_or_b64 exec, exec, s[6:7]
	s_and_saveexec_b64 s[2:3], s[0:1]
	s_cbranch_execz .LBB212_3
.LBB212_19:                             ;   in Loop: Header=BB212_4 Depth=1
	v_add_f32_e32 v19, 1.0, v16
	v_cvt_f64_f32_e32 v[17:18], v19
	v_add_f32_e32 v20, -1.0, v19
	v_sub_f32_e32 v21, v20, v19
	v_sub_f32_e32 v20, v16, v20
	v_frexp_exp_i32_f64_e32 v17, v[17:18]
	v_frexp_mant_f32_e32 v18, v19
	v_cmp_gt_f32_e32 vcc, s28, v18
	v_add_f32_e32 v21, 1.0, v21
	v_add_f32_e32 v20, v20, v21
	v_subbrev_co_u32_e32 v17, vcc, 0, v17, vcc
	v_sub_u32_e32 v18, 0, v17
	v_ldexp_f32 v19, v19, v18
	v_ldexp_f32 v18, v20, v18
	v_add_f32_e32 v20, -1.0, v19
	v_add_f32_e32 v21, 1.0, v19
	v_add_f32_e32 v22, 1.0, v20
	v_add_f32_e32 v24, -1.0, v21
	v_sub_f32_e32 v22, v19, v22
	v_sub_f32_e32 v19, v19, v24
	v_add_f32_e32 v22, v18, v22
	v_add_f32_e32 v18, v18, v19
	;; [unrolled: 1-line block ×3, first 2 shown]
	v_rcp_f32_e32 v24, v19
	v_add_f32_e32 v23, v20, v22
	v_sub_f32_e32 v21, v19, v21
	v_sub_f32_e32 v20, v23, v20
	;; [unrolled: 1-line block ×3, first 2 shown]
	v_mul_f32_e32 v21, v23, v24
	v_sub_f32_e32 v20, v22, v20
	v_mul_f32_e32 v22, v19, v21
	v_fma_f32 v25, v21, v19, -v22
	v_fmac_f32_e32 v25, v21, v18
	v_add_f32_e32 v26, v22, v25
	v_sub_f32_e32 v27, v23, v26
	v_sub_f32_e32 v23, v23, v27
	;; [unrolled: 1-line block ×4, first 2 shown]
	v_add_f32_e32 v20, v20, v23
	v_sub_f32_e32 v22, v22, v25
	v_add_f32_e32 v20, v22, v20
	v_add_f32_e32 v22, v27, v20
	v_mul_f32_e32 v23, v24, v22
	v_mul_f32_e32 v25, v19, v23
	v_fma_f32 v19, v23, v19, -v25
	v_fmac_f32_e32 v19, v23, v18
	v_sub_f32_e32 v18, v27, v22
	v_add_f32_e32 v18, v20, v18
	v_add_f32_e32 v20, v25, v19
	v_sub_f32_e32 v26, v22, v20
	v_sub_f32_e32 v22, v22, v26
	;; [unrolled: 1-line block ×4, first 2 shown]
	v_add_f32_e32 v18, v18, v20
	v_sub_f32_e32 v19, v25, v19
	v_cvt_f32_i32_e32 v17, v17
	v_add_f32_e32 v18, v19, v18
	v_add_f32_e32 v19, v21, v23
	;; [unrolled: 1-line block ×3, first 2 shown]
	v_sub_f32_e32 v20, v19, v21
	v_mul_f32_e32 v18, v24, v18
	v_sub_f32_e32 v20, v23, v20
	v_add_f32_e32 v18, v20, v18
	v_mul_f32_e32 v23, 0x3f317218, v17
	v_add_f32_e32 v20, v19, v18
	v_fma_f32 v24, v17, s29, -v23
	v_mul_f32_e32 v21, v20, v20
	v_mov_b32_e32 v22, 0x3ecc95a3
	v_fmac_f32_e32 v24, 0xb102e308, v17
	v_sub_f32_e32 v17, v20, v19
	v_fmac_f32_e32 v22, 0x3e9b6dac, v21
	v_sub_f32_e32 v17, v18, v17
	v_add_f32_e32 v18, v23, v24
	v_fma_f32 v22, v21, v22, v11
	v_sub_f32_e32 v19, v18, v23
	v_ldexp_f32 v23, v20, 1
	v_mul_f32_e32 v20, v20, v21
	v_mul_f32_e32 v20, v20, v22
	v_add_f32_e32 v21, v23, v20
	v_sub_f32_e32 v22, v21, v23
	v_ldexp_f32 v17, v17, 1
	v_sub_f32_e32 v20, v20, v22
	v_add_f32_e32 v17, v17, v20
	v_add_f32_e32 v20, v21, v17
	v_sub_f32_e32 v21, v20, v21
	v_sub_f32_e32 v17, v17, v21
	v_add_f32_e32 v21, v18, v20
	v_sub_f32_e32 v22, v21, v18
	v_sub_f32_e32 v23, v21, v22
	;; [unrolled: 1-line block ×5, first 2 shown]
	v_add_f32_e32 v18, v20, v18
	v_add_f32_e32 v20, v19, v17
	v_sub_f32_e32 v22, v20, v19
	v_sub_f32_e32 v23, v20, v22
	v_sub_f32_e32 v19, v19, v23
	v_sub_f32_e32 v17, v17, v22
	v_add_f32_e32 v18, v20, v18
	v_add_f32_e32 v17, v17, v19
	;; [unrolled: 1-line block ×3, first 2 shown]
	v_sub_f32_e32 v20, v19, v21
	v_sub_f32_e32 v18, v18, v20
	v_add_f32_e32 v17, v17, v18
	v_add_f32_e32 v17, v19, v17
	v_cmp_neq_f32_e32 vcc, s30, v16
	v_cndmask_b32_e32 v17, v12, v17, vcc
	v_cmp_ngt_f32_e32 vcc, -1.0, v16
	v_cndmask_b32_e32 v17, v13, v17, vcc
	v_cmp_neq_f32_e32 vcc, -1.0, v16
	v_cndmask_b32_e32 v17, v14, v17, vcc
	v_cmp_lt_f32_e64 vcc, |v16|, s27
	v_cndmask_b32_e32 v16, v17, v16, vcc
	v_bfe_u32 v17, v16, 16, 1
	v_add3_u32 v17, v16, v17, s31
	v_cmp_o_f32_e32 vcc, v16, v16
	v_cndmask_b32_sdwa v18, v15, v17, vcc dst_sel:DWORD dst_unused:UNUSED_PAD src0_sel:DWORD src1_sel:WORD_1
	v_add_co_u32_e32 v16, vcc, s26, v1
	v_addc_co_u32_e32 v17, vcc, 0, v2, vcc
	global_store_short v[16:17], v18, off
	s_branch .LBB212_3
.LBB212_20:
	s_cbranch_execz .LBB212_22
	s_branch .LBB212_25
.LBB212_21:
.LBB212_22:
	v_mov_b32_e32 v1, 0x10000
	v_mov_b32_e32 v2, 0
	v_cmp_lt_i64_e32 vcc, s[14:15], v[1:2]
	v_mov_b32_e32 v2, 0
	s_and_b64 s[0:1], vcc, exec
	s_cselect_b32 s1, s15, 0
	s_cselect_b32 s0, s14, 0x10000
	v_lshlrev_b32_e32 v1, 2, v0
	v_cmp_gt_i64_e32 vcc, s[0:1], v[1:2]
	s_and_saveexec_b64 s[2:3], vcc
	s_cbranch_execz .LBB212_25
; %bb.23:
	s_load_dword s2, s[4:5], 0xd3c
	v_mov_b32_e32 v1, v2
	v_lshlrev_b32_e32 v2, 3, v0
	s_mov_b32 s6, 0x3f2aaaab
	v_mov_b32_e32 v6, 0x3f2aaada
	s_waitcnt lgkmcnt(0)
	s_and_b32 s4, s2, 0xffff
	s_add_u32 s2, s10, s12
	s_addc_u32 s3, s11, s13
	v_mov_b32_e32 v3, s3
	v_add_co_u32_e32 v2, vcc, s2, v2
	v_addc_co_u32_e32 v3, vcc, 0, v3, vcc
	s_lshl_b32 s5, s4, 3
	s_mov_b64 s[2:3], 0
	s_mov_b32 s7, 0x3f317218
	s_mov_b32 s8, 0x7f800000
	v_mov_b32_e32 v7, 0x7f800000
	v_mov_b32_e32 v8, 0x7fc00000
	;; [unrolled: 1-line block ×3, first 2 shown]
	s_mov_b32 s9, 0x33800000
	s_movk_i32 s10, 0x7fff
	v_mov_b32_e32 v10, 0x7fc0
.LBB212_24:                             ; =>This Inner Loop Header: Depth=1
	global_load_dwordx2 v[4:5], v[2:3], off
	v_mov_b32_e32 v13, 0x3ecc95a3
	s_waitcnt vmcnt(0)
	v_lshlrev_b32_e32 v12, 16, v4
	v_add_f32_e32 v18, 1.0, v12
	v_and_b32_e32 v11, 0xffff0000, v4
	v_cvt_f64_f32_e32 v[14:15], v18
	v_add_f32_e32 v19, 1.0, v11
	v_cvt_f64_f32_e32 v[16:17], v19
	v_add_f32_e32 v20, -1.0, v18
	v_frexp_exp_i32_f64_e32 v14, v[14:15]
	v_frexp_mant_f32_e32 v21, v18
	v_frexp_exp_i32_f64_e32 v16, v[16:17]
	v_sub_f32_e32 v24, v20, v18
	v_sub_f32_e32 v20, v12, v20
	v_add_f32_e32 v15, 1.0, v24
	v_cmp_gt_f32_e32 vcc, s6, v21
	v_add_f32_e32 v22, -1.0, v19
	v_frexp_mant_f32_e32 v23, v19
	v_add_f32_e32 v15, v20, v15
	v_subbrev_co_u32_e32 v20, vcc, 0, v14, vcc
	v_sub_f32_e32 v25, v22, v19
	v_cmp_gt_f32_e32 vcc, s6, v23
	v_sub_f32_e32 v22, v11, v22
	v_add_f32_e32 v24, 1.0, v25
	v_subbrev_co_u32_e32 v14, vcc, 0, v16, vcc
	v_sub_u32_e32 v16, 0, v20
	v_add_f32_e32 v17, v22, v24
	v_sub_u32_e32 v21, 0, v14
	v_ldexp_f32 v18, v18, v16
	v_cvt_f32_i32_e32 v20, v20
	v_ldexp_f32 v15, v15, v16
	v_ldexp_f32 v16, v19, v21
	;; [unrolled: 1-line block ×3, first 2 shown]
	v_add_f32_e32 v19, -1.0, v18
	v_add_f32_e32 v21, 1.0, v18
	v_add_f32_e32 v24, 1.0, v19
	v_add_f32_e32 v25, -1.0, v21
	v_add_f32_e32 v22, -1.0, v16
	v_add_f32_e32 v23, 1.0, v16
	v_sub_f32_e32 v24, v18, v24
	v_sub_f32_e32 v18, v18, v25
	v_add_f32_e32 v26, 1.0, v22
	v_add_f32_e32 v27, -1.0, v23
	v_add_f32_e32 v24, v15, v24
	v_add_f32_e32 v15, v15, v18
	v_mul_f32_e32 v25, 0x3f317218, v20
	v_sub_f32_e32 v26, v16, v26
	v_sub_f32_e32 v16, v16, v27
	v_add_f32_e32 v27, v21, v15
	v_fma_f32 v18, v20, s7, -v25
	v_rcp_f32_e32 v29, v27
	v_fmac_f32_e32 v18, 0xb102e308, v20
	v_sub_f32_e32 v21, v27, v21
	v_add_f32_e32 v30, v25, v18
	v_add_f32_e32 v26, v17, v26
	;; [unrolled: 1-line block ×4, first 2 shown]
	v_sub_f32_e32 v15, v15, v21
	v_sub_f32_e32 v21, v30, v25
	;; [unrolled: 1-line block ×4, first 2 shown]
	v_mul_f32_e32 v21, v17, v29
	v_sub_f32_e32 v19, v24, v19
	v_mul_f32_e32 v24, v27, v21
	v_add_f32_e32 v20, v22, v26
	v_fma_f32 v25, v21, v27, -v24
	v_sub_f32_e32 v22, v20, v22
	v_fmac_f32_e32 v25, v21, v15
	v_sub_f32_e32 v22, v26, v22
	v_add_f32_e32 v26, v24, v25
	v_sub_f32_e32 v24, v26, v24
	v_sub_f32_e32 v24, v24, v25
	;; [unrolled: 1-line block ×5, first 2 shown]
	v_add_f32_e32 v17, v19, v17
	v_add_f32_e32 v17, v24, v17
	;; [unrolled: 1-line block ×3, first 2 shown]
	v_mul_f32_e32 v24, v29, v19
	v_sub_f32_e32 v25, v25, v19
	v_add_f32_e32 v17, v17, v25
	v_mul_f32_e32 v25, v27, v24
	v_fma_f32 v27, v24, v27, -v25
	v_fmac_f32_e32 v27, v24, v15
	v_add_f32_e32 v15, v21, v24
	v_sub_f32_e32 v21, v15, v21
	v_sub_f32_e32 v21, v24, v21
	v_add_f32_e32 v24, v25, v27
	v_sub_f32_e32 v25, v24, v25
	v_sub_f32_e32 v25, v25, v27
	;; [unrolled: 1-line block ×5, first 2 shown]
	v_add_f32_e32 v17, v17, v19
	v_add_f32_e32 v17, v25, v17
	;; [unrolled: 1-line block ×3, first 2 shown]
	v_mul_f32_e32 v17, v29, v17
	v_add_f32_e32 v17, v21, v17
	v_add_f32_e32 v21, v15, v17
	v_mul_f32_e32 v27, v21, v21
	v_sub_f32_e32 v15, v21, v15
	v_fmac_f32_e32 v13, 0x3e9b6dac, v27
	v_sub_f32_e32 v15, v17, v15
	v_mul_f32_e32 v17, v21, v27
	v_fma_f32 v13, v27, v13, v6
	v_ldexp_f32 v29, v21, 1
	v_mul_f32_e32 v13, v17, v13
	v_add_f32_e32 v17, v29, v13
	v_sub_f32_e32 v21, v17, v29
	v_add_f32_e32 v28, v23, v16
	v_ldexp_f32 v15, v15, 1
	v_sub_f32_e32 v13, v13, v21
	v_rcp_f32_e32 v31, v28
	v_add_f32_e32 v13, v15, v13
	v_add_f32_e32 v15, v17, v13
	v_sub_f32_e32 v17, v15, v17
	v_add_f32_e32 v21, v30, v15
	v_sub_f32_e32 v23, v28, v23
	v_sub_f32_e32 v13, v13, v17
	;; [unrolled: 1-line block ×4, first 2 shown]
	v_mul_f32_e32 v23, v20, v31
	v_sub_f32_e32 v27, v21, v17
	v_mul_f32_e32 v26, v28, v23
	v_sub_f32_e32 v15, v15, v17
	v_add_f32_e32 v17, v18, v13
	v_sub_f32_e32 v27, v30, v27
	v_fma_f32 v24, v23, v28, -v26
	v_sub_f32_e32 v29, v17, v18
	v_add_f32_e32 v15, v15, v27
	v_fmac_f32_e32 v24, v23, v16
	v_sub_f32_e32 v27, v17, v29
	v_add_f32_e32 v15, v17, v15
	v_add_f32_e32 v19, v26, v24
	v_sub_f32_e32 v13, v13, v29
	v_sub_f32_e32 v18, v18, v27
	v_add_f32_e32 v17, v21, v15
	v_sub_f32_e32 v25, v20, v19
	v_add_f32_e32 v13, v13, v18
	v_sub_f32_e32 v18, v17, v21
	v_sub_f32_e32 v20, v20, v25
	;; [unrolled: 1-line block ×4, first 2 shown]
	v_add_f32_e32 v13, v13, v15
	v_sub_f32_e32 v15, v20, v19
	v_add_f32_e32 v13, v17, v13
	v_add_f32_e32 v15, v22, v15
	v_sub_f32_e32 v17, v26, v24
	v_add_f32_e32 v15, v17, v15
	v_add_f32_e32 v17, v25, v15
	v_mul_f32_e32 v18, v31, v17
	v_mul_f32_e32 v19, v28, v18
	v_fma_f32 v20, v18, v28, -v19
	v_fmac_f32_e32 v20, v18, v16
	v_sub_f32_e32 v16, v25, v17
	v_add_f32_e32 v15, v15, v16
	v_add_f32_e32 v16, v19, v20
	v_sub_f32_e32 v21, v17, v16
	v_sub_f32_e32 v17, v17, v21
	;; [unrolled: 1-line block ×4, first 2 shown]
	v_add_f32_e32 v15, v15, v16
	v_sub_f32_e32 v16, v19, v20
	v_cvt_f32_i32_e32 v14, v14
	v_add_f32_e32 v15, v16, v15
	v_add_f32_e32 v16, v23, v18
	;; [unrolled: 1-line block ×3, first 2 shown]
	v_sub_f32_e32 v17, v16, v23
	v_mul_f32_e32 v15, v31, v15
	v_sub_f32_e32 v17, v18, v17
	v_add_f32_e32 v15, v17, v15
	v_mul_f32_e32 v20, 0x3f317218, v14
	v_add_f32_e32 v17, v16, v15
	v_fma_f32 v21, v14, s7, -v20
	v_mul_f32_e32 v18, v17, v17
	v_mov_b32_e32 v19, 0x3ecc95a3
	v_fmac_f32_e32 v21, 0xb102e308, v14
	v_sub_f32_e32 v14, v17, v16
	v_fmac_f32_e32 v19, 0x3e9b6dac, v18
	v_sub_f32_e32 v14, v15, v14
	v_add_f32_e32 v15, v20, v21
	v_fma_f32 v19, v18, v19, v6
	v_sub_f32_e32 v16, v15, v20
	v_ldexp_f32 v20, v17, 1
	v_mul_f32_e32 v17, v17, v18
	v_mul_f32_e32 v17, v17, v19
	v_add_f32_e32 v18, v20, v17
	v_sub_f32_e32 v19, v18, v20
	v_ldexp_f32 v14, v14, 1
	v_sub_f32_e32 v17, v17, v19
	v_add_f32_e32 v14, v14, v17
	v_add_f32_e32 v17, v18, v14
	v_sub_f32_e32 v18, v17, v18
	v_sub_f32_e32 v14, v14, v18
	v_add_f32_e32 v18, v15, v17
	v_sub_f32_e32 v19, v18, v15
	v_sub_f32_e32 v20, v18, v19
	;; [unrolled: 1-line block ×5, first 2 shown]
	v_add_f32_e32 v15, v17, v15
	v_add_f32_e32 v17, v16, v14
	v_sub_f32_e32 v19, v17, v16
	v_sub_f32_e32 v20, v17, v19
	v_sub_f32_e32 v16, v16, v20
	v_sub_f32_e32 v14, v14, v19
	v_add_f32_e32 v15, v17, v15
	v_cmp_neq_f32_e32 vcc, s8, v12
	v_add_f32_e32 v14, v14, v16
	v_add_f32_e32 v16, v18, v15
	v_cndmask_b32_e32 v13, v7, v13, vcc
	v_cmp_ngt_f32_e32 vcc, -1.0, v12
	v_sub_f32_e32 v17, v16, v18
	v_cndmask_b32_e32 v13, v8, v13, vcc
	v_cmp_neq_f32_e32 vcc, -1.0, v12
	v_sub_f32_e32 v15, v15, v17
	v_cndmask_b32_e32 v13, v9, v13, vcc
	v_cmp_lt_f32_e64 vcc, |v12|, s9
	v_add_f32_e32 v14, v14, v15
	v_cndmask_b32_e32 v12, v13, v12, vcc
	v_add_f32_e32 v14, v16, v14
	v_cmp_neq_f32_e32 vcc, s8, v11
	v_cndmask_b32_e32 v14, v7, v14, vcc
	v_cmp_ngt_f32_e32 vcc, -1.0, v11
	v_alignbit_b32 v4, v5, v4, 16
	v_cndmask_b32_e32 v14, v8, v14, vcc
	v_cmp_neq_f32_e32 vcc, -1.0, v11
	v_and_b32_e32 v17, 0xffff0000, v4
	v_cndmask_b32_e32 v14, v9, v14, vcc
	v_cmp_lt_f32_e64 vcc, |v11|, s9
	v_add_f32_e32 v18, 1.0, v17
	v_cndmask_b32_e32 v11, v14, v11, vcc
	v_cvt_f64_f32_e32 v[14:15], v18
	v_bfe_u32 v16, v11, 16, 1
	v_add3_u32 v4, v11, v16, s10
	v_add_f32_e32 v16, -1.0, v18
	v_frexp_exp_i32_f64_e32 v14, v[14:15]
	v_sub_f32_e32 v15, v16, v18
	v_add_f32_e32 v15, 1.0, v15
	v_sub_f32_e32 v16, v17, v16
	v_add_f32_e32 v15, v16, v15
	v_frexp_mant_f32_e32 v16, v18
	v_cmp_gt_f32_e32 vcc, s6, v16
	v_and_b32_e32 v5, 0xffff0000, v5
	v_subbrev_co_u32_e32 v14, vcc, 0, v14, vcc
	v_sub_u32_e32 v16, 0, v14
	v_ldexp_f32 v18, v18, v16
	v_ldexp_f32 v15, v15, v16
	v_add_f32_e32 v16, -1.0, v18
	v_add_f32_e32 v21, 1.0, v18
	v_add_f32_e32 v19, 1.0, v16
	v_add_f32_e32 v22, -1.0, v21
	v_sub_f32_e32 v19, v18, v19
	v_sub_f32_e32 v18, v18, v22
	v_add_f32_e32 v19, v15, v19
	v_add_f32_e32 v15, v15, v18
	;; [unrolled: 1-line block ×3, first 2 shown]
	v_rcp_f32_e32 v22, v18
	v_add_f32_e32 v20, v16, v19
	v_sub_f32_e32 v16, v20, v16
	v_sub_f32_e32 v16, v19, v16
	;; [unrolled: 1-line block ×4, first 2 shown]
	v_mul_f32_e32 v19, v20, v22
	v_mul_f32_e32 v21, v18, v19
	v_fma_f32 v23, v19, v18, -v21
	v_fmac_f32_e32 v23, v19, v15
	v_add_f32_e32 v24, v21, v23
	v_sub_f32_e32 v25, v20, v24
	v_sub_f32_e32 v20, v20, v25
	;; [unrolled: 1-line block ×4, first 2 shown]
	v_add_f32_e32 v16, v16, v20
	v_sub_f32_e32 v20, v21, v23
	v_add_f32_e32 v16, v20, v16
	v_add_f32_e32 v20, v25, v16
	v_mul_f32_e32 v21, v22, v20
	v_mul_f32_e32 v23, v18, v21
	v_fma_f32 v18, v21, v18, -v23
	v_fmac_f32_e32 v18, v21, v15
	v_sub_f32_e32 v15, v25, v20
	v_add_f32_e32 v15, v16, v15
	v_add_f32_e32 v16, v23, v18
	v_sub_f32_e32 v24, v20, v16
	v_sub_f32_e32 v20, v20, v24
	;; [unrolled: 1-line block ×4, first 2 shown]
	v_add_f32_e32 v15, v15, v16
	v_sub_f32_e32 v16, v23, v18
	v_cvt_f32_i32_e32 v14, v14
	v_add_f32_e32 v15, v16, v15
	v_add_f32_e32 v16, v19, v21
	;; [unrolled: 1-line block ×3, first 2 shown]
	v_sub_f32_e32 v18, v16, v19
	v_mul_f32_e32 v15, v22, v15
	v_sub_f32_e32 v18, v21, v18
	v_add_f32_e32 v15, v18, v15
	v_mul_f32_e32 v21, 0x3f317218, v14
	v_add_f32_e32 v18, v16, v15
	v_fma_f32 v22, v14, s7, -v21
	v_mul_f32_e32 v19, v18, v18
	v_mov_b32_e32 v20, 0x3ecc95a3
	v_fmac_f32_e32 v22, 0xb102e308, v14
	v_sub_f32_e32 v14, v18, v16
	v_fmac_f32_e32 v20, 0x3e9b6dac, v19
	v_sub_f32_e32 v14, v15, v14
	v_add_f32_e32 v15, v21, v22
	v_fma_f32 v20, v19, v20, v6
	v_sub_f32_e32 v16, v15, v21
	v_ldexp_f32 v21, v18, 1
	v_mul_f32_e32 v18, v18, v19
	v_mul_f32_e32 v18, v18, v20
	v_add_f32_e32 v19, v21, v18
	v_sub_f32_e32 v20, v19, v21
	v_ldexp_f32 v14, v14, 1
	v_sub_f32_e32 v18, v18, v20
	v_add_f32_e32 v14, v14, v18
	v_add_f32_e32 v18, v19, v14
	v_sub_f32_e32 v19, v18, v19
	v_sub_f32_e32 v14, v14, v19
	v_add_f32_e32 v19, v15, v18
	v_sub_f32_e32 v20, v19, v15
	v_sub_f32_e32 v21, v19, v20
	v_sub_f32_e32 v16, v22, v16
	v_sub_f32_e32 v15, v15, v21
	v_sub_f32_e32 v18, v18, v20
	v_add_f32_e32 v15, v18, v15
	v_add_f32_e32 v18, v16, v14
	v_sub_f32_e32 v20, v18, v16
	v_sub_f32_e32 v21, v18, v20
	;; [unrolled: 1-line block ×4, first 2 shown]
	v_add_f32_e32 v15, v18, v15
	v_add_f32_e32 v14, v14, v16
	;; [unrolled: 1-line block ×3, first 2 shown]
	v_sub_f32_e32 v18, v16, v19
	v_sub_f32_e32 v15, v15, v18
	v_add_f32_e32 v14, v14, v15
	v_add_f32_e32 v14, v16, v14
	v_cmp_neq_f32_e32 vcc, s8, v17
	v_cndmask_b32_e32 v14, v7, v14, vcc
	v_cmp_ngt_f32_e32 vcc, -1.0, v17
	v_cndmask_b32_e32 v14, v8, v14, vcc
	v_cmp_neq_f32_e32 vcc, -1.0, v17
	v_cndmask_b32_e32 v14, v9, v14, vcc
	v_cmp_lt_f32_e64 vcc, |v17|, s9
	v_add_f32_e32 v18, 1.0, v5
	v_cndmask_b32_e32 v16, v14, v17, vcc
	v_cvt_f64_f32_e32 v[14:15], v18
	v_add_f32_e32 v19, -1.0, v18
	v_bfe_u32 v17, v16, 16, 1
	v_add3_u32 v17, v16, v17, s10
	v_frexp_exp_i32_f64_e32 v14, v[14:15]
	v_sub_f32_e32 v15, v19, v18
	v_add_f32_e32 v15, 1.0, v15
	v_sub_f32_e32 v19, v5, v19
	v_add_f32_e32 v15, v19, v15
	v_frexp_mant_f32_e32 v19, v18
	v_cmp_gt_f32_e32 vcc, s6, v19
	v_bfe_u32 v13, v12, 16, 1
	v_subbrev_co_u32_e32 v14, vcc, 0, v14, vcc
	v_sub_u32_e32 v19, 0, v14
	v_ldexp_f32 v18, v18, v19
	v_ldexp_f32 v15, v15, v19
	v_add_f32_e32 v19, -1.0, v18
	v_add_f32_e32 v22, 1.0, v18
	v_add_f32_e32 v20, 1.0, v19
	v_add_f32_e32 v23, -1.0, v22
	v_sub_f32_e32 v20, v18, v20
	v_sub_f32_e32 v18, v18, v23
	v_add_f32_e32 v20, v15, v20
	v_add_f32_e32 v15, v15, v18
	;; [unrolled: 1-line block ×3, first 2 shown]
	v_rcp_f32_e32 v23, v18
	v_add_f32_e32 v21, v19, v20
	v_sub_f32_e32 v19, v21, v19
	v_sub_f32_e32 v19, v20, v19
	;; [unrolled: 1-line block ×4, first 2 shown]
	v_mul_f32_e32 v20, v21, v23
	v_mul_f32_e32 v22, v18, v20
	v_fma_f32 v24, v20, v18, -v22
	v_fmac_f32_e32 v24, v20, v15
	v_add_f32_e32 v25, v22, v24
	v_sub_f32_e32 v26, v21, v25
	v_sub_f32_e32 v21, v21, v26
	;; [unrolled: 1-line block ×4, first 2 shown]
	v_add_f32_e32 v19, v19, v21
	v_sub_f32_e32 v21, v22, v24
	v_add_f32_e32 v19, v21, v19
	v_add_f32_e32 v21, v26, v19
	v_mul_f32_e32 v22, v23, v21
	v_mul_f32_e32 v24, v18, v22
	v_fma_f32 v18, v22, v18, -v24
	v_fmac_f32_e32 v18, v22, v15
	v_sub_f32_e32 v15, v26, v21
	v_add_f32_e32 v15, v19, v15
	v_add_f32_e32 v19, v24, v18
	v_sub_f32_e32 v25, v21, v19
	v_sub_f32_e32 v21, v21, v25
	;; [unrolled: 1-line block ×4, first 2 shown]
	v_add_f32_e32 v15, v15, v19
	v_sub_f32_e32 v18, v24, v18
	v_cvt_f32_i32_e32 v14, v14
	v_add_f32_e32 v15, v18, v15
	v_add_f32_e32 v18, v20, v22
	v_add_f32_e32 v15, v25, v15
	v_sub_f32_e32 v19, v18, v20
	v_mul_f32_e32 v15, v23, v15
	v_sub_f32_e32 v19, v22, v19
	v_add_f32_e32 v15, v19, v15
	v_mul_f32_e32 v22, 0x3f317218, v14
	v_add_f32_e32 v19, v18, v15
	v_fma_f32 v23, v14, s7, -v22
	v_mul_f32_e32 v20, v19, v19
	v_mov_b32_e32 v21, 0x3ecc95a3
	v_fmac_f32_e32 v23, 0xb102e308, v14
	v_sub_f32_e32 v14, v19, v18
	v_fmac_f32_e32 v21, 0x3e9b6dac, v20
	v_sub_f32_e32 v14, v15, v14
	v_add_f32_e32 v15, v22, v23
	v_fma_f32 v21, v20, v21, v6
	v_sub_f32_e32 v18, v15, v22
	v_ldexp_f32 v22, v19, 1
	v_mul_f32_e32 v19, v19, v20
	v_mul_f32_e32 v19, v19, v21
	v_add_f32_e32 v20, v22, v19
	v_sub_f32_e32 v21, v20, v22
	v_ldexp_f32 v14, v14, 1
	v_sub_f32_e32 v19, v19, v21
	v_add_f32_e32 v14, v14, v19
	v_add_f32_e32 v19, v20, v14
	v_sub_f32_e32 v20, v19, v20
	v_sub_f32_e32 v14, v14, v20
	v_add_f32_e32 v20, v15, v19
	v_sub_f32_e32 v21, v20, v15
	v_sub_f32_e32 v22, v20, v21
	;; [unrolled: 1-line block ×5, first 2 shown]
	v_add_f32_e32 v15, v19, v15
	v_add_f32_e32 v19, v18, v14
	v_sub_f32_e32 v21, v19, v18
	v_sub_f32_e32 v22, v19, v21
	;; [unrolled: 1-line block ×4, first 2 shown]
	v_add_f32_e32 v15, v19, v15
	v_add_f32_e32 v14, v14, v18
	;; [unrolled: 1-line block ×3, first 2 shown]
	v_sub_f32_e32 v19, v18, v20
	v_sub_f32_e32 v15, v15, v19
	v_add_f32_e32 v14, v14, v15
	v_add_f32_e32 v14, v18, v14
	v_cmp_neq_f32_e32 vcc, s8, v5
	v_cndmask_b32_e32 v14, v7, v14, vcc
	v_cmp_ngt_f32_e32 vcc, -1.0, v5
	v_cndmask_b32_e32 v14, v8, v14, vcc
	v_cmp_neq_f32_e32 vcc, -1.0, v5
	v_cndmask_b32_e32 v14, v9, v14, vcc
	v_cmp_lt_f32_e64 vcc, |v5|, s9
	v_cndmask_b32_e32 v5, v14, v5, vcc
	v_bfe_u32 v14, v5, 16, 1
	v_add3_u32 v14, v5, v14, s10
	v_and_b32_e32 v14, 0xffff0000, v14
	v_cmp_o_f32_e32 vcc, v5, v5
	v_lshrrev_b32_e32 v17, 16, v17
	v_cndmask_b32_e32 v5, v8, v14, vcc
	v_cmp_o_f32_e32 vcc, v16, v16
	v_add3_u32 v13, v12, v13, s10
	v_and_b32_e32 v4, 0xffff0000, v4
	v_cndmask_b32_e32 v14, v10, v17, vcc
	v_cmp_o_f32_e32 vcc, v11, v11
	v_lshrrev_b32_e32 v13, 16, v13
	v_cndmask_b32_e32 v4, v8, v4, vcc
	v_cmp_o_f32_e32 vcc, v12, v12
	v_cndmask_b32_e32 v11, v10, v13, vcc
	v_add_co_u32_e32 v0, vcc, s4, v0
	v_addc_co_u32_e32 v1, vcc, 0, v1, vcc
	v_or_b32_e32 v4, v11, v4
	v_lshlrev_b64 v[11:12], 2, v[0:1]
	v_or3_b32 v5, 0, v14, v5
	v_cmp_le_i64_e32 vcc, s[0:1], v[11:12]
	v_or3_b32 v4, v4, 0, 0
	global_store_dwordx2 v[2:3], v[4:5], off
	s_or_b64 s[2:3], vcc, s[2:3]
	v_add_co_u32_e32 v2, vcc, s5, v2
	v_addc_co_u32_e32 v3, vcc, 0, v3, vcc
	s_andn2_b64 exec, exec, s[2:3]
	s_cbranch_execnz .LBB212_24
.LBB212_25:
	s_endpgm
	.section	.rodata,"a",@progbits
	.p2align	6, 0x0
	.amdhsa_kernel _ZN2at6native12_GLOBAL__N_125multi_tensor_apply_kernelINS1_18TensorListMetadataILi1EEENS1_14UnaryOpFunctorIN3c108BFloat16ELi1ELi1ELi0EEEJNS0_5Log1pIfEEEEEvT_T0_DpT1_
		.amdhsa_group_segment_fixed_size 0
		.amdhsa_private_segment_fixed_size 0
		.amdhsa_kernarg_size 3632
		.amdhsa_user_sgpr_count 6
		.amdhsa_user_sgpr_private_segment_buffer 1
		.amdhsa_user_sgpr_dispatch_ptr 0
		.amdhsa_user_sgpr_queue_ptr 0
		.amdhsa_user_sgpr_kernarg_segment_ptr 1
		.amdhsa_user_sgpr_dispatch_id 0
		.amdhsa_user_sgpr_flat_scratch_init 0
		.amdhsa_user_sgpr_private_segment_size 0
		.amdhsa_uses_dynamic_stack 0
		.amdhsa_system_sgpr_private_segment_wavefront_offset 0
		.amdhsa_system_sgpr_workgroup_id_x 1
		.amdhsa_system_sgpr_workgroup_id_y 0
		.amdhsa_system_sgpr_workgroup_id_z 0
		.amdhsa_system_sgpr_workgroup_info 0
		.amdhsa_system_vgpr_workitem_id 0
		.amdhsa_next_free_vgpr 33
		.amdhsa_next_free_sgpr 32
		.amdhsa_reserve_vcc 1
		.amdhsa_reserve_flat_scratch 0
		.amdhsa_float_round_mode_32 0
		.amdhsa_float_round_mode_16_64 0
		.amdhsa_float_denorm_mode_32 3
		.amdhsa_float_denorm_mode_16_64 3
		.amdhsa_dx10_clamp 1
		.amdhsa_ieee_mode 1
		.amdhsa_fp16_overflow 0
		.amdhsa_exception_fp_ieee_invalid_op 0
		.amdhsa_exception_fp_denorm_src 0
		.amdhsa_exception_fp_ieee_div_zero 0
		.amdhsa_exception_fp_ieee_overflow 0
		.amdhsa_exception_fp_ieee_underflow 0
		.amdhsa_exception_fp_ieee_inexact 0
		.amdhsa_exception_int_div_zero 0
	.end_amdhsa_kernel
	.section	.text._ZN2at6native12_GLOBAL__N_125multi_tensor_apply_kernelINS1_18TensorListMetadataILi1EEENS1_14UnaryOpFunctorIN3c108BFloat16ELi1ELi1ELi0EEEJNS0_5Log1pIfEEEEEvT_T0_DpT1_,"axG",@progbits,_ZN2at6native12_GLOBAL__N_125multi_tensor_apply_kernelINS1_18TensorListMetadataILi1EEENS1_14UnaryOpFunctorIN3c108BFloat16ELi1ELi1ELi0EEEJNS0_5Log1pIfEEEEEvT_T0_DpT1_,comdat
.Lfunc_end212:
	.size	_ZN2at6native12_GLOBAL__N_125multi_tensor_apply_kernelINS1_18TensorListMetadataILi1EEENS1_14UnaryOpFunctorIN3c108BFloat16ELi1ELi1ELi0EEEJNS0_5Log1pIfEEEEEvT_T0_DpT1_, .Lfunc_end212-_ZN2at6native12_GLOBAL__N_125multi_tensor_apply_kernelINS1_18TensorListMetadataILi1EEENS1_14UnaryOpFunctorIN3c108BFloat16ELi1ELi1ELi0EEEJNS0_5Log1pIfEEEEEvT_T0_DpT1_
                                        ; -- End function
	.set _ZN2at6native12_GLOBAL__N_125multi_tensor_apply_kernelINS1_18TensorListMetadataILi1EEENS1_14UnaryOpFunctorIN3c108BFloat16ELi1ELi1ELi0EEEJNS0_5Log1pIfEEEEEvT_T0_DpT1_.num_vgpr, 33
	.set _ZN2at6native12_GLOBAL__N_125multi_tensor_apply_kernelINS1_18TensorListMetadataILi1EEENS1_14UnaryOpFunctorIN3c108BFloat16ELi1ELi1ELi0EEEJNS0_5Log1pIfEEEEEvT_T0_DpT1_.num_agpr, 0
	.set _ZN2at6native12_GLOBAL__N_125multi_tensor_apply_kernelINS1_18TensorListMetadataILi1EEENS1_14UnaryOpFunctorIN3c108BFloat16ELi1ELi1ELi0EEEJNS0_5Log1pIfEEEEEvT_T0_DpT1_.numbered_sgpr, 32
	.set _ZN2at6native12_GLOBAL__N_125multi_tensor_apply_kernelINS1_18TensorListMetadataILi1EEENS1_14UnaryOpFunctorIN3c108BFloat16ELi1ELi1ELi0EEEJNS0_5Log1pIfEEEEEvT_T0_DpT1_.num_named_barrier, 0
	.set _ZN2at6native12_GLOBAL__N_125multi_tensor_apply_kernelINS1_18TensorListMetadataILi1EEENS1_14UnaryOpFunctorIN3c108BFloat16ELi1ELi1ELi0EEEJNS0_5Log1pIfEEEEEvT_T0_DpT1_.private_seg_size, 0
	.set _ZN2at6native12_GLOBAL__N_125multi_tensor_apply_kernelINS1_18TensorListMetadataILi1EEENS1_14UnaryOpFunctorIN3c108BFloat16ELi1ELi1ELi0EEEJNS0_5Log1pIfEEEEEvT_T0_DpT1_.uses_vcc, 1
	.set _ZN2at6native12_GLOBAL__N_125multi_tensor_apply_kernelINS1_18TensorListMetadataILi1EEENS1_14UnaryOpFunctorIN3c108BFloat16ELi1ELi1ELi0EEEJNS0_5Log1pIfEEEEEvT_T0_DpT1_.uses_flat_scratch, 0
	.set _ZN2at6native12_GLOBAL__N_125multi_tensor_apply_kernelINS1_18TensorListMetadataILi1EEENS1_14UnaryOpFunctorIN3c108BFloat16ELi1ELi1ELi0EEEJNS0_5Log1pIfEEEEEvT_T0_DpT1_.has_dyn_sized_stack, 0
	.set _ZN2at6native12_GLOBAL__N_125multi_tensor_apply_kernelINS1_18TensorListMetadataILi1EEENS1_14UnaryOpFunctorIN3c108BFloat16ELi1ELi1ELi0EEEJNS0_5Log1pIfEEEEEvT_T0_DpT1_.has_recursion, 0
	.set _ZN2at6native12_GLOBAL__N_125multi_tensor_apply_kernelINS1_18TensorListMetadataILi1EEENS1_14UnaryOpFunctorIN3c108BFloat16ELi1ELi1ELi0EEEJNS0_5Log1pIfEEEEEvT_T0_DpT1_.has_indirect_call, 0
	.section	.AMDGPU.csdata,"",@progbits
; Kernel info:
; codeLenInByte = 5428
; TotalNumSgprs: 36
; NumVgprs: 33
; ScratchSize: 0
; MemoryBound: 0
; FloatMode: 240
; IeeeMode: 1
; LDSByteSize: 0 bytes/workgroup (compile time only)
; SGPRBlocks: 4
; VGPRBlocks: 8
; NumSGPRsForWavesPerEU: 36
; NumVGPRsForWavesPerEU: 33
; Occupancy: 7
; WaveLimiterHint : 0
; COMPUTE_PGM_RSRC2:SCRATCH_EN: 0
; COMPUTE_PGM_RSRC2:USER_SGPR: 6
; COMPUTE_PGM_RSRC2:TRAP_HANDLER: 0
; COMPUTE_PGM_RSRC2:TGID_X_EN: 1
; COMPUTE_PGM_RSRC2:TGID_Y_EN: 0
; COMPUTE_PGM_RSRC2:TGID_Z_EN: 0
; COMPUTE_PGM_RSRC2:TIDIG_COMP_CNT: 0
	.section	.text._ZN2at6native12_GLOBAL__N_125multi_tensor_apply_kernelINS1_18TensorListMetadataILi2EEENS1_14UnaryOpFunctorIdLi2ELi1ELi1EEEJNS0_3CosIdEEEEEvT_T0_DpT1_,"axG",@progbits,_ZN2at6native12_GLOBAL__N_125multi_tensor_apply_kernelINS1_18TensorListMetadataILi2EEENS1_14UnaryOpFunctorIdLi2ELi1ELi1EEEJNS0_3CosIdEEEEEvT_T0_DpT1_,comdat
	.globl	_ZN2at6native12_GLOBAL__N_125multi_tensor_apply_kernelINS1_18TensorListMetadataILi2EEENS1_14UnaryOpFunctorIdLi2ELi1ELi1EEEJNS0_3CosIdEEEEEvT_T0_DpT1_ ; -- Begin function _ZN2at6native12_GLOBAL__N_125multi_tensor_apply_kernelINS1_18TensorListMetadataILi2EEENS1_14UnaryOpFunctorIdLi2ELi1ELi1EEEJNS0_3CosIdEEEEEvT_T0_DpT1_
	.p2align	8
	.type	_ZN2at6native12_GLOBAL__N_125multi_tensor_apply_kernelINS1_18TensorListMetadataILi2EEENS1_14UnaryOpFunctorIdLi2ELi1ELi1EEEJNS0_3CosIdEEEEEvT_T0_DpT1_,@function
_ZN2at6native12_GLOBAL__N_125multi_tensor_apply_kernelINS1_18TensorListMetadataILi2EEENS1_14UnaryOpFunctorIdLi2ELi1ELi1EEEJNS0_3CosIdEEEEEvT_T0_DpT1_: ; @_ZN2at6native12_GLOBAL__N_125multi_tensor_apply_kernelINS1_18TensorListMetadataILi2EEENS1_14UnaryOpFunctorIdLi2ELi1ELi1EEEJNS0_3CosIdEEEEEvT_T0_DpT1_
; %bb.0:
	v_mov_b32_e32 v1, s6
	global_load_ubyte v1, v1, s[4:5] offset:1536
	s_add_u32 s0, s4, s6
	s_mul_hi_u32 s3, s6, 3
	s_mul_i32 s6, s6, 3
	s_addc_u32 s7, s5, 0
	s_add_u32 s2, s0, s6
	s_addc_u32 s3, s7, s3
	s_load_dword s8, s[2:3], 0x740
	s_mov_b32 s1, 0
	s_mov_b32 s13, s1
	s_waitcnt lgkmcnt(0)
	s_ashr_i32 s9, s8, 31
	s_lshl_b64 s[10:11], s[8:9], 19
	s_lshl_b64 s[8:9], s[8:9], 16
	s_waitcnt vmcnt(0)
	v_readfirstlane_b32 s0, v1
	s_lshl_b32 s0, s0, 3
	s_load_dwordx2 s[14:15], s[4:5], s0 offset:0x400
	s_load_dwordx2 s[6:7], s[4:5], s0 offset:0x0
	;; [unrolled: 1-line block ×3, first 2 shown]
	s_waitcnt lgkmcnt(0)
	s_add_u32 s0, s6, s10
	s_and_b32 s12, s2, 31
	s_and_b32 s0, s0, 31
	s_sub_u32 s8, s14, s8
	s_subb_u32 s9, s15, s9
	s_and_b32 s14, s14, 3
	s_mov_b32 s15, s1
	s_or_b64 s[12:13], s[12:13], s[14:15]
	s_or_b64 s[0:1], s[12:13], s[0:1]
	s_cmp_eq_u64 s[0:1], 0
	s_mov_b64 s[0:1], -1
	s_cbranch_scc0 .LBB213_21
; %bb.1:
	v_mov_b32_e32 v1, 0x10000
	v_mov_b32_e32 v2, 0
	v_cmp_lt_i64_e32 vcc, s[8:9], v[1:2]
	v_mov_b32_e32 v9, 0
	s_and_b64 s[0:1], vcc, exec
	s_cselect_b32 s13, s9, 0
	s_cselect_b32 s12, s8, 0x10000
	v_lshlrev_b32_e32 v1, 2, v0
	v_mov_b32_e32 v2, v9
	v_cmp_gt_i64_e32 vcc, s[12:13], v[1:2]
	s_and_saveexec_b64 s[14:15], vcc
	s_cbranch_execz .LBB213_20
; %bb.2:
	s_load_dword s0, s[4:5], 0xc5c
	v_mov_b32_e32 v1, v9
	v_lshlrev_b32_e32 v2, 5, v0
	v_mov_b32_e32 v3, s11
	v_add_co_u32_e32 v33, vcc, s10, v2
	s_waitcnt lgkmcnt(0)
	s_and_b32 s33, s0, 0xffff
	s_mov_b32 s18, 0
	s_mov_b32 s20, 0
	;; [unrolled: 1-line block ×18, first 2 shown]
	v_mov_b32_e32 v12, v1
	v_addc_co_u32_e32 v34, vcc, 0, v3, vcc
	s_lshl_b32 s66, s33, 5
	s_mov_b64 s[16:17], 0
	v_mov_b32_e32 v35, s7
	s_mov_b32 s19, 0x41d00000
	s_mov_b32 s21, 0x7b000000
	s_movk_i32 s67, 0xff80
	s_mov_b32 s23, 0x7ff00000
	s_mov_b32 s25, 0x3ff921fb
	;; [unrolled: 1-line block ×20, first 2 shown]
	s_movk_i32 s68, 0x1f8
	v_mov_b32_e32 v36, 0x40100000
	v_mov_b32_e32 v37, 0x3ff00000
	;; [unrolled: 1-line block ×4, first 2 shown]
	s_branch .LBB213_4
.LBB213_3:                              ;   in Loop: Header=BB213_4 Depth=1
	s_or_b64 exec, exec, s[0:1]
	v_mul_f64 v[43:44], v[29:30], v[29:30]
	v_mul_f64 v[51:52], v[31:32], 0.5
	s_mov_b32 s62, s50
	v_mul_f64 v[25:26], v[43:44], 0.5
	v_mul_f64 v[47:48], v[43:44], v[43:44]
	v_add_f64 v[45:46], -v[25:26], 1.0
	v_add_f64 v[27:28], -v[45:46], 1.0
	v_add_f64 v[25:26], v[27:28], -v[25:26]
	v_mov_b32_e32 v27, s40
	v_mov_b32_e32 v28, s41
	v_fma_f64 v[49:50], v[43:44], s[42:43], v[27:28]
	v_fma_f64 v[25:26], v[29:30], -v[31:32], v[25:26]
	v_fma_f64 v[49:50], v[43:44], v[49:50], s[44:45]
	v_fma_f64 v[49:50], v[43:44], v[49:50], s[46:47]
	;; [unrolled: 1-line block ×5, first 2 shown]
	v_mul_f64 v[49:50], v[29:30], -v[43:44]
	v_add_f64 v[45:46], v[45:46], v[25:26]
	v_mov_b32_e32 v25, s52
	v_mov_b32_e32 v26, s53
	v_fma_f64 v[47:48], v[43:44], s[54:55], v[25:26]
	v_fma_f64 v[47:48], v[43:44], v[47:48], s[56:57]
	;; [unrolled: 1-line block ×5, first 2 shown]
	v_fma_f64 v[31:32], v[43:44], v[47:48], -v[31:32]
	v_fma_f64 v[31:32], v[49:50], s[62:63], v[31:32]
	v_add_f64 v[29:30], v[29:30], -v[31:32]
	v_xor_b32_e32 v10, 0x80000000, v30
	v_and_b32_e32 v30, 1, v42
	v_cmp_eq_u32_e32 vcc, 0, v30
	v_cndmask_b32_e32 v29, v29, v45, vcc
	v_cndmask_b32_e32 v10, v10, v46, vcc
	v_cmp_class_f64_e64 vcc, v[1:2], s68
	v_lshlrev_b32_e32 v30, 30, v42
	v_and_b32_e32 v30, 0x80000000, v30
	v_xor_b32_e32 v10, v10, v30
	v_cndmask_b32_e32 v1, 0, v29, vcc
	v_mul_f64 v[29:30], v[17:18], v[17:18]
	v_cndmask_b32_e32 v2, v38, v10, vcc
	v_mul_f64 v[31:32], v[29:30], 0.5
	v_fma_f64 v[46:47], v[29:30], s[42:43], v[27:28]
	v_add_f64 v[42:43], -v[31:32], 1.0
	v_fma_f64 v[46:47], v[29:30], v[46:47], s[44:45]
	v_add_f64 v[44:45], -v[42:43], 1.0
	v_fma_f64 v[46:47], v[29:30], v[46:47], s[46:47]
	v_add_f64 v[31:32], v[44:45], -v[31:32]
	v_fma_f64 v[46:47], v[29:30], v[46:47], s[48:49]
	v_mul_f64 v[44:45], v[29:30], v[29:30]
	v_fma_f64 v[31:32], v[17:18], -v[19:20], v[31:32]
	v_fma_f64 v[46:47], v[29:30], v[46:47], s[50:51]
	v_fma_f64 v[31:32], v[44:45], v[46:47], v[31:32]
	v_mul_f64 v[44:45], v[17:18], -v[29:30]
	v_mul_f64 v[46:47], v[19:20], 0.5
	v_add_f64 v[31:32], v[42:43], v[31:32]
	v_fma_f64 v[42:43], v[29:30], s[54:55], v[25:26]
	v_fma_f64 v[42:43], v[29:30], v[42:43], s[56:57]
	;; [unrolled: 1-line block ×5, first 2 shown]
	v_fma_f64 v[19:20], v[29:30], v[42:43], -v[19:20]
	v_fma_f64 v[19:20], v[44:45], s[62:63], v[19:20]
	v_add_f64 v[17:18], v[17:18], -v[19:20]
	v_xor_b32_e32 v10, 0x80000000, v18
	v_and_b32_e32 v18, 1, v40
	v_cmp_eq_u32_e32 vcc, 0, v18
	v_cndmask_b32_e32 v17, v17, v31, vcc
	v_cndmask_b32_e32 v10, v10, v32, vcc
	v_cmp_class_f64_e64 vcc, v[7:8], s68
	v_lshlrev_b32_e32 v18, 30, v40
	v_and_b32_e32 v18, 0x80000000, v18
	v_xor_b32_e32 v10, v10, v18
	v_cndmask_b32_e32 v7, 0, v17, vcc
	v_mul_f64 v[17:18], v[13:14], v[13:14]
	v_cndmask_b32_e32 v8, v38, v10, vcc
	v_mul_f64 v[19:20], v[17:18], 0.5
	v_fma_f64 v[42:43], v[17:18], s[42:43], v[27:28]
	v_add_f64 v[29:30], -v[19:20], 1.0
	v_fma_f64 v[42:43], v[17:18], v[42:43], s[44:45]
	v_add_f64 v[31:32], -v[29:30], 1.0
	v_fma_f64 v[42:43], v[17:18], v[42:43], s[46:47]
	v_add_f64 v[19:20], v[31:32], -v[19:20]
	v_fma_f64 v[42:43], v[17:18], v[42:43], s[48:49]
	v_mul_f64 v[31:32], v[17:18], v[17:18]
	v_fma_f64 v[19:20], v[13:14], -v[15:16], v[19:20]
	v_fma_f64 v[42:43], v[17:18], v[42:43], s[50:51]
	v_fma_f64 v[19:20], v[31:32], v[42:43], v[19:20]
	v_mul_f64 v[31:32], v[13:14], -v[17:18]
	v_mul_f64 v[42:43], v[15:16], 0.5
	v_add_f64 v[19:20], v[29:30], v[19:20]
	v_fma_f64 v[29:30], v[17:18], s[54:55], v[25:26]
	v_fma_f64 v[29:30], v[17:18], v[29:30], s[56:57]
	;; [unrolled: 1-line block ×5, first 2 shown]
	v_fma_f64 v[15:16], v[17:18], v[29:30], -v[15:16]
	v_fma_f64 v[15:16], v[31:32], s[62:63], v[15:16]
	v_add_f64 v[13:14], v[13:14], -v[15:16]
	v_xor_b32_e32 v10, 0x80000000, v14
	v_and_b32_e32 v14, 1, v39
	v_cmp_eq_u32_e32 vcc, 0, v14
	v_cndmask_b32_e32 v13, v13, v19, vcc
	v_cndmask_b32_e32 v10, v10, v20, vcc
	v_cmp_class_f64_e64 vcc, v[5:6], s68
	v_lshlrev_b32_e32 v14, 30, v39
	v_and_b32_e32 v14, 0x80000000, v14
	v_xor_b32_e32 v10, v10, v14
	v_cndmask_b32_e32 v5, 0, v13, vcc
	v_mul_f64 v[13:14], v[21:22], v[21:22]
	v_cndmask_b32_e32 v6, v38, v10, vcc
	v_mul_f64 v[15:16], v[13:14], 0.5
	v_fma_f64 v[27:28], v[13:14], s[42:43], v[27:28]
	v_add_f64 v[17:18], -v[15:16], 1.0
	v_fma_f64 v[27:28], v[13:14], v[27:28], s[44:45]
	v_add_f64 v[19:20], -v[17:18], 1.0
	v_fma_f64 v[27:28], v[13:14], v[27:28], s[46:47]
	v_add_f64 v[15:16], v[19:20], -v[15:16]
	v_fma_f64 v[27:28], v[13:14], v[27:28], s[48:49]
	v_mul_f64 v[19:20], v[13:14], v[13:14]
	v_fma_f64 v[15:16], v[21:22], -v[23:24], v[15:16]
	v_fma_f64 v[27:28], v[13:14], v[27:28], s[50:51]
	v_fma_f64 v[15:16], v[19:20], v[27:28], v[15:16]
	v_mul_f64 v[19:20], v[21:22], -v[13:14]
	v_add_f64 v[15:16], v[17:18], v[15:16]
	v_fma_f64 v[17:18], v[13:14], s[54:55], v[25:26]
	v_mul_f64 v[25:26], v[23:24], 0.5
	v_fma_f64 v[17:18], v[13:14], v[17:18], s[56:57]
	v_fma_f64 v[17:18], v[13:14], v[17:18], s[58:59]
	;; [unrolled: 1-line block ×4, first 2 shown]
	v_fma_f64 v[13:14], v[13:14], v[17:18], -v[23:24]
	v_fma_f64 v[13:14], v[19:20], s[62:63], v[13:14]
	v_add_f64 v[13:14], v[21:22], -v[13:14]
	v_xor_b32_e32 v10, 0x80000000, v14
	v_and_b32_e32 v14, 1, v41
	v_cmp_eq_u32_e32 vcc, 0, v14
	v_cndmask_b32_e32 v13, v13, v15, vcc
	v_cndmask_b32_e32 v10, v10, v16, vcc
	v_cmp_class_f64_e64 vcc, v[3:4], s68
	v_lshlrev_b32_e32 v14, 30, v41
	v_and_b32_e32 v14, 0x80000000, v14
	v_xor_b32_e32 v10, v10, v14
	v_cndmask_b32_e32 v3, 0, v13, vcc
	v_cndmask_b32_e32 v4, v38, v10, vcc
	v_add_co_u32_e32 v13, vcc, s2, v33
	v_mov_b32_e32 v10, s3
	v_addc_co_u32_e32 v14, vcc, v10, v34, vcc
	v_add_co_u32_e32 v11, vcc, s33, v11
	v_addc_co_u32_e32 v12, vcc, 0, v12, vcc
	global_store_dwordx4 v[13:14], v[5:8], off
	global_store_dwordx4 v[13:14], v[1:4], off offset:16
	v_add_co_u32_e32 v33, vcc, s66, v33
	v_lshlrev_b64 v[1:2], 2, v[11:12]
	v_addc_co_u32_e32 v34, vcc, 0, v34, vcc
	v_cmp_le_i64_e32 vcc, s[12:13], v[1:2]
	s_or_b64 s[16:17], vcc, s[16:17]
	s_andn2_b64 exec, exec, s[16:17]
	s_cbranch_execz .LBB213_20
.LBB213_4:                              ; =>This Inner Loop Header: Depth=1
	v_add_co_u32_e32 v1, vcc, s6, v33
	v_addc_co_u32_e32 v2, vcc, v35, v34, vcc
	global_load_dwordx4 v[5:8], v[1:2], off
	s_nop 0
	global_load_dwordx4 v[1:4], v[1:2], off offset:16
                                        ; implicit-def: $vgpr39
                                        ; implicit-def: $vgpr13_vgpr14
                                        ; implicit-def: $vgpr15_vgpr16
	s_waitcnt vmcnt(1)
	v_cmp_nlt_f64_e64 s[0:1], |v[5:6]|, s[18:19]
	s_and_saveexec_b64 s[64:65], s[0:1]
	s_xor_b64 s[64:65], exec, s[64:65]
	s_cbranch_execz .LBB213_6
; %bb.5:                                ;   in Loop: Header=BB213_4 Depth=1
	v_trig_preop_f64 v[13:14], |v[5:6]|, 0
	v_ldexp_f64 v[17:18], |v[5:6]|, s67
	v_cmp_ge_f64_e64 vcc, |v[5:6]|, s[20:21]
	v_trig_preop_f64 v[15:16], |v[5:6]|, 1
	v_and_b32_e32 v10, 0x7fffffff, v6
	v_trig_preop_f64 v[25:26], |v[5:6]|, 2
	s_mov_b32 s24, s26
	s_mov_b32 s31, s29
	v_cndmask_b32_e32 v18, v10, v18, vcc
	v_cndmask_b32_e32 v17, v5, v17, vcc
	v_mul_f64 v[19:20], v[13:14], v[17:18]
	v_mul_f64 v[21:22], v[15:16], v[17:18]
	;; [unrolled: 1-line block ×3, first 2 shown]
	v_fma_f64 v[13:14], v[13:14], v[17:18], -v[19:20]
	v_fma_f64 v[15:16], v[15:16], v[17:18], -v[21:22]
	v_fma_f64 v[17:18], v[25:26], v[17:18], -v[31:32]
	v_add_f64 v[23:24], v[21:22], v[13:14]
	v_add_f64 v[27:28], v[23:24], -v[21:22]
	v_add_f64 v[39:40], v[19:20], v[23:24]
	v_add_f64 v[29:30], v[23:24], -v[27:28]
	v_add_f64 v[13:14], v[13:14], -v[27:28]
	v_add_f64 v[27:28], v[31:32], v[15:16]
	v_add_f64 v[19:20], v[39:40], -v[19:20]
	v_add_f64 v[21:22], v[21:22], -v[29:30]
	v_ldexp_f64 v[29:30], v[39:40], -2
	v_add_f64 v[41:42], v[27:28], -v[31:32]
	v_add_f64 v[19:20], v[23:24], -v[19:20]
	v_add_f64 v[13:14], v[13:14], v[21:22]
	v_fract_f64_e32 v[21:22], v[29:30]
	v_cmp_neq_f64_e64 vcc, |v[29:30]|, s[22:23]
	v_add_f64 v[15:16], v[15:16], -v[41:42]
	v_add_f64 v[23:24], v[27:28], v[13:14]
	v_ldexp_f64 v[21:22], v[21:22], 2
	v_add_f64 v[29:30], v[19:20], v[23:24]
	v_cndmask_b32_e32 v22, 0, v22, vcc
	v_cndmask_b32_e32 v21, 0, v21, vcc
	v_add_f64 v[43:44], v[23:24], -v[27:28]
	v_add_f64 v[39:40], v[29:30], v[21:22]
	v_add_f64 v[19:20], v[29:30], -v[19:20]
	v_add_f64 v[45:46], v[23:24], -v[43:44]
	;; [unrolled: 1-line block ×3, first 2 shown]
	v_cmp_gt_f64_e32 vcc, 0, v[39:40]
	v_add_f64 v[39:40], v[27:28], -v[41:42]
	v_add_f64 v[19:20], v[23:24], -v[19:20]
	;; [unrolled: 1-line block ×3, first 2 shown]
	v_cndmask_b32_e32 v10, 0, v36, vcc
	v_add_f64 v[21:22], v[21:22], v[9:10]
	v_add_f64 v[39:40], v[31:32], -v[39:40]
	v_add_f64 v[13:14], v[13:14], v[27:28]
	v_add_f64 v[47:48], v[29:30], v[21:22]
	;; [unrolled: 1-line block ×3, first 2 shown]
	v_cvt_i32_f64_e32 v10, v[47:48]
	v_add_f64 v[13:14], v[15:16], v[13:14]
	v_cvt_f64_i32_e32 v[41:42], v10
	v_add_f64 v[21:22], v[21:22], -v[41:42]
	v_add_f64 v[13:14], v[17:18], v[13:14]
	v_add_f64 v[15:16], v[29:30], v[21:22]
	;; [unrolled: 1-line block ×3, first 2 shown]
	v_add_f64 v[17:18], v[15:16], -v[21:22]
	v_cmp_le_f64_e32 vcc, 0.5, v[15:16]
	v_add_f64 v[17:18], v[29:30], -v[17:18]
	v_addc_co_u32_e64 v39, s[0:1], 0, v10, vcc
	v_cndmask_b32_e32 v10, 0, v37, vcc
	v_add_f64 v[15:16], v[15:16], -v[9:10]
	v_add_f64 v[13:14], v[13:14], v[17:18]
	v_add_f64 v[17:18], v[15:16], v[13:14]
	v_mul_f64 v[19:20], v[17:18], s[24:25]
	v_add_f64 v[15:16], v[17:18], -v[15:16]
	v_fma_f64 v[21:22], v[17:18], s[24:25], -v[19:20]
	v_add_f64 v[13:14], v[13:14], -v[15:16]
	v_fma_f64 v[15:16], v[17:18], s[30:31], v[21:22]
	v_fma_f64 v[15:16], v[13:14], s[24:25], v[15:16]
	v_add_f64 v[13:14], v[19:20], v[15:16]
	v_add_f64 v[17:18], v[13:14], -v[19:20]
	v_add_f64 v[15:16], v[15:16], -v[17:18]
.LBB213_6:                              ;   in Loop: Header=BB213_4 Depth=1
	s_andn2_saveexec_b64 s[0:1], s[64:65]
	s_cbranch_execz .LBB213_8
; %bb.7:                                ;   in Loop: Header=BB213_4 Depth=1
	v_mul_f64 v[13:14], |v[5:6]|, s[34:35]
	s_mov_b32 s28, s36
	v_rndne_f64_e32 v[17:18], v[13:14]
	v_fma_f64 v[13:14], v[17:18], s[26:27], |v[5:6]|
	v_mul_f64 v[15:16], v[17:18], s[36:37]
	v_cvt_i32_f64_e32 v39, v[17:18]
	v_fma_f64 v[23:24], v[17:18], s[36:37], v[13:14]
	v_add_f64 v[19:20], v[13:14], v[15:16]
	v_add_f64 v[21:22], v[13:14], -v[19:20]
	v_add_f64 v[19:20], v[19:20], -v[23:24]
	v_add_f64 v[13:14], v[21:22], v[15:16]
	v_fma_f64 v[15:16], v[17:18], s[28:29], v[15:16]
	v_add_f64 v[13:14], v[19:20], v[13:14]
	v_add_f64 v[13:14], v[13:14], -v[15:16]
	v_fma_f64 v[15:16], v[17:18], s[38:39], v[13:14]
	v_add_f64 v[13:14], v[23:24], v[15:16]
	v_add_f64 v[19:20], v[13:14], -v[23:24]
	v_add_f64 v[15:16], v[15:16], -v[19:20]
.LBB213_8:                              ;   in Loop: Header=BB213_4 Depth=1
	s_or_b64 exec, exec, s[0:1]
	v_cmp_nlt_f64_e64 s[0:1], |v[7:8]|, s[18:19]
                                        ; implicit-def: $vgpr40
                                        ; implicit-def: $vgpr17_vgpr18
                                        ; implicit-def: $vgpr19_vgpr20
	s_and_saveexec_b64 s[64:65], s[0:1]
	s_xor_b64 s[64:65], exec, s[64:65]
	s_cbranch_execz .LBB213_10
; %bb.9:                                ;   in Loop: Header=BB213_4 Depth=1
	v_trig_preop_f64 v[17:18], |v[7:8]|, 0
	v_ldexp_f64 v[21:22], |v[7:8]|, s67
	v_cmp_ge_f64_e64 vcc, |v[7:8]|, s[20:21]
	v_trig_preop_f64 v[19:20], |v[7:8]|, 1
	v_and_b32_e32 v10, 0x7fffffff, v8
	v_trig_preop_f64 v[29:30], |v[7:8]|, 2
	s_mov_b32 s24, s26
	s_mov_b32 s31, s29
	v_cndmask_b32_e32 v22, v10, v22, vcc
	v_cndmask_b32_e32 v21, v7, v21, vcc
	v_mul_f64 v[23:24], v[17:18], v[21:22]
	v_mul_f64 v[25:26], v[19:20], v[21:22]
	;; [unrolled: 1-line block ×3, first 2 shown]
	v_fma_f64 v[17:18], v[17:18], v[21:22], -v[23:24]
	v_fma_f64 v[19:20], v[19:20], v[21:22], -v[25:26]
	;; [unrolled: 1-line block ×3, first 2 shown]
	v_add_f64 v[27:28], v[25:26], v[17:18]
	v_add_f64 v[31:32], v[27:28], -v[25:26]
	v_add_f64 v[44:45], v[23:24], v[27:28]
	v_add_f64 v[40:41], v[27:28], -v[31:32]
	v_add_f64 v[17:18], v[17:18], -v[31:32]
	v_add_f64 v[31:32], v[42:43], v[19:20]
	v_add_f64 v[23:24], v[44:45], -v[23:24]
	v_add_f64 v[25:26], v[25:26], -v[40:41]
	v_ldexp_f64 v[40:41], v[44:45], -2
	v_add_f64 v[46:47], v[31:32], -v[42:43]
	v_add_f64 v[23:24], v[27:28], -v[23:24]
	v_add_f64 v[17:18], v[17:18], v[25:26]
	v_fract_f64_e32 v[25:26], v[40:41]
	v_cmp_neq_f64_e64 vcc, |v[40:41]|, s[22:23]
	v_add_f64 v[19:20], v[19:20], -v[46:47]
	v_add_f64 v[27:28], v[31:32], v[17:18]
	v_ldexp_f64 v[25:26], v[25:26], 2
	v_add_f64 v[40:41], v[23:24], v[27:28]
	v_cndmask_b32_e32 v26, 0, v26, vcc
	v_cndmask_b32_e32 v25, 0, v25, vcc
	v_add_f64 v[48:49], v[27:28], -v[31:32]
	v_add_f64 v[44:45], v[40:41], v[25:26]
	v_add_f64 v[23:24], v[40:41], -v[23:24]
	v_add_f64 v[50:51], v[27:28], -v[48:49]
	v_add_f64 v[17:18], v[17:18], -v[48:49]
	v_cmp_gt_f64_e32 vcc, 0, v[44:45]
	v_add_f64 v[44:45], v[31:32], -v[46:47]
	v_add_f64 v[23:24], v[27:28], -v[23:24]
	;; [unrolled: 1-line block ×3, first 2 shown]
	v_cndmask_b32_e32 v10, 0, v36, vcc
	v_add_f64 v[25:26], v[25:26], v[9:10]
	v_add_f64 v[44:45], v[42:43], -v[44:45]
	v_add_f64 v[17:18], v[17:18], v[31:32]
	v_add_f64 v[52:53], v[40:41], v[25:26]
	;; [unrolled: 1-line block ×3, first 2 shown]
	v_cvt_i32_f64_e32 v10, v[52:53]
	v_add_f64 v[17:18], v[19:20], v[17:18]
	v_cvt_f64_i32_e32 v[46:47], v10
	v_add_f64 v[25:26], v[25:26], -v[46:47]
	v_add_f64 v[17:18], v[21:22], v[17:18]
	v_add_f64 v[19:20], v[40:41], v[25:26]
	;; [unrolled: 1-line block ×3, first 2 shown]
	v_add_f64 v[21:22], v[19:20], -v[25:26]
	v_cmp_le_f64_e32 vcc, 0.5, v[19:20]
	v_add_f64 v[21:22], v[40:41], -v[21:22]
	v_addc_co_u32_e64 v40, s[0:1], 0, v10, vcc
	v_cndmask_b32_e32 v10, 0, v37, vcc
	v_add_f64 v[19:20], v[19:20], -v[9:10]
	v_add_f64 v[17:18], v[17:18], v[21:22]
	v_add_f64 v[21:22], v[19:20], v[17:18]
	v_mul_f64 v[23:24], v[21:22], s[24:25]
	v_add_f64 v[19:20], v[21:22], -v[19:20]
	v_fma_f64 v[25:26], v[21:22], s[24:25], -v[23:24]
	v_add_f64 v[17:18], v[17:18], -v[19:20]
	v_fma_f64 v[19:20], v[21:22], s[30:31], v[25:26]
	v_fma_f64 v[19:20], v[17:18], s[24:25], v[19:20]
	v_add_f64 v[17:18], v[23:24], v[19:20]
	v_add_f64 v[21:22], v[17:18], -v[23:24]
	v_add_f64 v[19:20], v[19:20], -v[21:22]
.LBB213_10:                             ;   in Loop: Header=BB213_4 Depth=1
	s_andn2_saveexec_b64 s[0:1], s[64:65]
	s_cbranch_execz .LBB213_12
; %bb.11:                               ;   in Loop: Header=BB213_4 Depth=1
	v_mul_f64 v[17:18], |v[7:8]|, s[34:35]
	s_mov_b32 s28, s36
	v_rndne_f64_e32 v[21:22], v[17:18]
	v_fma_f64 v[17:18], v[21:22], s[26:27], |v[7:8]|
	v_mul_f64 v[19:20], v[21:22], s[36:37]
	v_cvt_i32_f64_e32 v40, v[21:22]
	v_fma_f64 v[27:28], v[21:22], s[36:37], v[17:18]
	v_add_f64 v[23:24], v[17:18], v[19:20]
	v_add_f64 v[25:26], v[17:18], -v[23:24]
	v_add_f64 v[23:24], v[23:24], -v[27:28]
	v_add_f64 v[17:18], v[25:26], v[19:20]
	v_fma_f64 v[19:20], v[21:22], s[28:29], v[19:20]
	v_add_f64 v[17:18], v[23:24], v[17:18]
	v_add_f64 v[17:18], v[17:18], -v[19:20]
	v_fma_f64 v[19:20], v[21:22], s[38:39], v[17:18]
	v_add_f64 v[17:18], v[27:28], v[19:20]
	v_add_f64 v[23:24], v[17:18], -v[27:28]
	v_add_f64 v[19:20], v[19:20], -v[23:24]
.LBB213_12:                             ;   in Loop: Header=BB213_4 Depth=1
	s_or_b64 exec, exec, s[0:1]
	s_waitcnt vmcnt(0)
	v_cmp_nlt_f64_e64 s[0:1], |v[1:2]|, s[18:19]
                                        ; implicit-def: $vgpr42
                                        ; implicit-def: $vgpr29_vgpr30
                                        ; implicit-def: $vgpr31_vgpr32
	s_and_saveexec_b64 s[64:65], s[0:1]
	s_xor_b64 s[64:65], exec, s[64:65]
	s_cbranch_execz .LBB213_14
; %bb.13:                               ;   in Loop: Header=BB213_4 Depth=1
	v_trig_preop_f64 v[21:22], |v[1:2]|, 0
	v_ldexp_f64 v[25:26], |v[1:2]|, s67
	v_cmp_ge_f64_e64 vcc, |v[1:2]|, s[20:21]
	v_trig_preop_f64 v[23:24], |v[1:2]|, 1
	v_and_b32_e32 v10, 0x7fffffff, v2
	v_trig_preop_f64 v[41:42], |v[1:2]|, 2
	s_mov_b32 s24, s26
	s_mov_b32 s31, s29
	v_cndmask_b32_e32 v26, v10, v26, vcc
	v_cndmask_b32_e32 v25, v1, v25, vcc
	v_mul_f64 v[27:28], v[21:22], v[25:26]
	v_mul_f64 v[29:30], v[23:24], v[25:26]
	;; [unrolled: 1-line block ×3, first 2 shown]
	v_fma_f64 v[21:22], v[21:22], v[25:26], -v[27:28]
	v_fma_f64 v[23:24], v[23:24], v[25:26], -v[29:30]
	v_fma_f64 v[25:26], v[41:42], v[25:26], -v[47:48]
	v_add_f64 v[31:32], v[29:30], v[21:22]
	v_add_f64 v[43:44], v[31:32], -v[29:30]
	v_add_f64 v[49:50], v[27:28], v[31:32]
	v_add_f64 v[45:46], v[31:32], -v[43:44]
	v_add_f64 v[21:22], v[21:22], -v[43:44]
	v_add_f64 v[43:44], v[47:48], v[23:24]
	v_add_f64 v[27:28], v[49:50], -v[27:28]
	v_add_f64 v[29:30], v[29:30], -v[45:46]
	v_ldexp_f64 v[45:46], v[49:50], -2
	v_add_f64 v[51:52], v[43:44], -v[47:48]
	v_add_f64 v[27:28], v[31:32], -v[27:28]
	v_add_f64 v[21:22], v[21:22], v[29:30]
	v_fract_f64_e32 v[29:30], v[45:46]
	v_cmp_neq_f64_e64 vcc, |v[45:46]|, s[22:23]
	v_add_f64 v[23:24], v[23:24], -v[51:52]
	v_add_f64 v[31:32], v[43:44], v[21:22]
	v_ldexp_f64 v[29:30], v[29:30], 2
	v_add_f64 v[45:46], v[27:28], v[31:32]
	v_cndmask_b32_e32 v30, 0, v30, vcc
	v_cndmask_b32_e32 v29, 0, v29, vcc
	v_add_f64 v[53:54], v[31:32], -v[43:44]
	v_add_f64 v[49:50], v[45:46], v[29:30]
	v_add_f64 v[27:28], v[45:46], -v[27:28]
	v_add_f64 v[55:56], v[31:32], -v[53:54]
	;; [unrolled: 1-line block ×3, first 2 shown]
	v_cmp_gt_f64_e32 vcc, 0, v[49:50]
	v_add_f64 v[49:50], v[43:44], -v[51:52]
	v_add_f64 v[27:28], v[31:32], -v[27:28]
	;; [unrolled: 1-line block ×3, first 2 shown]
	v_cndmask_b32_e32 v10, 0, v36, vcc
	v_add_f64 v[29:30], v[29:30], v[9:10]
	v_add_f64 v[49:50], v[47:48], -v[49:50]
	v_add_f64 v[21:22], v[21:22], v[43:44]
	v_add_f64 v[57:58], v[45:46], v[29:30]
	;; [unrolled: 1-line block ×3, first 2 shown]
	v_cvt_i32_f64_e32 v10, v[57:58]
	v_add_f64 v[21:22], v[23:24], v[21:22]
	v_cvt_f64_i32_e32 v[51:52], v10
	v_add_f64 v[29:30], v[29:30], -v[51:52]
	v_add_f64 v[21:22], v[25:26], v[21:22]
	v_add_f64 v[23:24], v[45:46], v[29:30]
	;; [unrolled: 1-line block ×3, first 2 shown]
	v_add_f64 v[25:26], v[23:24], -v[29:30]
	v_cmp_le_f64_e32 vcc, 0.5, v[23:24]
	v_add_f64 v[25:26], v[45:46], -v[25:26]
	v_addc_co_u32_e64 v42, s[0:1], 0, v10, vcc
	v_cndmask_b32_e32 v10, 0, v37, vcc
	v_add_f64 v[23:24], v[23:24], -v[9:10]
	v_add_f64 v[21:22], v[21:22], v[25:26]
	v_add_f64 v[25:26], v[23:24], v[21:22]
	v_mul_f64 v[27:28], v[25:26], s[24:25]
	v_add_f64 v[23:24], v[25:26], -v[23:24]
	v_fma_f64 v[29:30], v[25:26], s[24:25], -v[27:28]
	v_add_f64 v[21:22], v[21:22], -v[23:24]
	v_fma_f64 v[23:24], v[25:26], s[30:31], v[29:30]
	v_fma_f64 v[21:22], v[21:22], s[24:25], v[23:24]
	v_add_f64 v[29:30], v[27:28], v[21:22]
	v_add_f64 v[23:24], v[29:30], -v[27:28]
	v_add_f64 v[31:32], v[21:22], -v[23:24]
.LBB213_14:                             ;   in Loop: Header=BB213_4 Depth=1
	s_andn2_saveexec_b64 s[0:1], s[64:65]
	s_cbranch_execz .LBB213_16
; %bb.15:                               ;   in Loop: Header=BB213_4 Depth=1
	v_mul_f64 v[21:22], |v[1:2]|, s[34:35]
	s_mov_b32 s28, s36
	v_rndne_f64_e32 v[21:22], v[21:22]
	v_fma_f64 v[23:24], v[21:22], s[26:27], |v[1:2]|
	v_mul_f64 v[25:26], v[21:22], s[36:37]
	v_cvt_i32_f64_e32 v42, v[21:22]
	v_add_f64 v[27:28], v[23:24], v[25:26]
	v_add_f64 v[29:30], v[23:24], -v[27:28]
	v_fma_f64 v[23:24], v[21:22], s[36:37], v[23:24]
	v_add_f64 v[29:30], v[29:30], v[25:26]
	v_add_f64 v[27:28], v[27:28], -v[23:24]
	v_fma_f64 v[25:26], v[21:22], s[28:29], v[25:26]
	v_add_f64 v[27:28], v[27:28], v[29:30]
	v_add_f64 v[25:26], v[27:28], -v[25:26]
	v_fma_f64 v[25:26], v[21:22], s[38:39], v[25:26]
	v_add_f64 v[29:30], v[23:24], v[25:26]
	v_add_f64 v[23:24], v[29:30], -v[23:24]
	v_add_f64 v[31:32], v[25:26], -v[23:24]
.LBB213_16:                             ;   in Loop: Header=BB213_4 Depth=1
	s_or_b64 exec, exec, s[0:1]
	v_cmp_nlt_f64_e64 s[0:1], |v[3:4]|, s[18:19]
                                        ; implicit-def: $vgpr41
                                        ; implicit-def: $vgpr21_vgpr22
                                        ; implicit-def: $vgpr23_vgpr24
	s_and_saveexec_b64 s[64:65], s[0:1]
	s_xor_b64 s[64:65], exec, s[64:65]
	s_cbranch_execz .LBB213_18
; %bb.17:                               ;   in Loop: Header=BB213_4 Depth=1
	v_trig_preop_f64 v[21:22], |v[3:4]|, 0
	v_cmp_ge_f64_e64 vcc, |v[3:4]|, s[20:21]
	v_ldexp_f64 v[25:26], |v[3:4]|, s67
	v_trig_preop_f64 v[23:24], |v[3:4]|, 1
	v_and_b32_e32 v10, 0x7fffffff, v4
	s_mov_b32 s24, s26
	s_mov_b32 s31, s29
	v_cndmask_b32_e32 v26, v10, v26, vcc
	v_cndmask_b32_e32 v25, v3, v25, vcc
	v_mul_f64 v[43:44], v[21:22], v[25:26]
	v_mul_f64 v[27:28], v[23:24], v[25:26]
	v_fma_f64 v[21:22], v[21:22], v[25:26], -v[43:44]
	v_fma_f64 v[23:24], v[23:24], v[25:26], -v[27:28]
	v_add_f64 v[45:46], v[27:28], v[21:22]
	v_add_f64 v[53:54], v[45:46], -v[27:28]
	v_add_f64 v[47:48], v[43:44], v[45:46]
	v_add_f64 v[21:22], v[21:22], -v[53:54]
	v_add_f64 v[53:54], v[45:46], -v[53:54]
	v_ldexp_f64 v[49:50], v[47:48], -2
	v_add_f64 v[43:44], v[47:48], -v[43:44]
	v_add_f64 v[53:54], v[27:28], -v[53:54]
	v_trig_preop_f64 v[27:28], |v[3:4]|, 2
	v_fract_f64_e32 v[51:52], v[49:50]
	v_add_f64 v[43:44], v[45:46], -v[43:44]
	v_cmp_neq_f64_e64 vcc, |v[49:50]|, s[22:23]
	v_add_f64 v[21:22], v[21:22], v[53:54]
	v_mul_f64 v[53:54], v[27:28], v[25:26]
	v_add_f64 v[55:56], v[53:54], v[23:24]
	v_add_f64 v[57:58], v[55:56], v[21:22]
	v_add_f64 v[47:48], v[57:58], -v[55:56]
	v_add_f64 v[45:46], v[43:44], v[57:58]
	v_add_f64 v[21:22], v[21:22], -v[47:48]
	v_add_f64 v[47:48], v[57:58], -v[47:48]
	;; [unrolled: 1-line block ×5, first 2 shown]
	v_add_f64 v[21:22], v[21:22], v[47:48]
	v_add_f64 v[47:48], v[55:56], -v[53:54]
	v_add_f64 v[23:24], v[23:24], -v[47:48]
	;; [unrolled: 1-line block ×4, first 2 shown]
	v_add_f64 v[23:24], v[23:24], v[47:48]
	v_add_f64 v[21:22], v[23:24], v[21:22]
	v_fma_f64 v[23:24], v[27:28], v[25:26], -v[53:54]
	v_add_f64 v[21:22], v[23:24], v[21:22]
	v_ldexp_f64 v[23:24], v[51:52], 2
	v_add_f64 v[21:22], v[43:44], v[21:22]
	v_cndmask_b32_e32 v24, 0, v24, vcc
	v_cndmask_b32_e32 v23, 0, v23, vcc
	v_add_f64 v[25:26], v[45:46], v[23:24]
	v_cmp_gt_f64_e32 vcc, 0, v[25:26]
	v_cndmask_b32_e32 v10, 0, v36, vcc
	v_add_f64 v[23:24], v[23:24], v[9:10]
	v_add_f64 v[25:26], v[45:46], v[23:24]
	v_cvt_i32_f64_e32 v10, v[25:26]
	v_cvt_f64_i32_e32 v[25:26], v10
	v_add_f64 v[23:24], v[23:24], -v[25:26]
	v_add_f64 v[25:26], v[45:46], v[23:24]
	v_add_f64 v[23:24], v[25:26], -v[23:24]
	v_cmp_le_f64_e32 vcc, 0.5, v[25:26]
	v_add_f64 v[23:24], v[45:46], -v[23:24]
	v_addc_co_u32_e64 v41, s[0:1], 0, v10, vcc
	v_cndmask_b32_e32 v10, 0, v37, vcc
	v_add_f64 v[21:22], v[21:22], v[23:24]
	v_add_f64 v[23:24], v[25:26], -v[9:10]
	v_add_f64 v[25:26], v[23:24], v[21:22]
	v_add_f64 v[23:24], v[25:26], -v[23:24]
	v_add_f64 v[21:22], v[21:22], -v[23:24]
	v_mul_f64 v[23:24], v[25:26], s[24:25]
	v_fma_f64 v[27:28], v[25:26], s[24:25], -v[23:24]
	v_fma_f64 v[25:26], v[25:26], s[30:31], v[27:28]
	v_fma_f64 v[25:26], v[21:22], s[24:25], v[25:26]
	v_add_f64 v[21:22], v[23:24], v[25:26]
	v_add_f64 v[23:24], v[21:22], -v[23:24]
	v_add_f64 v[23:24], v[25:26], -v[23:24]
.LBB213_18:                             ;   in Loop: Header=BB213_4 Depth=1
	s_andn2_saveexec_b64 s[0:1], s[64:65]
	s_cbranch_execz .LBB213_3
; %bb.19:                               ;   in Loop: Header=BB213_4 Depth=1
	v_mul_f64 v[21:22], |v[3:4]|, s[34:35]
	s_mov_b32 s28, s36
	v_rndne_f64_e32 v[25:26], v[21:22]
	v_fma_f64 v[21:22], v[25:26], s[26:27], |v[3:4]|
	v_mul_f64 v[23:24], v[25:26], s[36:37]
	v_cvt_i32_f64_e32 v41, v[25:26]
	v_fma_f64 v[45:46], v[25:26], s[36:37], v[21:22]
	v_add_f64 v[27:28], v[21:22], v[23:24]
	v_add_f64 v[43:44], v[21:22], -v[27:28]
	v_add_f64 v[27:28], v[27:28], -v[45:46]
	v_add_f64 v[21:22], v[43:44], v[23:24]
	v_fma_f64 v[23:24], v[25:26], s[28:29], v[23:24]
	v_add_f64 v[21:22], v[27:28], v[21:22]
	v_add_f64 v[21:22], v[21:22], -v[23:24]
	v_fma_f64 v[23:24], v[25:26], s[38:39], v[21:22]
	v_add_f64 v[21:22], v[45:46], v[23:24]
	v_add_f64 v[27:28], v[21:22], -v[45:46]
	v_add_f64 v[23:24], v[23:24], -v[27:28]
	s_branch .LBB213_3
.LBB213_20:
	s_or_b64 exec, exec, s[14:15]
	s_mov_b64 s[0:1], 0
.LBB213_21:
	s_andn2_b64 vcc, exec, s[0:1]
	s_cbranch_vccnz .LBB213_57
; %bb.22:
	v_cmp_lt_i64_e64 s[0:1], s[8:9], 1
	s_and_b64 vcc, exec, s[0:1]
	s_cbranch_vccnz .LBB213_57
; %bb.23:
	v_mov_b32_e32 v2, 0x10000
	s_load_dword s4, s[4:5], 0xc5c
	v_mov_b32_e32 v3, 0
	v_cmp_lt_i64_e32 vcc, s[8:9], v[2:3]
	v_mov_b32_e32 v1, 0
	s_and_b64 s[0:1], vcc, exec
	v_cmp_lt_u64_e32 vcc, s[8:9], v[2:3]
	s_cselect_b32 s13, s9, 0
	s_cselect_b32 s12, s8, 0x10000
	s_waitcnt lgkmcnt(0)
	s_and_b32 s4, s4, 0xffff
	v_lshlrev_b32_e32 v2, 3, v0
	s_and_b64 s[0:1], vcc, exec
	v_mov_b32_e32 v3, v1
	v_mov_b32_e32 v4, s7
	v_add_co_u32_e32 v31, vcc, s6, v2
	v_addc_co_u32_e32 v32, vcc, 0, v4, vcc
	v_mad_u64_u32 v[3:4], s[0:1], s4, 24, v[2:3]
	v_mov_b32_e32 v5, s3
	v_add_co_u32_e32 v33, vcc, s2, v2
	v_addc_co_u32_e32 v34, vcc, 0, v5, vcc
	v_mov_b32_e32 v5, s7
	v_add_co_u32_e32 v35, vcc, s6, v3
	v_addc_co_u32_e32 v36, vcc, v5, v4, vcc
	v_mov_b32_e32 v5, s3
	v_add_co_u32_e32 v37, vcc, s2, v3
	s_cselect_b32 s15, s9, 0
	s_cselect_b32 s14, s8, 0x10000
	v_addc_co_u32_e32 v38, vcc, v5, v4, vcc
	s_lshl_b32 s0, s4, 4
	v_add_co_u32_e32 v2, vcc, s0, v2
	v_addc_co_u32_e64 v3, s[0:1], 0, 0, vcc
	v_mov_b32_e32 v4, s7
	v_add_co_u32_e32 v39, vcc, s6, v2
	v_addc_co_u32_e32 v40, vcc, v4, v3, vcc
	v_mov_b32_e32 v4, s3
	v_add_co_u32_e32 v41, vcc, s2, v2
	v_addc_co_u32_e32 v42, vcc, v4, v3, vcc
	v_add_co_u32_e32 v43, vcc, s4, v0
	v_lshlrev_b32_e32 v2, 3, v43
	v_addc_co_u32_e64 v44, s[0:1], 0, 0, vcc
	v_mov_b32_e32 v3, s7
	v_add_co_u32_e32 v45, vcc, s6, v2
	v_addc_co_u32_e32 v46, vcc, 0, v3, vcc
	v_mov_b32_e32 v3, s3
	v_add_co_u32_e32 v47, vcc, s2, v2
	s_mul_i32 s8, s4, 3
	v_addc_co_u32_e32 v48, vcc, 0, v3, vcc
	s_lshl_b32 s5, s4, 1
	v_add_co_u32_e32 v49, vcc, s8, v0
	s_mov_b32 s18, 0
	s_mov_b32 s20, 0
	;; [unrolled: 1-line block ×16, first 2 shown]
	v_addc_co_u32_e64 v50, s[0:1], 0, 0, vcc
	v_add_co_u32_e32 v51, vcc, s5, v0
	s_lshl_b32 s33, s4, 2
	s_lshl_b32 s62, s4, 5
	s_mov_b64 s[16:17], 0
	s_mov_b32 s19, 0x41d00000
	s_mov_b32 s21, 0x7b000000
	s_movk_i32 s63, 0xff80
	s_mov_b32 s23, 0x7ff00000
	s_mov_b32 s25, 0x3ff921fb
	;; [unrolled: 1-line block ×18, first 2 shown]
	v_mov_b32_e32 v3, 0x9037ab78
	v_mov_b32_e32 v4, 0x3e21eeb6
	;; [unrolled: 1-line block ×4, first 2 shown]
	v_addc_co_u32_e64 v52, s[0:1], 0, 0, vcc
	v_mov_b32_e32 v53, 0x40100000
	v_mov_b32_e32 v54, 0x3ff00000
	;; [unrolled: 1-line block ×3, first 2 shown]
	s_branch .LBB213_25
.LBB213_24:                             ;   in Loop: Header=BB213_25 Depth=1
	s_or_b64 exec, exec, s[2:3]
	v_add_co_u32_e32 v31, vcc, s62, v31
	v_addc_co_u32_e32 v32, vcc, 0, v32, vcc
	v_add_co_u32_e32 v33, vcc, s62, v33
	v_addc_co_u32_e32 v34, vcc, 0, v34, vcc
	;; [unrolled: 2-line block ×6, first 2 shown]
	s_add_u32 s16, s16, s33
	v_add_co_u32_e32 v45, vcc, s62, v45
	v_mov_b32_e32 v7, s12
	s_addc_u32 s17, s17, 0
	v_addc_co_u32_e32 v46, vcc, 0, v46, vcc
	v_mov_b32_e32 v8, s13
	v_cmp_ge_i64_e32 vcc, s[16:17], v[7:8]
	v_add_co_u32_e64 v47, s[0:1], s62, v47
	v_addc_co_u32_e64 v48, s[0:1], 0, v48, s[0:1]
	s_cbranch_vccnz .LBB213_57
.LBB213_25:                             ; =>This Inner Loop Header: Depth=1
	v_mov_b32_e32 v2, s17
	v_add_co_u32_e32 v7, vcc, s16, v0
	v_addc_co_u32_e32 v8, vcc, 0, v2, vcc
	v_cmp_gt_u64_e64 s[4:5], s[14:15], v[7:8]
	v_mov_b32_e32 v11, 0
	v_mov_b32_e32 v13, 0
	;; [unrolled: 1-line block ×4, first 2 shown]
	s_and_saveexec_b64 s[0:1], s[4:5]
	s_cbranch_execz .LBB213_27
; %bb.26:                               ;   in Loop: Header=BB213_25 Depth=1
	v_mov_b32_e32 v2, s11
	v_add_co_u32_e32 v7, vcc, s10, v31
	v_addc_co_u32_e32 v8, vcc, v32, v2, vcc
	global_load_dwordx2 v[13:14], v[7:8], off
	s_waitcnt vmcnt(0)
	v_and_b32_e32 v14, 0x7fffffff, v14
.LBB213_27:                             ;   in Loop: Header=BB213_25 Depth=1
	s_or_b64 exec, exec, s[0:1]
	v_mov_b32_e32 v2, s17
	v_add_co_u32_e32 v7, vcc, s16, v43
	v_addc_co_u32_e32 v8, vcc, v44, v2, vcc
	v_cmp_gt_u64_e64 s[2:3], s[14:15], v[7:8]
	s_and_saveexec_b64 s[0:1], s[2:3]
	s_cbranch_execz .LBB213_29
; %bb.28:                               ;   in Loop: Header=BB213_25 Depth=1
	v_mov_b32_e32 v2, s11
	v_add_co_u32_e32 v7, vcc, s10, v45
	v_addc_co_u32_e32 v8, vcc, v46, v2, vcc
	global_load_dwordx2 v[11:12], v[7:8], off
	s_waitcnt vmcnt(0)
	v_and_b32_e32 v12, 0x7fffffff, v12
.LBB213_29:                             ;   in Loop: Header=BB213_25 Depth=1
	s_or_b64 exec, exec, s[0:1]
	v_mov_b32_e32 v2, s17
	v_add_co_u32_e32 v7, vcc, s16, v51
	v_addc_co_u32_e32 v8, vcc, v52, v2, vcc
	v_cmp_gt_u64_e64 s[0:1], s[14:15], v[7:8]
	v_mov_b32_e32 v7, 0
	v_mov_b32_e32 v9, 0
	;; [unrolled: 1-line block ×4, first 2 shown]
	s_and_saveexec_b64 s[6:7], s[0:1]
	s_cbranch_execz .LBB213_31
; %bb.30:                               ;   in Loop: Header=BB213_25 Depth=1
	v_mov_b32_e32 v2, s11
	v_add_co_u32_e32 v9, vcc, s10, v39
	v_addc_co_u32_e32 v10, vcc, v40, v2, vcc
	global_load_dwordx2 v[9:10], v[9:10], off
	s_waitcnt vmcnt(0)
	v_and_b32_e32 v10, 0x7fffffff, v10
.LBB213_31:                             ;   in Loop: Header=BB213_25 Depth=1
	s_or_b64 exec, exec, s[6:7]
	v_mov_b32_e32 v2, s17
	v_add_co_u32_e32 v15, vcc, s16, v49
	v_addc_co_u32_e32 v16, vcc, v50, v2, vcc
	v_cmp_gt_u64_e32 vcc, s[14:15], v[15:16]
	s_and_saveexec_b64 s[8:9], vcc
	s_cbranch_execz .LBB213_33
; %bb.32:                               ;   in Loop: Header=BB213_25 Depth=1
	v_mov_b32_e32 v2, s11
	v_add_co_u32_e64 v7, s[6:7], s10, v35
	v_addc_co_u32_e64 v8, s[6:7], v36, v2, s[6:7]
	global_load_dwordx2 v[7:8], v[7:8], off
	s_waitcnt vmcnt(0)
	v_and_b32_e32 v8, 0x7fffffff, v8
.LBB213_33:                             ;   in Loop: Header=BB213_25 Depth=1
	s_or_b64 exec, exec, s[8:9]
	v_cmp_ngt_f64_e64 s[6:7], s[18:19], v[13:14]
                                        ; implicit-def: $vgpr56
                                        ; implicit-def: $vgpr15_vgpr16
                                        ; implicit-def: $vgpr17_vgpr18
	s_and_saveexec_b64 s[8:9], s[6:7]
	s_xor_b64 s[60:61], exec, s[8:9]
	s_cbranch_execz .LBB213_35
; %bb.34:                               ;   in Loop: Header=BB213_25 Depth=1
	v_trig_preop_f64 v[15:16], v[13:14], 0
	v_ldexp_f64 v[19:20], v[13:14], s63
	v_cmp_le_f64_e64 s[6:7], s[20:21], v[13:14]
	v_trig_preop_f64 v[17:18], v[13:14], 1
	v_trig_preop_f64 v[27:28], v[13:14], 2
	s_mov_b32 s24, s26
	s_mov_b32 s31, s29
	v_cndmask_b32_e64 v20, v14, v20, s[6:7]
	v_cndmask_b32_e64 v19, v13, v19, s[6:7]
	v_mul_f64 v[21:22], v[15:16], v[19:20]
	v_mul_f64 v[23:24], v[17:18], v[19:20]
	v_mul_f64 v[58:59], v[27:28], v[19:20]
	v_fma_f64 v[15:16], v[15:16], v[19:20], -v[21:22]
	v_fma_f64 v[17:18], v[17:18], v[19:20], -v[23:24]
	;; [unrolled: 1-line block ×3, first 2 shown]
	v_add_f64 v[25:26], v[23:24], v[15:16]
	v_add_f64 v[29:30], v[25:26], -v[23:24]
	v_add_f64 v[60:61], v[21:22], v[25:26]
	v_add_f64 v[56:57], v[25:26], -v[29:30]
	v_add_f64 v[15:16], v[15:16], -v[29:30]
	v_add_f64 v[29:30], v[58:59], v[17:18]
	v_add_f64 v[21:22], v[60:61], -v[21:22]
	v_add_f64 v[23:24], v[23:24], -v[56:57]
	v_ldexp_f64 v[56:57], v[60:61], -2
	v_add_f64 v[62:63], v[29:30], -v[58:59]
	v_add_f64 v[21:22], v[25:26], -v[21:22]
	v_add_f64 v[15:16], v[15:16], v[23:24]
	v_fract_f64_e32 v[23:24], v[56:57]
	v_cmp_neq_f64_e64 s[6:7], |v[56:57]|, s[22:23]
	v_add_f64 v[17:18], v[17:18], -v[62:63]
	v_add_f64 v[25:26], v[29:30], v[15:16]
	v_ldexp_f64 v[23:24], v[23:24], 2
	v_add_f64 v[56:57], v[21:22], v[25:26]
	v_cndmask_b32_e64 v24, 0, v24, s[6:7]
	v_cndmask_b32_e64 v23, 0, v23, s[6:7]
	v_add_f64 v[64:65], v[25:26], -v[29:30]
	v_add_f64 v[60:61], v[56:57], v[23:24]
	v_add_f64 v[21:22], v[56:57], -v[21:22]
	v_add_f64 v[66:67], v[25:26], -v[64:65]
	;; [unrolled: 1-line block ×3, first 2 shown]
	v_cmp_gt_f64_e64 s[6:7], 0, v[60:61]
	v_add_f64 v[60:61], v[29:30], -v[62:63]
	v_add_f64 v[21:22], v[25:26], -v[21:22]
	;; [unrolled: 1-line block ×3, first 2 shown]
	v_cndmask_b32_e64 v2, 0, v53, s[6:7]
	v_add_f64 v[23:24], v[23:24], v[1:2]
	v_add_f64 v[60:61], v[58:59], -v[60:61]
	v_add_f64 v[15:16], v[15:16], v[29:30]
	v_add_f64 v[68:69], v[56:57], v[23:24]
	;; [unrolled: 1-line block ×3, first 2 shown]
	v_cvt_i32_f64_e32 v2, v[68:69]
	v_add_f64 v[15:16], v[17:18], v[15:16]
	v_cvt_f64_i32_e32 v[62:63], v2
	v_add_f64 v[23:24], v[23:24], -v[62:63]
	v_add_f64 v[15:16], v[19:20], v[15:16]
	v_add_f64 v[17:18], v[56:57], v[23:24]
	;; [unrolled: 1-line block ×3, first 2 shown]
	v_add_f64 v[19:20], v[17:18], -v[23:24]
	v_cmp_le_f64_e64 s[6:7], 0.5, v[17:18]
	v_add_f64 v[19:20], v[56:57], -v[19:20]
	v_addc_co_u32_e64 v56, s[8:9], 0, v2, s[6:7]
	v_cndmask_b32_e64 v2, 0, v54, s[6:7]
	v_add_f64 v[17:18], v[17:18], -v[1:2]
	v_add_f64 v[15:16], v[15:16], v[19:20]
	v_add_f64 v[19:20], v[17:18], v[15:16]
	v_mul_f64 v[21:22], v[19:20], s[24:25]
	v_add_f64 v[17:18], v[19:20], -v[17:18]
	v_fma_f64 v[23:24], v[19:20], s[24:25], -v[21:22]
	v_add_f64 v[15:16], v[15:16], -v[17:18]
	v_fma_f64 v[17:18], v[19:20], s[30:31], v[23:24]
	v_fma_f64 v[17:18], v[15:16], s[24:25], v[17:18]
	v_add_f64 v[15:16], v[21:22], v[17:18]
	v_add_f64 v[19:20], v[15:16], -v[21:22]
	v_add_f64 v[17:18], v[17:18], -v[19:20]
.LBB213_35:                             ;   in Loop: Header=BB213_25 Depth=1
	s_andn2_saveexec_b64 s[6:7], s[60:61]
	s_cbranch_execz .LBB213_37
; %bb.36:                               ;   in Loop: Header=BB213_25 Depth=1
	v_mul_f64 v[15:16], v[13:14], s[34:35]
	s_mov_b32 s28, s36
	v_rndne_f64_e32 v[19:20], v[15:16]
	v_fma_f64 v[15:16], v[19:20], s[26:27], v[13:14]
	v_mul_f64 v[17:18], v[19:20], s[36:37]
	v_cvt_i32_f64_e32 v56, v[19:20]
	v_fma_f64 v[25:26], v[19:20], s[36:37], v[15:16]
	v_add_f64 v[21:22], v[15:16], v[17:18]
	v_add_f64 v[23:24], v[15:16], -v[21:22]
	v_add_f64 v[21:22], v[21:22], -v[25:26]
	v_add_f64 v[15:16], v[23:24], v[17:18]
	v_fma_f64 v[17:18], v[19:20], s[28:29], v[17:18]
	v_add_f64 v[15:16], v[21:22], v[15:16]
	v_add_f64 v[15:16], v[15:16], -v[17:18]
	v_fma_f64 v[17:18], v[19:20], s[38:39], v[15:16]
	v_add_f64 v[15:16], v[25:26], v[17:18]
	v_add_f64 v[21:22], v[15:16], -v[25:26]
	v_add_f64 v[17:18], v[17:18], -v[21:22]
.LBB213_37:                             ;   in Loop: Header=BB213_25 Depth=1
	s_or_b64 exec, exec, s[6:7]
	v_cmp_ngt_f64_e64 s[6:7], s[18:19], v[11:12]
                                        ; implicit-def: $vgpr57
                                        ; implicit-def: $vgpr19_vgpr20
                                        ; implicit-def: $vgpr21_vgpr22
	s_and_saveexec_b64 s[8:9], s[6:7]
	s_xor_b64 s[60:61], exec, s[8:9]
	s_cbranch_execz .LBB213_39
; %bb.38:                               ;   in Loop: Header=BB213_25 Depth=1
	v_trig_preop_f64 v[19:20], v[11:12], 0
	v_ldexp_f64 v[23:24], v[11:12], s63
	v_cmp_le_f64_e64 s[6:7], s[20:21], v[11:12]
	v_trig_preop_f64 v[21:22], v[11:12], 1
	v_trig_preop_f64 v[57:58], v[11:12], 2
	s_mov_b32 s24, s26
	s_mov_b32 s31, s29
	v_cndmask_b32_e64 v24, v12, v24, s[6:7]
	v_cndmask_b32_e64 v23, v11, v23, s[6:7]
	v_mul_f64 v[25:26], v[19:20], v[23:24]
	v_mul_f64 v[27:28], v[21:22], v[23:24]
	v_mul_f64 v[63:64], v[57:58], v[23:24]
	v_fma_f64 v[19:20], v[19:20], v[23:24], -v[25:26]
	v_fma_f64 v[21:22], v[21:22], v[23:24], -v[27:28]
	;; [unrolled: 1-line block ×3, first 2 shown]
	v_add_f64 v[29:30], v[27:28], v[19:20]
	v_add_f64 v[59:60], v[29:30], -v[27:28]
	v_add_f64 v[65:66], v[25:26], v[29:30]
	v_add_f64 v[61:62], v[29:30], -v[59:60]
	v_add_f64 v[19:20], v[19:20], -v[59:60]
	v_add_f64 v[59:60], v[63:64], v[21:22]
	v_add_f64 v[25:26], v[65:66], -v[25:26]
	v_add_f64 v[27:28], v[27:28], -v[61:62]
	v_ldexp_f64 v[61:62], v[65:66], -2
	v_add_f64 v[67:68], v[59:60], -v[63:64]
	v_add_f64 v[25:26], v[29:30], -v[25:26]
	v_add_f64 v[19:20], v[19:20], v[27:28]
	v_fract_f64_e32 v[27:28], v[61:62]
	v_cmp_neq_f64_e64 s[6:7], |v[61:62]|, s[22:23]
	v_add_f64 v[21:22], v[21:22], -v[67:68]
	v_add_f64 v[29:30], v[59:60], v[19:20]
	v_ldexp_f64 v[27:28], v[27:28], 2
	v_add_f64 v[61:62], v[25:26], v[29:30]
	v_cndmask_b32_e64 v28, 0, v28, s[6:7]
	v_cndmask_b32_e64 v27, 0, v27, s[6:7]
	v_add_f64 v[69:70], v[29:30], -v[59:60]
	v_add_f64 v[65:66], v[61:62], v[27:28]
	v_add_f64 v[25:26], v[61:62], -v[25:26]
	v_add_f64 v[71:72], v[29:30], -v[69:70]
	;; [unrolled: 1-line block ×3, first 2 shown]
	v_cmp_gt_f64_e64 s[6:7], 0, v[65:66]
	v_add_f64 v[65:66], v[59:60], -v[67:68]
	v_add_f64 v[25:26], v[29:30], -v[25:26]
	;; [unrolled: 1-line block ×3, first 2 shown]
	v_cndmask_b32_e64 v2, 0, v53, s[6:7]
	v_add_f64 v[27:28], v[27:28], v[1:2]
	v_add_f64 v[65:66], v[63:64], -v[65:66]
	v_add_f64 v[19:20], v[19:20], v[59:60]
	v_add_f64 v[73:74], v[61:62], v[27:28]
	;; [unrolled: 1-line block ×3, first 2 shown]
	v_cvt_i32_f64_e32 v2, v[73:74]
	v_add_f64 v[19:20], v[21:22], v[19:20]
	v_cvt_f64_i32_e32 v[67:68], v2
	v_add_f64 v[27:28], v[27:28], -v[67:68]
	v_add_f64 v[19:20], v[23:24], v[19:20]
	v_add_f64 v[21:22], v[61:62], v[27:28]
	v_add_f64 v[19:20], v[25:26], v[19:20]
	v_add_f64 v[23:24], v[21:22], -v[27:28]
	v_cmp_le_f64_e64 s[6:7], 0.5, v[21:22]
	v_add_f64 v[23:24], v[61:62], -v[23:24]
	v_addc_co_u32_e64 v57, s[8:9], 0, v2, s[6:7]
	v_cndmask_b32_e64 v2, 0, v54, s[6:7]
	v_add_f64 v[21:22], v[21:22], -v[1:2]
	v_add_f64 v[19:20], v[19:20], v[23:24]
	v_add_f64 v[23:24], v[21:22], v[19:20]
	v_mul_f64 v[25:26], v[23:24], s[24:25]
	v_add_f64 v[21:22], v[23:24], -v[21:22]
	v_fma_f64 v[27:28], v[23:24], s[24:25], -v[25:26]
	v_add_f64 v[19:20], v[19:20], -v[21:22]
	v_fma_f64 v[21:22], v[23:24], s[30:31], v[27:28]
	v_fma_f64 v[21:22], v[19:20], s[24:25], v[21:22]
	v_add_f64 v[19:20], v[25:26], v[21:22]
	v_add_f64 v[23:24], v[19:20], -v[25:26]
	v_add_f64 v[21:22], v[21:22], -v[23:24]
.LBB213_39:                             ;   in Loop: Header=BB213_25 Depth=1
	s_andn2_saveexec_b64 s[6:7], s[60:61]
	s_cbranch_execz .LBB213_41
; %bb.40:                               ;   in Loop: Header=BB213_25 Depth=1
	v_mul_f64 v[19:20], v[11:12], s[34:35]
	s_mov_b32 s28, s36
	v_rndne_f64_e32 v[23:24], v[19:20]
	v_fma_f64 v[19:20], v[23:24], s[26:27], v[11:12]
	v_mul_f64 v[21:22], v[23:24], s[36:37]
	v_cvt_i32_f64_e32 v57, v[23:24]
	v_fma_f64 v[29:30], v[23:24], s[36:37], v[19:20]
	v_add_f64 v[25:26], v[19:20], v[21:22]
	v_add_f64 v[27:28], v[19:20], -v[25:26]
	v_add_f64 v[25:26], v[25:26], -v[29:30]
	v_add_f64 v[19:20], v[27:28], v[21:22]
	v_fma_f64 v[21:22], v[23:24], s[28:29], v[21:22]
	v_add_f64 v[19:20], v[25:26], v[19:20]
	v_add_f64 v[19:20], v[19:20], -v[21:22]
	v_fma_f64 v[21:22], v[23:24], s[38:39], v[19:20]
	v_add_f64 v[19:20], v[29:30], v[21:22]
	v_add_f64 v[25:26], v[19:20], -v[29:30]
	v_add_f64 v[21:22], v[21:22], -v[25:26]
.LBB213_41:                             ;   in Loop: Header=BB213_25 Depth=1
	s_or_b64 exec, exec, s[6:7]
	v_cmp_ngt_f64_e64 s[6:7], s[18:19], v[9:10]
                                        ; implicit-def: $vgpr58
                                        ; implicit-def: $vgpr23_vgpr24
                                        ; implicit-def: $vgpr25_vgpr26
	s_and_saveexec_b64 s[8:9], s[6:7]
	s_xor_b64 s[60:61], exec, s[8:9]
	s_cbranch_execz .LBB213_43
; %bb.42:                               ;   in Loop: Header=BB213_25 Depth=1
	v_trig_preop_f64 v[23:24], v[9:10], 0
	v_ldexp_f64 v[27:28], v[9:10], s63
	v_cmp_le_f64_e64 s[6:7], s[20:21], v[9:10]
	v_trig_preop_f64 v[25:26], v[9:10], 1
	v_trig_preop_f64 v[62:63], v[9:10], 2
	s_mov_b32 s24, s26
	s_mov_b32 s31, s29
	v_cndmask_b32_e64 v28, v10, v28, s[6:7]
	v_cndmask_b32_e64 v27, v9, v27, s[6:7]
	v_mul_f64 v[29:30], v[23:24], v[27:28]
	v_mul_f64 v[58:59], v[25:26], v[27:28]
	;; [unrolled: 1-line block ×3, first 2 shown]
	v_fma_f64 v[23:24], v[23:24], v[27:28], -v[29:30]
	v_fma_f64 v[25:26], v[25:26], v[27:28], -v[58:59]
	;; [unrolled: 1-line block ×3, first 2 shown]
	v_add_f64 v[60:61], v[58:59], v[23:24]
	v_add_f64 v[64:65], v[60:61], -v[58:59]
	v_add_f64 v[70:71], v[29:30], v[60:61]
	v_add_f64 v[66:67], v[60:61], -v[64:65]
	v_add_f64 v[23:24], v[23:24], -v[64:65]
	v_add_f64 v[64:65], v[68:69], v[25:26]
	v_add_f64 v[29:30], v[70:71], -v[29:30]
	v_add_f64 v[58:59], v[58:59], -v[66:67]
	v_ldexp_f64 v[66:67], v[70:71], -2
	v_add_f64 v[72:73], v[64:65], -v[68:69]
	v_add_f64 v[29:30], v[60:61], -v[29:30]
	v_add_f64 v[23:24], v[23:24], v[58:59]
	v_fract_f64_e32 v[58:59], v[66:67]
	v_cmp_neq_f64_e64 s[6:7], |v[66:67]|, s[22:23]
	v_add_f64 v[25:26], v[25:26], -v[72:73]
	v_add_f64 v[60:61], v[64:65], v[23:24]
	v_ldexp_f64 v[58:59], v[58:59], 2
	v_add_f64 v[66:67], v[29:30], v[60:61]
	v_cndmask_b32_e64 v59, 0, v59, s[6:7]
	v_cndmask_b32_e64 v58, 0, v58, s[6:7]
	v_add_f64 v[74:75], v[60:61], -v[64:65]
	v_add_f64 v[70:71], v[66:67], v[58:59]
	v_add_f64 v[29:30], v[66:67], -v[29:30]
	v_add_f64 v[76:77], v[60:61], -v[74:75]
	;; [unrolled: 1-line block ×3, first 2 shown]
	v_cmp_gt_f64_e64 s[6:7], 0, v[70:71]
	v_add_f64 v[70:71], v[64:65], -v[72:73]
	v_add_f64 v[29:30], v[60:61], -v[29:30]
	;; [unrolled: 1-line block ×3, first 2 shown]
	v_cndmask_b32_e64 v2, 0, v53, s[6:7]
	v_add_f64 v[58:59], v[58:59], v[1:2]
	v_add_f64 v[70:71], v[68:69], -v[70:71]
	v_add_f64 v[23:24], v[23:24], v[64:65]
	v_add_f64 v[78:79], v[66:67], v[58:59]
	;; [unrolled: 1-line block ×3, first 2 shown]
	v_cvt_i32_f64_e32 v2, v[78:79]
	v_add_f64 v[23:24], v[25:26], v[23:24]
	v_cvt_f64_i32_e32 v[72:73], v2
	v_add_f64 v[58:59], v[58:59], -v[72:73]
	v_add_f64 v[23:24], v[27:28], v[23:24]
	v_add_f64 v[25:26], v[66:67], v[58:59]
	;; [unrolled: 1-line block ×3, first 2 shown]
	v_add_f64 v[27:28], v[25:26], -v[58:59]
	v_cmp_le_f64_e64 s[6:7], 0.5, v[25:26]
	v_add_f64 v[27:28], v[66:67], -v[27:28]
	v_addc_co_u32_e64 v58, s[8:9], 0, v2, s[6:7]
	v_cndmask_b32_e64 v2, 0, v54, s[6:7]
	v_add_f64 v[25:26], v[25:26], -v[1:2]
	v_add_f64 v[23:24], v[23:24], v[27:28]
	v_add_f64 v[27:28], v[25:26], v[23:24]
	v_mul_f64 v[29:30], v[27:28], s[24:25]
	v_add_f64 v[25:26], v[27:28], -v[25:26]
	v_fma_f64 v[59:60], v[27:28], s[24:25], -v[29:30]
	v_add_f64 v[23:24], v[23:24], -v[25:26]
	v_fma_f64 v[25:26], v[27:28], s[30:31], v[59:60]
	v_fma_f64 v[25:26], v[23:24], s[24:25], v[25:26]
	v_add_f64 v[23:24], v[29:30], v[25:26]
	v_add_f64 v[27:28], v[23:24], -v[29:30]
	v_add_f64 v[25:26], v[25:26], -v[27:28]
.LBB213_43:                             ;   in Loop: Header=BB213_25 Depth=1
	s_andn2_saveexec_b64 s[6:7], s[60:61]
	s_cbranch_execz .LBB213_45
; %bb.44:                               ;   in Loop: Header=BB213_25 Depth=1
	v_mul_f64 v[23:24], v[9:10], s[34:35]
	s_mov_b32 s28, s36
	v_rndne_f64_e32 v[27:28], v[23:24]
	v_fma_f64 v[23:24], v[27:28], s[26:27], v[9:10]
	v_mul_f64 v[25:26], v[27:28], s[36:37]
	v_fma_f64 v[60:61], v[27:28], s[36:37], v[23:24]
	v_add_f64 v[29:30], v[23:24], v[25:26]
	v_add_f64 v[58:59], v[23:24], -v[29:30]
	v_add_f64 v[29:30], v[29:30], -v[60:61]
	v_add_f64 v[23:24], v[58:59], v[25:26]
	v_fma_f64 v[25:26], v[27:28], s[28:29], v[25:26]
	v_cvt_i32_f64_e32 v58, v[27:28]
	v_add_f64 v[23:24], v[29:30], v[23:24]
	v_add_f64 v[23:24], v[23:24], -v[25:26]
	v_fma_f64 v[25:26], v[27:28], s[38:39], v[23:24]
	v_add_f64 v[23:24], v[60:61], v[25:26]
	v_add_f64 v[29:30], v[23:24], -v[60:61]
	v_add_f64 v[25:26], v[25:26], -v[29:30]
.LBB213_45:                             ;   in Loop: Header=BB213_25 Depth=1
	s_or_b64 exec, exec, s[6:7]
	v_cmp_ngt_f64_e64 s[6:7], s[18:19], v[7:8]
                                        ; implicit-def: $vgpr59
                                        ; implicit-def: $vgpr27_vgpr28
                                        ; implicit-def: $vgpr29_vgpr30
	s_and_saveexec_b64 s[8:9], s[6:7]
	s_xor_b64 s[60:61], exec, s[8:9]
	s_cbranch_execnz .LBB213_51
; %bb.46:                               ;   in Loop: Header=BB213_25 Depth=1
	s_andn2_saveexec_b64 s[6:7], s[60:61]
	s_cbranch_execnz .LBB213_52
.LBB213_47:                             ;   in Loop: Header=BB213_25 Depth=1
	s_or_b64 exec, exec, s[6:7]
	s_and_saveexec_b64 s[6:7], s[4:5]
	s_xor_b64 s[60:61], exec, s[6:7]
	s_cbranch_execnz .LBB213_53
.LBB213_48:                             ;   in Loop: Header=BB213_25 Depth=1
	s_or_b64 exec, exec, s[60:61]
	s_and_saveexec_b64 s[6:7], s[2:3]
	s_cbranch_execnz .LBB213_54
.LBB213_49:                             ;   in Loop: Header=BB213_25 Depth=1
	s_or_b64 exec, exec, s[6:7]
	s_and_saveexec_b64 s[4:5], s[0:1]
	s_cbranch_execnz .LBB213_55
.LBB213_50:                             ;   in Loop: Header=BB213_25 Depth=1
	s_or_b64 exec, exec, s[4:5]
	s_and_saveexec_b64 s[2:3], vcc
	s_cbranch_execz .LBB213_24
	s_branch .LBB213_56
.LBB213_51:                             ;   in Loop: Header=BB213_25 Depth=1
	v_trig_preop_f64 v[27:28], v[7:8], 0
	v_cmp_le_f64_e64 s[6:7], s[20:21], v[7:8]
	v_ldexp_f64 v[59:60], v[7:8], s63
	v_trig_preop_f64 v[29:30], v[7:8], 1
	s_mov_b32 s24, s26
	s_mov_b32 s31, s29
	v_cndmask_b32_e64 v60, v8, v60, s[6:7]
	v_cndmask_b32_e64 v59, v7, v59, s[6:7]
	v_mul_f64 v[63:64], v[27:28], v[59:60]
	v_mul_f64 v[61:62], v[29:30], v[59:60]
	v_fma_f64 v[27:28], v[27:28], v[59:60], -v[63:64]
	v_fma_f64 v[29:30], v[29:30], v[59:60], -v[61:62]
	v_add_f64 v[65:66], v[61:62], v[27:28]
	v_add_f64 v[73:74], v[65:66], -v[61:62]
	v_add_f64 v[67:68], v[63:64], v[65:66]
	v_add_f64 v[27:28], v[27:28], -v[73:74]
	v_add_f64 v[73:74], v[65:66], -v[73:74]
	v_ldexp_f64 v[69:70], v[67:68], -2
	v_add_f64 v[63:64], v[67:68], -v[63:64]
	v_add_f64 v[73:74], v[61:62], -v[73:74]
	v_trig_preop_f64 v[61:62], v[7:8], 2
	v_fract_f64_e32 v[71:72], v[69:70]
	v_add_f64 v[63:64], v[65:66], -v[63:64]
	v_cmp_neq_f64_e64 s[6:7], |v[69:70]|, s[22:23]
	v_add_f64 v[27:28], v[27:28], v[73:74]
	v_mul_f64 v[73:74], v[61:62], v[59:60]
	v_add_f64 v[75:76], v[73:74], v[29:30]
	v_add_f64 v[77:78], v[75:76], v[27:28]
	v_add_f64 v[67:68], v[77:78], -v[75:76]
	v_add_f64 v[65:66], v[63:64], v[77:78]
	v_add_f64 v[27:28], v[27:28], -v[67:68]
	v_add_f64 v[67:68], v[77:78], -v[67:68]
	;; [unrolled: 1-line block ×5, first 2 shown]
	v_add_f64 v[27:28], v[27:28], v[67:68]
	v_add_f64 v[67:68], v[75:76], -v[73:74]
	v_add_f64 v[29:30], v[29:30], -v[67:68]
	;; [unrolled: 1-line block ×4, first 2 shown]
	v_add_f64 v[29:30], v[29:30], v[67:68]
	v_add_f64 v[27:28], v[29:30], v[27:28]
	v_fma_f64 v[29:30], v[61:62], v[59:60], -v[73:74]
	v_add_f64 v[27:28], v[29:30], v[27:28]
	v_ldexp_f64 v[29:30], v[71:72], 2
	v_add_f64 v[27:28], v[63:64], v[27:28]
	v_cndmask_b32_e64 v30, 0, v30, s[6:7]
	v_cndmask_b32_e64 v29, 0, v29, s[6:7]
	v_add_f64 v[59:60], v[65:66], v[29:30]
	v_cmp_gt_f64_e64 s[6:7], 0, v[59:60]
	v_cndmask_b32_e64 v2, 0, v53, s[6:7]
	v_add_f64 v[29:30], v[29:30], v[1:2]
	v_add_f64 v[59:60], v[65:66], v[29:30]
	v_cvt_i32_f64_e32 v2, v[59:60]
	v_cvt_f64_i32_e32 v[59:60], v2
	v_add_f64 v[29:30], v[29:30], -v[59:60]
	v_add_f64 v[60:61], v[65:66], v[29:30]
	v_add_f64 v[29:30], v[60:61], -v[29:30]
	v_cmp_le_f64_e64 s[6:7], 0.5, v[60:61]
	v_add_f64 v[29:30], v[65:66], -v[29:30]
	v_addc_co_u32_e64 v59, s[8:9], 0, v2, s[6:7]
	v_cndmask_b32_e64 v2, 0, v54, s[6:7]
	v_add_f64 v[27:28], v[27:28], v[29:30]
	v_add_f64 v[29:30], v[60:61], -v[1:2]
	v_add_f64 v[60:61], v[29:30], v[27:28]
	v_add_f64 v[29:30], v[60:61], -v[29:30]
	v_add_f64 v[27:28], v[27:28], -v[29:30]
	v_mul_f64 v[29:30], v[60:61], s[24:25]
	v_fma_f64 v[62:63], v[60:61], s[24:25], -v[29:30]
	v_fma_f64 v[60:61], v[60:61], s[30:31], v[62:63]
	v_fma_f64 v[60:61], v[27:28], s[24:25], v[60:61]
	v_add_f64 v[27:28], v[29:30], v[60:61]
	v_add_f64 v[29:30], v[27:28], -v[29:30]
	v_add_f64 v[29:30], v[60:61], -v[29:30]
	s_andn2_saveexec_b64 s[6:7], s[60:61]
	s_cbranch_execz .LBB213_47
.LBB213_52:                             ;   in Loop: Header=BB213_25 Depth=1
	v_mul_f64 v[27:28], v[7:8], s[34:35]
	s_mov_b32 s28, s36
	v_rndne_f64_e32 v[59:60], v[27:28]
	v_fma_f64 v[27:28], v[59:60], s[26:27], v[7:8]
	v_mul_f64 v[29:30], v[59:60], s[36:37]
	v_fma_f64 v[65:66], v[59:60], s[36:37], v[27:28]
	v_add_f64 v[61:62], v[27:28], v[29:30]
	v_add_f64 v[63:64], v[27:28], -v[61:62]
	v_add_f64 v[61:62], v[61:62], -v[65:66]
	v_add_f64 v[27:28], v[63:64], v[29:30]
	v_fma_f64 v[29:30], v[59:60], s[28:29], v[29:30]
	v_add_f64 v[27:28], v[61:62], v[27:28]
	v_add_f64 v[27:28], v[27:28], -v[29:30]
	v_fma_f64 v[29:30], v[59:60], s[38:39], v[27:28]
	v_cvt_i32_f64_e32 v59, v[59:60]
	v_add_f64 v[27:28], v[65:66], v[29:30]
	v_add_f64 v[61:62], v[27:28], -v[65:66]
	v_add_f64 v[29:30], v[29:30], -v[61:62]
	s_or_b64 exec, exec, s[6:7]
	s_and_saveexec_b64 s[6:7], s[4:5]
	s_xor_b64 s[60:61], exec, s[6:7]
	s_cbranch_execz .LBB213_48
.LBB213_53:                             ;   in Loop: Header=BB213_25 Depth=1
	v_mul_f64 v[60:61], v[15:16], v[15:16]
	v_mul_f64 v[70:71], v[17:18], 0.5
	s_mov_b32 s58, s48
	v_cmp_lg_f64_e64 s[4:5], s[22:23], v[13:14]
	v_and_b32_e32 v2, 1, v56
	v_lshlrev_b32_e32 v14, 30, v56
	v_cmp_eq_u32_e64 s[8:9], 0, v2
	v_and_b32_e32 v2, 0x80000000, v14
	v_fma_f64 v[62:63], v[60:61], s[50:51], v[5:6]
	v_fma_f64 v[64:65], v[60:61], s[40:41], v[3:4]
	v_mul_f64 v[66:67], v[60:61], 0.5
	v_mul_f64 v[72:73], v[15:16], -v[60:61]
	v_add_co_u32_e64 v13, s[6:7], s10, v33
	v_fma_f64 v[62:63], v[60:61], v[62:63], s[52:53]
	v_fma_f64 v[64:65], v[60:61], v[64:65], s[42:43]
	v_add_f64 v[68:69], -v[66:67], 1.0
	v_fma_f64 v[62:63], v[60:61], v[62:63], s[54:55]
	v_fma_f64 v[64:65], v[60:61], v[64:65], s[44:45]
	v_add_f64 v[74:75], -v[68:69], 1.0
	v_fma_f64 v[62:63], v[60:61], v[62:63], s[56:57]
	v_fma_f64 v[64:65], v[60:61], v[64:65], s[46:47]
	v_add_f64 v[66:67], v[74:75], -v[66:67]
	v_fma_f64 v[62:63], v[72:73], v[62:63], v[70:71]
	v_mul_f64 v[70:71], v[60:61], v[60:61]
	v_fma_f64 v[64:65], v[60:61], v[64:65], s[48:49]
	v_fma_f64 v[66:67], v[15:16], -v[17:18], v[66:67]
	v_fma_f64 v[17:18], v[60:61], v[62:63], -v[17:18]
	v_fma_f64 v[60:61], v[70:71], v[64:65], v[66:67]
	v_fma_f64 v[17:18], v[72:73], s[58:59], v[17:18]
	v_add_f64 v[60:61], v[68:69], v[60:61]
	v_add_f64 v[15:16], v[15:16], -v[17:18]
	v_mov_b32_e32 v17, s11
	v_cndmask_b32_e64 v14, v15, v60, s[8:9]
	v_xor_b32_e32 v15, 0x80000000, v16
	v_cndmask_b32_e64 v16, v15, v61, s[8:9]
	v_xor_b32_e32 v2, v16, v2
	v_cndmask_b32_e64 v15, 0, v14, s[4:5]
	v_cndmask_b32_e64 v16, v55, v2, s[4:5]
	v_addc_co_u32_e64 v14, s[4:5], v34, v17, s[6:7]
	global_store_dwordx2 v[13:14], v[15:16], off
	s_or_b64 exec, exec, s[60:61]
	s_and_saveexec_b64 s[6:7], s[2:3]
	s_cbranch_execz .LBB213_49
.LBB213_54:                             ;   in Loop: Header=BB213_25 Depth=1
	v_mul_f64 v[13:14], v[19:20], v[19:20]
	v_mul_f64 v[64:65], v[21:22], 0.5
	s_mov_b32 s58, s48
	v_cmp_lg_f64_e64 s[4:5], s[22:23], v[11:12]
	v_and_b32_e32 v2, 1, v57
	v_lshlrev_b32_e32 v11, 30, v57
	v_cmp_eq_u32_e64 s[2:3], 0, v2
	v_and_b32_e32 v12, 0x80000000, v11
	v_fma_f64 v[15:16], v[13:14], s[50:51], v[5:6]
	v_fma_f64 v[17:18], v[13:14], s[40:41], v[3:4]
	v_mul_f64 v[60:61], v[13:14], 0.5
	v_mul_f64 v[66:67], v[19:20], -v[13:14]
	v_fma_f64 v[15:16], v[13:14], v[15:16], s[52:53]
	v_fma_f64 v[17:18], v[13:14], v[17:18], s[42:43]
	v_add_f64 v[62:63], -v[60:61], 1.0
	v_fma_f64 v[15:16], v[13:14], v[15:16], s[54:55]
	v_fma_f64 v[17:18], v[13:14], v[17:18], s[44:45]
	v_add_f64 v[68:69], -v[62:63], 1.0
	v_fma_f64 v[15:16], v[13:14], v[15:16], s[56:57]
	v_fma_f64 v[17:18], v[13:14], v[17:18], s[46:47]
	v_add_f64 v[60:61], v[68:69], -v[60:61]
	v_fma_f64 v[15:16], v[66:67], v[15:16], v[64:65]
	v_mul_f64 v[64:65], v[13:14], v[13:14]
	v_fma_f64 v[17:18], v[13:14], v[17:18], s[48:49]
	v_fma_f64 v[60:61], v[19:20], -v[21:22], v[60:61]
	v_fma_f64 v[13:14], v[13:14], v[15:16], -v[21:22]
	v_fma_f64 v[15:16], v[64:65], v[17:18], v[60:61]
	v_fma_f64 v[13:14], v[66:67], s[58:59], v[13:14]
	v_add_f64 v[15:16], v[62:63], v[15:16]
	v_add_f64 v[13:14], v[19:20], -v[13:14]
	v_xor_b32_e32 v11, 0x80000000, v14
	v_cndmask_b32_e64 v2, v13, v15, s[2:3]
	v_cndmask_b32_e64 v13, v11, v16, s[2:3]
	v_mov_b32_e32 v15, s11
	v_cndmask_b32_e64 v11, 0, v2, s[4:5]
	v_xor_b32_e32 v2, v13, v12
	v_add_co_u32_e64 v13, s[2:3], s10, v47
	v_cndmask_b32_e64 v12, v55, v2, s[4:5]
	v_addc_co_u32_e64 v14, s[2:3], v48, v15, s[2:3]
	global_store_dwordx2 v[13:14], v[11:12], off
	s_or_b64 exec, exec, s[6:7]
	s_and_saveexec_b64 s[4:5], s[0:1]
	s_cbranch_execz .LBB213_50
.LBB213_55:                             ;   in Loop: Header=BB213_25 Depth=1
	v_mul_f64 v[11:12], v[23:24], v[23:24]
	v_mul_f64 v[21:22], v[25:26], 0.5
	s_mov_b32 s58, s48
	v_cmp_lg_f64_e64 s[2:3], s[22:23], v[9:10]
	v_and_b32_e32 v2, 1, v58
	v_lshlrev_b32_e32 v9, 30, v58
	v_cmp_eq_u32_e64 s[0:1], 0, v2
	v_and_b32_e32 v10, 0x80000000, v9
	v_fma_f64 v[13:14], v[11:12], s[50:51], v[5:6]
	v_fma_f64 v[15:16], v[11:12], s[40:41], v[3:4]
	v_mul_f64 v[17:18], v[11:12], 0.5
	v_mul_f64 v[56:57], v[23:24], -v[11:12]
	v_fma_f64 v[13:14], v[11:12], v[13:14], s[52:53]
	v_fma_f64 v[15:16], v[11:12], v[15:16], s[42:43]
	v_add_f64 v[19:20], -v[17:18], 1.0
	v_fma_f64 v[13:14], v[11:12], v[13:14], s[54:55]
	v_fma_f64 v[15:16], v[11:12], v[15:16], s[44:45]
	v_add_f64 v[60:61], -v[19:20], 1.0
	v_fma_f64 v[13:14], v[11:12], v[13:14], s[56:57]
	v_fma_f64 v[15:16], v[11:12], v[15:16], s[46:47]
	v_add_f64 v[17:18], v[60:61], -v[17:18]
	v_fma_f64 v[13:14], v[56:57], v[13:14], v[21:22]
	v_mul_f64 v[21:22], v[11:12], v[11:12]
	v_fma_f64 v[15:16], v[11:12], v[15:16], s[48:49]
	v_fma_f64 v[17:18], v[23:24], -v[25:26], v[17:18]
	v_fma_f64 v[11:12], v[11:12], v[13:14], -v[25:26]
	v_fma_f64 v[13:14], v[21:22], v[15:16], v[17:18]
	v_fma_f64 v[11:12], v[56:57], s[58:59], v[11:12]
	v_add_f64 v[13:14], v[19:20], v[13:14]
	v_add_f64 v[11:12], v[23:24], -v[11:12]
	v_xor_b32_e32 v9, 0x80000000, v12
	v_cndmask_b32_e64 v2, v11, v13, s[0:1]
	v_cndmask_b32_e64 v11, v9, v14, s[0:1]
	v_mov_b32_e32 v13, s11
	v_cndmask_b32_e64 v9, 0, v2, s[2:3]
	v_xor_b32_e32 v2, v11, v10
	v_add_co_u32_e64 v11, s[0:1], s10, v41
	v_cndmask_b32_e64 v10, v55, v2, s[2:3]
	v_addc_co_u32_e64 v12, s[0:1], v42, v13, s[0:1]
	global_store_dwordx2 v[11:12], v[9:10], off
	s_or_b64 exec, exec, s[4:5]
	s_and_saveexec_b64 s[2:3], vcc
	s_cbranch_execz .LBB213_24
.LBB213_56:                             ;   in Loop: Header=BB213_25 Depth=1
	v_mul_f64 v[9:10], v[27:28], v[27:28]
	v_mul_f64 v[19:20], v[29:30], 0.5
	s_mov_b32 s58, s48
	v_cmp_lg_f64_e64 s[0:1], s[22:23], v[7:8]
	v_and_b32_e32 v2, 1, v59
	v_lshlrev_b32_e32 v7, 30, v59
	v_cmp_eq_u32_e32 vcc, 0, v2
	v_and_b32_e32 v8, 0x80000000, v7
	v_fma_f64 v[11:12], v[9:10], s[50:51], v[5:6]
	v_fma_f64 v[13:14], v[9:10], s[40:41], v[3:4]
	v_mul_f64 v[15:16], v[9:10], 0.5
	v_mul_f64 v[21:22], v[27:28], -v[9:10]
	v_fma_f64 v[11:12], v[9:10], v[11:12], s[52:53]
	v_fma_f64 v[13:14], v[9:10], v[13:14], s[42:43]
	v_add_f64 v[17:18], -v[15:16], 1.0
	v_fma_f64 v[11:12], v[9:10], v[11:12], s[54:55]
	v_fma_f64 v[13:14], v[9:10], v[13:14], s[44:45]
	v_add_f64 v[23:24], -v[17:18], 1.0
	v_fma_f64 v[11:12], v[9:10], v[11:12], s[56:57]
	v_fma_f64 v[13:14], v[9:10], v[13:14], s[46:47]
	v_add_f64 v[15:16], v[23:24], -v[15:16]
	v_fma_f64 v[11:12], v[21:22], v[11:12], v[19:20]
	v_mul_f64 v[19:20], v[9:10], v[9:10]
	v_fma_f64 v[13:14], v[9:10], v[13:14], s[48:49]
	v_fma_f64 v[15:16], v[27:28], -v[29:30], v[15:16]
	v_fma_f64 v[9:10], v[9:10], v[11:12], -v[29:30]
	v_fma_f64 v[11:12], v[19:20], v[13:14], v[15:16]
	v_fma_f64 v[9:10], v[21:22], s[58:59], v[9:10]
	v_add_f64 v[11:12], v[17:18], v[11:12]
	v_add_f64 v[9:10], v[27:28], -v[9:10]
	v_xor_b32_e32 v7, 0x80000000, v10
	v_cndmask_b32_e32 v2, v9, v11, vcc
	v_cndmask_b32_e32 v9, v7, v12, vcc
	v_mov_b32_e32 v11, s11
	v_cndmask_b32_e64 v7, 0, v2, s[0:1]
	v_xor_b32_e32 v2, v9, v8
	v_add_co_u32_e32 v9, vcc, s10, v37
	v_cndmask_b32_e64 v8, v55, v2, s[0:1]
	v_addc_co_u32_e32 v10, vcc, v38, v11, vcc
	global_store_dwordx2 v[9:10], v[7:8], off
	s_branch .LBB213_24
.LBB213_57:
	s_endpgm
	.section	.rodata,"a",@progbits
	.p2align	6, 0x0
	.amdhsa_kernel _ZN2at6native12_GLOBAL__N_125multi_tensor_apply_kernelINS1_18TensorListMetadataILi2EEENS1_14UnaryOpFunctorIdLi2ELi1ELi1EEEJNS0_3CosIdEEEEEvT_T0_DpT1_
		.amdhsa_group_segment_fixed_size 0
		.amdhsa_private_segment_fixed_size 0
		.amdhsa_kernarg_size 3408
		.amdhsa_user_sgpr_count 6
		.amdhsa_user_sgpr_private_segment_buffer 1
		.amdhsa_user_sgpr_dispatch_ptr 0
		.amdhsa_user_sgpr_queue_ptr 0
		.amdhsa_user_sgpr_kernarg_segment_ptr 1
		.amdhsa_user_sgpr_dispatch_id 0
		.amdhsa_user_sgpr_flat_scratch_init 0
		.amdhsa_user_sgpr_private_segment_size 0
		.amdhsa_uses_dynamic_stack 0
		.amdhsa_system_sgpr_private_segment_wavefront_offset 0
		.amdhsa_system_sgpr_workgroup_id_x 1
		.amdhsa_system_sgpr_workgroup_id_y 0
		.amdhsa_system_sgpr_workgroup_id_z 0
		.amdhsa_system_sgpr_workgroup_info 0
		.amdhsa_system_vgpr_workitem_id 0
		.amdhsa_next_free_vgpr 80
		.amdhsa_next_free_sgpr 69
		.amdhsa_reserve_vcc 1
		.amdhsa_reserve_flat_scratch 0
		.amdhsa_float_round_mode_32 0
		.amdhsa_float_round_mode_16_64 0
		.amdhsa_float_denorm_mode_32 3
		.amdhsa_float_denorm_mode_16_64 3
		.amdhsa_dx10_clamp 1
		.amdhsa_ieee_mode 1
		.amdhsa_fp16_overflow 0
		.amdhsa_exception_fp_ieee_invalid_op 0
		.amdhsa_exception_fp_denorm_src 0
		.amdhsa_exception_fp_ieee_div_zero 0
		.amdhsa_exception_fp_ieee_overflow 0
		.amdhsa_exception_fp_ieee_underflow 0
		.amdhsa_exception_fp_ieee_inexact 0
		.amdhsa_exception_int_div_zero 0
	.end_amdhsa_kernel
	.section	.text._ZN2at6native12_GLOBAL__N_125multi_tensor_apply_kernelINS1_18TensorListMetadataILi2EEENS1_14UnaryOpFunctorIdLi2ELi1ELi1EEEJNS0_3CosIdEEEEEvT_T0_DpT1_,"axG",@progbits,_ZN2at6native12_GLOBAL__N_125multi_tensor_apply_kernelINS1_18TensorListMetadataILi2EEENS1_14UnaryOpFunctorIdLi2ELi1ELi1EEEJNS0_3CosIdEEEEEvT_T0_DpT1_,comdat
.Lfunc_end213:
	.size	_ZN2at6native12_GLOBAL__N_125multi_tensor_apply_kernelINS1_18TensorListMetadataILi2EEENS1_14UnaryOpFunctorIdLi2ELi1ELi1EEEJNS0_3CosIdEEEEEvT_T0_DpT1_, .Lfunc_end213-_ZN2at6native12_GLOBAL__N_125multi_tensor_apply_kernelINS1_18TensorListMetadataILi2EEENS1_14UnaryOpFunctorIdLi2ELi1ELi1EEEJNS0_3CosIdEEEEEvT_T0_DpT1_
                                        ; -- End function
	.set _ZN2at6native12_GLOBAL__N_125multi_tensor_apply_kernelINS1_18TensorListMetadataILi2EEENS1_14UnaryOpFunctorIdLi2ELi1ELi1EEEJNS0_3CosIdEEEEEvT_T0_DpT1_.num_vgpr, 80
	.set _ZN2at6native12_GLOBAL__N_125multi_tensor_apply_kernelINS1_18TensorListMetadataILi2EEENS1_14UnaryOpFunctorIdLi2ELi1ELi1EEEJNS0_3CosIdEEEEEvT_T0_DpT1_.num_agpr, 0
	.set _ZN2at6native12_GLOBAL__N_125multi_tensor_apply_kernelINS1_18TensorListMetadataILi2EEENS1_14UnaryOpFunctorIdLi2ELi1ELi1EEEJNS0_3CosIdEEEEEvT_T0_DpT1_.numbered_sgpr, 69
	.set _ZN2at6native12_GLOBAL__N_125multi_tensor_apply_kernelINS1_18TensorListMetadataILi2EEENS1_14UnaryOpFunctorIdLi2ELi1ELi1EEEJNS0_3CosIdEEEEEvT_T0_DpT1_.num_named_barrier, 0
	.set _ZN2at6native12_GLOBAL__N_125multi_tensor_apply_kernelINS1_18TensorListMetadataILi2EEENS1_14UnaryOpFunctorIdLi2ELi1ELi1EEEJNS0_3CosIdEEEEEvT_T0_DpT1_.private_seg_size, 0
	.set _ZN2at6native12_GLOBAL__N_125multi_tensor_apply_kernelINS1_18TensorListMetadataILi2EEENS1_14UnaryOpFunctorIdLi2ELi1ELi1EEEJNS0_3CosIdEEEEEvT_T0_DpT1_.uses_vcc, 1
	.set _ZN2at6native12_GLOBAL__N_125multi_tensor_apply_kernelINS1_18TensorListMetadataILi2EEENS1_14UnaryOpFunctorIdLi2ELi1ELi1EEEJNS0_3CosIdEEEEEvT_T0_DpT1_.uses_flat_scratch, 0
	.set _ZN2at6native12_GLOBAL__N_125multi_tensor_apply_kernelINS1_18TensorListMetadataILi2EEENS1_14UnaryOpFunctorIdLi2ELi1ELi1EEEJNS0_3CosIdEEEEEvT_T0_DpT1_.has_dyn_sized_stack, 0
	.set _ZN2at6native12_GLOBAL__N_125multi_tensor_apply_kernelINS1_18TensorListMetadataILi2EEENS1_14UnaryOpFunctorIdLi2ELi1ELi1EEEJNS0_3CosIdEEEEEvT_T0_DpT1_.has_recursion, 0
	.set _ZN2at6native12_GLOBAL__N_125multi_tensor_apply_kernelINS1_18TensorListMetadataILi2EEENS1_14UnaryOpFunctorIdLi2ELi1ELi1EEEJNS0_3CosIdEEEEEvT_T0_DpT1_.has_indirect_call, 0
	.section	.AMDGPU.csdata,"",@progbits
; Kernel info:
; codeLenInByte = 9856
; TotalNumSgprs: 73
; NumVgprs: 80
; ScratchSize: 0
; MemoryBound: 1
; FloatMode: 240
; IeeeMode: 1
; LDSByteSize: 0 bytes/workgroup (compile time only)
; SGPRBlocks: 9
; VGPRBlocks: 19
; NumSGPRsForWavesPerEU: 73
; NumVGPRsForWavesPerEU: 80
; Occupancy: 3
; WaveLimiterHint : 0
; COMPUTE_PGM_RSRC2:SCRATCH_EN: 0
; COMPUTE_PGM_RSRC2:USER_SGPR: 6
; COMPUTE_PGM_RSRC2:TRAP_HANDLER: 0
; COMPUTE_PGM_RSRC2:TGID_X_EN: 1
; COMPUTE_PGM_RSRC2:TGID_Y_EN: 0
; COMPUTE_PGM_RSRC2:TGID_Z_EN: 0
; COMPUTE_PGM_RSRC2:TIDIG_COMP_CNT: 0
	.section	.text._ZN2at6native12_GLOBAL__N_125multi_tensor_apply_kernelINS1_18TensorListMetadataILi2EEENS1_14UnaryOpFunctorIfLi2ELi1ELi1EEEJNS0_3CosIfEEEEEvT_T0_DpT1_,"axG",@progbits,_ZN2at6native12_GLOBAL__N_125multi_tensor_apply_kernelINS1_18TensorListMetadataILi2EEENS1_14UnaryOpFunctorIfLi2ELi1ELi1EEEJNS0_3CosIfEEEEEvT_T0_DpT1_,comdat
	.globl	_ZN2at6native12_GLOBAL__N_125multi_tensor_apply_kernelINS1_18TensorListMetadataILi2EEENS1_14UnaryOpFunctorIfLi2ELi1ELi1EEEJNS0_3CosIfEEEEEvT_T0_DpT1_ ; -- Begin function _ZN2at6native12_GLOBAL__N_125multi_tensor_apply_kernelINS1_18TensorListMetadataILi2EEENS1_14UnaryOpFunctorIfLi2ELi1ELi1EEEJNS0_3CosIfEEEEEvT_T0_DpT1_
	.p2align	8
	.type	_ZN2at6native12_GLOBAL__N_125multi_tensor_apply_kernelINS1_18TensorListMetadataILi2EEENS1_14UnaryOpFunctorIfLi2ELi1ELi1EEEJNS0_3CosIfEEEEEvT_T0_DpT1_,@function
_ZN2at6native12_GLOBAL__N_125multi_tensor_apply_kernelINS1_18TensorListMetadataILi2EEENS1_14UnaryOpFunctorIfLi2ELi1ELi1EEEJNS0_3CosIfEEEEEvT_T0_DpT1_: ; @_ZN2at6native12_GLOBAL__N_125multi_tensor_apply_kernelINS1_18TensorListMetadataILi2EEENS1_14UnaryOpFunctorIfLi2ELi1ELi1EEEJNS0_3CosIfEEEEEvT_T0_DpT1_
; %bb.0:
	v_mov_b32_e32 v1, s6
	global_load_ubyte v1, v1, s[4:5] offset:1536
	s_add_u32 s0, s4, s6
	s_mul_hi_u32 s2, s6, 3
	s_mul_i32 s6, s6, 3
	s_addc_u32 s7, s5, 0
	s_add_u32 s6, s0, s6
	s_addc_u32 s7, s7, s2
	s_load_dword s6, s[6:7], 0x740
	s_mov_b32 s1, 0
	s_mov_b32 s3, s1
	s_waitcnt lgkmcnt(0)
	s_ashr_i32 s7, s6, 31
	s_lshl_b64 s[14:15], s[6:7], 18
	s_lshl_b64 s[6:7], s[6:7], 16
	s_waitcnt vmcnt(0)
	v_readfirstlane_b32 s0, v1
	s_lshl_b32 s0, s0, 3
	s_load_dwordx2 s[16:17], s[4:5], s0 offset:0x400
	s_load_dwordx2 s[10:11], s[4:5], s0 offset:0x0
	s_load_dwordx2 s[8:9], s[4:5], s0 offset:0x200
	s_waitcnt lgkmcnt(0)
	s_add_u32 s0, s10, s14
	s_and_b32 s2, s8, 15
	s_and_b32 s0, s0, 15
	s_sub_u32 s12, s16, s6
	s_subb_u32 s13, s17, s7
	s_and_b32 s6, s16, 3
	s_mov_b32 s7, s1
	s_or_b64 s[2:3], s[2:3], s[6:7]
	s_or_b64 s[0:1], s[2:3], s[0:1]
	s_cmp_eq_u64 s[0:1], 0
	s_mov_b64 s[0:1], -1
	s_cbranch_scc0 .LBB214_21
; %bb.1:
	v_mov_b32_e32 v1, 0x10000
	v_mov_b32_e32 v2, 0
	v_cmp_lt_i64_e32 vcc, s[12:13], v[1:2]
	v_mov_b32_e32 v6, 0
	s_and_b64 s[0:1], vcc, exec
	s_cselect_b32 s17, s13, 0
	s_cselect_b32 s16, s12, 0x10000
	v_lshlrev_b32_e32 v5, 2, v0
	v_cmp_gt_i64_e32 vcc, s[16:17], v[5:6]
	s_and_saveexec_b64 s[18:19], vcc
	s_cbranch_execz .LBB214_20
; %bb.2:
	s_load_dword s0, s[4:5], 0xc5c
	v_mov_b32_e32 v1, v6
	v_lshlrev_b32_e32 v2, 4, v0
	v_mov_b32_e32 v3, s15
	v_add_co_u32_e32 v9, vcc, s14, v2
	s_waitcnt lgkmcnt(0)
	s_and_b32 s24, s0, 0xffff
	v_mov_b32_e32 v8, v1
	v_addc_co_u32_e32 v10, vcc, 0, v3, vcc
	s_lshl_b32 s25, s24, 4
	s_mov_b64 s[20:21], 0
	v_mov_b32_e32 v11, s11
	s_brev_b32 s26, 18
	s_mov_b32 s27, 0xfe5163ab
	s_mov_b32 s28, 0x3c439041
	;; [unrolled: 1-line block ×10, first 2 shown]
	v_mov_b32_e32 v12, 0xbe2aaa9d
	v_mov_b32_e32 v13, 0x3d2aabf7
	v_mov_b32_e32 v14, 0xbf000004
	s_movk_i32 s38, 0x1f8
	v_not_b32_e32 v15, 63
	v_not_b32_e32 v16, 31
	v_mov_b32_e32 v17, 0x7fc00000
	v_mov_b32_e32 v7, v0
	s_branch .LBB214_4
.LBB214_3:                              ;   in Loop: Header=BB214_4 Depth=1
	s_or_b64 exec, exec, s[0:1]
	v_mul_f32_e32 v25, v23, v23
	v_mov_b32_e32 v26, 0x3c0881c4
	v_fmac_f32_e32 v26, 0xb94c1982, v25
	v_fma_f32 v26, v25, v26, v12
	v_mul_f32_e32 v26, v25, v26
	v_fmac_f32_e32 v23, v23, v26
	v_mov_b32_e32 v26, 0xbab64f3b
	v_fmac_f32_e32 v26, 0x37d75334, v25
	v_fma_f32 v26, v25, v26, v13
	v_fma_f32 v26, v25, v26, v14
	v_fma_f32 v25, v25, v26, 1.0
	v_and_b32_e32 v26, 1, v22
	v_cmp_eq_u32_e32 vcc, 0, v26
	v_lshlrev_b32_e32 v22, 30, v22
	v_cndmask_b32_e64 v23, -v23, v25, vcc
	v_and_b32_e32 v22, 0x80000000, v22
	v_xor_b32_e32 v22, v22, v23
	v_cmp_class_f32_e64 vcc, v3, s38
	v_cndmask_b32_e32 v3, v17, v22, vcc
	v_mul_f32_e32 v22, v21, v21
	v_mov_b32_e32 v23, 0x3c0881c4
	v_fmac_f32_e32 v23, 0xb94c1982, v22
	v_fma_f32 v23, v22, v23, v12
	v_mul_f32_e32 v23, v22, v23
	v_fmac_f32_e32 v21, v21, v23
	v_mov_b32_e32 v23, 0xbab64f3b
	v_fmac_f32_e32 v23, 0x37d75334, v22
	v_fma_f32 v23, v22, v23, v13
	v_fma_f32 v23, v22, v23, v14
	v_fma_f32 v22, v22, v23, 1.0
	v_and_b32_e32 v23, 1, v20
	v_cmp_eq_u32_e32 vcc, 0, v23
	v_lshlrev_b32_e32 v20, 30, v20
	v_cndmask_b32_e64 v21, -v21, v22, vcc
	v_and_b32_e32 v20, 0x80000000, v20
	v_xor_b32_e32 v20, v20, v21
	v_cmp_class_f32_e64 vcc, v2, s38
	v_cndmask_b32_e32 v2, v17, v20, vcc
	;; [unrolled: 19-line block ×4, first 2 shown]
	v_add_co_u32_e32 v7, vcc, s24, v7
	v_addc_co_u32_e32 v8, vcc, 0, v8, vcc
	v_mov_b32_e32 v5, s9
	v_lshlrev_b64 v[18:19], 2, v[7:8]
	v_add_co_u32_e32 v20, vcc, s8, v9
	v_addc_co_u32_e32 v21, vcc, v5, v10, vcc
	v_cmp_le_i64_e32 vcc, s[16:17], v[18:19]
	global_store_dwordx4 v[20:21], v[1:4], off
	s_or_b64 s[20:21], vcc, s[20:21]
	v_add_co_u32_e32 v9, vcc, s25, v9
	v_addc_co_u32_e32 v10, vcc, 0, v10, vcc
	s_andn2_b64 exec, exec, s[20:21]
	s_cbranch_execz .LBB214_20
.LBB214_4:                              ; =>This Inner Loop Header: Depth=1
	v_add_co_u32_e32 v1, vcc, s10, v9
	v_addc_co_u32_e32 v2, vcc, v11, v10, vcc
	global_load_dwordx4 v[1:4], v[1:2], off
                                        ; implicit-def: $vgpr18
                                        ; implicit-def: $vgpr19
	s_waitcnt vmcnt(0)
	v_cmp_nlt_f32_e64 s[0:1], |v1|, s26
	s_and_saveexec_b64 s[2:3], s[0:1]
	s_xor_b64 s[22:23], exec, s[2:3]
	s_cbranch_execz .LBB214_6
; %bb.5:                                ;   in Loop: Header=BB214_4 Depth=1
	v_and_b32_e32 v23, 0x7fffffff, v1
	v_and_b32_e32 v5, 0x7fffff, v23
	v_or_b32_e32 v25, 0x800000, v5
	v_mad_u64_u32 v[18:19], s[0:1], v25, s27, 0
	v_mov_b32_e32 v5, v19
	v_mad_u64_u32 v[19:20], s[0:1], v25, s28, v[5:6]
	v_mov_b32_e32 v5, v20
	v_mad_u64_u32 v[20:21], s[0:1], v25, s29, v[5:6]
	v_mov_b32_e32 v5, v21
	v_mad_u64_u32 v[21:22], s[0:1], v25, s30, v[5:6]
	v_lshrrev_b32_e32 v5, 23, v23
	v_add_u32_e32 v24, 0xffffff88, v5
	v_mov_b32_e32 v5, v22
	v_mad_u64_u32 v[22:23], s[0:1], v25, s31, v[5:6]
	v_cmp_lt_u32_e32 vcc, 63, v24
	v_cndmask_b32_e32 v5, 0, v15, vcc
	v_add_u32_e32 v26, v5, v24
	v_mov_b32_e32 v5, v23
	v_mad_u64_u32 v[23:24], s[0:1], v25, s33, v[5:6]
	v_cmp_lt_u32_e64 s[0:1], 31, v26
	v_cndmask_b32_e64 v5, 0, v16, s[0:1]
	v_add_u32_e32 v26, v5, v26
	v_mov_b32_e32 v5, v24
	v_mad_u64_u32 v[24:25], s[2:3], v25, s34, v[5:6]
	v_cmp_lt_u32_e64 s[2:3], 31, v26
	v_cndmask_b32_e64 v5, 0, v16, s[2:3]
	v_add_u32_e32 v5, v5, v26
	v_cndmask_b32_e32 v26, v23, v21, vcc
	v_cndmask_b32_e32 v24, v24, v22, vcc
	;; [unrolled: 1-line block ×4, first 2 shown]
	v_cndmask_b32_e64 v25, v24, v26, s[0:1]
	v_cndmask_b32_e64 v23, v23, v24, s[0:1]
	;; [unrolled: 1-line block ×3, first 2 shown]
	v_cndmask_b32_e32 v19, v21, v19, vcc
	v_cndmask_b32_e64 v23, v23, v25, s[2:3]
	v_cndmask_b32_e64 v25, v25, v24, s[2:3]
	v_sub_u32_e32 v26, 32, v5
	v_cndmask_b32_e64 v21, v22, v19, s[0:1]
	v_alignbit_b32 v27, v23, v25, v26
	v_cmp_eq_u32_e64 s[6:7], 0, v5
	v_cndmask_b32_e64 v22, v24, v21, s[2:3]
	v_cndmask_b32_e64 v5, v27, v23, s[6:7]
	v_alignbit_b32 v23, v25, v22, v26
	v_cndmask_b32_e32 v18, v20, v18, vcc
	v_cndmask_b32_e64 v23, v23, v25, s[6:7]
	v_bfe_u32 v27, v5, 29, 1
	v_cndmask_b32_e64 v18, v19, v18, s[0:1]
	v_alignbit_b32 v24, v5, v23, 30
	v_sub_u32_e32 v28, 0, v27
	v_cndmask_b32_e64 v18, v21, v18, s[2:3]
	v_xor_b32_e32 v24, v24, v28
	v_alignbit_b32 v19, v22, v18, v26
	v_cndmask_b32_e64 v19, v19, v22, s[6:7]
	v_ffbh_u32_e32 v21, v24
	v_alignbit_b32 v20, v23, v19, 30
	v_min_u32_e32 v21, 32, v21
	v_alignbit_b32 v18, v19, v18, 30
	v_xor_b32_e32 v20, v20, v28
	v_sub_u32_e32 v22, 31, v21
	v_xor_b32_e32 v18, v18, v28
	v_alignbit_b32 v23, v24, v20, v22
	v_alignbit_b32 v18, v20, v18, v22
	;; [unrolled: 1-line block ×3, first 2 shown]
	v_ffbh_u32_e32 v20, v19
	v_min_u32_e32 v20, 32, v20
	v_lshrrev_b32_e32 v25, 29, v5
	v_not_b32_e32 v22, v20
	v_alignbit_b32 v18, v19, v18, v22
	v_lshlrev_b32_e32 v19, 31, v25
	v_or_b32_e32 v22, 0x33000000, v19
	v_add_lshl_u32 v20, v20, v21, 23
	v_lshrrev_b32_e32 v18, 9, v18
	v_sub_u32_e32 v20, v22, v20
	v_or_b32_e32 v19, 0.5, v19
	v_lshlrev_b32_e32 v21, 23, v21
	v_or_b32_e32 v18, v20, v18
	v_lshrrev_b32_e32 v20, 9, v23
	v_sub_u32_e32 v19, v19, v21
	v_or_b32_e32 v19, v20, v19
	v_mul_f32_e32 v20, 0x3fc90fda, v19
	v_fma_f32 v21, v19, s35, -v20
	v_fmac_f32_e32 v21, 0x33a22168, v19
	v_fmac_f32_e32 v21, 0x3fc90fda, v18
	v_lshrrev_b32_e32 v5, 30, v5
	v_add_f32_e32 v19, v20, v21
	v_add_u32_e32 v18, v27, v5
.LBB214_6:                              ;   in Loop: Header=BB214_4 Depth=1
	s_andn2_saveexec_b64 s[0:1], s[22:23]
; %bb.7:                                ;   in Loop: Header=BB214_4 Depth=1
	v_mul_f32_e64 v5, |v1|, s36
	v_rndne_f32_e32 v5, v5
	v_cvt_i32_f32_e32 v18, v5
	v_fma_f32 v19, v5, s37, |v1|
	v_fmac_f32_e32 v19, 0xb3a22168, v5
	v_fmac_f32_e32 v19, 0xa7c234c4, v5
; %bb.8:                                ;   in Loop: Header=BB214_4 Depth=1
	s_or_b64 exec, exec, s[0:1]
	v_cmp_nlt_f32_e64 s[0:1], |v2|, s26
                                        ; implicit-def: $vgpr20
                                        ; implicit-def: $vgpr21
	s_and_saveexec_b64 s[2:3], s[0:1]
	s_xor_b64 s[22:23], exec, s[2:3]
	s_cbranch_execz .LBB214_10
; %bb.9:                                ;   in Loop: Header=BB214_4 Depth=1
	v_and_b32_e32 v25, 0x7fffffff, v2
	v_and_b32_e32 v5, 0x7fffff, v25
	v_or_b32_e32 v27, 0x800000, v5
	v_mad_u64_u32 v[20:21], s[0:1], v27, s27, 0
	v_mov_b32_e32 v5, v21
	v_mad_u64_u32 v[21:22], s[0:1], v27, s28, v[5:6]
	v_mov_b32_e32 v5, v22
	;; [unrolled: 2-line block ×3, first 2 shown]
	v_mad_u64_u32 v[23:24], s[0:1], v27, s30, v[5:6]
	v_lshrrev_b32_e32 v5, 23, v25
	v_add_u32_e32 v26, 0xffffff88, v5
	v_mov_b32_e32 v5, v24
	v_mad_u64_u32 v[24:25], s[0:1], v27, s31, v[5:6]
	v_cmp_lt_u32_e32 vcc, 63, v26
	v_cndmask_b32_e32 v5, 0, v15, vcc
	v_add_u32_e32 v28, v5, v26
	v_mov_b32_e32 v5, v25
	v_mad_u64_u32 v[25:26], s[0:1], v27, s33, v[5:6]
	v_cmp_lt_u32_e64 s[0:1], 31, v28
	v_cndmask_b32_e64 v5, 0, v16, s[0:1]
	v_add_u32_e32 v28, v5, v28
	v_mov_b32_e32 v5, v26
	v_mad_u64_u32 v[26:27], s[2:3], v27, s34, v[5:6]
	v_cmp_lt_u32_e64 s[2:3], 31, v28
	v_cndmask_b32_e64 v5, 0, v16, s[2:3]
	v_add_u32_e32 v5, v5, v28
	v_cndmask_b32_e32 v28, v25, v23, vcc
	v_cndmask_b32_e32 v26, v26, v24, vcc
	;; [unrolled: 1-line block ×4, first 2 shown]
	v_cndmask_b32_e64 v27, v26, v28, s[0:1]
	v_cndmask_b32_e64 v25, v25, v26, s[0:1]
	v_cndmask_b32_e64 v26, v28, v24, s[0:1]
	v_cndmask_b32_e32 v21, v23, v21, vcc
	v_cndmask_b32_e64 v25, v25, v27, s[2:3]
	v_cndmask_b32_e64 v27, v27, v26, s[2:3]
	v_sub_u32_e32 v28, 32, v5
	v_cndmask_b32_e64 v23, v24, v21, s[0:1]
	v_alignbit_b32 v29, v25, v27, v28
	v_cmp_eq_u32_e64 s[6:7], 0, v5
	v_cndmask_b32_e64 v24, v26, v23, s[2:3]
	v_cndmask_b32_e64 v5, v29, v25, s[6:7]
	v_alignbit_b32 v25, v27, v24, v28
	v_cndmask_b32_e32 v20, v22, v20, vcc
	v_cndmask_b32_e64 v25, v25, v27, s[6:7]
	v_bfe_u32 v29, v5, 29, 1
	v_cndmask_b32_e64 v20, v21, v20, s[0:1]
	v_alignbit_b32 v26, v5, v25, 30
	v_sub_u32_e32 v30, 0, v29
	v_cndmask_b32_e64 v20, v23, v20, s[2:3]
	v_xor_b32_e32 v26, v26, v30
	v_alignbit_b32 v21, v24, v20, v28
	v_cndmask_b32_e64 v21, v21, v24, s[6:7]
	v_ffbh_u32_e32 v23, v26
	v_alignbit_b32 v22, v25, v21, 30
	v_min_u32_e32 v23, 32, v23
	v_alignbit_b32 v20, v21, v20, 30
	v_xor_b32_e32 v22, v22, v30
	v_sub_u32_e32 v24, 31, v23
	v_xor_b32_e32 v20, v20, v30
	v_alignbit_b32 v25, v26, v22, v24
	v_alignbit_b32 v20, v22, v20, v24
	;; [unrolled: 1-line block ×3, first 2 shown]
	v_ffbh_u32_e32 v22, v21
	v_min_u32_e32 v22, 32, v22
	v_lshrrev_b32_e32 v27, 29, v5
	v_not_b32_e32 v24, v22
	v_alignbit_b32 v20, v21, v20, v24
	v_lshlrev_b32_e32 v21, 31, v27
	v_or_b32_e32 v24, 0x33000000, v21
	v_add_lshl_u32 v22, v22, v23, 23
	v_lshrrev_b32_e32 v20, 9, v20
	v_sub_u32_e32 v22, v24, v22
	v_or_b32_e32 v21, 0.5, v21
	v_lshlrev_b32_e32 v23, 23, v23
	v_or_b32_e32 v20, v22, v20
	v_lshrrev_b32_e32 v22, 9, v25
	v_sub_u32_e32 v21, v21, v23
	v_or_b32_e32 v21, v22, v21
	v_mul_f32_e32 v22, 0x3fc90fda, v21
	v_fma_f32 v23, v21, s35, -v22
	v_fmac_f32_e32 v23, 0x33a22168, v21
	v_fmac_f32_e32 v23, 0x3fc90fda, v20
	v_lshrrev_b32_e32 v5, 30, v5
	v_add_f32_e32 v21, v22, v23
	v_add_u32_e32 v20, v29, v5
.LBB214_10:                             ;   in Loop: Header=BB214_4 Depth=1
	s_andn2_saveexec_b64 s[0:1], s[22:23]
; %bb.11:                               ;   in Loop: Header=BB214_4 Depth=1
	v_mul_f32_e64 v5, |v2|, s36
	v_rndne_f32_e32 v5, v5
	v_cvt_i32_f32_e32 v20, v5
	v_fma_f32 v21, v5, s37, |v2|
	v_fmac_f32_e32 v21, 0xb3a22168, v5
	v_fmac_f32_e32 v21, 0xa7c234c4, v5
; %bb.12:                               ;   in Loop: Header=BB214_4 Depth=1
	s_or_b64 exec, exec, s[0:1]
	v_cmp_nlt_f32_e64 s[0:1], |v3|, s26
                                        ; implicit-def: $vgpr22
                                        ; implicit-def: $vgpr23
	s_and_saveexec_b64 s[2:3], s[0:1]
	s_xor_b64 s[22:23], exec, s[2:3]
	s_cbranch_execz .LBB214_14
; %bb.13:                               ;   in Loop: Header=BB214_4 Depth=1
	v_and_b32_e32 v27, 0x7fffffff, v3
	v_and_b32_e32 v5, 0x7fffff, v27
	v_or_b32_e32 v29, 0x800000, v5
	v_mad_u64_u32 v[22:23], s[0:1], v29, s27, 0
	v_mov_b32_e32 v5, v23
	v_mad_u64_u32 v[23:24], s[0:1], v29, s28, v[5:6]
	v_mov_b32_e32 v5, v24
	v_mad_u64_u32 v[24:25], s[0:1], v29, s29, v[5:6]
	v_mov_b32_e32 v5, v25
	v_mad_u64_u32 v[25:26], s[0:1], v29, s30, v[5:6]
	v_lshrrev_b32_e32 v5, 23, v27
	v_add_u32_e32 v28, 0xffffff88, v5
	v_mov_b32_e32 v5, v26
	v_mad_u64_u32 v[26:27], s[0:1], v29, s31, v[5:6]
	v_cmp_lt_u32_e32 vcc, 63, v28
	v_cndmask_b32_e32 v5, 0, v15, vcc
	v_add_u32_e32 v30, v5, v28
	v_mov_b32_e32 v5, v27
	v_mad_u64_u32 v[27:28], s[0:1], v29, s33, v[5:6]
	v_cmp_lt_u32_e64 s[0:1], 31, v30
	v_cndmask_b32_e64 v5, 0, v16, s[0:1]
	v_add_u32_e32 v30, v5, v30
	v_mov_b32_e32 v5, v28
	v_mad_u64_u32 v[28:29], s[2:3], v29, s34, v[5:6]
	v_cmp_lt_u32_e64 s[2:3], 31, v30
	v_cndmask_b32_e64 v5, 0, v16, s[2:3]
	v_add_u32_e32 v5, v5, v30
	v_cndmask_b32_e32 v30, v27, v25, vcc
	v_cndmask_b32_e32 v28, v28, v26, vcc
	;; [unrolled: 1-line block ×4, first 2 shown]
	v_cndmask_b32_e64 v29, v28, v30, s[0:1]
	v_cndmask_b32_e64 v27, v27, v28, s[0:1]
	;; [unrolled: 1-line block ×3, first 2 shown]
	v_cndmask_b32_e32 v23, v25, v23, vcc
	v_cndmask_b32_e64 v27, v27, v29, s[2:3]
	v_cndmask_b32_e64 v29, v29, v28, s[2:3]
	v_sub_u32_e32 v30, 32, v5
	v_cndmask_b32_e64 v25, v26, v23, s[0:1]
	v_alignbit_b32 v31, v27, v29, v30
	v_cmp_eq_u32_e64 s[6:7], 0, v5
	v_cndmask_b32_e64 v26, v28, v25, s[2:3]
	v_cndmask_b32_e64 v5, v31, v27, s[6:7]
	v_alignbit_b32 v27, v29, v26, v30
	v_cndmask_b32_e32 v22, v24, v22, vcc
	v_cndmask_b32_e64 v27, v27, v29, s[6:7]
	v_bfe_u32 v31, v5, 29, 1
	v_cndmask_b32_e64 v22, v23, v22, s[0:1]
	v_alignbit_b32 v28, v5, v27, 30
	v_sub_u32_e32 v32, 0, v31
	v_cndmask_b32_e64 v22, v25, v22, s[2:3]
	v_xor_b32_e32 v28, v28, v32
	v_alignbit_b32 v23, v26, v22, v30
	v_cndmask_b32_e64 v23, v23, v26, s[6:7]
	v_ffbh_u32_e32 v25, v28
	v_alignbit_b32 v24, v27, v23, 30
	v_min_u32_e32 v25, 32, v25
	v_alignbit_b32 v22, v23, v22, 30
	v_xor_b32_e32 v24, v24, v32
	v_sub_u32_e32 v26, 31, v25
	v_xor_b32_e32 v22, v22, v32
	v_alignbit_b32 v27, v28, v24, v26
	v_alignbit_b32 v22, v24, v22, v26
	;; [unrolled: 1-line block ×3, first 2 shown]
	v_ffbh_u32_e32 v24, v23
	v_min_u32_e32 v24, 32, v24
	v_lshrrev_b32_e32 v29, 29, v5
	v_not_b32_e32 v26, v24
	v_alignbit_b32 v22, v23, v22, v26
	v_lshlrev_b32_e32 v23, 31, v29
	v_or_b32_e32 v26, 0x33000000, v23
	v_add_lshl_u32 v24, v24, v25, 23
	v_lshrrev_b32_e32 v22, 9, v22
	v_sub_u32_e32 v24, v26, v24
	v_or_b32_e32 v23, 0.5, v23
	v_lshlrev_b32_e32 v25, 23, v25
	v_or_b32_e32 v22, v24, v22
	v_lshrrev_b32_e32 v24, 9, v27
	v_sub_u32_e32 v23, v23, v25
	v_or_b32_e32 v23, v24, v23
	v_mul_f32_e32 v24, 0x3fc90fda, v23
	v_fma_f32 v25, v23, s35, -v24
	v_fmac_f32_e32 v25, 0x33a22168, v23
	v_fmac_f32_e32 v25, 0x3fc90fda, v22
	v_lshrrev_b32_e32 v5, 30, v5
	v_add_f32_e32 v23, v24, v25
	v_add_u32_e32 v22, v31, v5
.LBB214_14:                             ;   in Loop: Header=BB214_4 Depth=1
	s_andn2_saveexec_b64 s[0:1], s[22:23]
; %bb.15:                               ;   in Loop: Header=BB214_4 Depth=1
	v_mul_f32_e64 v5, |v3|, s36
	v_rndne_f32_e32 v5, v5
	v_cvt_i32_f32_e32 v22, v5
	v_fma_f32 v23, v5, s37, |v3|
	v_fmac_f32_e32 v23, 0xb3a22168, v5
	v_fmac_f32_e32 v23, 0xa7c234c4, v5
; %bb.16:                               ;   in Loop: Header=BB214_4 Depth=1
	s_or_b64 exec, exec, s[0:1]
	v_cmp_nlt_f32_e64 s[0:1], |v4|, s26
                                        ; implicit-def: $vgpr5
                                        ; implicit-def: $vgpr24
	s_and_saveexec_b64 s[2:3], s[0:1]
	s_xor_b64 s[22:23], exec, s[2:3]
	s_cbranch_execz .LBB214_18
; %bb.17:                               ;   in Loop: Header=BB214_4 Depth=1
	v_and_b32_e32 v29, 0x7fffffff, v4
	v_and_b32_e32 v5, 0x7fffff, v29
	v_or_b32_e32 v31, 0x800000, v5
	v_mad_u64_u32 v[24:25], s[0:1], v31, s27, 0
	v_mov_b32_e32 v5, v25
	v_mad_u64_u32 v[25:26], s[0:1], v31, s28, v[5:6]
	v_mov_b32_e32 v5, v26
	v_mad_u64_u32 v[26:27], s[0:1], v31, s29, v[5:6]
	v_mov_b32_e32 v5, v27
	v_mad_u64_u32 v[27:28], s[0:1], v31, s30, v[5:6]
	v_lshrrev_b32_e32 v5, 23, v29
	v_add_u32_e32 v30, 0xffffff88, v5
	v_mov_b32_e32 v5, v28
	v_mad_u64_u32 v[28:29], s[0:1], v31, s31, v[5:6]
	v_cmp_lt_u32_e32 vcc, 63, v30
	v_cndmask_b32_e32 v5, 0, v15, vcc
	v_add_u32_e32 v32, v5, v30
	v_mov_b32_e32 v5, v29
	v_mad_u64_u32 v[29:30], s[0:1], v31, s33, v[5:6]
	v_cmp_lt_u32_e64 s[0:1], 31, v32
	v_cndmask_b32_e64 v5, 0, v16, s[0:1]
	v_add_u32_e32 v32, v5, v32
	v_mov_b32_e32 v5, v30
	v_mad_u64_u32 v[30:31], s[2:3], v31, s34, v[5:6]
	v_cmp_lt_u32_e64 s[2:3], 31, v32
	v_cndmask_b32_e64 v5, 0, v16, s[2:3]
	v_add_u32_e32 v5, v5, v32
	v_cndmask_b32_e32 v32, v29, v27, vcc
	v_cndmask_b32_e32 v30, v30, v28, vcc
	;; [unrolled: 1-line block ×4, first 2 shown]
	v_cndmask_b32_e64 v31, v30, v32, s[0:1]
	v_cndmask_b32_e64 v29, v29, v30, s[0:1]
	;; [unrolled: 1-line block ×3, first 2 shown]
	v_cndmask_b32_e32 v25, v27, v25, vcc
	v_cndmask_b32_e64 v29, v29, v31, s[2:3]
	v_cndmask_b32_e64 v31, v31, v30, s[2:3]
	v_sub_u32_e32 v32, 32, v5
	v_cndmask_b32_e64 v27, v28, v25, s[0:1]
	v_alignbit_b32 v33, v29, v31, v32
	v_cmp_eq_u32_e64 s[6:7], 0, v5
	v_cndmask_b32_e64 v28, v30, v27, s[2:3]
	v_cndmask_b32_e64 v5, v33, v29, s[6:7]
	v_alignbit_b32 v29, v31, v28, v32
	v_cndmask_b32_e32 v24, v26, v24, vcc
	v_cndmask_b32_e64 v29, v29, v31, s[6:7]
	v_bfe_u32 v33, v5, 29, 1
	v_cndmask_b32_e64 v24, v25, v24, s[0:1]
	v_alignbit_b32 v30, v5, v29, 30
	v_sub_u32_e32 v34, 0, v33
	v_cndmask_b32_e64 v24, v27, v24, s[2:3]
	v_xor_b32_e32 v30, v30, v34
	v_alignbit_b32 v25, v28, v24, v32
	v_cndmask_b32_e64 v25, v25, v28, s[6:7]
	v_ffbh_u32_e32 v27, v30
	v_alignbit_b32 v26, v29, v25, 30
	v_min_u32_e32 v27, 32, v27
	v_alignbit_b32 v24, v25, v24, 30
	v_xor_b32_e32 v26, v26, v34
	v_sub_u32_e32 v28, 31, v27
	v_xor_b32_e32 v24, v24, v34
	v_alignbit_b32 v29, v30, v26, v28
	v_alignbit_b32 v24, v26, v24, v28
	;; [unrolled: 1-line block ×3, first 2 shown]
	v_ffbh_u32_e32 v26, v25
	v_min_u32_e32 v26, 32, v26
	v_lshrrev_b32_e32 v31, 29, v5
	v_not_b32_e32 v28, v26
	v_alignbit_b32 v24, v25, v24, v28
	v_lshlrev_b32_e32 v25, 31, v31
	v_or_b32_e32 v28, 0x33000000, v25
	v_add_lshl_u32 v26, v26, v27, 23
	v_lshrrev_b32_e32 v24, 9, v24
	v_sub_u32_e32 v26, v28, v26
	v_or_b32_e32 v25, 0.5, v25
	v_lshlrev_b32_e32 v27, 23, v27
	v_or_b32_e32 v24, v26, v24
	v_lshrrev_b32_e32 v26, 9, v29
	v_sub_u32_e32 v25, v25, v27
	v_or_b32_e32 v25, v26, v25
	v_mul_f32_e32 v26, 0x3fc90fda, v25
	v_fma_f32 v27, v25, s35, -v26
	v_fmac_f32_e32 v27, 0x33a22168, v25
	v_fmac_f32_e32 v27, 0x3fc90fda, v24
	v_lshrrev_b32_e32 v5, 30, v5
	v_add_f32_e32 v24, v26, v27
	v_add_u32_e32 v5, v33, v5
.LBB214_18:                             ;   in Loop: Header=BB214_4 Depth=1
	s_andn2_saveexec_b64 s[0:1], s[22:23]
	s_cbranch_execz .LBB214_3
; %bb.19:                               ;   in Loop: Header=BB214_4 Depth=1
	v_mul_f32_e64 v5, |v4|, s36
	v_rndne_f32_e32 v25, v5
	v_cvt_i32_f32_e32 v5, v25
	v_fma_f32 v24, v25, s37, |v4|
	v_fmac_f32_e32 v24, 0xb3a22168, v25
	v_fmac_f32_e32 v24, 0xa7c234c4, v25
	s_branch .LBB214_3
.LBB214_20:
	s_or_b64 exec, exec, s[18:19]
	s_mov_b64 s[0:1], 0
.LBB214_21:
	s_andn2_b64 vcc, exec, s[0:1]
	s_cbranch_vccnz .LBB214_57
; %bb.22:
	v_cmp_lt_i64_e64 s[0:1], s[12:13], 1
	s_and_b64 vcc, exec, s[0:1]
	s_cbranch_vccnz .LBB214_57
; %bb.23:
	v_mov_b32_e32 v3, 0x10000
	s_load_dword s2, s[4:5], 0xc5c
	v_mov_b32_e32 v4, 0
	v_cmp_lt_i64_e32 vcc, s[12:13], v[3:4]
	v_mov_b32_e32 v2, 0
	s_and_b64 s[0:1], vcc, exec
	v_cmp_lt_u64_e32 vcc, s[12:13], v[3:4]
	s_cselect_b32 s17, s13, 0
	s_cselect_b32 s16, s12, 0x10000
	s_waitcnt lgkmcnt(0)
	s_and_b32 s2, s2, 0xffff
	v_lshlrev_b32_e32 v1, 2, v0
	s_and_b64 s[0:1], vcc, exec
	v_mov_b32_e32 v4, s11
	v_add_co_u32_e32 v3, vcc, s10, v1
	v_mad_u64_u32 v[9:10], s[0:1], s2, 12, v[1:2]
	v_addc_co_u32_e32 v4, vcc, 0, v4, vcc
	v_mov_b32_e32 v6, s9
	v_add_co_u32_e32 v5, vcc, s8, v1
	v_addc_co_u32_e32 v6, vcc, 0, v6, vcc
	v_mov_b32_e32 v8, s11
	v_add_co_u32_e32 v7, vcc, s10, v9
	;; [unrolled: 3-line block ×3, first 2 shown]
	s_cselect_b32 s19, s13, 0
	s_cselect_b32 s18, s12, 0x10000
	v_addc_co_u32_e32 v10, vcc, v11, v10, vcc
	s_lshl_b32 s0, s2, 3
	v_add_co_u32_e32 v1, vcc, s0, v1
	v_addc_co_u32_e64 v14, s[0:1], 0, 0, vcc
	v_mov_b32_e32 v12, s11
	v_add_co_u32_e32 v11, vcc, s10, v1
	v_addc_co_u32_e32 v12, vcc, v12, v14, vcc
	v_mov_b32_e32 v15, s9
	v_add_co_u32_e32 v13, vcc, s8, v1
	v_addc_co_u32_e32 v14, vcc, v15, v14, vcc
	v_add_co_u32_e32 v15, vcc, s2, v0
	v_lshlrev_b32_e32 v1, 2, v15
	v_addc_co_u32_e64 v16, s[0:1], 0, 0, vcc
	v_mov_b32_e32 v18, s11
	v_add_co_u32_e32 v17, vcc, s10, v1
	v_addc_co_u32_e32 v18, vcc, 0, v18, vcc
	v_mov_b32_e32 v20, s9
	v_add_co_u32_e32 v19, vcc, s8, v1
	s_mul_i32 s4, s2, 3
	v_addc_co_u32_e32 v20, vcc, 0, v20, vcc
	s_lshl_b32 s3, s2, 1
	v_add_co_u32_e32 v21, vcc, s4, v0
	v_addc_co_u32_e64 v22, s[0:1], 0, 0, vcc
	v_add_co_u32_e32 v23, vcc, s3, v0
	s_lshl_b32 s24, s2, 2
	s_lshl_b32 s25, s2, 4
	s_mov_b64 s[20:21], 0
	s_brev_b32 s26, 18
	s_mov_b32 s27, 0xfe5163ab
	s_mov_b32 s28, 0x3c439041
	;; [unrolled: 1-line block ×9, first 2 shown]
	v_addc_co_u32_e64 v24, s[0:1], 0, 0, vcc
	v_mov_b32_e32 v25, 0xbe2aaa9d
	v_mov_b32_e32 v26, 0x3d2aabf7
	;; [unrolled: 1-line block ×3, first 2 shown]
	v_not_b32_e32 v28, 63
	v_not_b32_e32 v29, 31
	v_mov_b32_e32 v30, 0x7fc00000
	s_branch .LBB214_25
.LBB214_24:                             ;   in Loop: Header=BB214_25 Depth=1
	s_or_b64 exec, exec, s[0:1]
	v_add_co_u32_e32 v3, vcc, s25, v3
	v_addc_co_u32_e32 v4, vcc, 0, v4, vcc
	v_add_co_u32_e32 v5, vcc, s25, v5
	v_addc_co_u32_e32 v6, vcc, 0, v6, vcc
	;; [unrolled: 2-line block ×6, first 2 shown]
	s_add_u32 s20, s20, s24
	v_add_co_u32_e32 v17, vcc, s25, v17
	v_mov_b32_e32 v32, s17
	s_addc_u32 s21, s21, 0
	v_addc_co_u32_e32 v18, vcc, 0, v18, vcc
	v_mov_b32_e32 v31, s16
	v_cmp_ge_i64_e32 vcc, s[20:21], v[31:32]
	v_add_co_u32_e64 v19, s[0:1], s25, v19
	v_addc_co_u32_e64 v20, s[0:1], 0, v20, s[0:1]
	s_cbranch_vccnz .LBB214_57
.LBB214_25:                             ; =>This Inner Loop Header: Depth=1
	v_mov_b32_e32 v1, s21
	v_add_co_u32_e32 v31, vcc, s20, v0
	v_addc_co_u32_e32 v32, vcc, 0, v1, vcc
	v_cmp_gt_u64_e64 s[4:5], s[18:19], v[31:32]
	v_mov_b32_e32 v34, 0
	s_and_saveexec_b64 s[0:1], s[4:5]
	s_cbranch_execz .LBB214_27
; %bb.26:                               ;   in Loop: Header=BB214_25 Depth=1
	v_mov_b32_e32 v1, s15
	v_add_co_u32_e32 v31, vcc, s14, v3
	v_addc_co_u32_e32 v32, vcc, v4, v1, vcc
	global_load_dword v1, v[31:32], off
	s_waitcnt vmcnt(0)
	v_and_b32_e32 v34, 0x7fffffff, v1
.LBB214_27:                             ;   in Loop: Header=BB214_25 Depth=1
	s_or_b64 exec, exec, s[0:1]
	v_mov_b32_e32 v1, s21
	v_add_co_u32_e32 v31, vcc, s20, v15
	v_addc_co_u32_e32 v32, vcc, v16, v1, vcc
	v_cmp_gt_u64_e64 s[2:3], s[18:19], v[31:32]
	v_mov_b32_e32 v31, 0
	v_mov_b32_e32 v33, 0
	s_and_saveexec_b64 s[0:1], s[2:3]
	s_cbranch_execz .LBB214_29
; %bb.28:                               ;   in Loop: Header=BB214_25 Depth=1
	v_mov_b32_e32 v1, s15
	v_add_co_u32_e32 v32, vcc, s14, v17
	v_addc_co_u32_e32 v33, vcc, v18, v1, vcc
	global_load_dword v1, v[32:33], off
	s_waitcnt vmcnt(0)
	v_and_b32_e32 v33, 0x7fffffff, v1
.LBB214_29:                             ;   in Loop: Header=BB214_25 Depth=1
	s_or_b64 exec, exec, s[0:1]
	v_mov_b32_e32 v1, s21
	v_add_co_u32_e32 v35, vcc, s20, v23
	v_addc_co_u32_e32 v36, vcc, v24, v1, vcc
	v_cmp_gt_u64_e64 s[0:1], s[18:19], v[35:36]
	s_and_saveexec_b64 s[6:7], s[0:1]
	s_cbranch_execz .LBB214_31
; %bb.30:                               ;   in Loop: Header=BB214_25 Depth=1
	v_mov_b32_e32 v1, s15
	v_add_co_u32_e32 v31, vcc, s14, v11
	v_addc_co_u32_e32 v32, vcc, v12, v1, vcc
	global_load_dword v1, v[31:32], off
	s_waitcnt vmcnt(0)
	v_and_b32_e32 v31, 0x7fffffff, v1
.LBB214_31:                             ;   in Loop: Header=BB214_25 Depth=1
	s_or_b64 exec, exec, s[6:7]
	v_mov_b32_e32 v1, s21
	v_add_co_u32_e32 v35, vcc, s20, v21
	v_addc_co_u32_e32 v36, vcc, v22, v1, vcc
	v_cmp_gt_u64_e32 vcc, s[18:19], v[35:36]
	v_mov_b32_e32 v32, 0
	s_and_saveexec_b64 s[8:9], vcc
	s_cbranch_execz .LBB214_33
; %bb.32:                               ;   in Loop: Header=BB214_25 Depth=1
	v_mov_b32_e32 v1, s15
	v_add_co_u32_e64 v35, s[6:7], s14, v7
	v_addc_co_u32_e64 v36, s[6:7], v8, v1, s[6:7]
	global_load_dword v1, v[35:36], off
	s_waitcnt vmcnt(0)
	v_and_b32_e32 v32, 0x7fffffff, v1
.LBB214_33:                             ;   in Loop: Header=BB214_25 Depth=1
	s_or_b64 exec, exec, s[8:9]
	v_cmp_ngt_f32_e64 s[6:7], s26, v34
                                        ; implicit-def: $vgpr36
                                        ; implicit-def: $vgpr35
	s_and_saveexec_b64 s[8:9], s[6:7]
	s_xor_b64 s[22:23], exec, s[8:9]
	s_cbranch_execz .LBB214_35
; %bb.34:                               ;   in Loop: Header=BB214_25 Depth=1
	v_and_b32_e32 v1, 0x7fffff, v34
	v_or_b32_e32 v42, 0x800000, v1
	v_mad_u64_u32 v[35:36], s[6:7], v42, s27, 0
	v_mov_b32_e32 v1, v36
	v_mad_u64_u32 v[36:37], s[6:7], v42, s28, v[1:2]
	v_mov_b32_e32 v1, v37
	;; [unrolled: 2-line block ×3, first 2 shown]
	v_mad_u64_u32 v[38:39], s[6:7], v42, s30, v[1:2]
	v_lshrrev_b32_e32 v1, 23, v34
	v_add_u32_e32 v41, 0xffffff88, v1
	v_mov_b32_e32 v1, v39
	v_mad_u64_u32 v[39:40], s[6:7], v42, s31, v[1:2]
	v_cmp_lt_u32_e64 s[6:7], 63, v41
	v_cndmask_b32_e64 v1, 0, v28, s[6:7]
	v_add_u32_e32 v43, v1, v41
	v_mov_b32_e32 v1, v40
	v_mad_u64_u32 v[40:41], s[8:9], v42, s33, v[1:2]
	v_cmp_lt_u32_e64 s[8:9], 31, v43
	v_cndmask_b32_e64 v1, 0, v29, s[8:9]
	;; [unrolled: 5-line block ×3, first 2 shown]
	v_add_u32_e32 v1, v1, v43
	v_cndmask_b32_e64 v43, v40, v38, s[6:7]
	v_cndmask_b32_e64 v41, v41, v39, s[6:7]
	;; [unrolled: 1-line block ×10, first 2 shown]
	v_sub_u32_e32 v43, 32, v1
	v_cndmask_b32_e64 v38, v39, v36, s[8:9]
	v_alignbit_b32 v44, v40, v42, v43
	v_cmp_eq_u32_e64 s[12:13], 0, v1
	v_cndmask_b32_e64 v39, v41, v38, s[10:11]
	v_cndmask_b32_e64 v1, v44, v40, s[12:13]
	v_alignbit_b32 v40, v42, v39, v43
	v_cndmask_b32_e64 v35, v37, v35, s[6:7]
	v_cndmask_b32_e64 v40, v40, v42, s[12:13]
	v_bfe_u32 v44, v1, 29, 1
	v_cndmask_b32_e64 v35, v36, v35, s[8:9]
	v_alignbit_b32 v41, v1, v40, 30
	v_sub_u32_e32 v45, 0, v44
	v_cndmask_b32_e64 v35, v38, v35, s[10:11]
	v_xor_b32_e32 v41, v41, v45
	v_alignbit_b32 v36, v39, v35, v43
	v_cndmask_b32_e64 v36, v36, v39, s[12:13]
	v_ffbh_u32_e32 v38, v41
	v_alignbit_b32 v37, v40, v36, 30
	v_min_u32_e32 v38, 32, v38
	v_alignbit_b32 v35, v36, v35, 30
	v_xor_b32_e32 v37, v37, v45
	v_sub_u32_e32 v39, 31, v38
	v_xor_b32_e32 v35, v35, v45
	v_alignbit_b32 v40, v41, v37, v39
	v_alignbit_b32 v35, v37, v35, v39
	;; [unrolled: 1-line block ×3, first 2 shown]
	v_ffbh_u32_e32 v37, v36
	v_min_u32_e32 v37, 32, v37
	v_lshrrev_b32_e32 v42, 29, v1
	v_not_b32_e32 v39, v37
	v_alignbit_b32 v35, v36, v35, v39
	v_lshlrev_b32_e32 v36, 31, v42
	v_or_b32_e32 v39, 0x33000000, v36
	v_add_lshl_u32 v37, v37, v38, 23
	v_lshrrev_b32_e32 v35, 9, v35
	v_sub_u32_e32 v37, v39, v37
	v_or_b32_e32 v36, 0.5, v36
	v_lshlrev_b32_e32 v38, 23, v38
	v_or_b32_e32 v35, v37, v35
	v_lshrrev_b32_e32 v37, 9, v40
	v_sub_u32_e32 v36, v36, v38
	v_or_b32_e32 v36, v37, v36
	v_mul_f32_e32 v37, 0x3fc90fda, v36
	v_fma_f32 v38, v36, s35, -v37
	v_fmac_f32_e32 v38, 0x33a22168, v36
	v_fmac_f32_e32 v38, 0x3fc90fda, v35
	v_lshrrev_b32_e32 v1, 30, v1
	v_add_f32_e32 v35, v37, v38
	v_add_u32_e32 v36, v44, v1
.LBB214_35:                             ;   in Loop: Header=BB214_25 Depth=1
	s_andn2_saveexec_b64 s[6:7], s[22:23]
	s_cbranch_execz .LBB214_37
; %bb.36:                               ;   in Loop: Header=BB214_25 Depth=1
	v_mul_f32_e32 v1, 0x3f22f983, v34
	v_rndne_f32_e32 v1, v1
	v_mov_b32_e32 v35, v34
	v_cvt_i32_f32_e32 v36, v1
	v_fmac_f32_e32 v35, 0xbfc90fda, v1
	v_fmac_f32_e32 v35, 0xb3a22168, v1
	;; [unrolled: 1-line block ×3, first 2 shown]
.LBB214_37:                             ;   in Loop: Header=BB214_25 Depth=1
	s_or_b64 exec, exec, s[6:7]
	v_cmp_ngt_f32_e64 s[6:7], s26, v33
                                        ; implicit-def: $vgpr38
                                        ; implicit-def: $vgpr37
	s_and_saveexec_b64 s[8:9], s[6:7]
	s_xor_b64 s[22:23], exec, s[8:9]
	s_cbranch_execz .LBB214_39
; %bb.38:                               ;   in Loop: Header=BB214_25 Depth=1
	v_and_b32_e32 v1, 0x7fffff, v33
	v_or_b32_e32 v44, 0x800000, v1
	v_mad_u64_u32 v[37:38], s[6:7], v44, s27, 0
	v_mov_b32_e32 v1, v38
	v_mad_u64_u32 v[38:39], s[6:7], v44, s28, v[1:2]
	v_mov_b32_e32 v1, v39
	;; [unrolled: 2-line block ×3, first 2 shown]
	v_mad_u64_u32 v[40:41], s[6:7], v44, s30, v[1:2]
	v_lshrrev_b32_e32 v1, 23, v33
	v_add_u32_e32 v43, 0xffffff88, v1
	v_mov_b32_e32 v1, v41
	v_mad_u64_u32 v[41:42], s[8:9], v44, s31, v[1:2]
	v_cmp_lt_u32_e64 s[6:7], 63, v43
	v_cndmask_b32_e64 v1, 0, v28, s[6:7]
	v_add_u32_e32 v45, v1, v43
	v_mov_b32_e32 v1, v42
	v_mad_u64_u32 v[42:43], s[10:11], v44, s33, v[1:2]
	v_cmp_lt_u32_e64 s[8:9], 31, v45
	v_cndmask_b32_e64 v1, 0, v29, s[8:9]
	;; [unrolled: 5-line block ×3, first 2 shown]
	v_add_u32_e32 v1, v1, v45
	v_cndmask_b32_e64 v45, v42, v40, s[6:7]
	v_cndmask_b32_e64 v43, v43, v41, s[6:7]
	;; [unrolled: 1-line block ×10, first 2 shown]
	v_sub_u32_e32 v45, 32, v1
	v_cndmask_b32_e64 v40, v41, v38, s[8:9]
	v_alignbit_b32 v46, v42, v44, v45
	v_cmp_eq_u32_e64 s[12:13], 0, v1
	v_cndmask_b32_e64 v41, v43, v40, s[10:11]
	v_cndmask_b32_e64 v1, v46, v42, s[12:13]
	v_alignbit_b32 v42, v44, v41, v45
	v_cndmask_b32_e64 v37, v39, v37, s[6:7]
	v_cndmask_b32_e64 v42, v42, v44, s[12:13]
	v_bfe_u32 v46, v1, 29, 1
	v_cndmask_b32_e64 v37, v38, v37, s[8:9]
	v_alignbit_b32 v43, v1, v42, 30
	v_sub_u32_e32 v47, 0, v46
	v_cndmask_b32_e64 v37, v40, v37, s[10:11]
	v_xor_b32_e32 v43, v43, v47
	v_alignbit_b32 v38, v41, v37, v45
	v_cndmask_b32_e64 v38, v38, v41, s[12:13]
	v_ffbh_u32_e32 v40, v43
	v_alignbit_b32 v39, v42, v38, 30
	v_min_u32_e32 v40, 32, v40
	v_alignbit_b32 v37, v38, v37, 30
	v_xor_b32_e32 v39, v39, v47
	v_sub_u32_e32 v41, 31, v40
	v_xor_b32_e32 v37, v37, v47
	v_alignbit_b32 v42, v43, v39, v41
	v_alignbit_b32 v37, v39, v37, v41
	;; [unrolled: 1-line block ×3, first 2 shown]
	v_ffbh_u32_e32 v39, v38
	v_min_u32_e32 v39, 32, v39
	v_lshrrev_b32_e32 v44, 29, v1
	v_not_b32_e32 v41, v39
	v_alignbit_b32 v37, v38, v37, v41
	v_lshlrev_b32_e32 v38, 31, v44
	v_or_b32_e32 v41, 0x33000000, v38
	v_add_lshl_u32 v39, v39, v40, 23
	v_lshrrev_b32_e32 v37, 9, v37
	v_sub_u32_e32 v39, v41, v39
	v_or_b32_e32 v38, 0.5, v38
	v_lshlrev_b32_e32 v40, 23, v40
	v_or_b32_e32 v37, v39, v37
	v_lshrrev_b32_e32 v39, 9, v42
	v_sub_u32_e32 v38, v38, v40
	v_or_b32_e32 v38, v39, v38
	v_mul_f32_e32 v39, 0x3fc90fda, v38
	v_fma_f32 v40, v38, s35, -v39
	v_fmac_f32_e32 v40, 0x33a22168, v38
	v_fmac_f32_e32 v40, 0x3fc90fda, v37
	v_lshrrev_b32_e32 v1, 30, v1
	v_add_f32_e32 v37, v39, v40
	v_add_u32_e32 v38, v46, v1
.LBB214_39:                             ;   in Loop: Header=BB214_25 Depth=1
	s_andn2_saveexec_b64 s[6:7], s[22:23]
	s_cbranch_execz .LBB214_41
; %bb.40:                               ;   in Loop: Header=BB214_25 Depth=1
	v_mul_f32_e32 v1, 0x3f22f983, v33
	v_rndne_f32_e32 v1, v1
	v_mov_b32_e32 v37, v33
	v_cvt_i32_f32_e32 v38, v1
	v_fmac_f32_e32 v37, 0xbfc90fda, v1
	v_fmac_f32_e32 v37, 0xb3a22168, v1
	;; [unrolled: 1-line block ×3, first 2 shown]
.LBB214_41:                             ;   in Loop: Header=BB214_25 Depth=1
	s_or_b64 exec, exec, s[6:7]
	v_cmp_ngt_f32_e64 s[6:7], s26, v31
                                        ; implicit-def: $vgpr40
                                        ; implicit-def: $vgpr39
	s_and_saveexec_b64 s[8:9], s[6:7]
	s_xor_b64 s[22:23], exec, s[8:9]
	s_cbranch_execz .LBB214_43
; %bb.42:                               ;   in Loop: Header=BB214_25 Depth=1
	v_and_b32_e32 v1, 0x7fffff, v31
	v_or_b32_e32 v46, 0x800000, v1
	v_mad_u64_u32 v[39:40], s[6:7], v46, s27, 0
	v_mov_b32_e32 v1, v40
	v_mad_u64_u32 v[40:41], s[6:7], v46, s28, v[1:2]
	v_mov_b32_e32 v1, v41
	;; [unrolled: 2-line block ×3, first 2 shown]
	v_mad_u64_u32 v[42:43], s[6:7], v46, s30, v[1:2]
	v_lshrrev_b32_e32 v1, 23, v31
	v_add_u32_e32 v45, 0xffffff88, v1
	v_mov_b32_e32 v1, v43
	v_mad_u64_u32 v[43:44], s[6:7], v46, s31, v[1:2]
	v_cmp_lt_u32_e64 s[6:7], 63, v45
	v_cndmask_b32_e64 v1, 0, v28, s[6:7]
	v_add_u32_e32 v47, v1, v45
	v_mov_b32_e32 v1, v44
	v_mad_u64_u32 v[44:45], s[8:9], v46, s33, v[1:2]
	v_cmp_lt_u32_e64 s[8:9], 31, v47
	v_cndmask_b32_e64 v1, 0, v29, s[8:9]
	v_add_u32_e32 v47, v1, v47
	v_mov_b32_e32 v1, v45
	v_mad_u64_u32 v[45:46], s[10:11], v46, s34, v[1:2]
	v_cmp_lt_u32_e64 s[10:11], 31, v47
	v_cndmask_b32_e64 v1, 0, v29, s[10:11]
	v_add_u32_e32 v1, v1, v47
	v_cndmask_b32_e64 v47, v44, v42, s[6:7]
	v_cndmask_b32_e64 v45, v45, v43, s[6:7]
	;; [unrolled: 1-line block ×10, first 2 shown]
	v_sub_u32_e32 v47, 32, v1
	v_cndmask_b32_e64 v42, v43, v40, s[8:9]
	v_alignbit_b32 v48, v44, v46, v47
	v_cmp_eq_u32_e64 s[12:13], 0, v1
	v_cndmask_b32_e64 v43, v45, v42, s[10:11]
	v_cndmask_b32_e64 v1, v48, v44, s[12:13]
	v_alignbit_b32 v44, v46, v43, v47
	v_cndmask_b32_e64 v39, v41, v39, s[6:7]
	v_cndmask_b32_e64 v44, v44, v46, s[12:13]
	v_bfe_u32 v48, v1, 29, 1
	v_cndmask_b32_e64 v39, v40, v39, s[8:9]
	v_alignbit_b32 v45, v1, v44, 30
	v_sub_u32_e32 v49, 0, v48
	v_cndmask_b32_e64 v39, v42, v39, s[10:11]
	v_xor_b32_e32 v45, v45, v49
	v_alignbit_b32 v40, v43, v39, v47
	v_cndmask_b32_e64 v40, v40, v43, s[12:13]
	v_ffbh_u32_e32 v42, v45
	v_alignbit_b32 v41, v44, v40, 30
	v_min_u32_e32 v42, 32, v42
	v_alignbit_b32 v39, v40, v39, 30
	v_xor_b32_e32 v41, v41, v49
	v_sub_u32_e32 v43, 31, v42
	v_xor_b32_e32 v39, v39, v49
	v_alignbit_b32 v44, v45, v41, v43
	v_alignbit_b32 v39, v41, v39, v43
	;; [unrolled: 1-line block ×3, first 2 shown]
	v_ffbh_u32_e32 v41, v40
	v_min_u32_e32 v41, 32, v41
	v_lshrrev_b32_e32 v46, 29, v1
	v_not_b32_e32 v43, v41
	v_alignbit_b32 v39, v40, v39, v43
	v_lshlrev_b32_e32 v40, 31, v46
	v_or_b32_e32 v43, 0x33000000, v40
	v_add_lshl_u32 v41, v41, v42, 23
	v_lshrrev_b32_e32 v39, 9, v39
	v_sub_u32_e32 v41, v43, v41
	v_or_b32_e32 v40, 0.5, v40
	v_lshlrev_b32_e32 v42, 23, v42
	v_or_b32_e32 v39, v41, v39
	v_lshrrev_b32_e32 v41, 9, v44
	v_sub_u32_e32 v40, v40, v42
	v_or_b32_e32 v40, v41, v40
	v_mul_f32_e32 v41, 0x3fc90fda, v40
	v_fma_f32 v42, v40, s35, -v41
	v_fmac_f32_e32 v42, 0x33a22168, v40
	v_fmac_f32_e32 v42, 0x3fc90fda, v39
	v_lshrrev_b32_e32 v1, 30, v1
	v_add_f32_e32 v39, v41, v42
	v_add_u32_e32 v40, v48, v1
.LBB214_43:                             ;   in Loop: Header=BB214_25 Depth=1
	s_andn2_saveexec_b64 s[6:7], s[22:23]
	s_cbranch_execz .LBB214_45
; %bb.44:                               ;   in Loop: Header=BB214_25 Depth=1
	v_mul_f32_e32 v1, 0x3f22f983, v31
	v_rndne_f32_e32 v1, v1
	v_mov_b32_e32 v39, v31
	v_cvt_i32_f32_e32 v40, v1
	v_fmac_f32_e32 v39, 0xbfc90fda, v1
	v_fmac_f32_e32 v39, 0xb3a22168, v1
	v_fmac_f32_e32 v39, 0xa7c234c4, v1
.LBB214_45:                             ;   in Loop: Header=BB214_25 Depth=1
	s_or_b64 exec, exec, s[6:7]
	v_cmp_ngt_f32_e64 s[6:7], s26, v32
                                        ; implicit-def: $vgpr41
                                        ; implicit-def: $vgpr1
	s_and_saveexec_b64 s[8:9], s[6:7]
	s_xor_b64 s[22:23], exec, s[8:9]
	s_cbranch_execnz .LBB214_51
; %bb.46:                               ;   in Loop: Header=BB214_25 Depth=1
	s_andn2_saveexec_b64 s[6:7], s[22:23]
	s_cbranch_execnz .LBB214_52
.LBB214_47:                             ;   in Loop: Header=BB214_25 Depth=1
	s_or_b64 exec, exec, s[6:7]
	s_and_saveexec_b64 s[6:7], s[4:5]
	s_xor_b64 s[6:7], exec, s[6:7]
	s_cbranch_execnz .LBB214_53
.LBB214_48:                             ;   in Loop: Header=BB214_25 Depth=1
	s_or_b64 exec, exec, s[6:7]
	s_and_saveexec_b64 s[4:5], s[2:3]
	s_cbranch_execnz .LBB214_54
.LBB214_49:                             ;   in Loop: Header=BB214_25 Depth=1
	s_or_b64 exec, exec, s[4:5]
	s_and_saveexec_b64 s[2:3], s[0:1]
	s_cbranch_execnz .LBB214_55
.LBB214_50:                             ;   in Loop: Header=BB214_25 Depth=1
	s_or_b64 exec, exec, s[2:3]
	s_and_saveexec_b64 s[0:1], vcc
	s_cbranch_execz .LBB214_24
	s_branch .LBB214_56
.LBB214_51:                             ;   in Loop: Header=BB214_25 Depth=1
	v_and_b32_e32 v1, 0x7fffff, v32
	v_or_b32_e32 v48, 0x800000, v1
	v_mad_u64_u32 v[41:42], s[6:7], v48, s27, 0
	v_mov_b32_e32 v1, v42
	v_mad_u64_u32 v[42:43], s[6:7], v48, s28, v[1:2]
	v_mov_b32_e32 v1, v43
	;; [unrolled: 2-line block ×3, first 2 shown]
	v_mad_u64_u32 v[44:45], s[6:7], v48, s30, v[1:2]
	v_lshrrev_b32_e32 v1, 23, v32
	v_add_u32_e32 v47, 0xffffff88, v1
	v_mov_b32_e32 v1, v45
	v_mad_u64_u32 v[45:46], s[6:7], v48, s31, v[1:2]
	v_cmp_lt_u32_e64 s[6:7], 63, v47
	v_cndmask_b32_e64 v1, 0, v28, s[6:7]
	v_add_u32_e32 v49, v1, v47
	v_mov_b32_e32 v1, v46
	v_mad_u64_u32 v[46:47], s[8:9], v48, s33, v[1:2]
	v_cmp_lt_u32_e64 s[8:9], 31, v49
	v_cndmask_b32_e64 v1, 0, v29, s[8:9]
	;; [unrolled: 5-line block ×3, first 2 shown]
	v_add_u32_e32 v1, v1, v49
	v_cndmask_b32_e64 v49, v46, v44, s[6:7]
	v_cndmask_b32_e64 v47, v47, v45, s[6:7]
	;; [unrolled: 1-line block ×7, first 2 shown]
	v_sub_u32_e32 v49, 32, v1
	v_cmp_eq_u32_e64 s[12:13], 0, v1
	v_cndmask_b32_e64 v1, v44, v42, s[6:7]
	v_cndmask_b32_e64 v46, v46, v48, s[10:11]
	;; [unrolled: 1-line block ×4, first 2 shown]
	v_alignbit_b32 v50, v46, v48, v49
	v_cndmask_b32_e64 v44, v47, v42, s[10:11]
	v_cndmask_b32_e64 v46, v50, v46, s[12:13]
	v_alignbit_b32 v45, v48, v44, v49
	v_cndmask_b32_e64 v41, v43, v41, s[6:7]
	v_cndmask_b32_e64 v45, v45, v48, s[12:13]
	v_bfe_u32 v50, v46, 29, 1
	v_cndmask_b32_e64 v1, v1, v41, s[8:9]
	v_alignbit_b32 v47, v46, v45, 30
	v_sub_u32_e32 v51, 0, v50
	v_cndmask_b32_e64 v1, v42, v1, s[10:11]
	v_xor_b32_e32 v47, v47, v51
	v_alignbit_b32 v41, v44, v1, v49
	v_cndmask_b32_e64 v41, v41, v44, s[12:13]
	v_ffbh_u32_e32 v43, v47
	v_alignbit_b32 v42, v45, v41, 30
	v_min_u32_e32 v43, 32, v43
	v_alignbit_b32 v1, v41, v1, 30
	v_xor_b32_e32 v42, v42, v51
	v_sub_u32_e32 v44, 31, v43
	v_xor_b32_e32 v1, v1, v51
	v_alignbit_b32 v45, v47, v42, v44
	v_alignbit_b32 v1, v42, v1, v44
	;; [unrolled: 1-line block ×3, first 2 shown]
	v_ffbh_u32_e32 v42, v41
	v_min_u32_e32 v42, 32, v42
	v_lshrrev_b32_e32 v48, 29, v46
	v_not_b32_e32 v44, v42
	v_alignbit_b32 v1, v41, v1, v44
	v_lshlrev_b32_e32 v41, 31, v48
	v_or_b32_e32 v44, 0x33000000, v41
	v_add_lshl_u32 v42, v42, v43, 23
	v_lshrrev_b32_e32 v1, 9, v1
	v_sub_u32_e32 v42, v44, v42
	v_or_b32_e32 v41, 0.5, v41
	v_lshlrev_b32_e32 v43, 23, v43
	v_or_b32_e32 v1, v42, v1
	v_lshrrev_b32_e32 v42, 9, v45
	v_sub_u32_e32 v41, v41, v43
	v_or_b32_e32 v41, v42, v41
	v_mul_f32_e32 v42, 0x3fc90fda, v41
	v_fma_f32 v43, v41, s35, -v42
	v_fmac_f32_e32 v43, 0x33a22168, v41
	v_fmac_f32_e32 v43, 0x3fc90fda, v1
	v_lshrrev_b32_e32 v41, 30, v46
	v_add_f32_e32 v1, v42, v43
	v_add_u32_e32 v41, v50, v41
	s_andn2_saveexec_b64 s[6:7], s[22:23]
	s_cbranch_execz .LBB214_47
.LBB214_52:                             ;   in Loop: Header=BB214_25 Depth=1
	v_mul_f32_e32 v1, 0x3f22f983, v32
	v_rndne_f32_e32 v42, v1
	v_mov_b32_e32 v1, v32
	v_cvt_i32_f32_e32 v41, v42
	v_fmac_f32_e32 v1, 0xbfc90fda, v42
	v_fmac_f32_e32 v1, 0xb3a22168, v42
	;; [unrolled: 1-line block ×3, first 2 shown]
	s_or_b64 exec, exec, s[6:7]
	s_and_saveexec_b64 s[6:7], s[4:5]
	s_xor_b64 s[6:7], exec, s[6:7]
	s_cbranch_execz .LBB214_48
.LBB214_53:                             ;   in Loop: Header=BB214_25 Depth=1
	v_mul_f32_e32 v42, v35, v35
	v_mov_b32_e32 v43, 0x3c0881c4
	v_fmac_f32_e32 v43, 0xb94c1982, v42
	v_fma_f32 v43, v42, v43, v25
	v_mul_f32_e32 v43, v42, v43
	v_fmac_f32_e32 v35, v35, v43
	v_mov_b32_e32 v43, 0xbab64f3b
	v_fmac_f32_e32 v43, 0x37d75334, v42
	v_fma_f32 v43, v42, v43, v26
	v_fma_f32 v43, v42, v43, v27
	v_fma_f32 v42, v42, v43, 1.0
	v_and_b32_e32 v43, 1, v36
	v_cmp_eq_u32_e64 s[4:5], 0, v43
	v_lshlrev_b32_e32 v36, 30, v36
	v_cndmask_b32_e64 v35, -v35, v42, s[4:5]
	v_and_b32_e32 v36, 0x80000000, v36
	v_xor_b32_e32 v35, v36, v35
	v_cmp_lg_f32_e64 s[4:5], s36, v34
	v_cndmask_b32_e64 v36, v30, v35, s[4:5]
	v_mov_b32_e32 v35, s15
	v_add_co_u32_e64 v34, s[4:5], s14, v5
	v_addc_co_u32_e64 v35, s[4:5], v6, v35, s[4:5]
	global_store_dword v[34:35], v36, off
	s_or_b64 exec, exec, s[6:7]
	s_and_saveexec_b64 s[4:5], s[2:3]
	s_cbranch_execz .LBB214_49
.LBB214_54:                             ;   in Loop: Header=BB214_25 Depth=1
	v_mul_f32_e32 v34, v37, v37
	v_mov_b32_e32 v35, 0x3c0881c4
	v_fmac_f32_e32 v35, 0xb94c1982, v34
	v_fma_f32 v35, v34, v35, v25
	v_mul_f32_e32 v35, v34, v35
	v_fmac_f32_e32 v37, v37, v35
	v_mov_b32_e32 v35, 0xbab64f3b
	v_fmac_f32_e32 v35, 0x37d75334, v34
	v_fma_f32 v35, v34, v35, v26
	v_fma_f32 v35, v34, v35, v27
	v_fma_f32 v34, v34, v35, 1.0
	v_and_b32_e32 v35, 1, v38
	v_cmp_eq_u32_e64 s[2:3], 0, v35
	v_lshlrev_b32_e32 v35, 30, v38
	v_cndmask_b32_e64 v34, -v37, v34, s[2:3]
	v_and_b32_e32 v35, 0x80000000, v35
	v_xor_b32_e32 v34, v35, v34
	v_cmp_lg_f32_e64 s[2:3], s36, v33
	v_cndmask_b32_e64 v35, v30, v34, s[2:3]
	v_mov_b32_e32 v34, s15
	v_add_co_u32_e64 v33, s[2:3], s14, v19
	v_addc_co_u32_e64 v34, s[2:3], v20, v34, s[2:3]
	global_store_dword v[33:34], v35, off
	s_or_b64 exec, exec, s[4:5]
	s_and_saveexec_b64 s[2:3], s[0:1]
	s_cbranch_execz .LBB214_50
.LBB214_55:                             ;   in Loop: Header=BB214_25 Depth=1
	v_mul_f32_e32 v33, v39, v39
	v_mov_b32_e32 v34, 0x3c0881c4
	v_fmac_f32_e32 v34, 0xb94c1982, v33
	v_fma_f32 v34, v33, v34, v25
	v_mul_f32_e32 v34, v33, v34
	v_fmac_f32_e32 v39, v39, v34
	v_mov_b32_e32 v34, 0xbab64f3b
	v_fmac_f32_e32 v34, 0x37d75334, v33
	v_fma_f32 v34, v33, v34, v26
	v_fma_f32 v34, v33, v34, v27
	v_fma_f32 v33, v33, v34, 1.0
	v_and_b32_e32 v34, 1, v40
	v_cmp_eq_u32_e64 s[0:1], 0, v34
	v_lshlrev_b32_e32 v34, 30, v40
	v_cndmask_b32_e64 v33, -v39, v33, s[0:1]
	v_and_b32_e32 v34, 0x80000000, v34
	v_xor_b32_e32 v33, v34, v33
	v_cmp_lg_f32_e64 s[0:1], s36, v31
	v_cndmask_b32_e64 v31, v30, v33, s[0:1]
	v_mov_b32_e32 v34, s15
	v_add_co_u32_e64 v33, s[0:1], s14, v13
	v_addc_co_u32_e64 v34, s[0:1], v14, v34, s[0:1]
	global_store_dword v[33:34], v31, off
	s_or_b64 exec, exec, s[2:3]
	s_and_saveexec_b64 s[0:1], vcc
	s_cbranch_execz .LBB214_24
.LBB214_56:                             ;   in Loop: Header=BB214_25 Depth=1
	v_mul_f32_e32 v31, v1, v1
	v_mov_b32_e32 v33, 0x3c0881c4
	v_fmac_f32_e32 v33, 0xb94c1982, v31
	v_fma_f32 v33, v31, v33, v25
	v_mul_f32_e32 v33, v31, v33
	v_fmac_f32_e32 v1, v1, v33
	v_mov_b32_e32 v33, 0xbab64f3b
	v_fmac_f32_e32 v33, 0x37d75334, v31
	v_fma_f32 v33, v31, v33, v26
	v_fma_f32 v33, v31, v33, v27
	v_fma_f32 v31, v31, v33, 1.0
	v_and_b32_e32 v33, 1, v41
	v_cmp_eq_u32_e32 vcc, 0, v33
	v_cndmask_b32_e64 v1, -v1, v31, vcc
	v_lshlrev_b32_e32 v31, 30, v41
	v_and_b32_e32 v31, 0x80000000, v31
	v_xor_b32_e32 v1, v31, v1
	v_cmp_lg_f32_e32 vcc, s36, v32
	v_cndmask_b32_e32 v1, v30, v1, vcc
	v_mov_b32_e32 v32, s15
	v_add_co_u32_e32 v31, vcc, s14, v9
	v_addc_co_u32_e32 v32, vcc, v10, v32, vcc
	global_store_dword v[31:32], v1, off
	s_branch .LBB214_24
.LBB214_57:
	s_endpgm
	.section	.rodata,"a",@progbits
	.p2align	6, 0x0
	.amdhsa_kernel _ZN2at6native12_GLOBAL__N_125multi_tensor_apply_kernelINS1_18TensorListMetadataILi2EEENS1_14UnaryOpFunctorIfLi2ELi1ELi1EEEJNS0_3CosIfEEEEEvT_T0_DpT1_
		.amdhsa_group_segment_fixed_size 0
		.amdhsa_private_segment_fixed_size 0
		.amdhsa_kernarg_size 3408
		.amdhsa_user_sgpr_count 6
		.amdhsa_user_sgpr_private_segment_buffer 1
		.amdhsa_user_sgpr_dispatch_ptr 0
		.amdhsa_user_sgpr_queue_ptr 0
		.amdhsa_user_sgpr_kernarg_segment_ptr 1
		.amdhsa_user_sgpr_dispatch_id 0
		.amdhsa_user_sgpr_flat_scratch_init 0
		.amdhsa_user_sgpr_private_segment_size 0
		.amdhsa_uses_dynamic_stack 0
		.amdhsa_system_sgpr_private_segment_wavefront_offset 0
		.amdhsa_system_sgpr_workgroup_id_x 1
		.amdhsa_system_sgpr_workgroup_id_y 0
		.amdhsa_system_sgpr_workgroup_id_z 0
		.amdhsa_system_sgpr_workgroup_info 0
		.amdhsa_system_vgpr_workitem_id 0
		.amdhsa_next_free_vgpr 52
		.amdhsa_next_free_sgpr 39
		.amdhsa_reserve_vcc 1
		.amdhsa_reserve_flat_scratch 0
		.amdhsa_float_round_mode_32 0
		.amdhsa_float_round_mode_16_64 0
		.amdhsa_float_denorm_mode_32 3
		.amdhsa_float_denorm_mode_16_64 3
		.amdhsa_dx10_clamp 1
		.amdhsa_ieee_mode 1
		.amdhsa_fp16_overflow 0
		.amdhsa_exception_fp_ieee_invalid_op 0
		.amdhsa_exception_fp_denorm_src 0
		.amdhsa_exception_fp_ieee_div_zero 0
		.amdhsa_exception_fp_ieee_overflow 0
		.amdhsa_exception_fp_ieee_underflow 0
		.amdhsa_exception_fp_ieee_inexact 0
		.amdhsa_exception_int_div_zero 0
	.end_amdhsa_kernel
	.section	.text._ZN2at6native12_GLOBAL__N_125multi_tensor_apply_kernelINS1_18TensorListMetadataILi2EEENS1_14UnaryOpFunctorIfLi2ELi1ELi1EEEJNS0_3CosIfEEEEEvT_T0_DpT1_,"axG",@progbits,_ZN2at6native12_GLOBAL__N_125multi_tensor_apply_kernelINS1_18TensorListMetadataILi2EEENS1_14UnaryOpFunctorIfLi2ELi1ELi1EEEJNS0_3CosIfEEEEEvT_T0_DpT1_,comdat
.Lfunc_end214:
	.size	_ZN2at6native12_GLOBAL__N_125multi_tensor_apply_kernelINS1_18TensorListMetadataILi2EEENS1_14UnaryOpFunctorIfLi2ELi1ELi1EEEJNS0_3CosIfEEEEEvT_T0_DpT1_, .Lfunc_end214-_ZN2at6native12_GLOBAL__N_125multi_tensor_apply_kernelINS1_18TensorListMetadataILi2EEENS1_14UnaryOpFunctorIfLi2ELi1ELi1EEEJNS0_3CosIfEEEEEvT_T0_DpT1_
                                        ; -- End function
	.set _ZN2at6native12_GLOBAL__N_125multi_tensor_apply_kernelINS1_18TensorListMetadataILi2EEENS1_14UnaryOpFunctorIfLi2ELi1ELi1EEEJNS0_3CosIfEEEEEvT_T0_DpT1_.num_vgpr, 52
	.set _ZN2at6native12_GLOBAL__N_125multi_tensor_apply_kernelINS1_18TensorListMetadataILi2EEENS1_14UnaryOpFunctorIfLi2ELi1ELi1EEEJNS0_3CosIfEEEEEvT_T0_DpT1_.num_agpr, 0
	.set _ZN2at6native12_GLOBAL__N_125multi_tensor_apply_kernelINS1_18TensorListMetadataILi2EEENS1_14UnaryOpFunctorIfLi2ELi1ELi1EEEJNS0_3CosIfEEEEEvT_T0_DpT1_.numbered_sgpr, 39
	.set _ZN2at6native12_GLOBAL__N_125multi_tensor_apply_kernelINS1_18TensorListMetadataILi2EEENS1_14UnaryOpFunctorIfLi2ELi1ELi1EEEJNS0_3CosIfEEEEEvT_T0_DpT1_.num_named_barrier, 0
	.set _ZN2at6native12_GLOBAL__N_125multi_tensor_apply_kernelINS1_18TensorListMetadataILi2EEENS1_14UnaryOpFunctorIfLi2ELi1ELi1EEEJNS0_3CosIfEEEEEvT_T0_DpT1_.private_seg_size, 0
	.set _ZN2at6native12_GLOBAL__N_125multi_tensor_apply_kernelINS1_18TensorListMetadataILi2EEENS1_14UnaryOpFunctorIfLi2ELi1ELi1EEEJNS0_3CosIfEEEEEvT_T0_DpT1_.uses_vcc, 1
	.set _ZN2at6native12_GLOBAL__N_125multi_tensor_apply_kernelINS1_18TensorListMetadataILi2EEENS1_14UnaryOpFunctorIfLi2ELi1ELi1EEEJNS0_3CosIfEEEEEvT_T0_DpT1_.uses_flat_scratch, 0
	.set _ZN2at6native12_GLOBAL__N_125multi_tensor_apply_kernelINS1_18TensorListMetadataILi2EEENS1_14UnaryOpFunctorIfLi2ELi1ELi1EEEJNS0_3CosIfEEEEEvT_T0_DpT1_.has_dyn_sized_stack, 0
	.set _ZN2at6native12_GLOBAL__N_125multi_tensor_apply_kernelINS1_18TensorListMetadataILi2EEENS1_14UnaryOpFunctorIfLi2ELi1ELi1EEEJNS0_3CosIfEEEEEvT_T0_DpT1_.has_recursion, 0
	.set _ZN2at6native12_GLOBAL__N_125multi_tensor_apply_kernelINS1_18TensorListMetadataILi2EEENS1_14UnaryOpFunctorIfLi2ELi1ELi1EEEJNS0_3CosIfEEEEEvT_T0_DpT1_.has_indirect_call, 0
	.section	.AMDGPU.csdata,"",@progbits
; Kernel info:
; codeLenInByte = 7376
; TotalNumSgprs: 43
; NumVgprs: 52
; ScratchSize: 0
; MemoryBound: 0
; FloatMode: 240
; IeeeMode: 1
; LDSByteSize: 0 bytes/workgroup (compile time only)
; SGPRBlocks: 5
; VGPRBlocks: 12
; NumSGPRsForWavesPerEU: 43
; NumVGPRsForWavesPerEU: 52
; Occupancy: 4
; WaveLimiterHint : 0
; COMPUTE_PGM_RSRC2:SCRATCH_EN: 0
; COMPUTE_PGM_RSRC2:USER_SGPR: 6
; COMPUTE_PGM_RSRC2:TRAP_HANDLER: 0
; COMPUTE_PGM_RSRC2:TGID_X_EN: 1
; COMPUTE_PGM_RSRC2:TGID_Y_EN: 0
; COMPUTE_PGM_RSRC2:TGID_Z_EN: 0
; COMPUTE_PGM_RSRC2:TIDIG_COMP_CNT: 0
	.section	.text._ZN2at6native12_GLOBAL__N_125multi_tensor_apply_kernelINS1_18TensorListMetadataILi2EEENS1_14UnaryOpFunctorIN3c107complexIdEELi2ELi1ELi1EEEJNS0_3CosIS8_EEEEEvT_T0_DpT1_,"axG",@progbits,_ZN2at6native12_GLOBAL__N_125multi_tensor_apply_kernelINS1_18TensorListMetadataILi2EEENS1_14UnaryOpFunctorIN3c107complexIdEELi2ELi1ELi1EEEJNS0_3CosIS8_EEEEEvT_T0_DpT1_,comdat
	.globl	_ZN2at6native12_GLOBAL__N_125multi_tensor_apply_kernelINS1_18TensorListMetadataILi2EEENS1_14UnaryOpFunctorIN3c107complexIdEELi2ELi1ELi1EEEJNS0_3CosIS8_EEEEEvT_T0_DpT1_ ; -- Begin function _ZN2at6native12_GLOBAL__N_125multi_tensor_apply_kernelINS1_18TensorListMetadataILi2EEENS1_14UnaryOpFunctorIN3c107complexIdEELi2ELi1ELi1EEEJNS0_3CosIS8_EEEEEvT_T0_DpT1_
	.p2align	8
	.type	_ZN2at6native12_GLOBAL__N_125multi_tensor_apply_kernelINS1_18TensorListMetadataILi2EEENS1_14UnaryOpFunctorIN3c107complexIdEELi2ELi1ELi1EEEJNS0_3CosIS8_EEEEEvT_T0_DpT1_,@function
_ZN2at6native12_GLOBAL__N_125multi_tensor_apply_kernelINS1_18TensorListMetadataILi2EEENS1_14UnaryOpFunctorIN3c107complexIdEELi2ELi1ELi1EEEJNS0_3CosIS8_EEEEEvT_T0_DpT1_: ; @_ZN2at6native12_GLOBAL__N_125multi_tensor_apply_kernelINS1_18TensorListMetadataILi2EEENS1_14UnaryOpFunctorIN3c107complexIdEELi2ELi1ELi1EEEJNS0_3CosIS8_EEEEEvT_T0_DpT1_
; %bb.0:
	v_mov_b32_e32 v58, v0
	v_mov_b32_e32 v0, s6
	global_load_ubyte v0, v0, s[4:5] offset:1536
	s_add_u32 s0, s0, s7
	s_addc_u32 s1, s1, 0
	s_mov_b64 s[34:35], s[4:5]
	s_add_u32 s4, s34, s6
	s_mul_hi_u32 s9, s6, 3
	s_mul_i32 s6, s6, 3
	s_addc_u32 s10, s35, 0
	s_add_u32 s8, s4, s6
	s_addc_u32 s9, s10, s9
	s_load_dword s8, s[8:9], 0x740
	s_mov_b32 s5, 0
	s_mov_b32 s7, s5
	;; [unrolled: 1-line block ×3, first 2 shown]
	s_waitcnt lgkmcnt(0)
	s_ashr_i32 s9, s8, 31
	s_lshl_b64 s[16:17], s[8:9], 20
	s_waitcnt vmcnt(0)
	v_readfirstlane_b32 s4, v0
	s_lshl_b32 s4, s4, 3
	s_load_dwordx2 s[10:11], s[34:35], s4 offset:0x0
	s_load_dwordx2 s[12:13], s[34:35], s4 offset:0x400
	;; [unrolled: 1-line block ×3, first 2 shown]
	s_waitcnt lgkmcnt(0)
	s_add_u32 s48, s10, s16
	s_addc_u32 s49, s11, s17
	s_and_b32 s4, s48, 63
	s_add_u32 s50, s14, s16
	s_addc_u32 s51, s15, s17
	s_lshl_b64 s[8:9], s[8:9], 16
	s_and_b32 s6, s50, 63
	s_sub_u32 s36, s12, s8
	s_subb_u32 s37, s13, s9
	s_and_b32 s8, s12, 3
	s_mov_b32 s9, s5
	s_or_b64 s[6:7], s[6:7], s[8:9]
	s_or_b64 s[4:5], s[6:7], s[4:5]
	s_cmp_eq_u64 s[4:5], 0
	s_mov_b64 s[4:5], -1
	s_cbranch_scc0 .LBB215_5
; %bb.1:
	v_mov_b32_e32 v0, 0x10000
	v_mov_b32_e32 v1, 0
	v_cmp_lt_i64_e32 vcc, s[36:37], v[0:1]
	v_mov_b32_e32 v1, 0
	s_and_b64 s[4:5], vcc, exec
	s_cselect_b32 s39, s37, 0
	s_cselect_b32 s38, s36, 0x10000
	v_lshlrev_b32_e32 v0, 2, v58
	v_cmp_gt_i64_e32 vcc, s[38:39], v[0:1]
	s_and_saveexec_b64 s[52:53], vcc
	s_cbranch_execz .LBB215_4
; %bb.2:
	s_load_dword s4, s[34:35], 0xc5c
	v_mov_b32_e32 v59, v1
	v_mov_b32_e32 v64, v59
	v_lshlrev_b32_e32 v65, 6, v58
	s_mov_b64 s[54:55], 0
	s_waitcnt lgkmcnt(0)
	s_and_b32 s33, s4, 0xffff
	s_mov_b64 s[56:57], s[48:49]
	s_lshl_b32 s60, s33, 6
	s_mov_b64 s[58:59], s[50:51]
	v_mov_b32_e32 v63, v58
.LBB215_3:                              ; =>This Inner Loop Header: Depth=1
	v_mov_b32_e32 v1, s57
	v_add_co_u32_e32 v0, vcc, s56, v65
	v_addc_co_u32_e32 v1, vcc, 0, v1, vcc
	global_load_dwordx4 v[2:5], v[0:1], off
	global_load_dwordx4 v[40:43], v[0:1], off offset:16
	global_load_dwordx4 v[44:47], v[0:1], off offset:48
	;; [unrolled: 1-line block ×3, first 2 shown]
	s_getpc_b64 s[62:63]
	s_add_u32 s62, s62, _ZN6thrust23THRUST_200600_302600_NS6detail7complex5ccoshERKNS0_7complexIdEE@rel32@lo+4
	s_addc_u32 s63, s63, _ZN6thrust23THRUST_200600_302600_NS6detail7complex5ccoshERKNS0_7complexIdEE@rel32@hi+12
	s_waitcnt vmcnt(3)
	v_xor_b32_e32 v1, 0x80000000, v5
	v_mov_b32_e32 v0, v4
	s_swappc_b64 s[30:31], s[62:63]
	v_mov_b32_e32 v59, v0
	v_mov_b32_e32 v60, v1
	v_mov_b32_e32 v61, v2
	v_mov_b32_e32 v62, v3
	v_xor_b32_e32 v1, 0x80000000, v43
	v_mov_b32_e32 v0, v42
	v_mov_b32_e32 v2, v40
	v_mov_b32_e32 v3, v41
	s_swappc_b64 s[30:31], s[62:63]
	v_mov_b32_e32 v40, v0
	v_mov_b32_e32 v41, v1
	v_mov_b32_e32 v42, v2
	v_mov_b32_e32 v43, v3
	v_xor_b32_e32 v1, 0x80000000, v57
	v_mov_b32_e32 v0, v56
	v_mov_b32_e32 v2, v54
	;; [unrolled: 9-line block ×3, first 2 shown]
	v_mov_b32_e32 v3, v45
	s_swappc_b64 s[30:31], s[62:63]
	v_add_co_u32_e32 v63, vcc, s33, v63
	v_addc_co_u32_e32 v64, vcc, 0, v64, vcc
	v_mov_b32_e32 v5, s59
	v_add_co_u32_e32 v4, vcc, s58, v65
	v_lshlrev_b64 v[6:7], 2, v[63:64]
	s_add_u32 s58, s58, s60
	v_addc_co_u32_e32 v5, vcc, 0, v5, vcc
	s_addc_u32 s59, s59, 0
	s_add_u32 s56, s56, s60
	v_cmp_le_i64_e32 vcc, s[38:39], v[6:7]
	s_addc_u32 s57, s57, 0
	s_or_b64 s[54:55], vcc, s[54:55]
	global_store_dwordx4 v[4:5], v[59:62], off
	global_store_dwordx4 v[4:5], v[40:43], off offset:16
	global_store_dwordx4 v[4:5], v[54:57], off offset:32
	;; [unrolled: 1-line block ×3, first 2 shown]
	s_andn2_b64 exec, exec, s[54:55]
	s_cbranch_execnz .LBB215_3
.LBB215_4:
	s_or_b64 exec, exec, s[52:53]
	s_mov_b64 s[4:5], 0
.LBB215_5:
	s_andn2_b64 vcc, exec, s[4:5]
	s_cbranch_vccnz .LBB215_25
; %bb.6:
	v_cmp_lt_i64_e64 s[4:5], s[36:37], 1
	s_and_b64 vcc, exec, s[4:5]
	s_cbranch_vccnz .LBB215_25
; %bb.7:
	v_mov_b32_e32 v0, 0x10000
	s_load_dword s6, s[34:35], 0xc5c
	v_mov_b32_e32 v1, 0
	v_cmp_lt_i64_e32 vcc, s[36:37], v[0:1]
	s_mov_b64 s[56:57], 0
	s_and_b64 s[4:5], vcc, exec
	v_cmp_lt_u64_e32 vcc, s[36:37], v[0:1]
	s_cselect_b32 s53, s37, 0
	s_cselect_b32 s52, s36, 0x10000
	s_waitcnt lgkmcnt(0)
	s_and_b32 s33, s6, 0xffff
	s_and_b64 s[4:5], vcc, exec
	s_cselect_b32 s55, s37, 0
	s_cselect_b32 s54, s36, 0x10000
	s_lshl_b32 s60, s33, 1
	s_mul_i32 s61, s33, 3
	s_lshl_b32 s62, s33, 2
	s_branch .LBB215_9
.LBB215_8:                              ;   in Loop: Header=BB215_9 Depth=1
	s_or_b64 exec, exec, s[36:37]
	s_add_u32 s56, s56, s62
	v_mov_b32_e32 v0, s52
	s_addc_u32 s57, s57, 0
	v_mov_b32_e32 v1, s53
	v_cmp_ge_i64_e32 vcc, s[56:57], v[0:1]
	s_cbranch_vccnz .LBB215_25
.LBB215_9:                              ; =>This Inner Loop Header: Depth=1
	v_mov_b32_e32 v0, s57
	v_add_co_u32_e32 v65, vcc, s56, v58
	v_addc_co_u32_e32 v66, vcc, 0, v0, vcc
	v_cmp_gt_u64_e32 vcc, s[54:55], v[65:66]
	s_waitcnt vmcnt(0)
	v_mov_b32_e32 v46, 0
	v_mov_b32_e32 v4, 0
	;; [unrolled: 1-line block ×6, first 2 shown]
	s_and_saveexec_b64 s[6:7], vcc
	s_cbranch_execz .LBB215_11
; %bb.10:                               ;   in Loop: Header=BB215_9 Depth=1
	v_lshlrev_b64 v[0:1], 4, v[65:66]
	v_mov_b32_e32 v2, s49
	v_add_co_u32_e64 v0, s[4:5], s48, v0
	v_addc_co_u32_e64 v1, s[4:5], v2, v1, s[4:5]
	global_load_dwordx4 v[2:5], v[0:1], off
.LBB215_11:                             ;   in Loop: Header=BB215_9 Depth=1
	s_or_b64 exec, exec, s[6:7]
	v_add_co_u32_e64 v63, s[4:5], s33, v65
	v_addc_co_u32_e64 v64, s[4:5], 0, v66, s[4:5]
	v_cmp_gt_u64_e64 s[38:39], s[54:55], v[63:64]
	v_mov_b32_e32 v44, 0
	v_mov_b32_e32 v45, 0
	s_and_saveexec_b64 s[6:7], s[38:39]
	s_cbranch_execz .LBB215_13
; %bb.12:                               ;   in Loop: Header=BB215_9 Depth=1
	v_lshlrev_b64 v[0:1], 4, v[63:64]
	v_mov_b32_e32 v6, s49
	v_add_co_u32_e64 v0, s[4:5], s48, v0
	v_addc_co_u32_e64 v1, s[4:5], v6, v1, s[4:5]
	global_load_dwordx4 v[44:47], v[0:1], off
.LBB215_13:                             ;   in Loop: Header=BB215_9 Depth=1
	s_or_b64 exec, exec, s[6:7]
	v_add_co_u32_e64 v61, s[4:5], s60, v65
	v_addc_co_u32_e64 v62, s[4:5], 0, v66, s[4:5]
	v_cmp_gt_u64_e64 s[36:37], s[54:55], v[61:62]
	v_mov_b32_e32 v42, 0
	v_mov_b32_e32 v56, 0
	;; [unrolled: 1-line block ×6, first 2 shown]
	s_and_saveexec_b64 s[6:7], s[36:37]
	s_cbranch_execz .LBB215_15
; %bb.14:                               ;   in Loop: Header=BB215_9 Depth=1
	v_lshlrev_b64 v[0:1], 4, v[61:62]
	v_mov_b32_e32 v6, s49
	v_add_co_u32_e64 v0, s[4:5], s48, v0
	v_addc_co_u32_e64 v1, s[4:5], v6, v1, s[4:5]
	global_load_dwordx4 v[54:57], v[0:1], off
.LBB215_15:                             ;   in Loop: Header=BB215_9 Depth=1
	s_or_b64 exec, exec, s[6:7]
	v_add_co_u32_e64 v59, s[4:5], s61, v65
	v_addc_co_u32_e64 v60, s[4:5], 0, v66, s[4:5]
	v_cmp_gt_u64_e64 s[34:35], s[54:55], v[59:60]
	v_mov_b32_e32 v40, 0
	v_mov_b32_e32 v41, 0
	s_and_saveexec_b64 s[6:7], s[34:35]
	s_cbranch_execnz .LBB215_20
; %bb.16:                               ;   in Loop: Header=BB215_9 Depth=1
	s_or_b64 exec, exec, s[6:7]
	s_and_saveexec_b64 s[58:59], vcc
	s_cbranch_execnz .LBB215_21
.LBB215_17:                             ;   in Loop: Header=BB215_9 Depth=1
	s_or_b64 exec, exec, s[58:59]
	s_and_saveexec_b64 s[58:59], s[38:39]
	s_cbranch_execnz .LBB215_22
.LBB215_18:                             ;   in Loop: Header=BB215_9 Depth=1
	s_or_b64 exec, exec, s[58:59]
	s_and_saveexec_b64 s[38:39], s[36:37]
	s_cbranch_execnz .LBB215_23
.LBB215_19:                             ;   in Loop: Header=BB215_9 Depth=1
	s_or_b64 exec, exec, s[38:39]
	s_and_saveexec_b64 s[36:37], s[34:35]
	s_cbranch_execz .LBB215_8
	s_branch .LBB215_24
.LBB215_20:                             ;   in Loop: Header=BB215_9 Depth=1
	v_lshlrev_b64 v[0:1], 4, v[59:60]
	v_mov_b32_e32 v6, s49
	v_add_co_u32_e64 v0, s[4:5], s48, v0
	v_addc_co_u32_e64 v1, s[4:5], v6, v1, s[4:5]
	global_load_dwordx4 v[40:43], v[0:1], off
	s_or_b64 exec, exec, s[6:7]
	s_and_saveexec_b64 s[58:59], vcc
	s_cbranch_execz .LBB215_17
.LBB215_21:                             ;   in Loop: Header=BB215_9 Depth=1
	s_waitcnt vmcnt(0)
	v_xor_b32_e32 v1, 0x80000000, v5
	s_getpc_b64 s[4:5]
	s_add_u32 s4, s4, _ZN6thrust23THRUST_200600_302600_NS6detail7complex5ccoshERKNS0_7complexIdEE@rel32@lo+4
	s_addc_u32 s5, s5, _ZN6thrust23THRUST_200600_302600_NS6detail7complex5ccoshERKNS0_7complexIdEE@rel32@hi+12
	v_mov_b32_e32 v0, v4
	s_swappc_b64 s[30:31], s[4:5]
	v_lshlrev_b64 v[4:5], 4, v[65:66]
	v_mov_b32_e32 v6, s51
	v_add_co_u32_e32 v4, vcc, s50, v4
	v_addc_co_u32_e32 v5, vcc, v6, v5, vcc
	global_store_dwordx4 v[4:5], v[0:3], off
	s_or_b64 exec, exec, s[58:59]
	s_and_saveexec_b64 s[58:59], s[38:39]
	s_cbranch_execz .LBB215_18
.LBB215_22:                             ;   in Loop: Header=BB215_9 Depth=1
	s_waitcnt vmcnt(0)
	v_xor_b32_e32 v1, 0x80000000, v47
	s_getpc_b64 s[4:5]
	s_add_u32 s4, s4, _ZN6thrust23THRUST_200600_302600_NS6detail7complex5ccoshERKNS0_7complexIdEE@rel32@lo+4
	s_addc_u32 s5, s5, _ZN6thrust23THRUST_200600_302600_NS6detail7complex5ccoshERKNS0_7complexIdEE@rel32@hi+12
	v_mov_b32_e32 v0, v46
	v_mov_b32_e32 v2, v44
	;; [unrolled: 1-line block ×3, first 2 shown]
	s_swappc_b64 s[30:31], s[4:5]
	v_lshlrev_b64 v[4:5], 4, v[63:64]
	v_mov_b32_e32 v6, s51
	v_add_co_u32_e32 v4, vcc, s50, v4
	v_addc_co_u32_e32 v5, vcc, v6, v5, vcc
	global_store_dwordx4 v[4:5], v[0:3], off
	s_or_b64 exec, exec, s[58:59]
	s_and_saveexec_b64 s[38:39], s[36:37]
	s_cbranch_execz .LBB215_19
.LBB215_23:                             ;   in Loop: Header=BB215_9 Depth=1
	s_waitcnt vmcnt(0)
	v_xor_b32_e32 v1, 0x80000000, v57
	s_getpc_b64 s[4:5]
	s_add_u32 s4, s4, _ZN6thrust23THRUST_200600_302600_NS6detail7complex5ccoshERKNS0_7complexIdEE@rel32@lo+4
	s_addc_u32 s5, s5, _ZN6thrust23THRUST_200600_302600_NS6detail7complex5ccoshERKNS0_7complexIdEE@rel32@hi+12
	v_mov_b32_e32 v0, v56
	v_mov_b32_e32 v2, v54
	;; [unrolled: 1-line block ×3, first 2 shown]
	s_swappc_b64 s[30:31], s[4:5]
	v_lshlrev_b64 v[4:5], 4, v[61:62]
	v_mov_b32_e32 v6, s51
	v_add_co_u32_e32 v4, vcc, s50, v4
	v_addc_co_u32_e32 v5, vcc, v6, v5, vcc
	global_store_dwordx4 v[4:5], v[0:3], off
	s_or_b64 exec, exec, s[38:39]
	s_and_saveexec_b64 s[36:37], s[34:35]
	s_cbranch_execz .LBB215_8
.LBB215_24:                             ;   in Loop: Header=BB215_9 Depth=1
	s_waitcnt vmcnt(0)
	v_xor_b32_e32 v1, 0x80000000, v43
	s_getpc_b64 s[4:5]
	s_add_u32 s4, s4, _ZN6thrust23THRUST_200600_302600_NS6detail7complex5ccoshERKNS0_7complexIdEE@rel32@lo+4
	s_addc_u32 s5, s5, _ZN6thrust23THRUST_200600_302600_NS6detail7complex5ccoshERKNS0_7complexIdEE@rel32@hi+12
	v_mov_b32_e32 v0, v42
	v_mov_b32_e32 v2, v40
	;; [unrolled: 1-line block ×3, first 2 shown]
	s_swappc_b64 s[30:31], s[4:5]
	v_lshlrev_b64 v[4:5], 4, v[59:60]
	v_mov_b32_e32 v6, s51
	v_add_co_u32_e32 v4, vcc, s50, v4
	v_addc_co_u32_e32 v5, vcc, v6, v5, vcc
	global_store_dwordx4 v[4:5], v[0:3], off
	s_branch .LBB215_8
.LBB215_25:
	s_endpgm
	.section	.rodata,"a",@progbits
	.p2align	6, 0x0
	.amdhsa_kernel _ZN2at6native12_GLOBAL__N_125multi_tensor_apply_kernelINS1_18TensorListMetadataILi2EEENS1_14UnaryOpFunctorIN3c107complexIdEELi2ELi1ELi1EEEJNS0_3CosIS8_EEEEEvT_T0_DpT1_
		.amdhsa_group_segment_fixed_size 0
		.amdhsa_private_segment_fixed_size 0
		.amdhsa_kernarg_size 3408
		.amdhsa_user_sgpr_count 6
		.amdhsa_user_sgpr_private_segment_buffer 1
		.amdhsa_user_sgpr_dispatch_ptr 0
		.amdhsa_user_sgpr_queue_ptr 0
		.amdhsa_user_sgpr_kernarg_segment_ptr 1
		.amdhsa_user_sgpr_dispatch_id 0
		.amdhsa_user_sgpr_flat_scratch_init 0
		.amdhsa_user_sgpr_private_segment_size 0
		.amdhsa_uses_dynamic_stack 0
		.amdhsa_system_sgpr_private_segment_wavefront_offset 0
		.amdhsa_system_sgpr_workgroup_id_x 1
		.amdhsa_system_sgpr_workgroup_id_y 0
		.amdhsa_system_sgpr_workgroup_id_z 0
		.amdhsa_system_sgpr_workgroup_info 0
		.amdhsa_system_vgpr_workitem_id 0
		.amdhsa_next_free_vgpr 67
		.amdhsa_next_free_sgpr 64
		.amdhsa_reserve_vcc 1
		.amdhsa_reserve_flat_scratch 0
		.amdhsa_float_round_mode_32 0
		.amdhsa_float_round_mode_16_64 0
		.amdhsa_float_denorm_mode_32 3
		.amdhsa_float_denorm_mode_16_64 3
		.amdhsa_dx10_clamp 1
		.amdhsa_ieee_mode 1
		.amdhsa_fp16_overflow 0
		.amdhsa_exception_fp_ieee_invalid_op 0
		.amdhsa_exception_fp_denorm_src 0
		.amdhsa_exception_fp_ieee_div_zero 0
		.amdhsa_exception_fp_ieee_overflow 0
		.amdhsa_exception_fp_ieee_underflow 0
		.amdhsa_exception_fp_ieee_inexact 0
		.amdhsa_exception_int_div_zero 0
	.end_amdhsa_kernel
	.section	.text._ZN2at6native12_GLOBAL__N_125multi_tensor_apply_kernelINS1_18TensorListMetadataILi2EEENS1_14UnaryOpFunctorIN3c107complexIdEELi2ELi1ELi1EEEJNS0_3CosIS8_EEEEEvT_T0_DpT1_,"axG",@progbits,_ZN2at6native12_GLOBAL__N_125multi_tensor_apply_kernelINS1_18TensorListMetadataILi2EEENS1_14UnaryOpFunctorIN3c107complexIdEELi2ELi1ELi1EEEJNS0_3CosIS8_EEEEEvT_T0_DpT1_,comdat
.Lfunc_end215:
	.size	_ZN2at6native12_GLOBAL__N_125multi_tensor_apply_kernelINS1_18TensorListMetadataILi2EEENS1_14UnaryOpFunctorIN3c107complexIdEELi2ELi1ELi1EEEJNS0_3CosIS8_EEEEEvT_T0_DpT1_, .Lfunc_end215-_ZN2at6native12_GLOBAL__N_125multi_tensor_apply_kernelINS1_18TensorListMetadataILi2EEENS1_14UnaryOpFunctorIN3c107complexIdEELi2ELi1ELi1EEEJNS0_3CosIS8_EEEEEvT_T0_DpT1_
                                        ; -- End function
	.set _ZN2at6native12_GLOBAL__N_125multi_tensor_apply_kernelINS1_18TensorListMetadataILi2EEENS1_14UnaryOpFunctorIN3c107complexIdEELi2ELi1ELi1EEEJNS0_3CosIS8_EEEEEvT_T0_DpT1_.num_vgpr, max(67, .L_ZN6thrust23THRUST_200600_302600_NS6detail7complex5ccoshERKNS0_7complexIdEE.num_vgpr)
	.set _ZN2at6native12_GLOBAL__N_125multi_tensor_apply_kernelINS1_18TensorListMetadataILi2EEENS1_14UnaryOpFunctorIN3c107complexIdEELi2ELi1ELi1EEEJNS0_3CosIS8_EEEEEvT_T0_DpT1_.num_agpr, max(0, .L_ZN6thrust23THRUST_200600_302600_NS6detail7complex5ccoshERKNS0_7complexIdEE.num_agpr)
	.set _ZN2at6native12_GLOBAL__N_125multi_tensor_apply_kernelINS1_18TensorListMetadataILi2EEENS1_14UnaryOpFunctorIN3c107complexIdEELi2ELi1ELi1EEEJNS0_3CosIS8_EEEEEvT_T0_DpT1_.numbered_sgpr, max(64, .L_ZN6thrust23THRUST_200600_302600_NS6detail7complex5ccoshERKNS0_7complexIdEE.numbered_sgpr)
	.set _ZN2at6native12_GLOBAL__N_125multi_tensor_apply_kernelINS1_18TensorListMetadataILi2EEENS1_14UnaryOpFunctorIN3c107complexIdEELi2ELi1ELi1EEEJNS0_3CosIS8_EEEEEvT_T0_DpT1_.num_named_barrier, max(0, .L_ZN6thrust23THRUST_200600_302600_NS6detail7complex5ccoshERKNS0_7complexIdEE.num_named_barrier)
	.set _ZN2at6native12_GLOBAL__N_125multi_tensor_apply_kernelINS1_18TensorListMetadataILi2EEENS1_14UnaryOpFunctorIN3c107complexIdEELi2ELi1ELi1EEEJNS0_3CosIS8_EEEEEvT_T0_DpT1_.private_seg_size, 0+max(.L_ZN6thrust23THRUST_200600_302600_NS6detail7complex5ccoshERKNS0_7complexIdEE.private_seg_size)
	.set _ZN2at6native12_GLOBAL__N_125multi_tensor_apply_kernelINS1_18TensorListMetadataILi2EEENS1_14UnaryOpFunctorIN3c107complexIdEELi2ELi1ELi1EEEJNS0_3CosIS8_EEEEEvT_T0_DpT1_.uses_vcc, or(1, .L_ZN6thrust23THRUST_200600_302600_NS6detail7complex5ccoshERKNS0_7complexIdEE.uses_vcc)
	.set _ZN2at6native12_GLOBAL__N_125multi_tensor_apply_kernelINS1_18TensorListMetadataILi2EEENS1_14UnaryOpFunctorIN3c107complexIdEELi2ELi1ELi1EEEJNS0_3CosIS8_EEEEEvT_T0_DpT1_.uses_flat_scratch, or(0, .L_ZN6thrust23THRUST_200600_302600_NS6detail7complex5ccoshERKNS0_7complexIdEE.uses_flat_scratch)
	.set _ZN2at6native12_GLOBAL__N_125multi_tensor_apply_kernelINS1_18TensorListMetadataILi2EEENS1_14UnaryOpFunctorIN3c107complexIdEELi2ELi1ELi1EEEJNS0_3CosIS8_EEEEEvT_T0_DpT1_.has_dyn_sized_stack, or(0, .L_ZN6thrust23THRUST_200600_302600_NS6detail7complex5ccoshERKNS0_7complexIdEE.has_dyn_sized_stack)
	.set _ZN2at6native12_GLOBAL__N_125multi_tensor_apply_kernelINS1_18TensorListMetadataILi2EEENS1_14UnaryOpFunctorIN3c107complexIdEELi2ELi1ELi1EEEJNS0_3CosIS8_EEEEEvT_T0_DpT1_.has_recursion, or(0, .L_ZN6thrust23THRUST_200600_302600_NS6detail7complex5ccoshERKNS0_7complexIdEE.has_recursion)
	.set _ZN2at6native12_GLOBAL__N_125multi_tensor_apply_kernelINS1_18TensorListMetadataILi2EEENS1_14UnaryOpFunctorIN3c107complexIdEELi2ELi1ELi1EEEJNS0_3CosIS8_EEEEEvT_T0_DpT1_.has_indirect_call, or(0, .L_ZN6thrust23THRUST_200600_302600_NS6detail7complex5ccoshERKNS0_7complexIdEE.has_indirect_call)
	.section	.AMDGPU.csdata,"",@progbits
; Kernel info:
; codeLenInByte = 1488
; TotalNumSgprs: 68
; NumVgprs: 67
; ScratchSize: 0
; MemoryBound: 1
; FloatMode: 240
; IeeeMode: 1
; LDSByteSize: 0 bytes/workgroup (compile time only)
; SGPRBlocks: 8
; VGPRBlocks: 16
; NumSGPRsForWavesPerEU: 68
; NumVGPRsForWavesPerEU: 67
; Occupancy: 3
; WaveLimiterHint : 0
; COMPUTE_PGM_RSRC2:SCRATCH_EN: 0
; COMPUTE_PGM_RSRC2:USER_SGPR: 6
; COMPUTE_PGM_RSRC2:TRAP_HANDLER: 0
; COMPUTE_PGM_RSRC2:TGID_X_EN: 1
; COMPUTE_PGM_RSRC2:TGID_Y_EN: 0
; COMPUTE_PGM_RSRC2:TGID_Z_EN: 0
; COMPUTE_PGM_RSRC2:TIDIG_COMP_CNT: 0
	.section	.text._ZN2at6native12_GLOBAL__N_125multi_tensor_apply_kernelINS1_18TensorListMetadataILi2EEENS1_14UnaryOpFunctorIN3c107complexIfEELi2ELi1ELi1EEEJNS0_3CosIS8_EEEEEvT_T0_DpT1_,"axG",@progbits,_ZN2at6native12_GLOBAL__N_125multi_tensor_apply_kernelINS1_18TensorListMetadataILi2EEENS1_14UnaryOpFunctorIN3c107complexIfEELi2ELi1ELi1EEEJNS0_3CosIS8_EEEEEvT_T0_DpT1_,comdat
	.globl	_ZN2at6native12_GLOBAL__N_125multi_tensor_apply_kernelINS1_18TensorListMetadataILi2EEENS1_14UnaryOpFunctorIN3c107complexIfEELi2ELi1ELi1EEEJNS0_3CosIS8_EEEEEvT_T0_DpT1_ ; -- Begin function _ZN2at6native12_GLOBAL__N_125multi_tensor_apply_kernelINS1_18TensorListMetadataILi2EEENS1_14UnaryOpFunctorIN3c107complexIfEELi2ELi1ELi1EEEJNS0_3CosIS8_EEEEEvT_T0_DpT1_
	.p2align	8
	.type	_ZN2at6native12_GLOBAL__N_125multi_tensor_apply_kernelINS1_18TensorListMetadataILi2EEENS1_14UnaryOpFunctorIN3c107complexIfEELi2ELi1ELi1EEEJNS0_3CosIS8_EEEEEvT_T0_DpT1_,@function
_ZN2at6native12_GLOBAL__N_125multi_tensor_apply_kernelINS1_18TensorListMetadataILi2EEENS1_14UnaryOpFunctorIN3c107complexIfEELi2ELi1ELi1EEEJNS0_3CosIS8_EEEEEvT_T0_DpT1_: ; @_ZN2at6native12_GLOBAL__N_125multi_tensor_apply_kernelINS1_18TensorListMetadataILi2EEENS1_14UnaryOpFunctorIN3c107complexIfEELi2ELi1ELi1EEEJNS0_3CosIS8_EEEEEvT_T0_DpT1_
; %bb.0:
	v_mov_b32_e32 v20, v0
	v_mov_b32_e32 v0, s6
	global_load_ubyte v0, v0, s[4:5] offset:1536
	s_add_u32 s0, s0, s7
	s_addc_u32 s1, s1, 0
	s_mov_b64 s[26:27], s[4:5]
	s_add_u32 s4, s26, s6
	s_mul_hi_u32 s9, s6, 3
	s_mul_i32 s6, s6, 3
	s_addc_u32 s10, s27, 0
	s_add_u32 s8, s4, s6
	s_addc_u32 s9, s10, s9
	s_load_dword s8, s[8:9], 0x740
	s_mov_b32 s5, 0
	s_mov_b32 s7, s5
	;; [unrolled: 1-line block ×3, first 2 shown]
	s_waitcnt lgkmcnt(0)
	s_ashr_i32 s9, s8, 31
	s_lshl_b64 s[16:17], s[8:9], 19
	s_waitcnt vmcnt(0)
	v_readfirstlane_b32 s4, v0
	s_lshl_b32 s4, s4, 3
	s_load_dwordx2 s[10:11], s[26:27], s4 offset:0x0
	s_load_dwordx2 s[12:13], s[26:27], s4 offset:0x400
	;; [unrolled: 1-line block ×3, first 2 shown]
	s_waitcnt lgkmcnt(0)
	s_add_u32 s36, s10, s16
	s_addc_u32 s37, s11, s17
	s_and_b32 s4, s36, 31
	s_add_u32 s38, s14, s16
	s_addc_u32 s39, s15, s17
	s_lshl_b64 s[8:9], s[8:9], 16
	s_and_b32 s6, s38, 31
	s_sub_u32 s28, s12, s8
	s_subb_u32 s29, s13, s9
	s_and_b32 s8, s12, 3
	s_mov_b32 s9, s5
	s_or_b64 s[6:7], s[6:7], s[8:9]
	s_or_b64 s[4:5], s[6:7], s[4:5]
	s_cmp_eq_u64 s[4:5], 0
	s_mov_b64 s[4:5], -1
	s_cbranch_scc0 .LBB216_5
; %bb.1:
	v_mov_b32_e32 v0, 0x10000
	v_mov_b32_e32 v1, 0
	v_cmp_lt_i64_e32 vcc, s[28:29], v[0:1]
	v_mov_b32_e32 v1, 0
	s_and_b64 s[4:5], vcc, exec
	s_cselect_b32 s35, s29, 0
	s_cselect_b32 s34, s28, 0x10000
	v_lshlrev_b32_e32 v0, 2, v20
	v_cmp_gt_i64_e32 vcc, s[34:35], v[0:1]
	s_and_saveexec_b64 s[40:41], vcc
	s_cbranch_execz .LBB216_4
; %bb.2:
	s_load_dword s4, s[26:27], 0xc5c
	v_mov_b32_e32 v21, v1
	v_mov_b32_e32 v30, v21
	v_lshlrev_b32_e32 v31, 5, v20
	s_mov_b64 s[42:43], 0
	s_waitcnt lgkmcnt(0)
	s_and_b32 s33, s4, 0xffff
	s_mov_b64 s[44:45], s[36:37]
	s_lshl_b32 s48, s33, 5
	s_mov_b64 s[46:47], s[38:39]
	v_mov_b32_e32 v29, v20
.LBB216_3:                              ; =>This Inner Loop Header: Depth=1
	v_mov_b32_e32 v1, s45
	v_add_co_u32_e32 v0, vcc, s44, v31
	v_addc_co_u32_e32 v1, vcc, 0, v1, vcc
	global_load_dwordx4 v[21:24], v[0:1], off
	global_load_dwordx4 v[25:28], v[0:1], off offset:16
	s_getpc_b64 s[50:51]
	s_add_u32 s50, s50, _ZN6thrust23THRUST_200600_302600_NS6detail7complex6ccoshfERKNS0_7complexIfEE@rel32@lo+4
	s_addc_u32 s51, s51, _ZN6thrust23THRUST_200600_302600_NS6detail7complex6ccoshfERKNS0_7complexIfEE@rel32@hi+12
	s_waitcnt vmcnt(1)
	v_xor_b32_e32 v0, 0x80000000, v22
	v_mov_b32_e32 v1, v21
	s_swappc_b64 s[30:31], s[50:51]
	v_mov_b32_e32 v21, v0
	v_mov_b32_e32 v22, v1
	v_xor_b32_e32 v0, 0x80000000, v24
	v_mov_b32_e32 v1, v23
	s_swappc_b64 s[30:31], s[50:51]
	v_mov_b32_e32 v23, v0
	v_mov_b32_e32 v24, v1
	;; [unrolled: 5-line block ×3, first 2 shown]
	v_xor_b32_e32 v0, 0x80000000, v28
	v_mov_b32_e32 v1, v27
	s_swappc_b64 s[30:31], s[50:51]
	v_add_co_u32_e32 v29, vcc, s33, v29
	v_addc_co_u32_e32 v30, vcc, 0, v30, vcc
	v_mov_b32_e32 v27, v0
	v_mov_b32_e32 v28, v1
	;; [unrolled: 1-line block ×3, first 2 shown]
	v_add_co_u32_e32 v0, vcc, s46, v31
	v_lshlrev_b64 v[2:3], 2, v[29:30]
	s_add_u32 s46, s46, s48
	v_addc_co_u32_e32 v1, vcc, 0, v1, vcc
	s_addc_u32 s47, s47, 0
	s_add_u32 s44, s44, s48
	v_cmp_le_i64_e32 vcc, s[34:35], v[2:3]
	s_addc_u32 s45, s45, 0
	s_or_b64 s[42:43], vcc, s[42:43]
	global_store_dwordx4 v[0:1], v[21:24], off
	global_store_dwordx4 v[0:1], v[25:28], off offset:16
	s_andn2_b64 exec, exec, s[42:43]
	s_cbranch_execnz .LBB216_3
.LBB216_4:
	s_or_b64 exec, exec, s[40:41]
	s_mov_b64 s[4:5], 0
.LBB216_5:
	s_andn2_b64 vcc, exec, s[4:5]
	s_cbranch_vccnz .LBB216_25
; %bb.6:
	v_cmp_lt_i64_e64 s[4:5], s[28:29], 1
	s_and_b64 vcc, exec, s[4:5]
	s_cbranch_vccnz .LBB216_25
; %bb.7:
	v_mov_b32_e32 v0, 0x10000
	s_load_dword s6, s[26:27], 0xc5c
	v_mov_b32_e32 v1, 0
	v_cmp_lt_i64_e32 vcc, s[28:29], v[0:1]
	s_mov_b64 s[44:45], 0
	s_and_b64 s[4:5], vcc, exec
	v_cmp_lt_u64_e32 vcc, s[28:29], v[0:1]
	s_cselect_b32 s41, s29, 0
	s_cselect_b32 s40, s28, 0x10000
	s_waitcnt lgkmcnt(0)
	s_and_b32 s33, s6, 0xffff
	s_and_b64 s[4:5], vcc, exec
	s_cselect_b32 s43, s29, 0
	s_cselect_b32 s42, s28, 0x10000
	s_lshl_b32 s48, s33, 1
	s_mul_i32 s49, s33, 3
	s_lshl_b32 s50, s33, 2
	s_branch .LBB216_9
.LBB216_8:                              ;   in Loop: Header=BB216_9 Depth=1
	s_or_b64 exec, exec, s[26:27]
	s_add_u32 s44, s44, s50
	s_waitcnt vmcnt(0)
	v_mov_b32_e32 v0, s40
	s_addc_u32 s45, s45, 0
	v_mov_b32_e32 v1, s41
	v_cmp_ge_i64_e32 vcc, s[44:45], v[0:1]
	s_cbranch_vccnz .LBB216_25
.LBB216_9:                              ; =>This Inner Loop Header: Depth=1
	v_mov_b32_e32 v0, s45
	v_add_co_u32_e32 v27, vcc, s44, v20
	v_addc_co_u32_e32 v28, vcc, 0, v0, vcc
	v_cmp_gt_u64_e32 vcc, s[42:43], v[27:28]
	v_mov_b32_e32 v2, 0
	v_mov_b32_e32 v1, 0
	s_and_saveexec_b64 s[6:7], vcc
	s_cbranch_execz .LBB216_11
; %bb.10:                               ;   in Loop: Header=BB216_9 Depth=1
	v_lshlrev_b64 v[0:1], 3, v[27:28]
	v_mov_b32_e32 v2, s37
	v_add_co_u32_e64 v0, s[4:5], s36, v0
	v_addc_co_u32_e64 v1, s[4:5], v2, v1, s[4:5]
	global_load_dwordx2 v[1:2], v[0:1], off
.LBB216_11:                             ;   in Loop: Header=BB216_9 Depth=1
	s_or_b64 exec, exec, s[6:7]
	v_add_co_u32_e64 v29, s[4:5], s33, v27
	v_addc_co_u32_e64 v30, s[4:5], 0, v28, s[4:5]
	v_cmp_gt_u64_e64 s[26:27], s[42:43], v[29:30]
	v_mov_b32_e32 v22, 0
	v_mov_b32_e32 v24, 0
	;; [unrolled: 1-line block ×3, first 2 shown]
	s_and_saveexec_b64 s[6:7], s[26:27]
	s_cbranch_execz .LBB216_13
; %bb.12:                               ;   in Loop: Header=BB216_9 Depth=1
	v_lshlrev_b64 v[3:4], 3, v[29:30]
	v_mov_b32_e32 v0, s37
	v_add_co_u32_e64 v3, s[4:5], s36, v3
	v_addc_co_u32_e64 v4, s[4:5], v0, v4, s[4:5]
	global_load_dwordx2 v[23:24], v[3:4], off
.LBB216_13:                             ;   in Loop: Header=BB216_9 Depth=1
	s_or_b64 exec, exec, s[6:7]
	v_add_co_u32_e64 v31, s[4:5], s48, v27
	v_addc_co_u32_e64 v32, s[4:5], 0, v28, s[4:5]
	v_cmp_gt_u64_e64 s[28:29], s[42:43], v[31:32]
	v_mov_b32_e32 v21, 0
	s_and_saveexec_b64 s[6:7], s[28:29]
	s_cbranch_execz .LBB216_15
; %bb.14:                               ;   in Loop: Header=BB216_9 Depth=1
	v_lshlrev_b64 v[3:4], 3, v[31:32]
	v_mov_b32_e32 v0, s37
	v_add_co_u32_e64 v3, s[4:5], s36, v3
	v_addc_co_u32_e64 v4, s[4:5], v0, v4, s[4:5]
	global_load_dwordx2 v[21:22], v[3:4], off
.LBB216_15:                             ;   in Loop: Header=BB216_9 Depth=1
	s_or_b64 exec, exec, s[6:7]
	v_add_co_u32_e64 v33, s[4:5], s49, v27
	v_addc_co_u32_e64 v34, s[4:5], 0, v28, s[4:5]
	v_cmp_gt_u64_e64 s[34:35], s[42:43], v[33:34]
	v_mov_b32_e32 v26, 0
	v_mov_b32_e32 v25, 0
	s_and_saveexec_b64 s[6:7], s[34:35]
	s_cbranch_execnz .LBB216_20
; %bb.16:                               ;   in Loop: Header=BB216_9 Depth=1
	s_or_b64 exec, exec, s[6:7]
	s_and_saveexec_b64 s[46:47], vcc
	s_cbranch_execnz .LBB216_21
.LBB216_17:                             ;   in Loop: Header=BB216_9 Depth=1
	s_or_b64 exec, exec, s[46:47]
	s_and_saveexec_b64 s[46:47], s[26:27]
	s_cbranch_execnz .LBB216_22
.LBB216_18:                             ;   in Loop: Header=BB216_9 Depth=1
	s_or_b64 exec, exec, s[46:47]
	s_and_saveexec_b64 s[26:27], s[28:29]
	s_cbranch_execnz .LBB216_23
.LBB216_19:                             ;   in Loop: Header=BB216_9 Depth=1
	s_or_b64 exec, exec, s[26:27]
	s_and_saveexec_b64 s[26:27], s[34:35]
	s_cbranch_execz .LBB216_8
	s_branch .LBB216_24
.LBB216_20:                             ;   in Loop: Header=BB216_9 Depth=1
	v_lshlrev_b64 v[3:4], 3, v[33:34]
	v_mov_b32_e32 v0, s37
	v_add_co_u32_e64 v3, s[4:5], s36, v3
	v_addc_co_u32_e64 v4, s[4:5], v0, v4, s[4:5]
	global_load_dwordx2 v[25:26], v[3:4], off
	s_or_b64 exec, exec, s[6:7]
	s_and_saveexec_b64 s[46:47], vcc
	s_cbranch_execz .LBB216_17
.LBB216_21:                             ;   in Loop: Header=BB216_9 Depth=1
	s_waitcnt vmcnt(0)
	v_xor_b32_e32 v0, 0x80000000, v2
	s_getpc_b64 s[4:5]
	s_add_u32 s4, s4, _ZN6thrust23THRUST_200600_302600_NS6detail7complex6ccoshfERKNS0_7complexIfEE@rel32@lo+4
	s_addc_u32 s5, s5, _ZN6thrust23THRUST_200600_302600_NS6detail7complex6ccoshfERKNS0_7complexIfEE@rel32@hi+12
	s_swappc_b64 s[30:31], s[4:5]
	v_lshlrev_b64 v[2:3], 3, v[27:28]
	v_mov_b32_e32 v4, s39
	v_add_co_u32_e32 v2, vcc, s38, v2
	v_addc_co_u32_e32 v3, vcc, v4, v3, vcc
	global_store_dwordx2 v[2:3], v[0:1], off
	s_or_b64 exec, exec, s[46:47]
	s_and_saveexec_b64 s[46:47], s[26:27]
	s_cbranch_execz .LBB216_18
.LBB216_22:                             ;   in Loop: Header=BB216_9 Depth=1
	s_waitcnt vmcnt(0)
	v_xor_b32_e32 v0, 0x80000000, v24
	s_getpc_b64 s[4:5]
	s_add_u32 s4, s4, _ZN6thrust23THRUST_200600_302600_NS6detail7complex6ccoshfERKNS0_7complexIfEE@rel32@lo+4
	s_addc_u32 s5, s5, _ZN6thrust23THRUST_200600_302600_NS6detail7complex6ccoshfERKNS0_7complexIfEE@rel32@hi+12
	v_mov_b32_e32 v1, v23
	s_swappc_b64 s[30:31], s[4:5]
	v_lshlrev_b64 v[2:3], 3, v[29:30]
	v_mov_b32_e32 v4, s39
	v_add_co_u32_e32 v2, vcc, s38, v2
	v_addc_co_u32_e32 v3, vcc, v4, v3, vcc
	global_store_dwordx2 v[2:3], v[0:1], off
	s_or_b64 exec, exec, s[46:47]
	s_and_saveexec_b64 s[26:27], s[28:29]
	s_cbranch_execz .LBB216_19
.LBB216_23:                             ;   in Loop: Header=BB216_9 Depth=1
	s_waitcnt vmcnt(0)
	v_xor_b32_e32 v0, 0x80000000, v22
	s_getpc_b64 s[4:5]
	s_add_u32 s4, s4, _ZN6thrust23THRUST_200600_302600_NS6detail7complex6ccoshfERKNS0_7complexIfEE@rel32@lo+4
	s_addc_u32 s5, s5, _ZN6thrust23THRUST_200600_302600_NS6detail7complex6ccoshfERKNS0_7complexIfEE@rel32@hi+12
	v_mov_b32_e32 v1, v21
	s_swappc_b64 s[30:31], s[4:5]
	v_lshlrev_b64 v[2:3], 3, v[31:32]
	v_mov_b32_e32 v4, s39
	v_add_co_u32_e32 v2, vcc, s38, v2
	v_addc_co_u32_e32 v3, vcc, v4, v3, vcc
	global_store_dwordx2 v[2:3], v[0:1], off
	s_or_b64 exec, exec, s[26:27]
	s_and_saveexec_b64 s[26:27], s[34:35]
	s_cbranch_execz .LBB216_8
.LBB216_24:                             ;   in Loop: Header=BB216_9 Depth=1
	s_waitcnt vmcnt(0)
	v_xor_b32_e32 v0, 0x80000000, v26
	s_getpc_b64 s[4:5]
	s_add_u32 s4, s4, _ZN6thrust23THRUST_200600_302600_NS6detail7complex6ccoshfERKNS0_7complexIfEE@rel32@lo+4
	s_addc_u32 s5, s5, _ZN6thrust23THRUST_200600_302600_NS6detail7complex6ccoshfERKNS0_7complexIfEE@rel32@hi+12
	v_mov_b32_e32 v1, v25
	s_swappc_b64 s[30:31], s[4:5]
	v_lshlrev_b64 v[2:3], 3, v[33:34]
	v_mov_b32_e32 v4, s39
	v_add_co_u32_e32 v2, vcc, s38, v2
	v_addc_co_u32_e32 v3, vcc, v4, v3, vcc
	global_store_dwordx2 v[2:3], v[0:1], off
	s_branch .LBB216_8
.LBB216_25:
	s_endpgm
	.section	.rodata,"a",@progbits
	.p2align	6, 0x0
	.amdhsa_kernel _ZN2at6native12_GLOBAL__N_125multi_tensor_apply_kernelINS1_18TensorListMetadataILi2EEENS1_14UnaryOpFunctorIN3c107complexIfEELi2ELi1ELi1EEEJNS0_3CosIS8_EEEEEvT_T0_DpT1_
		.amdhsa_group_segment_fixed_size 0
		.amdhsa_private_segment_fixed_size 0
		.amdhsa_kernarg_size 3408
		.amdhsa_user_sgpr_count 6
		.amdhsa_user_sgpr_private_segment_buffer 1
		.amdhsa_user_sgpr_dispatch_ptr 0
		.amdhsa_user_sgpr_queue_ptr 0
		.amdhsa_user_sgpr_kernarg_segment_ptr 1
		.amdhsa_user_sgpr_dispatch_id 0
		.amdhsa_user_sgpr_flat_scratch_init 0
		.amdhsa_user_sgpr_private_segment_size 0
		.amdhsa_uses_dynamic_stack 0
		.amdhsa_system_sgpr_private_segment_wavefront_offset 0
		.amdhsa_system_sgpr_workgroup_id_x 1
		.amdhsa_system_sgpr_workgroup_id_y 0
		.amdhsa_system_sgpr_workgroup_id_z 0
		.amdhsa_system_sgpr_workgroup_info 0
		.amdhsa_system_vgpr_workitem_id 0
		.amdhsa_next_free_vgpr 35
		.amdhsa_next_free_sgpr 52
		.amdhsa_reserve_vcc 1
		.amdhsa_reserve_flat_scratch 0
		.amdhsa_float_round_mode_32 0
		.amdhsa_float_round_mode_16_64 0
		.amdhsa_float_denorm_mode_32 3
		.amdhsa_float_denorm_mode_16_64 3
		.amdhsa_dx10_clamp 1
		.amdhsa_ieee_mode 1
		.amdhsa_fp16_overflow 0
		.amdhsa_exception_fp_ieee_invalid_op 0
		.amdhsa_exception_fp_denorm_src 0
		.amdhsa_exception_fp_ieee_div_zero 0
		.amdhsa_exception_fp_ieee_overflow 0
		.amdhsa_exception_fp_ieee_underflow 0
		.amdhsa_exception_fp_ieee_inexact 0
		.amdhsa_exception_int_div_zero 0
	.end_amdhsa_kernel
	.section	.text._ZN2at6native12_GLOBAL__N_125multi_tensor_apply_kernelINS1_18TensorListMetadataILi2EEENS1_14UnaryOpFunctorIN3c107complexIfEELi2ELi1ELi1EEEJNS0_3CosIS8_EEEEEvT_T0_DpT1_,"axG",@progbits,_ZN2at6native12_GLOBAL__N_125multi_tensor_apply_kernelINS1_18TensorListMetadataILi2EEENS1_14UnaryOpFunctorIN3c107complexIfEELi2ELi1ELi1EEEJNS0_3CosIS8_EEEEEvT_T0_DpT1_,comdat
.Lfunc_end216:
	.size	_ZN2at6native12_GLOBAL__N_125multi_tensor_apply_kernelINS1_18TensorListMetadataILi2EEENS1_14UnaryOpFunctorIN3c107complexIfEELi2ELi1ELi1EEEJNS0_3CosIS8_EEEEEvT_T0_DpT1_, .Lfunc_end216-_ZN2at6native12_GLOBAL__N_125multi_tensor_apply_kernelINS1_18TensorListMetadataILi2EEENS1_14UnaryOpFunctorIN3c107complexIfEELi2ELi1ELi1EEEJNS0_3CosIS8_EEEEEvT_T0_DpT1_
                                        ; -- End function
	.set _ZN2at6native12_GLOBAL__N_125multi_tensor_apply_kernelINS1_18TensorListMetadataILi2EEENS1_14UnaryOpFunctorIN3c107complexIfEELi2ELi1ELi1EEEJNS0_3CosIS8_EEEEEvT_T0_DpT1_.num_vgpr, max(35, .L_ZN6thrust23THRUST_200600_302600_NS6detail7complex6ccoshfERKNS0_7complexIfEE.num_vgpr)
	.set _ZN2at6native12_GLOBAL__N_125multi_tensor_apply_kernelINS1_18TensorListMetadataILi2EEENS1_14UnaryOpFunctorIN3c107complexIfEELi2ELi1ELi1EEEJNS0_3CosIS8_EEEEEvT_T0_DpT1_.num_agpr, max(0, .L_ZN6thrust23THRUST_200600_302600_NS6detail7complex6ccoshfERKNS0_7complexIfEE.num_agpr)
	.set _ZN2at6native12_GLOBAL__N_125multi_tensor_apply_kernelINS1_18TensorListMetadataILi2EEENS1_14UnaryOpFunctorIN3c107complexIfEELi2ELi1ELi1EEEJNS0_3CosIS8_EEEEEvT_T0_DpT1_.numbered_sgpr, max(52, .L_ZN6thrust23THRUST_200600_302600_NS6detail7complex6ccoshfERKNS0_7complexIfEE.numbered_sgpr)
	.set _ZN2at6native12_GLOBAL__N_125multi_tensor_apply_kernelINS1_18TensorListMetadataILi2EEENS1_14UnaryOpFunctorIN3c107complexIfEELi2ELi1ELi1EEEJNS0_3CosIS8_EEEEEvT_T0_DpT1_.num_named_barrier, max(0, .L_ZN6thrust23THRUST_200600_302600_NS6detail7complex6ccoshfERKNS0_7complexIfEE.num_named_barrier)
	.set _ZN2at6native12_GLOBAL__N_125multi_tensor_apply_kernelINS1_18TensorListMetadataILi2EEENS1_14UnaryOpFunctorIN3c107complexIfEELi2ELi1ELi1EEEJNS0_3CosIS8_EEEEEvT_T0_DpT1_.private_seg_size, 0+max(.L_ZN6thrust23THRUST_200600_302600_NS6detail7complex6ccoshfERKNS0_7complexIfEE.private_seg_size)
	.set _ZN2at6native12_GLOBAL__N_125multi_tensor_apply_kernelINS1_18TensorListMetadataILi2EEENS1_14UnaryOpFunctorIN3c107complexIfEELi2ELi1ELi1EEEJNS0_3CosIS8_EEEEEvT_T0_DpT1_.uses_vcc, or(1, .L_ZN6thrust23THRUST_200600_302600_NS6detail7complex6ccoshfERKNS0_7complexIfEE.uses_vcc)
	.set _ZN2at6native12_GLOBAL__N_125multi_tensor_apply_kernelINS1_18TensorListMetadataILi2EEENS1_14UnaryOpFunctorIN3c107complexIfEELi2ELi1ELi1EEEJNS0_3CosIS8_EEEEEvT_T0_DpT1_.uses_flat_scratch, or(0, .L_ZN6thrust23THRUST_200600_302600_NS6detail7complex6ccoshfERKNS0_7complexIfEE.uses_flat_scratch)
	.set _ZN2at6native12_GLOBAL__N_125multi_tensor_apply_kernelINS1_18TensorListMetadataILi2EEENS1_14UnaryOpFunctorIN3c107complexIfEELi2ELi1ELi1EEEJNS0_3CosIS8_EEEEEvT_T0_DpT1_.has_dyn_sized_stack, or(0, .L_ZN6thrust23THRUST_200600_302600_NS6detail7complex6ccoshfERKNS0_7complexIfEE.has_dyn_sized_stack)
	.set _ZN2at6native12_GLOBAL__N_125multi_tensor_apply_kernelINS1_18TensorListMetadataILi2EEENS1_14UnaryOpFunctorIN3c107complexIfEELi2ELi1ELi1EEEJNS0_3CosIS8_EEEEEvT_T0_DpT1_.has_recursion, or(0, .L_ZN6thrust23THRUST_200600_302600_NS6detail7complex6ccoshfERKNS0_7complexIfEE.has_recursion)
	.set _ZN2at6native12_GLOBAL__N_125multi_tensor_apply_kernelINS1_18TensorListMetadataILi2EEENS1_14UnaryOpFunctorIN3c107complexIfEELi2ELi1ELi1EEEJNS0_3CosIS8_EEEEEvT_T0_DpT1_.has_indirect_call, or(0, .L_ZN6thrust23THRUST_200600_302600_NS6detail7complex6ccoshfERKNS0_7complexIfEE.has_indirect_call)
	.section	.AMDGPU.csdata,"",@progbits
; Kernel info:
; codeLenInByte = 1356
; TotalNumSgprs: 56
; NumVgprs: 35
; ScratchSize: 0
; MemoryBound: 0
; FloatMode: 240
; IeeeMode: 1
; LDSByteSize: 0 bytes/workgroup (compile time only)
; SGPRBlocks: 6
; VGPRBlocks: 8
; NumSGPRsForWavesPerEU: 56
; NumVGPRsForWavesPerEU: 35
; Occupancy: 7
; WaveLimiterHint : 0
; COMPUTE_PGM_RSRC2:SCRATCH_EN: 0
; COMPUTE_PGM_RSRC2:USER_SGPR: 6
; COMPUTE_PGM_RSRC2:TRAP_HANDLER: 0
; COMPUTE_PGM_RSRC2:TGID_X_EN: 1
; COMPUTE_PGM_RSRC2:TGID_Y_EN: 0
; COMPUTE_PGM_RSRC2:TGID_Z_EN: 0
; COMPUTE_PGM_RSRC2:TIDIG_COMP_CNT: 0
	.section	.text._ZN2at6native12_GLOBAL__N_125multi_tensor_apply_kernelINS1_18TensorListMetadataILi2EEENS1_14UnaryOpFunctorIN3c104HalfELi2ELi1ELi1EEEJNS0_3CosIfEEEEEvT_T0_DpT1_,"axG",@progbits,_ZN2at6native12_GLOBAL__N_125multi_tensor_apply_kernelINS1_18TensorListMetadataILi2EEENS1_14UnaryOpFunctorIN3c104HalfELi2ELi1ELi1EEEJNS0_3CosIfEEEEEvT_T0_DpT1_,comdat
	.globl	_ZN2at6native12_GLOBAL__N_125multi_tensor_apply_kernelINS1_18TensorListMetadataILi2EEENS1_14UnaryOpFunctorIN3c104HalfELi2ELi1ELi1EEEJNS0_3CosIfEEEEEvT_T0_DpT1_ ; -- Begin function _ZN2at6native12_GLOBAL__N_125multi_tensor_apply_kernelINS1_18TensorListMetadataILi2EEENS1_14UnaryOpFunctorIN3c104HalfELi2ELi1ELi1EEEJNS0_3CosIfEEEEEvT_T0_DpT1_
	.p2align	8
	.type	_ZN2at6native12_GLOBAL__N_125multi_tensor_apply_kernelINS1_18TensorListMetadataILi2EEENS1_14UnaryOpFunctorIN3c104HalfELi2ELi1ELi1EEEJNS0_3CosIfEEEEEvT_T0_DpT1_,@function
_ZN2at6native12_GLOBAL__N_125multi_tensor_apply_kernelINS1_18TensorListMetadataILi2EEENS1_14UnaryOpFunctorIN3c104HalfELi2ELi1ELi1EEEJNS0_3CosIfEEEEEvT_T0_DpT1_: ; @_ZN2at6native12_GLOBAL__N_125multi_tensor_apply_kernelINS1_18TensorListMetadataILi2EEENS1_14UnaryOpFunctorIN3c104HalfELi2ELi1ELi1EEEJNS0_3CosIfEEEEEvT_T0_DpT1_
; %bb.0:
	v_mov_b32_e32 v1, s6
	global_load_ubyte v1, v1, s[4:5] offset:1536
	s_add_u32 s0, s4, s6
	s_mul_hi_u32 s2, s6, 3
	s_mul_i32 s6, s6, 3
	s_addc_u32 s7, s5, 0
	s_add_u32 s6, s0, s6
	s_addc_u32 s7, s7, s2
	s_load_dword s6, s[6:7], 0x740
	s_mov_b32 s1, 0
	s_mov_b32 s3, s1
	s_waitcnt lgkmcnt(0)
	s_ashr_i32 s7, s6, 31
	s_lshl_b64 s[14:15], s[6:7], 17
	s_lshl_b64 s[6:7], s[6:7], 16
	s_waitcnt vmcnt(0)
	v_readfirstlane_b32 s0, v1
	s_lshl_b32 s0, s0, 3
	s_load_dwordx2 s[16:17], s[4:5], s0 offset:0x400
	s_load_dwordx2 s[10:11], s[4:5], s0 offset:0x0
	;; [unrolled: 1-line block ×3, first 2 shown]
	s_waitcnt lgkmcnt(0)
	s_add_u32 s0, s10, s14
	s_and_b32 s2, s8, 7
	s_and_b32 s0, s0, 7
	s_sub_u32 s12, s16, s6
	s_subb_u32 s13, s17, s7
	s_and_b32 s6, s16, 3
	s_mov_b32 s7, s1
	s_or_b64 s[2:3], s[2:3], s[6:7]
	s_or_b64 s[0:1], s[2:3], s[0:1]
	s_cmp_eq_u64 s[0:1], 0
	s_mov_b64 s[0:1], -1
	s_cbranch_scc0 .LBB217_21
; %bb.1:
	v_mov_b32_e32 v1, 0x10000
	v_mov_b32_e32 v2, 0
	v_cmp_lt_i64_e32 vcc, s[12:13], v[1:2]
	v_mov_b32_e32 v2, 0
	s_and_b64 s[0:1], vcc, exec
	s_cselect_b32 s17, s13, 0
	s_cselect_b32 s16, s12, 0x10000
	v_lshlrev_b32_e32 v1, 2, v0
	v_cmp_gt_i64_e32 vcc, s[16:17], v[1:2]
	s_and_saveexec_b64 s[18:19], vcc
	s_cbranch_execz .LBB217_20
; %bb.2:
	s_load_dword s0, s[4:5], 0xc5c
	v_lshlrev_b32_e32 v3, 3, v0
	v_mov_b32_e32 v1, v2
	v_mov_b32_e32 v4, s15
	v_add_co_u32_e32 v7, vcc, s14, v3
	s_waitcnt lgkmcnt(0)
	s_and_b32 s24, s0, 0xffff
	v_addc_co_u32_e32 v8, vcc, 0, v4, vcc
	v_mov_b32_e32 v4, v1
	s_lshl_b32 s25, s24, 3
	s_mov_b64 s[20:21], 0
	v_mov_b32_e32 v9, s11
	s_brev_b32 s26, 18
	s_mov_b32 s27, 0xfe5163ab
	s_mov_b32 s28, 0x3c439041
	;; [unrolled: 1-line block ×8, first 2 shown]
	v_mov_b32_e32 v10, 0xbe2aaa9d
	v_mov_b32_e32 v11, 0x3d2aabf7
	;; [unrolled: 1-line block ×3, first 2 shown]
	s_movk_i32 s36, 0x1f8
	v_not_b32_e32 v13, 63
	v_not_b32_e32 v14, 31
	v_mov_b32_e32 v15, 0x7e00
	v_mov_b32_e32 v3, v0
	s_branch .LBB217_4
.LBB217_3:                              ;   in Loop: Header=BB217_4 Depth=1
	s_or_b64 exec, exec, s[0:1]
	v_mul_f32_e32 v23, v20, v20
	v_mov_b32_e32 v24, 0x3c0881c4
	v_fmac_f32_e32 v24, 0xb94c1982, v23
	v_fma_f32 v24, v23, v24, v10
	v_mul_f32_e32 v24, v23, v24
	v_fmac_f32_e32 v20, v20, v24
	v_mov_b32_e32 v24, 0xbab64f3b
	v_fmac_f32_e32 v24, 0x37d75334, v23
	v_fma_f32 v24, v23, v24, v11
	v_fma_f32 v24, v23, v24, v12
	v_fma_f32 v23, v23, v24, 1.0
	v_and_b32_e32 v24, 1, v21
	v_cmp_eq_u32_e32 vcc, 0, v24
	v_lshlrev_b32_e32 v21, 30, v21
	v_cndmask_b32_e64 v20, -v20, v23, vcc
	v_and_b32_e32 v21, 0x80000000, v21
	v_xor_b32_e32 v20, v21, v20
	v_mul_f32_e32 v21, v18, v18
	v_mov_b32_e32 v23, 0x3c0881c4
	v_fmac_f32_e32 v23, 0xb94c1982, v21
	v_fma_f32 v23, v21, v23, v10
	v_mul_f32_e32 v23, v21, v23
	v_fmac_f32_e32 v18, v18, v23
	v_mov_b32_e32 v23, 0xbab64f3b
	v_fmac_f32_e32 v23, 0x37d75334, v21
	v_fma_f32 v23, v21, v23, v11
	v_fma_f32 v23, v21, v23, v12
	v_fma_f32 v21, v21, v23, 1.0
	v_and_b32_e32 v23, 1, v19
	v_cmp_eq_u32_e32 vcc, 0, v23
	v_lshlrev_b32_e32 v19, 30, v19
	v_cndmask_b32_e64 v18, -v18, v21, vcc
	v_and_b32_e32 v19, 0x80000000, v19
	v_cvt_f16_f32_e32 v20, v20
	v_xor_b32_e32 v18, v19, v18
	v_cvt_f16_f32_e32 v18, v18
	v_cmp_class_f16_e64 vcc, v6, s36
	v_cndmask_b32_e32 v19, v15, v20, vcc
	v_cmp_class_f16_sdwa s[0:1], v5, s36 src0_sel:WORD_1 src1_sel:DWORD
	v_cndmask_b32_e64 v20, v15, v18, s[0:1]
	v_mul_f32_e32 v18, v16, v16
	v_mov_b32_e32 v21, 0x3c0881c4
	v_fmac_f32_e32 v21, 0xb94c1982, v18
	v_fma_f32 v21, v18, v21, v10
	v_mul_f32_e32 v21, v18, v21
	v_fmac_f32_e32 v16, v16, v21
	v_mov_b32_e32 v21, 0xbab64f3b
	v_fmac_f32_e32 v21, 0x37d75334, v18
	v_fma_f32 v21, v18, v21, v11
	v_fma_f32 v21, v18, v21, v12
	v_fma_f32 v18, v18, v21, 1.0
	v_and_b32_e32 v21, 1, v17
	v_cmp_eq_u32_e32 vcc, 0, v21
	v_lshlrev_b32_e32 v17, 30, v17
	v_cndmask_b32_e64 v16, -v16, v18, vcc
	v_and_b32_e32 v17, 0x80000000, v17
	v_xor_b32_e32 v16, v17, v16
	v_mul_f32_e32 v17, v22, v22
	v_mov_b32_e32 v18, 0x3c0881c4
	v_fmac_f32_e32 v18, 0xb94c1982, v17
	v_fma_f32 v18, v17, v18, v10
	v_mul_f32_e32 v18, v17, v18
	v_fmac_f32_e32 v22, v22, v18
	v_mov_b32_e32 v18, 0xbab64f3b
	v_fmac_f32_e32 v18, 0x37d75334, v17
	v_fma_f32 v18, v17, v18, v11
	v_fma_f32 v18, v17, v18, v12
	v_cvt_f16_f32_e32 v16, v16
	v_fma_f32 v17, v17, v18, 1.0
	v_and_b32_e32 v18, 1, v1
	v_cmp_eq_u32_e32 vcc, 0, v18
	v_lshlrev_b32_e32 v1, 30, v1
	v_cndmask_b32_e64 v17, -v22, v17, vcc
	v_and_b32_e32 v1, 0x80000000, v1
	v_xor_b32_e32 v1, v1, v17
	v_cmp_class_f16_e64 vcc, v5, s36
	v_cvt_f16_f32_e32 v1, v1
	v_cndmask_b32_e32 v16, v15, v16, vcc
	v_cmp_class_f16_sdwa s[0:1], v6, s36 src0_sel:WORD_1 src1_sel:DWORD
	v_mov_b32_e32 v6, s9
	v_add_co_u32_e32 v5, vcc, s8, v7
	v_addc_co_u32_e32 v6, vcc, v6, v8, vcc
	v_add_co_u32_e32 v3, vcc, s24, v3
	v_cndmask_b32_e64 v1, v15, v1, s[0:1]
	v_addc_co_u32_e32 v4, vcc, 0, v4, vcc
	v_pack_b32_f16 v17, v19, v1
	v_lshlrev_b64 v[18:19], 2, v[3:4]
	v_pack_b32_f16 v16, v16, v20
	v_cmp_le_i64_e32 vcc, s[16:17], v[18:19]
	global_store_dwordx2 v[5:6], v[16:17], off
	s_or_b64 s[20:21], vcc, s[20:21]
	v_add_co_u32_e32 v7, vcc, s25, v7
	v_addc_co_u32_e32 v8, vcc, 0, v8, vcc
	s_andn2_b64 exec, exec, s[20:21]
	s_cbranch_execz .LBB217_20
.LBB217_4:                              ; =>This Inner Loop Header: Depth=1
	v_add_co_u32_e32 v5, vcc, s10, v7
	v_addc_co_u32_e32 v6, vcc, v9, v8, vcc
	global_load_dwordx2 v[5:6], v[5:6], off
                                        ; implicit-def: $vgpr17
	s_waitcnt vmcnt(0)
	v_cvt_f32_f16_e64 v16, |v5|
	v_cmp_ngt_f32_e32 vcc, s26, v16
	s_and_saveexec_b64 s[0:1], vcc
	s_xor_b64 s[22:23], exec, s[0:1]
	s_cbranch_execz .LBB217_6
; %bb.5:                                ;   in Loop: Header=BB217_4 Depth=1
	v_and_b32_e32 v1, 0x7fffff, v16
	v_or_b32_e32 v24, 0x800000, v1
	v_mad_u64_u32 v[17:18], s[0:1], v24, s27, 0
	v_mov_b32_e32 v1, v18
	v_mad_u64_u32 v[18:19], s[0:1], v24, s28, v[1:2]
	v_mov_b32_e32 v1, v19
	;; [unrolled: 2-line block ×3, first 2 shown]
	v_mad_u64_u32 v[20:21], s[0:1], v24, s30, v[1:2]
	v_lshrrev_b32_e32 v1, 23, v16
	v_add_u32_e32 v16, 0xffffff88, v1
	v_mov_b32_e32 v1, v21
	v_mad_u64_u32 v[21:22], s[0:1], v24, s31, v[1:2]
	v_cmp_lt_u32_e32 vcc, 63, v16
	v_cndmask_b32_e32 v1, 0, v13, vcc
	v_add_u32_e32 v16, v1, v16
	v_mov_b32_e32 v1, v22
	v_mad_u64_u32 v[22:23], s[0:1], v24, s33, v[1:2]
	v_cmp_lt_u32_e64 s[0:1], 31, v16
	v_cndmask_b32_e64 v1, 0, v14, s[0:1]
	v_add_u32_e32 v16, v1, v16
	v_mov_b32_e32 v1, v23
	v_mad_u64_u32 v[23:24], s[2:3], v24, s34, v[1:2]
	v_cmp_lt_u32_e64 s[2:3], 31, v16
	v_cndmask_b32_e64 v1, 0, v14, s[2:3]
	v_add_u32_e32 v1, v1, v16
	v_cndmask_b32_e32 v16, v22, v20, vcc
	v_cndmask_b32_e32 v23, v23, v21, vcc
	;; [unrolled: 1-line block ×4, first 2 shown]
	v_cndmask_b32_e64 v24, v23, v16, s[0:1]
	v_cndmask_b32_e64 v22, v22, v23, s[0:1]
	;; [unrolled: 1-line block ×3, first 2 shown]
	v_cndmask_b32_e32 v18, v20, v18, vcc
	v_cndmask_b32_e64 v22, v22, v24, s[2:3]
	v_cndmask_b32_e64 v23, v24, v16, s[2:3]
	v_sub_u32_e32 v24, 32, v1
	v_cndmask_b32_e64 v20, v21, v18, s[0:1]
	v_alignbit_b32 v25, v22, v23, v24
	v_cmp_eq_u32_e64 s[6:7], 0, v1
	v_cndmask_b32_e64 v16, v16, v20, s[2:3]
	v_cndmask_b32_e64 v1, v25, v22, s[6:7]
	v_alignbit_b32 v21, v23, v16, v24
	v_cndmask_b32_e32 v17, v19, v17, vcc
	v_cndmask_b32_e64 v21, v21, v23, s[6:7]
	v_bfe_u32 v25, v1, 29, 1
	v_cndmask_b32_e64 v17, v18, v17, s[0:1]
	v_alignbit_b32 v22, v1, v21, 30
	v_sub_u32_e32 v26, 0, v25
	v_cndmask_b32_e64 v17, v20, v17, s[2:3]
	v_xor_b32_e32 v22, v22, v26
	v_alignbit_b32 v18, v16, v17, v24
	v_cndmask_b32_e64 v16, v18, v16, s[6:7]
	v_ffbh_u32_e32 v19, v22
	v_alignbit_b32 v18, v21, v16, 30
	v_min_u32_e32 v19, 32, v19
	v_alignbit_b32 v16, v16, v17, 30
	v_xor_b32_e32 v18, v18, v26
	v_sub_u32_e32 v20, 31, v19
	v_xor_b32_e32 v16, v16, v26
	v_alignbit_b32 v21, v22, v18, v20
	v_alignbit_b32 v16, v18, v16, v20
	;; [unrolled: 1-line block ×3, first 2 shown]
	v_ffbh_u32_e32 v18, v17
	v_min_u32_e32 v18, 32, v18
	v_lshrrev_b32_e32 v23, 29, v1
	v_not_b32_e32 v20, v18
	v_alignbit_b32 v16, v17, v16, v20
	v_lshlrev_b32_e32 v17, 31, v23
	v_or_b32_e32 v20, 0x33000000, v17
	v_add_lshl_u32 v18, v18, v19, 23
	v_lshrrev_b32_e32 v16, 9, v16
	v_sub_u32_e32 v18, v20, v18
	v_or_b32_e32 v17, 0.5, v17
	v_lshlrev_b32_e32 v19, 23, v19
	v_or_b32_e32 v16, v18, v16
	v_lshrrev_b32_e32 v18, 9, v21
	v_sub_u32_e32 v17, v17, v19
	v_or_b32_e32 v17, v18, v17
	v_mul_f32_e32 v18, 0x3fc90fda, v17
	v_fma_f32 v19, v17, s35, -v18
	v_fmac_f32_e32 v19, 0x33a22168, v17
	v_fmac_f32_e32 v19, 0x3fc90fda, v16
	v_lshrrev_b32_e32 v1, 30, v1
	v_add_f32_e32 v16, v18, v19
	v_add_u32_e32 v17, v25, v1
.LBB217_6:                              ;   in Loop: Header=BB217_4 Depth=1
	s_andn2_saveexec_b64 s[0:1], s[22:23]
; %bb.7:                                ;   in Loop: Header=BB217_4 Depth=1
	v_mul_f32_e32 v1, 0x3f22f983, v16
	v_rndne_f32_e32 v1, v1
	v_cvt_i32_f32_e32 v17, v1
	v_fmac_f32_e32 v16, 0xbfc90fda, v1
	v_fmac_f32_e32 v16, 0xb3a22168, v1
	v_fmac_f32_e32 v16, 0xa7c234c4, v1
; %bb.8:                                ;   in Loop: Header=BB217_4 Depth=1
	s_or_b64 exec, exec, s[0:1]
	v_cvt_f32_f16_sdwa v18, |v5| dst_sel:DWORD dst_unused:UNUSED_PAD src0_sel:WORD_1
                                        ; implicit-def: $vgpr19
	v_cmp_ngt_f32_e32 vcc, s26, v18
	s_and_saveexec_b64 s[0:1], vcc
	s_xor_b64 s[22:23], exec, s[0:1]
	s_cbranch_execz .LBB217_10
; %bb.9:                                ;   in Loop: Header=BB217_4 Depth=1
	v_and_b32_e32 v1, 0x7fffff, v18
	v_or_b32_e32 v26, 0x800000, v1
	v_mad_u64_u32 v[19:20], s[0:1], v26, s27, 0
	v_mov_b32_e32 v1, v20
	v_mad_u64_u32 v[20:21], s[0:1], v26, s28, v[1:2]
	v_mov_b32_e32 v1, v21
	;; [unrolled: 2-line block ×3, first 2 shown]
	v_mad_u64_u32 v[22:23], s[0:1], v26, s30, v[1:2]
	v_lshrrev_b32_e32 v1, 23, v18
	v_add_u32_e32 v18, 0xffffff88, v1
	v_mov_b32_e32 v1, v23
	v_mad_u64_u32 v[23:24], s[0:1], v26, s31, v[1:2]
	v_cmp_lt_u32_e32 vcc, 63, v18
	v_cndmask_b32_e32 v1, 0, v13, vcc
	v_add_u32_e32 v18, v1, v18
	v_mov_b32_e32 v1, v24
	v_mad_u64_u32 v[24:25], s[0:1], v26, s33, v[1:2]
	v_cmp_lt_u32_e64 s[0:1], 31, v18
	v_cndmask_b32_e64 v1, 0, v14, s[0:1]
	v_add_u32_e32 v18, v1, v18
	v_mov_b32_e32 v1, v25
	v_mad_u64_u32 v[25:26], s[2:3], v26, s34, v[1:2]
	v_cmp_lt_u32_e64 s[2:3], 31, v18
	v_cndmask_b32_e64 v1, 0, v14, s[2:3]
	v_add_u32_e32 v1, v1, v18
	v_cndmask_b32_e32 v18, v24, v22, vcc
	v_cndmask_b32_e32 v25, v25, v23, vcc
	v_cndmask_b32_e32 v24, v26, v24, vcc
	v_cndmask_b32_e32 v23, v23, v21, vcc
	v_cndmask_b32_e64 v26, v25, v18, s[0:1]
	v_cndmask_b32_e64 v24, v24, v25, s[0:1]
	;; [unrolled: 1-line block ×3, first 2 shown]
	v_cndmask_b32_e32 v20, v22, v20, vcc
	v_cndmask_b32_e64 v24, v24, v26, s[2:3]
	v_cndmask_b32_e64 v25, v26, v18, s[2:3]
	v_sub_u32_e32 v26, 32, v1
	v_cndmask_b32_e64 v22, v23, v20, s[0:1]
	v_alignbit_b32 v27, v24, v25, v26
	v_cmp_eq_u32_e64 s[6:7], 0, v1
	v_cndmask_b32_e64 v18, v18, v22, s[2:3]
	v_cndmask_b32_e64 v1, v27, v24, s[6:7]
	v_alignbit_b32 v23, v25, v18, v26
	v_cndmask_b32_e32 v19, v21, v19, vcc
	v_cndmask_b32_e64 v23, v23, v25, s[6:7]
	v_bfe_u32 v27, v1, 29, 1
	v_cndmask_b32_e64 v19, v20, v19, s[0:1]
	v_alignbit_b32 v24, v1, v23, 30
	v_sub_u32_e32 v28, 0, v27
	v_cndmask_b32_e64 v19, v22, v19, s[2:3]
	v_xor_b32_e32 v24, v24, v28
	v_alignbit_b32 v20, v18, v19, v26
	v_cndmask_b32_e64 v18, v20, v18, s[6:7]
	v_ffbh_u32_e32 v21, v24
	v_alignbit_b32 v20, v23, v18, 30
	v_min_u32_e32 v21, 32, v21
	v_alignbit_b32 v18, v18, v19, 30
	v_xor_b32_e32 v20, v20, v28
	v_sub_u32_e32 v22, 31, v21
	v_xor_b32_e32 v18, v18, v28
	v_alignbit_b32 v23, v24, v20, v22
	v_alignbit_b32 v18, v20, v18, v22
	;; [unrolled: 1-line block ×3, first 2 shown]
	v_ffbh_u32_e32 v20, v19
	v_min_u32_e32 v20, 32, v20
	v_lshrrev_b32_e32 v25, 29, v1
	v_not_b32_e32 v22, v20
	v_alignbit_b32 v18, v19, v18, v22
	v_lshlrev_b32_e32 v19, 31, v25
	v_or_b32_e32 v22, 0x33000000, v19
	v_add_lshl_u32 v20, v20, v21, 23
	v_lshrrev_b32_e32 v18, 9, v18
	v_sub_u32_e32 v20, v22, v20
	v_or_b32_e32 v19, 0.5, v19
	v_lshlrev_b32_e32 v21, 23, v21
	v_or_b32_e32 v18, v20, v18
	v_lshrrev_b32_e32 v20, 9, v23
	v_sub_u32_e32 v19, v19, v21
	v_or_b32_e32 v19, v20, v19
	v_mul_f32_e32 v20, 0x3fc90fda, v19
	v_fma_f32 v21, v19, s35, -v20
	v_fmac_f32_e32 v21, 0x33a22168, v19
	v_fmac_f32_e32 v21, 0x3fc90fda, v18
	v_lshrrev_b32_e32 v1, 30, v1
	v_add_f32_e32 v18, v20, v21
	v_add_u32_e32 v19, v27, v1
.LBB217_10:                             ;   in Loop: Header=BB217_4 Depth=1
	s_andn2_saveexec_b64 s[0:1], s[22:23]
; %bb.11:                               ;   in Loop: Header=BB217_4 Depth=1
	v_mul_f32_e32 v1, 0x3f22f983, v18
	v_rndne_f32_e32 v1, v1
	v_cvt_i32_f32_e32 v19, v1
	v_fmac_f32_e32 v18, 0xbfc90fda, v1
	v_fmac_f32_e32 v18, 0xb3a22168, v1
	;; [unrolled: 1-line block ×3, first 2 shown]
; %bb.12:                               ;   in Loop: Header=BB217_4 Depth=1
	s_or_b64 exec, exec, s[0:1]
	v_cvt_f32_f16_e64 v20, |v6|
                                        ; implicit-def: $vgpr21
	v_cmp_ngt_f32_e32 vcc, s26, v20
	s_and_saveexec_b64 s[0:1], vcc
	s_xor_b64 s[22:23], exec, s[0:1]
	s_cbranch_execz .LBB217_14
; %bb.13:                               ;   in Loop: Header=BB217_4 Depth=1
	v_and_b32_e32 v1, 0x7fffff, v20
	v_or_b32_e32 v28, 0x800000, v1
	v_mad_u64_u32 v[21:22], s[0:1], v28, s27, 0
	v_mov_b32_e32 v1, v22
	v_mad_u64_u32 v[22:23], s[0:1], v28, s28, v[1:2]
	v_mov_b32_e32 v1, v23
	;; [unrolled: 2-line block ×3, first 2 shown]
	v_mad_u64_u32 v[24:25], s[0:1], v28, s30, v[1:2]
	v_lshrrev_b32_e32 v1, 23, v20
	v_add_u32_e32 v20, 0xffffff88, v1
	v_mov_b32_e32 v1, v25
	v_mad_u64_u32 v[25:26], s[0:1], v28, s31, v[1:2]
	v_cmp_lt_u32_e32 vcc, 63, v20
	v_cndmask_b32_e32 v1, 0, v13, vcc
	v_add_u32_e32 v20, v1, v20
	v_mov_b32_e32 v1, v26
	v_mad_u64_u32 v[26:27], s[0:1], v28, s33, v[1:2]
	v_cmp_lt_u32_e64 s[0:1], 31, v20
	v_cndmask_b32_e64 v1, 0, v14, s[0:1]
	v_add_u32_e32 v20, v1, v20
	v_mov_b32_e32 v1, v27
	v_mad_u64_u32 v[27:28], s[2:3], v28, s34, v[1:2]
	v_cmp_lt_u32_e64 s[2:3], 31, v20
	v_cndmask_b32_e64 v1, 0, v14, s[2:3]
	v_add_u32_e32 v1, v1, v20
	v_cndmask_b32_e32 v20, v26, v24, vcc
	v_cndmask_b32_e32 v27, v27, v25, vcc
	;; [unrolled: 1-line block ×4, first 2 shown]
	v_cndmask_b32_e64 v28, v27, v20, s[0:1]
	v_cndmask_b32_e64 v26, v26, v27, s[0:1]
	;; [unrolled: 1-line block ×3, first 2 shown]
	v_cndmask_b32_e32 v22, v24, v22, vcc
	v_cndmask_b32_e64 v26, v26, v28, s[2:3]
	v_cndmask_b32_e64 v27, v28, v20, s[2:3]
	v_sub_u32_e32 v28, 32, v1
	v_cndmask_b32_e64 v24, v25, v22, s[0:1]
	v_alignbit_b32 v29, v26, v27, v28
	v_cmp_eq_u32_e64 s[6:7], 0, v1
	v_cndmask_b32_e64 v20, v20, v24, s[2:3]
	v_cndmask_b32_e64 v1, v29, v26, s[6:7]
	v_alignbit_b32 v25, v27, v20, v28
	v_cndmask_b32_e32 v21, v23, v21, vcc
	v_cndmask_b32_e64 v25, v25, v27, s[6:7]
	v_bfe_u32 v29, v1, 29, 1
	v_cndmask_b32_e64 v21, v22, v21, s[0:1]
	v_alignbit_b32 v26, v1, v25, 30
	v_sub_u32_e32 v30, 0, v29
	v_cndmask_b32_e64 v21, v24, v21, s[2:3]
	v_xor_b32_e32 v26, v26, v30
	v_alignbit_b32 v22, v20, v21, v28
	v_cndmask_b32_e64 v20, v22, v20, s[6:7]
	v_ffbh_u32_e32 v23, v26
	v_alignbit_b32 v22, v25, v20, 30
	v_min_u32_e32 v23, 32, v23
	v_alignbit_b32 v20, v20, v21, 30
	v_xor_b32_e32 v22, v22, v30
	v_sub_u32_e32 v24, 31, v23
	v_xor_b32_e32 v20, v20, v30
	v_alignbit_b32 v25, v26, v22, v24
	v_alignbit_b32 v20, v22, v20, v24
	;; [unrolled: 1-line block ×3, first 2 shown]
	v_ffbh_u32_e32 v22, v21
	v_min_u32_e32 v22, 32, v22
	v_lshrrev_b32_e32 v27, 29, v1
	v_not_b32_e32 v24, v22
	v_alignbit_b32 v20, v21, v20, v24
	v_lshlrev_b32_e32 v21, 31, v27
	v_or_b32_e32 v24, 0x33000000, v21
	v_add_lshl_u32 v22, v22, v23, 23
	v_lshrrev_b32_e32 v20, 9, v20
	v_sub_u32_e32 v22, v24, v22
	v_or_b32_e32 v21, 0.5, v21
	v_lshlrev_b32_e32 v23, 23, v23
	v_or_b32_e32 v20, v22, v20
	v_lshrrev_b32_e32 v22, 9, v25
	v_sub_u32_e32 v21, v21, v23
	v_or_b32_e32 v21, v22, v21
	v_mul_f32_e32 v22, 0x3fc90fda, v21
	v_fma_f32 v23, v21, s35, -v22
	v_fmac_f32_e32 v23, 0x33a22168, v21
	v_fmac_f32_e32 v23, 0x3fc90fda, v20
	v_lshrrev_b32_e32 v1, 30, v1
	v_add_f32_e32 v20, v22, v23
	v_add_u32_e32 v21, v29, v1
.LBB217_14:                             ;   in Loop: Header=BB217_4 Depth=1
	s_andn2_saveexec_b64 s[0:1], s[22:23]
; %bb.15:                               ;   in Loop: Header=BB217_4 Depth=1
	v_mul_f32_e32 v1, 0x3f22f983, v20
	v_rndne_f32_e32 v1, v1
	v_cvt_i32_f32_e32 v21, v1
	v_fmac_f32_e32 v20, 0xbfc90fda, v1
	v_fmac_f32_e32 v20, 0xb3a22168, v1
	;; [unrolled: 1-line block ×3, first 2 shown]
; %bb.16:                               ;   in Loop: Header=BB217_4 Depth=1
	s_or_b64 exec, exec, s[0:1]
	v_cvt_f32_f16_sdwa v22, |v6| dst_sel:DWORD dst_unused:UNUSED_PAD src0_sel:WORD_1
                                        ; implicit-def: $vgpr1
	v_cmp_ngt_f32_e32 vcc, s26, v22
	s_and_saveexec_b64 s[0:1], vcc
	s_xor_b64 s[22:23], exec, s[0:1]
	s_cbranch_execz .LBB217_18
; %bb.17:                               ;   in Loop: Header=BB217_4 Depth=1
	v_and_b32_e32 v1, 0x7fffff, v22
	v_or_b32_e32 v30, 0x800000, v1
	v_mad_u64_u32 v[23:24], s[0:1], v30, s27, 0
	v_mov_b32_e32 v1, v24
	v_mad_u64_u32 v[24:25], s[0:1], v30, s28, v[1:2]
	v_mov_b32_e32 v1, v25
	;; [unrolled: 2-line block ×3, first 2 shown]
	v_mad_u64_u32 v[26:27], s[0:1], v30, s30, v[1:2]
	v_lshrrev_b32_e32 v1, 23, v22
	v_add_u32_e32 v22, 0xffffff88, v1
	v_mov_b32_e32 v1, v27
	v_mad_u64_u32 v[27:28], s[0:1], v30, s31, v[1:2]
	v_cmp_lt_u32_e32 vcc, 63, v22
	v_cndmask_b32_e32 v1, 0, v13, vcc
	v_add_u32_e32 v22, v1, v22
	v_mov_b32_e32 v1, v28
	v_mad_u64_u32 v[28:29], s[0:1], v30, s33, v[1:2]
	v_cmp_lt_u32_e64 s[0:1], 31, v22
	v_cndmask_b32_e64 v1, 0, v14, s[0:1]
	v_add_u32_e32 v22, v1, v22
	v_mov_b32_e32 v1, v29
	v_mad_u64_u32 v[29:30], s[2:3], v30, s34, v[1:2]
	v_cmp_lt_u32_e64 s[2:3], 31, v22
	v_cndmask_b32_e64 v1, 0, v14, s[2:3]
	v_add_u32_e32 v1, v1, v22
	v_cndmask_b32_e32 v22, v28, v26, vcc
	v_cndmask_b32_e32 v29, v29, v27, vcc
	v_cndmask_b32_e32 v28, v30, v28, vcc
	v_cndmask_b32_e32 v27, v27, v25, vcc
	v_cndmask_b32_e64 v30, v29, v22, s[0:1]
	v_cndmask_b32_e64 v28, v28, v29, s[0:1]
	;; [unrolled: 1-line block ×3, first 2 shown]
	v_cndmask_b32_e32 v24, v26, v24, vcc
	v_cndmask_b32_e64 v28, v28, v30, s[2:3]
	v_cndmask_b32_e64 v29, v30, v22, s[2:3]
	v_sub_u32_e32 v30, 32, v1
	v_cndmask_b32_e64 v26, v27, v24, s[0:1]
	v_alignbit_b32 v31, v28, v29, v30
	v_cmp_eq_u32_e64 s[6:7], 0, v1
	v_cndmask_b32_e64 v22, v22, v26, s[2:3]
	v_cndmask_b32_e64 v1, v31, v28, s[6:7]
	v_alignbit_b32 v27, v29, v22, v30
	v_cndmask_b32_e32 v23, v25, v23, vcc
	v_cndmask_b32_e64 v27, v27, v29, s[6:7]
	v_bfe_u32 v31, v1, 29, 1
	v_cndmask_b32_e64 v23, v24, v23, s[0:1]
	v_alignbit_b32 v28, v1, v27, 30
	v_sub_u32_e32 v32, 0, v31
	v_cndmask_b32_e64 v23, v26, v23, s[2:3]
	v_xor_b32_e32 v28, v28, v32
	v_alignbit_b32 v24, v22, v23, v30
	v_cndmask_b32_e64 v22, v24, v22, s[6:7]
	v_ffbh_u32_e32 v25, v28
	v_alignbit_b32 v24, v27, v22, 30
	v_min_u32_e32 v25, 32, v25
	v_alignbit_b32 v22, v22, v23, 30
	v_xor_b32_e32 v24, v24, v32
	v_sub_u32_e32 v26, 31, v25
	v_xor_b32_e32 v22, v22, v32
	v_alignbit_b32 v27, v28, v24, v26
	v_alignbit_b32 v22, v24, v22, v26
	;; [unrolled: 1-line block ×3, first 2 shown]
	v_ffbh_u32_e32 v24, v23
	v_min_u32_e32 v24, 32, v24
	v_lshrrev_b32_e32 v29, 29, v1
	v_not_b32_e32 v26, v24
	v_alignbit_b32 v22, v23, v22, v26
	v_lshlrev_b32_e32 v23, 31, v29
	v_or_b32_e32 v26, 0x33000000, v23
	v_add_lshl_u32 v24, v24, v25, 23
	v_lshrrev_b32_e32 v22, 9, v22
	v_sub_u32_e32 v24, v26, v24
	v_or_b32_e32 v23, 0.5, v23
	v_lshlrev_b32_e32 v25, 23, v25
	v_or_b32_e32 v22, v24, v22
	v_lshrrev_b32_e32 v24, 9, v27
	v_sub_u32_e32 v23, v23, v25
	v_or_b32_e32 v23, v24, v23
	v_mul_f32_e32 v24, 0x3fc90fda, v23
	v_fma_f32 v25, v23, s35, -v24
	v_fmac_f32_e32 v25, 0x33a22168, v23
	v_fmac_f32_e32 v25, 0x3fc90fda, v22
	v_lshrrev_b32_e32 v1, 30, v1
	v_add_f32_e32 v22, v24, v25
	v_add_u32_e32 v1, v31, v1
.LBB217_18:                             ;   in Loop: Header=BB217_4 Depth=1
	s_andn2_saveexec_b64 s[0:1], s[22:23]
	s_cbranch_execz .LBB217_3
; %bb.19:                               ;   in Loop: Header=BB217_4 Depth=1
	v_mul_f32_e32 v1, 0x3f22f983, v22
	v_rndne_f32_e32 v23, v1
	v_cvt_i32_f32_e32 v1, v23
	v_fmac_f32_e32 v22, 0xbfc90fda, v23
	v_fmac_f32_e32 v22, 0xb3a22168, v23
	v_fmac_f32_e32 v22, 0xa7c234c4, v23
	s_branch .LBB217_3
.LBB217_20:
	s_or_b64 exec, exec, s[18:19]
	s_mov_b64 s[0:1], 0
.LBB217_21:
	s_andn2_b64 vcc, exec, s[0:1]
	s_cbranch_vccnz .LBB217_57
; %bb.22:
	v_cmp_lt_i64_e64 s[0:1], s[12:13], 1
	s_and_b64 vcc, exec, s[0:1]
	s_cbranch_vccnz .LBB217_57
; %bb.23:
	v_mov_b32_e32 v3, 0x10000
	s_load_dword s2, s[4:5], 0xc5c
	v_mov_b32_e32 v4, 0
	v_cmp_lt_i64_e32 vcc, s[12:13], v[3:4]
	v_mov_b32_e32 v2, 0
	s_and_b64 s[0:1], vcc, exec
	v_cmp_lt_u64_e32 vcc, s[12:13], v[3:4]
	s_cselect_b32 s17, s13, 0
	s_cselect_b32 s16, s12, 0x10000
	s_waitcnt lgkmcnt(0)
	s_and_b32 s2, s2, 0xffff
	v_lshlrev_b32_e32 v1, 1, v0
	s_and_b64 s[0:1], vcc, exec
	v_mov_b32_e32 v4, s11
	v_add_co_u32_e32 v3, vcc, s10, v1
	v_mad_u64_u32 v[9:10], s[0:1], s2, 6, v[1:2]
	v_addc_co_u32_e32 v4, vcc, 0, v4, vcc
	v_mov_b32_e32 v6, s9
	v_add_co_u32_e32 v5, vcc, s8, v1
	v_addc_co_u32_e32 v6, vcc, 0, v6, vcc
	v_mov_b32_e32 v8, s11
	v_add_co_u32_e32 v7, vcc, s10, v9
	;; [unrolled: 3-line block ×3, first 2 shown]
	s_cselect_b32 s19, s13, 0
	s_cselect_b32 s18, s12, 0x10000
	s_lshl_b32 s24, s2, 2
	v_addc_co_u32_e32 v10, vcc, v11, v10, vcc
	v_add_co_u32_e32 v1, vcc, s24, v1
	v_addc_co_u32_e64 v14, s[0:1], 0, 0, vcc
	v_mov_b32_e32 v12, s11
	v_add_co_u32_e32 v11, vcc, s10, v1
	v_addc_co_u32_e32 v12, vcc, v12, v14, vcc
	v_mov_b32_e32 v15, s9
	v_add_co_u32_e32 v13, vcc, s8, v1
	v_addc_co_u32_e32 v14, vcc, v15, v14, vcc
	v_add_co_u32_e32 v15, vcc, s2, v0
	v_lshlrev_b32_e32 v1, 1, v15
	v_addc_co_u32_e64 v16, s[0:1], 0, 0, vcc
	v_mov_b32_e32 v18, s11
	v_add_co_u32_e32 v17, vcc, s10, v1
	v_addc_co_u32_e32 v18, vcc, 0, v18, vcc
	v_mov_b32_e32 v20, s9
	v_add_co_u32_e32 v19, vcc, s8, v1
	s_mul_i32 s4, s2, 3
	v_addc_co_u32_e32 v20, vcc, 0, v20, vcc
	s_lshl_b32 s3, s2, 1
	v_add_co_u32_e32 v21, vcc, s4, v0
	v_addc_co_u32_e64 v22, s[0:1], 0, 0, vcc
	v_add_co_u32_e32 v23, vcc, s3, v0
	s_lshl_b32 s25, s2, 3
	s_mov_b64 s[20:21], 0
	s_brev_b32 s26, 18
	s_mov_b32 s27, 0xfe5163ab
	s_mov_b32 s28, 0x3c439041
	;; [unrolled: 1-line block ×8, first 2 shown]
	s_movk_i32 s36, 0x7c00
	v_addc_co_u32_e64 v24, s[0:1], 0, 0, vcc
	v_mov_b32_e32 v25, 0xbe2aaa9d
	v_mov_b32_e32 v26, 0x3d2aabf7
	;; [unrolled: 1-line block ×3, first 2 shown]
	v_not_b32_e32 v28, 63
	v_not_b32_e32 v29, 31
	v_mov_b32_e32 v30, 0x7e00
	s_branch .LBB217_25
.LBB217_24:                             ;   in Loop: Header=BB217_25 Depth=1
	s_or_b64 exec, exec, s[0:1]
	v_add_co_u32_e32 v3, vcc, s25, v3
	v_addc_co_u32_e32 v4, vcc, 0, v4, vcc
	v_add_co_u32_e32 v5, vcc, s25, v5
	v_addc_co_u32_e32 v6, vcc, 0, v6, vcc
	;; [unrolled: 2-line block ×6, first 2 shown]
	s_add_u32 s20, s20, s24
	v_add_co_u32_e32 v17, vcc, s25, v17
	v_mov_b32_e32 v32, s17
	s_addc_u32 s21, s21, 0
	v_addc_co_u32_e32 v18, vcc, 0, v18, vcc
	v_mov_b32_e32 v31, s16
	v_cmp_ge_i64_e32 vcc, s[20:21], v[31:32]
	v_add_co_u32_e64 v19, s[0:1], s25, v19
	v_addc_co_u32_e64 v20, s[0:1], 0, v20, s[0:1]
	s_cbranch_vccnz .LBB217_57
.LBB217_25:                             ; =>This Inner Loop Header: Depth=1
	v_mov_b32_e32 v1, s21
	v_add_co_u32_e32 v31, vcc, s20, v0
	v_addc_co_u32_e32 v32, vcc, 0, v1, vcc
	v_cmp_gt_u64_e64 s[4:5], s[18:19], v[31:32]
	v_mov_b32_e32 v34, 0
	s_and_saveexec_b64 s[0:1], s[4:5]
	s_cbranch_execz .LBB217_27
; %bb.26:                               ;   in Loop: Header=BB217_25 Depth=1
	v_mov_b32_e32 v1, s15
	v_add_co_u32_e32 v31, vcc, s14, v3
	v_addc_co_u32_e32 v32, vcc, v4, v1, vcc
	global_load_ushort v1, v[31:32], off
	s_waitcnt vmcnt(0)
	v_and_b32_e32 v34, 0x7fff, v1
.LBB217_27:                             ;   in Loop: Header=BB217_25 Depth=1
	s_or_b64 exec, exec, s[0:1]
	v_mov_b32_e32 v1, s21
	v_add_co_u32_e32 v31, vcc, s20, v15
	v_addc_co_u32_e32 v32, vcc, v16, v1, vcc
	v_cmp_gt_u64_e64 s[2:3], s[18:19], v[31:32]
	v_mov_b32_e32 v31, 0
	v_mov_b32_e32 v33, 0
	s_and_saveexec_b64 s[0:1], s[2:3]
	s_cbranch_execz .LBB217_29
; %bb.28:                               ;   in Loop: Header=BB217_25 Depth=1
	v_mov_b32_e32 v1, s15
	v_add_co_u32_e32 v32, vcc, s14, v17
	v_addc_co_u32_e32 v33, vcc, v18, v1, vcc
	global_load_ushort v1, v[32:33], off
	s_waitcnt vmcnt(0)
	v_and_b32_e32 v33, 0x7fff, v1
.LBB217_29:                             ;   in Loop: Header=BB217_25 Depth=1
	s_or_b64 exec, exec, s[0:1]
	v_mov_b32_e32 v1, s21
	v_add_co_u32_e32 v35, vcc, s20, v23
	v_addc_co_u32_e32 v36, vcc, v24, v1, vcc
	v_cmp_gt_u64_e64 s[0:1], s[18:19], v[35:36]
	s_and_saveexec_b64 s[6:7], s[0:1]
	s_cbranch_execz .LBB217_31
; %bb.30:                               ;   in Loop: Header=BB217_25 Depth=1
	v_mov_b32_e32 v1, s15
	v_add_co_u32_e32 v31, vcc, s14, v11
	v_addc_co_u32_e32 v32, vcc, v12, v1, vcc
	global_load_ushort v1, v[31:32], off
	s_waitcnt vmcnt(0)
	v_and_b32_e32 v31, 0x7fff, v1
.LBB217_31:                             ;   in Loop: Header=BB217_25 Depth=1
	s_or_b64 exec, exec, s[6:7]
	v_mov_b32_e32 v1, s21
	v_add_co_u32_e32 v35, vcc, s20, v21
	v_addc_co_u32_e32 v36, vcc, v22, v1, vcc
	v_cmp_gt_u64_e32 vcc, s[18:19], v[35:36]
	v_mov_b32_e32 v32, 0
	s_and_saveexec_b64 s[8:9], vcc
	s_cbranch_execz .LBB217_33
; %bb.32:                               ;   in Loop: Header=BB217_25 Depth=1
	v_mov_b32_e32 v1, s15
	v_add_co_u32_e64 v35, s[6:7], s14, v7
	v_addc_co_u32_e64 v36, s[6:7], v8, v1, s[6:7]
	global_load_ushort v1, v[35:36], off
	s_waitcnt vmcnt(0)
	v_and_b32_e32 v32, 0x7fff, v1
.LBB217_33:                             ;   in Loop: Header=BB217_25 Depth=1
	s_or_b64 exec, exec, s[8:9]
	v_cvt_f32_f16_e32 v35, v34
                                        ; implicit-def: $vgpr36
	v_cmp_ngt_f32_e64 s[6:7], s26, v35
	s_and_saveexec_b64 s[8:9], s[6:7]
	s_xor_b64 s[22:23], exec, s[8:9]
	s_cbranch_execz .LBB217_35
; %bb.34:                               ;   in Loop: Header=BB217_25 Depth=1
	v_and_b32_e32 v1, 0x7fffff, v35
	v_or_b32_e32 v43, 0x800000, v1
	v_mad_u64_u32 v[36:37], s[6:7], v43, s27, 0
	v_mov_b32_e32 v1, v37
	v_mad_u64_u32 v[37:38], s[6:7], v43, s28, v[1:2]
	v_mov_b32_e32 v1, v38
	;; [unrolled: 2-line block ×3, first 2 shown]
	v_mad_u64_u32 v[39:40], s[6:7], v43, s30, v[1:2]
	v_lshrrev_b32_e32 v1, 23, v35
	v_add_u32_e32 v35, 0xffffff88, v1
	v_mov_b32_e32 v1, v40
	v_mad_u64_u32 v[40:41], s[6:7], v43, s31, v[1:2]
	v_cmp_lt_u32_e64 s[6:7], 63, v35
	v_cndmask_b32_e64 v1, 0, v28, s[6:7]
	v_add_u32_e32 v35, v1, v35
	v_mov_b32_e32 v1, v41
	v_mad_u64_u32 v[41:42], s[8:9], v43, s33, v[1:2]
	v_cmp_lt_u32_e64 s[8:9], 31, v35
	v_cndmask_b32_e64 v1, 0, v29, s[8:9]
	;; [unrolled: 5-line block ×3, first 2 shown]
	v_add_u32_e32 v1, v1, v35
	v_cndmask_b32_e64 v35, v41, v39, s[6:7]
	v_cndmask_b32_e64 v42, v42, v40, s[6:7]
	;; [unrolled: 1-line block ×10, first 2 shown]
	v_sub_u32_e32 v43, 32, v1
	v_cndmask_b32_e64 v39, v40, v37, s[8:9]
	v_alignbit_b32 v44, v41, v42, v43
	v_cmp_eq_u32_e64 s[12:13], 0, v1
	v_cndmask_b32_e64 v35, v35, v39, s[10:11]
	v_cndmask_b32_e64 v1, v44, v41, s[12:13]
	v_alignbit_b32 v40, v42, v35, v43
	v_cndmask_b32_e64 v36, v38, v36, s[6:7]
	v_cndmask_b32_e64 v40, v40, v42, s[12:13]
	v_bfe_u32 v44, v1, 29, 1
	v_cndmask_b32_e64 v36, v37, v36, s[8:9]
	v_alignbit_b32 v41, v1, v40, 30
	v_sub_u32_e32 v45, 0, v44
	v_cndmask_b32_e64 v36, v39, v36, s[10:11]
	v_xor_b32_e32 v41, v41, v45
	v_alignbit_b32 v37, v35, v36, v43
	v_cndmask_b32_e64 v35, v37, v35, s[12:13]
	v_ffbh_u32_e32 v38, v41
	v_alignbit_b32 v37, v40, v35, 30
	v_min_u32_e32 v38, 32, v38
	v_alignbit_b32 v35, v35, v36, 30
	v_xor_b32_e32 v37, v37, v45
	v_sub_u32_e32 v39, 31, v38
	v_xor_b32_e32 v35, v35, v45
	v_alignbit_b32 v40, v41, v37, v39
	v_alignbit_b32 v35, v37, v35, v39
	;; [unrolled: 1-line block ×3, first 2 shown]
	v_ffbh_u32_e32 v37, v36
	v_min_u32_e32 v37, 32, v37
	v_lshrrev_b32_e32 v42, 29, v1
	v_not_b32_e32 v39, v37
	v_alignbit_b32 v35, v36, v35, v39
	v_lshlrev_b32_e32 v36, 31, v42
	v_or_b32_e32 v39, 0x33000000, v36
	v_add_lshl_u32 v37, v37, v38, 23
	v_lshrrev_b32_e32 v35, 9, v35
	v_sub_u32_e32 v37, v39, v37
	v_or_b32_e32 v36, 0.5, v36
	v_lshlrev_b32_e32 v38, 23, v38
	v_or_b32_e32 v35, v37, v35
	v_lshrrev_b32_e32 v37, 9, v40
	v_sub_u32_e32 v36, v36, v38
	v_or_b32_e32 v36, v37, v36
	v_mul_f32_e32 v37, 0x3fc90fda, v36
	v_fma_f32 v38, v36, s35, -v37
	v_fmac_f32_e32 v38, 0x33a22168, v36
	v_fmac_f32_e32 v38, 0x3fc90fda, v35
	v_lshrrev_b32_e32 v1, 30, v1
	v_add_f32_e32 v35, v37, v38
	v_add_u32_e32 v36, v44, v1
.LBB217_35:                             ;   in Loop: Header=BB217_25 Depth=1
	s_andn2_saveexec_b64 s[6:7], s[22:23]
; %bb.36:                               ;   in Loop: Header=BB217_25 Depth=1
	v_mul_f32_e32 v1, 0x3f22f983, v35
	v_rndne_f32_e32 v1, v1
	v_cvt_i32_f32_e32 v36, v1
	v_fmac_f32_e32 v35, 0xbfc90fda, v1
	v_fmac_f32_e32 v35, 0xb3a22168, v1
	v_fmac_f32_e32 v35, 0xa7c234c4, v1
; %bb.37:                               ;   in Loop: Header=BB217_25 Depth=1
	s_or_b64 exec, exec, s[6:7]
	v_cvt_f32_f16_e32 v37, v33
                                        ; implicit-def: $vgpr38
	v_cmp_ngt_f32_e64 s[6:7], s26, v37
	s_and_saveexec_b64 s[8:9], s[6:7]
	s_xor_b64 s[22:23], exec, s[8:9]
	s_cbranch_execz .LBB217_39
; %bb.38:                               ;   in Loop: Header=BB217_25 Depth=1
	v_and_b32_e32 v1, 0x7fffff, v37
	v_or_b32_e32 v45, 0x800000, v1
	v_mad_u64_u32 v[38:39], s[6:7], v45, s27, 0
	v_mov_b32_e32 v1, v39
	v_mad_u64_u32 v[39:40], s[6:7], v45, s28, v[1:2]
	v_mov_b32_e32 v1, v40
	;; [unrolled: 2-line block ×3, first 2 shown]
	v_mad_u64_u32 v[41:42], s[6:7], v45, s30, v[1:2]
	v_lshrrev_b32_e32 v1, 23, v37
	v_add_u32_e32 v37, 0xffffff88, v1
	v_mov_b32_e32 v1, v42
	v_mad_u64_u32 v[42:43], s[8:9], v45, s31, v[1:2]
	v_cmp_lt_u32_e64 s[6:7], 63, v37
	v_cndmask_b32_e64 v1, 0, v28, s[6:7]
	v_add_u32_e32 v37, v1, v37
	v_mov_b32_e32 v1, v43
	v_mad_u64_u32 v[43:44], s[10:11], v45, s33, v[1:2]
	v_cmp_lt_u32_e64 s[8:9], 31, v37
	v_cndmask_b32_e64 v1, 0, v29, s[8:9]
	;; [unrolled: 5-line block ×3, first 2 shown]
	v_add_u32_e32 v1, v1, v37
	v_cndmask_b32_e64 v37, v43, v41, s[6:7]
	v_cndmask_b32_e64 v44, v44, v42, s[6:7]
	;; [unrolled: 1-line block ×10, first 2 shown]
	v_sub_u32_e32 v45, 32, v1
	v_cndmask_b32_e64 v41, v42, v39, s[8:9]
	v_alignbit_b32 v46, v43, v44, v45
	v_cmp_eq_u32_e64 s[12:13], 0, v1
	v_cndmask_b32_e64 v37, v37, v41, s[10:11]
	v_cndmask_b32_e64 v1, v46, v43, s[12:13]
	v_alignbit_b32 v42, v44, v37, v45
	v_cndmask_b32_e64 v38, v40, v38, s[6:7]
	v_cndmask_b32_e64 v42, v42, v44, s[12:13]
	v_bfe_u32 v46, v1, 29, 1
	v_cndmask_b32_e64 v38, v39, v38, s[8:9]
	v_alignbit_b32 v43, v1, v42, 30
	v_sub_u32_e32 v47, 0, v46
	v_cndmask_b32_e64 v38, v41, v38, s[10:11]
	v_xor_b32_e32 v43, v43, v47
	v_alignbit_b32 v39, v37, v38, v45
	v_cndmask_b32_e64 v37, v39, v37, s[12:13]
	v_ffbh_u32_e32 v40, v43
	v_alignbit_b32 v39, v42, v37, 30
	v_min_u32_e32 v40, 32, v40
	v_alignbit_b32 v37, v37, v38, 30
	v_xor_b32_e32 v39, v39, v47
	v_sub_u32_e32 v41, 31, v40
	v_xor_b32_e32 v37, v37, v47
	v_alignbit_b32 v42, v43, v39, v41
	v_alignbit_b32 v37, v39, v37, v41
	;; [unrolled: 1-line block ×3, first 2 shown]
	v_ffbh_u32_e32 v39, v38
	v_min_u32_e32 v39, 32, v39
	v_lshrrev_b32_e32 v44, 29, v1
	v_not_b32_e32 v41, v39
	v_alignbit_b32 v37, v38, v37, v41
	v_lshlrev_b32_e32 v38, 31, v44
	v_or_b32_e32 v41, 0x33000000, v38
	v_add_lshl_u32 v39, v39, v40, 23
	v_lshrrev_b32_e32 v37, 9, v37
	v_sub_u32_e32 v39, v41, v39
	v_or_b32_e32 v38, 0.5, v38
	v_lshlrev_b32_e32 v40, 23, v40
	v_or_b32_e32 v37, v39, v37
	v_lshrrev_b32_e32 v39, 9, v42
	v_sub_u32_e32 v38, v38, v40
	v_or_b32_e32 v38, v39, v38
	v_mul_f32_e32 v39, 0x3fc90fda, v38
	v_fma_f32 v40, v38, s35, -v39
	v_fmac_f32_e32 v40, 0x33a22168, v38
	v_fmac_f32_e32 v40, 0x3fc90fda, v37
	v_lshrrev_b32_e32 v1, 30, v1
	v_add_f32_e32 v37, v39, v40
	v_add_u32_e32 v38, v46, v1
.LBB217_39:                             ;   in Loop: Header=BB217_25 Depth=1
	s_andn2_saveexec_b64 s[6:7], s[22:23]
; %bb.40:                               ;   in Loop: Header=BB217_25 Depth=1
	v_mul_f32_e32 v1, 0x3f22f983, v37
	v_rndne_f32_e32 v1, v1
	v_cvt_i32_f32_e32 v38, v1
	v_fmac_f32_e32 v37, 0xbfc90fda, v1
	v_fmac_f32_e32 v37, 0xb3a22168, v1
	;; [unrolled: 1-line block ×3, first 2 shown]
; %bb.41:                               ;   in Loop: Header=BB217_25 Depth=1
	s_or_b64 exec, exec, s[6:7]
	v_cvt_f32_f16_e32 v39, v31
                                        ; implicit-def: $vgpr40
	v_cmp_ngt_f32_e64 s[6:7], s26, v39
	s_and_saveexec_b64 s[8:9], s[6:7]
	s_xor_b64 s[22:23], exec, s[8:9]
	s_cbranch_execz .LBB217_43
; %bb.42:                               ;   in Loop: Header=BB217_25 Depth=1
	v_and_b32_e32 v1, 0x7fffff, v39
	v_or_b32_e32 v47, 0x800000, v1
	v_mad_u64_u32 v[40:41], s[6:7], v47, s27, 0
	v_mov_b32_e32 v1, v41
	v_mad_u64_u32 v[41:42], s[6:7], v47, s28, v[1:2]
	v_mov_b32_e32 v1, v42
	;; [unrolled: 2-line block ×3, first 2 shown]
	v_mad_u64_u32 v[43:44], s[6:7], v47, s30, v[1:2]
	v_lshrrev_b32_e32 v1, 23, v39
	v_add_u32_e32 v39, 0xffffff88, v1
	v_mov_b32_e32 v1, v44
	v_mad_u64_u32 v[44:45], s[6:7], v47, s31, v[1:2]
	v_cmp_lt_u32_e64 s[6:7], 63, v39
	v_cndmask_b32_e64 v1, 0, v28, s[6:7]
	v_add_u32_e32 v39, v1, v39
	v_mov_b32_e32 v1, v45
	v_mad_u64_u32 v[45:46], s[8:9], v47, s33, v[1:2]
	v_cmp_lt_u32_e64 s[8:9], 31, v39
	v_cndmask_b32_e64 v1, 0, v29, s[8:9]
	;; [unrolled: 5-line block ×3, first 2 shown]
	v_add_u32_e32 v1, v1, v39
	v_cndmask_b32_e64 v39, v45, v43, s[6:7]
	v_cndmask_b32_e64 v46, v46, v44, s[6:7]
	;; [unrolled: 1-line block ×10, first 2 shown]
	v_sub_u32_e32 v47, 32, v1
	v_cndmask_b32_e64 v43, v44, v41, s[8:9]
	v_alignbit_b32 v48, v45, v46, v47
	v_cmp_eq_u32_e64 s[12:13], 0, v1
	v_cndmask_b32_e64 v39, v39, v43, s[10:11]
	v_cndmask_b32_e64 v1, v48, v45, s[12:13]
	v_alignbit_b32 v44, v46, v39, v47
	v_cndmask_b32_e64 v40, v42, v40, s[6:7]
	v_cndmask_b32_e64 v44, v44, v46, s[12:13]
	v_bfe_u32 v48, v1, 29, 1
	v_cndmask_b32_e64 v40, v41, v40, s[8:9]
	v_alignbit_b32 v45, v1, v44, 30
	v_sub_u32_e32 v49, 0, v48
	v_cndmask_b32_e64 v40, v43, v40, s[10:11]
	v_xor_b32_e32 v45, v45, v49
	v_alignbit_b32 v41, v39, v40, v47
	v_cndmask_b32_e64 v39, v41, v39, s[12:13]
	v_ffbh_u32_e32 v42, v45
	v_alignbit_b32 v41, v44, v39, 30
	v_min_u32_e32 v42, 32, v42
	v_alignbit_b32 v39, v39, v40, 30
	v_xor_b32_e32 v41, v41, v49
	v_sub_u32_e32 v43, 31, v42
	v_xor_b32_e32 v39, v39, v49
	v_alignbit_b32 v44, v45, v41, v43
	v_alignbit_b32 v39, v41, v39, v43
	;; [unrolled: 1-line block ×3, first 2 shown]
	v_ffbh_u32_e32 v41, v40
	v_min_u32_e32 v41, 32, v41
	v_lshrrev_b32_e32 v46, 29, v1
	v_not_b32_e32 v43, v41
	v_alignbit_b32 v39, v40, v39, v43
	v_lshlrev_b32_e32 v40, 31, v46
	v_or_b32_e32 v43, 0x33000000, v40
	v_add_lshl_u32 v41, v41, v42, 23
	v_lshrrev_b32_e32 v39, 9, v39
	v_sub_u32_e32 v41, v43, v41
	v_or_b32_e32 v40, 0.5, v40
	v_lshlrev_b32_e32 v42, 23, v42
	v_or_b32_e32 v39, v41, v39
	v_lshrrev_b32_e32 v41, 9, v44
	v_sub_u32_e32 v40, v40, v42
	v_or_b32_e32 v40, v41, v40
	v_mul_f32_e32 v41, 0x3fc90fda, v40
	v_fma_f32 v42, v40, s35, -v41
	v_fmac_f32_e32 v42, 0x33a22168, v40
	v_fmac_f32_e32 v42, 0x3fc90fda, v39
	v_lshrrev_b32_e32 v1, 30, v1
	v_add_f32_e32 v39, v41, v42
	v_add_u32_e32 v40, v48, v1
.LBB217_43:                             ;   in Loop: Header=BB217_25 Depth=1
	s_andn2_saveexec_b64 s[6:7], s[22:23]
; %bb.44:                               ;   in Loop: Header=BB217_25 Depth=1
	v_mul_f32_e32 v1, 0x3f22f983, v39
	v_rndne_f32_e32 v1, v1
	v_cvt_i32_f32_e32 v40, v1
	v_fmac_f32_e32 v39, 0xbfc90fda, v1
	v_fmac_f32_e32 v39, 0xb3a22168, v1
	;; [unrolled: 1-line block ×3, first 2 shown]
; %bb.45:                               ;   in Loop: Header=BB217_25 Depth=1
	s_or_b64 exec, exec, s[6:7]
	v_cvt_f32_f16_e32 v41, v32
                                        ; implicit-def: $vgpr1
	v_cmp_ngt_f32_e64 s[6:7], s26, v41
	s_and_saveexec_b64 s[8:9], s[6:7]
	s_xor_b64 s[22:23], exec, s[8:9]
	s_cbranch_execnz .LBB217_51
; %bb.46:                               ;   in Loop: Header=BB217_25 Depth=1
	s_andn2_saveexec_b64 s[6:7], s[22:23]
	s_cbranch_execnz .LBB217_52
.LBB217_47:                             ;   in Loop: Header=BB217_25 Depth=1
	s_or_b64 exec, exec, s[6:7]
	s_and_saveexec_b64 s[6:7], s[4:5]
	s_xor_b64 s[6:7], exec, s[6:7]
	s_cbranch_execnz .LBB217_53
.LBB217_48:                             ;   in Loop: Header=BB217_25 Depth=1
	s_or_b64 exec, exec, s[6:7]
	s_and_saveexec_b64 s[4:5], s[2:3]
	s_cbranch_execnz .LBB217_54
.LBB217_49:                             ;   in Loop: Header=BB217_25 Depth=1
	s_or_b64 exec, exec, s[4:5]
	s_and_saveexec_b64 s[2:3], s[0:1]
	s_cbranch_execnz .LBB217_55
.LBB217_50:                             ;   in Loop: Header=BB217_25 Depth=1
	s_or_b64 exec, exec, s[2:3]
	s_and_saveexec_b64 s[0:1], vcc
	s_cbranch_execz .LBB217_24
	s_branch .LBB217_56
.LBB217_51:                             ;   in Loop: Header=BB217_25 Depth=1
	v_and_b32_e32 v1, 0x7fffff, v41
	v_or_b32_e32 v49, 0x800000, v1
	v_mad_u64_u32 v[42:43], s[6:7], v49, s27, 0
	v_mov_b32_e32 v1, v43
	v_mad_u64_u32 v[43:44], s[6:7], v49, s28, v[1:2]
	v_mov_b32_e32 v1, v44
	;; [unrolled: 2-line block ×3, first 2 shown]
	v_mad_u64_u32 v[45:46], s[6:7], v49, s30, v[1:2]
	v_lshrrev_b32_e32 v1, 23, v41
	v_add_u32_e32 v41, 0xffffff88, v1
	v_mov_b32_e32 v1, v46
	v_mad_u64_u32 v[46:47], s[6:7], v49, s31, v[1:2]
	v_cmp_lt_u32_e64 s[6:7], 63, v41
	v_cndmask_b32_e64 v1, 0, v28, s[6:7]
	v_add_u32_e32 v41, v1, v41
	v_mov_b32_e32 v1, v47
	v_mad_u64_u32 v[47:48], s[8:9], v49, s33, v[1:2]
	v_cmp_lt_u32_e64 s[8:9], 31, v41
	v_cndmask_b32_e64 v1, 0, v29, s[8:9]
	;; [unrolled: 5-line block ×3, first 2 shown]
	v_add_u32_e32 v1, v1, v41
	v_cndmask_b32_e64 v41, v47, v45, s[6:7]
	v_cndmask_b32_e64 v48, v48, v46, s[6:7]
	;; [unrolled: 1-line block ×10, first 2 shown]
	v_sub_u32_e32 v49, 32, v1
	v_cndmask_b32_e64 v45, v46, v43, s[8:9]
	v_alignbit_b32 v50, v47, v48, v49
	v_cmp_eq_u32_e64 s[12:13], 0, v1
	v_cndmask_b32_e64 v41, v41, v45, s[10:11]
	v_cndmask_b32_e64 v1, v50, v47, s[12:13]
	v_alignbit_b32 v46, v48, v41, v49
	v_cndmask_b32_e64 v42, v44, v42, s[6:7]
	v_cndmask_b32_e64 v46, v46, v48, s[12:13]
	v_bfe_u32 v50, v1, 29, 1
	v_cndmask_b32_e64 v42, v43, v42, s[8:9]
	v_alignbit_b32 v47, v1, v46, 30
	v_sub_u32_e32 v51, 0, v50
	v_cndmask_b32_e64 v42, v45, v42, s[10:11]
	v_xor_b32_e32 v47, v47, v51
	v_alignbit_b32 v43, v41, v42, v49
	v_cndmask_b32_e64 v41, v43, v41, s[12:13]
	v_ffbh_u32_e32 v44, v47
	v_alignbit_b32 v43, v46, v41, 30
	v_min_u32_e32 v44, 32, v44
	v_alignbit_b32 v41, v41, v42, 30
	v_xor_b32_e32 v43, v43, v51
	v_sub_u32_e32 v45, 31, v44
	v_xor_b32_e32 v41, v41, v51
	v_alignbit_b32 v46, v47, v43, v45
	v_alignbit_b32 v41, v43, v41, v45
	;; [unrolled: 1-line block ×3, first 2 shown]
	v_ffbh_u32_e32 v43, v42
	v_min_u32_e32 v43, 32, v43
	v_lshrrev_b32_e32 v48, 29, v1
	v_not_b32_e32 v45, v43
	v_alignbit_b32 v41, v42, v41, v45
	v_lshlrev_b32_e32 v42, 31, v48
	v_or_b32_e32 v45, 0x33000000, v42
	v_add_lshl_u32 v43, v43, v44, 23
	v_lshrrev_b32_e32 v41, 9, v41
	v_sub_u32_e32 v43, v45, v43
	v_or_b32_e32 v42, 0.5, v42
	v_lshlrev_b32_e32 v44, 23, v44
	v_or_b32_e32 v41, v43, v41
	v_lshrrev_b32_e32 v43, 9, v46
	v_sub_u32_e32 v42, v42, v44
	v_or_b32_e32 v42, v43, v42
	v_mul_f32_e32 v43, 0x3fc90fda, v42
	v_fma_f32 v44, v42, s35, -v43
	v_fmac_f32_e32 v44, 0x33a22168, v42
	v_fmac_f32_e32 v44, 0x3fc90fda, v41
	v_lshrrev_b32_e32 v1, 30, v1
	v_add_f32_e32 v41, v43, v44
	v_add_u32_e32 v1, v50, v1
	s_andn2_saveexec_b64 s[6:7], s[22:23]
	s_cbranch_execz .LBB217_47
.LBB217_52:                             ;   in Loop: Header=BB217_25 Depth=1
	v_mul_f32_e32 v1, 0x3f22f983, v41
	v_rndne_f32_e32 v42, v1
	v_cvt_i32_f32_e32 v1, v42
	v_fmac_f32_e32 v41, 0xbfc90fda, v42
	v_fmac_f32_e32 v41, 0xb3a22168, v42
	;; [unrolled: 1-line block ×3, first 2 shown]
	s_or_b64 exec, exec, s[6:7]
	s_and_saveexec_b64 s[6:7], s[4:5]
	s_xor_b64 s[6:7], exec, s[6:7]
	s_cbranch_execz .LBB217_48
.LBB217_53:                             ;   in Loop: Header=BB217_25 Depth=1
	v_mul_f32_e32 v42, v35, v35
	v_mov_b32_e32 v43, 0x3c0881c4
	v_fmac_f32_e32 v43, 0xb94c1982, v42
	v_fma_f32 v43, v42, v43, v25
	v_mul_f32_e32 v43, v42, v43
	v_fmac_f32_e32 v35, v35, v43
	v_mov_b32_e32 v43, 0xbab64f3b
	v_fmac_f32_e32 v43, 0x37d75334, v42
	v_fma_f32 v43, v42, v43, v26
	v_fma_f32 v43, v42, v43, v27
	v_fma_f32 v42, v42, v43, 1.0
	v_and_b32_e32 v43, 1, v36
	v_cmp_eq_u32_e64 s[4:5], 0, v43
	v_lshlrev_b32_e32 v36, 30, v36
	v_cndmask_b32_e64 v35, -v35, v42, s[4:5]
	v_and_b32_e32 v36, 0x80000000, v36
	v_xor_b32_e32 v35, v36, v35
	v_cvt_f16_f32_e32 v35, v35
	v_cmp_lg_f16_e64 s[4:5], s36, v34
	v_cndmask_b32_e64 v36, v30, v35, s[4:5]
	v_mov_b32_e32 v35, s15
	v_add_co_u32_e64 v34, s[4:5], s14, v5
	v_addc_co_u32_e64 v35, s[4:5], v6, v35, s[4:5]
	global_store_short v[34:35], v36, off
	s_or_b64 exec, exec, s[6:7]
	s_and_saveexec_b64 s[4:5], s[2:3]
	s_cbranch_execz .LBB217_49
.LBB217_54:                             ;   in Loop: Header=BB217_25 Depth=1
	v_mul_f32_e32 v34, v37, v37
	v_mov_b32_e32 v35, 0x3c0881c4
	v_fmac_f32_e32 v35, 0xb94c1982, v34
	v_fma_f32 v35, v34, v35, v25
	v_mul_f32_e32 v35, v34, v35
	v_fmac_f32_e32 v37, v37, v35
	v_mov_b32_e32 v35, 0xbab64f3b
	v_fmac_f32_e32 v35, 0x37d75334, v34
	v_fma_f32 v35, v34, v35, v26
	v_fma_f32 v35, v34, v35, v27
	v_fma_f32 v34, v34, v35, 1.0
	v_and_b32_e32 v35, 1, v38
	v_cmp_eq_u32_e64 s[2:3], 0, v35
	v_lshlrev_b32_e32 v35, 30, v38
	v_cndmask_b32_e64 v34, -v37, v34, s[2:3]
	v_and_b32_e32 v35, 0x80000000, v35
	v_xor_b32_e32 v34, v35, v34
	v_cvt_f16_f32_e32 v34, v34
	v_cmp_lg_f16_e64 s[2:3], s36, v33
	v_cndmask_b32_e64 v35, v30, v34, s[2:3]
	v_mov_b32_e32 v34, s15
	v_add_co_u32_e64 v33, s[2:3], s14, v19
	v_addc_co_u32_e64 v34, s[2:3], v20, v34, s[2:3]
	global_store_short v[33:34], v35, off
	s_or_b64 exec, exec, s[4:5]
	s_and_saveexec_b64 s[2:3], s[0:1]
	s_cbranch_execz .LBB217_50
.LBB217_55:                             ;   in Loop: Header=BB217_25 Depth=1
	v_mul_f32_e32 v33, v39, v39
	v_mov_b32_e32 v34, 0x3c0881c4
	v_fmac_f32_e32 v34, 0xb94c1982, v33
	v_fma_f32 v34, v33, v34, v25
	v_mul_f32_e32 v34, v33, v34
	v_fmac_f32_e32 v39, v39, v34
	v_mov_b32_e32 v34, 0xbab64f3b
	v_fmac_f32_e32 v34, 0x37d75334, v33
	v_fma_f32 v34, v33, v34, v26
	v_fma_f32 v34, v33, v34, v27
	v_fma_f32 v33, v33, v34, 1.0
	v_and_b32_e32 v34, 1, v40
	v_cmp_eq_u32_e64 s[0:1], 0, v34
	v_lshlrev_b32_e32 v34, 30, v40
	v_cndmask_b32_e64 v33, -v39, v33, s[0:1]
	v_and_b32_e32 v34, 0x80000000, v34
	v_xor_b32_e32 v33, v34, v33
	v_cvt_f16_f32_e32 v33, v33
	v_cmp_lg_f16_e64 s[0:1], s36, v31
	v_mov_b32_e32 v34, s15
	v_cndmask_b32_e64 v31, v30, v33, s[0:1]
	v_add_co_u32_e64 v33, s[0:1], s14, v13
	v_addc_co_u32_e64 v34, s[0:1], v14, v34, s[0:1]
	global_store_short v[33:34], v31, off
	s_or_b64 exec, exec, s[2:3]
	s_and_saveexec_b64 s[0:1], vcc
	s_cbranch_execz .LBB217_24
.LBB217_56:                             ;   in Loop: Header=BB217_25 Depth=1
	v_mul_f32_e32 v31, v41, v41
	v_mov_b32_e32 v33, 0x3c0881c4
	v_fmac_f32_e32 v33, 0xb94c1982, v31
	v_fma_f32 v33, v31, v33, v25
	v_mul_f32_e32 v33, v31, v33
	v_fmac_f32_e32 v41, v41, v33
	v_mov_b32_e32 v33, 0xbab64f3b
	v_fmac_f32_e32 v33, 0x37d75334, v31
	v_fma_f32 v33, v31, v33, v26
	v_fma_f32 v33, v31, v33, v27
	v_fma_f32 v31, v31, v33, 1.0
	v_and_b32_e32 v33, 1, v1
	v_cmp_eq_u32_e32 vcc, 0, v33
	v_lshlrev_b32_e32 v1, 30, v1
	v_cndmask_b32_e64 v31, -v41, v31, vcc
	v_and_b32_e32 v1, 0x80000000, v1
	v_xor_b32_e32 v1, v1, v31
	v_cvt_f16_f32_e32 v1, v1
	v_cmp_lg_f16_e32 vcc, s36, v32
	v_mov_b32_e32 v32, s15
	v_cndmask_b32_e32 v1, v30, v1, vcc
	v_add_co_u32_e32 v31, vcc, s14, v9
	v_addc_co_u32_e32 v32, vcc, v10, v32, vcc
	global_store_short v[31:32], v1, off
	s_branch .LBB217_24
.LBB217_57:
	s_endpgm
	.section	.rodata,"a",@progbits
	.p2align	6, 0x0
	.amdhsa_kernel _ZN2at6native12_GLOBAL__N_125multi_tensor_apply_kernelINS1_18TensorListMetadataILi2EEENS1_14UnaryOpFunctorIN3c104HalfELi2ELi1ELi1EEEJNS0_3CosIfEEEEEvT_T0_DpT1_
		.amdhsa_group_segment_fixed_size 0
		.amdhsa_private_segment_fixed_size 0
		.amdhsa_kernarg_size 3408
		.amdhsa_user_sgpr_count 6
		.amdhsa_user_sgpr_private_segment_buffer 1
		.amdhsa_user_sgpr_dispatch_ptr 0
		.amdhsa_user_sgpr_queue_ptr 0
		.amdhsa_user_sgpr_kernarg_segment_ptr 1
		.amdhsa_user_sgpr_dispatch_id 0
		.amdhsa_user_sgpr_flat_scratch_init 0
		.amdhsa_user_sgpr_private_segment_size 0
		.amdhsa_uses_dynamic_stack 0
		.amdhsa_system_sgpr_private_segment_wavefront_offset 0
		.amdhsa_system_sgpr_workgroup_id_x 1
		.amdhsa_system_sgpr_workgroup_id_y 0
		.amdhsa_system_sgpr_workgroup_id_z 0
		.amdhsa_system_sgpr_workgroup_info 0
		.amdhsa_system_vgpr_workitem_id 0
		.amdhsa_next_free_vgpr 52
		.amdhsa_next_free_sgpr 37
		.amdhsa_reserve_vcc 1
		.amdhsa_reserve_flat_scratch 0
		.amdhsa_float_round_mode_32 0
		.amdhsa_float_round_mode_16_64 0
		.amdhsa_float_denorm_mode_32 3
		.amdhsa_float_denorm_mode_16_64 3
		.amdhsa_dx10_clamp 1
		.amdhsa_ieee_mode 1
		.amdhsa_fp16_overflow 0
		.amdhsa_exception_fp_ieee_invalid_op 0
		.amdhsa_exception_fp_denorm_src 0
		.amdhsa_exception_fp_ieee_div_zero 0
		.amdhsa_exception_fp_ieee_overflow 0
		.amdhsa_exception_fp_ieee_underflow 0
		.amdhsa_exception_fp_ieee_inexact 0
		.amdhsa_exception_int_div_zero 0
	.end_amdhsa_kernel
	.section	.text._ZN2at6native12_GLOBAL__N_125multi_tensor_apply_kernelINS1_18TensorListMetadataILi2EEENS1_14UnaryOpFunctorIN3c104HalfELi2ELi1ELi1EEEJNS0_3CosIfEEEEEvT_T0_DpT1_,"axG",@progbits,_ZN2at6native12_GLOBAL__N_125multi_tensor_apply_kernelINS1_18TensorListMetadataILi2EEENS1_14UnaryOpFunctorIN3c104HalfELi2ELi1ELi1EEEJNS0_3CosIfEEEEEvT_T0_DpT1_,comdat
.Lfunc_end217:
	.size	_ZN2at6native12_GLOBAL__N_125multi_tensor_apply_kernelINS1_18TensorListMetadataILi2EEENS1_14UnaryOpFunctorIN3c104HalfELi2ELi1ELi1EEEJNS0_3CosIfEEEEEvT_T0_DpT1_, .Lfunc_end217-_ZN2at6native12_GLOBAL__N_125multi_tensor_apply_kernelINS1_18TensorListMetadataILi2EEENS1_14UnaryOpFunctorIN3c104HalfELi2ELi1ELi1EEEJNS0_3CosIfEEEEEvT_T0_DpT1_
                                        ; -- End function
	.set _ZN2at6native12_GLOBAL__N_125multi_tensor_apply_kernelINS1_18TensorListMetadataILi2EEENS1_14UnaryOpFunctorIN3c104HalfELi2ELi1ELi1EEEJNS0_3CosIfEEEEEvT_T0_DpT1_.num_vgpr, 52
	.set _ZN2at6native12_GLOBAL__N_125multi_tensor_apply_kernelINS1_18TensorListMetadataILi2EEENS1_14UnaryOpFunctorIN3c104HalfELi2ELi1ELi1EEEJNS0_3CosIfEEEEEvT_T0_DpT1_.num_agpr, 0
	.set _ZN2at6native12_GLOBAL__N_125multi_tensor_apply_kernelINS1_18TensorListMetadataILi2EEENS1_14UnaryOpFunctorIN3c104HalfELi2ELi1ELi1EEEJNS0_3CosIfEEEEEvT_T0_DpT1_.numbered_sgpr, 37
	.set _ZN2at6native12_GLOBAL__N_125multi_tensor_apply_kernelINS1_18TensorListMetadataILi2EEENS1_14UnaryOpFunctorIN3c104HalfELi2ELi1ELi1EEEJNS0_3CosIfEEEEEvT_T0_DpT1_.num_named_barrier, 0
	.set _ZN2at6native12_GLOBAL__N_125multi_tensor_apply_kernelINS1_18TensorListMetadataILi2EEENS1_14UnaryOpFunctorIN3c104HalfELi2ELi1ELi1EEEJNS0_3CosIfEEEEEvT_T0_DpT1_.private_seg_size, 0
	.set _ZN2at6native12_GLOBAL__N_125multi_tensor_apply_kernelINS1_18TensorListMetadataILi2EEENS1_14UnaryOpFunctorIN3c104HalfELi2ELi1ELi1EEEJNS0_3CosIfEEEEEvT_T0_DpT1_.uses_vcc, 1
	.set _ZN2at6native12_GLOBAL__N_125multi_tensor_apply_kernelINS1_18TensorListMetadataILi2EEENS1_14UnaryOpFunctorIN3c104HalfELi2ELi1ELi1EEEJNS0_3CosIfEEEEEvT_T0_DpT1_.uses_flat_scratch, 0
	.set _ZN2at6native12_GLOBAL__N_125multi_tensor_apply_kernelINS1_18TensorListMetadataILi2EEENS1_14UnaryOpFunctorIN3c104HalfELi2ELi1ELi1EEEJNS0_3CosIfEEEEEvT_T0_DpT1_.has_dyn_sized_stack, 0
	.set _ZN2at6native12_GLOBAL__N_125multi_tensor_apply_kernelINS1_18TensorListMetadataILi2EEENS1_14UnaryOpFunctorIN3c104HalfELi2ELi1ELi1EEEJNS0_3CosIfEEEEEvT_T0_DpT1_.has_recursion, 0
	.set _ZN2at6native12_GLOBAL__N_125multi_tensor_apply_kernelINS1_18TensorListMetadataILi2EEENS1_14UnaryOpFunctorIN3c104HalfELi2ELi1ELi1EEEJNS0_3CosIfEEEEEvT_T0_DpT1_.has_indirect_call, 0
	.section	.AMDGPU.csdata,"",@progbits
; Kernel info:
; codeLenInByte = 7380
; TotalNumSgprs: 41
; NumVgprs: 52
; ScratchSize: 0
; MemoryBound: 0
; FloatMode: 240
; IeeeMode: 1
; LDSByteSize: 0 bytes/workgroup (compile time only)
; SGPRBlocks: 5
; VGPRBlocks: 12
; NumSGPRsForWavesPerEU: 41
; NumVGPRsForWavesPerEU: 52
; Occupancy: 4
; WaveLimiterHint : 0
; COMPUTE_PGM_RSRC2:SCRATCH_EN: 0
; COMPUTE_PGM_RSRC2:USER_SGPR: 6
; COMPUTE_PGM_RSRC2:TRAP_HANDLER: 0
; COMPUTE_PGM_RSRC2:TGID_X_EN: 1
; COMPUTE_PGM_RSRC2:TGID_Y_EN: 0
; COMPUTE_PGM_RSRC2:TGID_Z_EN: 0
; COMPUTE_PGM_RSRC2:TIDIG_COMP_CNT: 0
	.section	.text._ZN2at6native12_GLOBAL__N_125multi_tensor_apply_kernelINS1_18TensorListMetadataILi2EEENS1_14UnaryOpFunctorIN3c108BFloat16ELi2ELi1ELi1EEEJNS0_3CosIfEEEEEvT_T0_DpT1_,"axG",@progbits,_ZN2at6native12_GLOBAL__N_125multi_tensor_apply_kernelINS1_18TensorListMetadataILi2EEENS1_14UnaryOpFunctorIN3c108BFloat16ELi2ELi1ELi1EEEJNS0_3CosIfEEEEEvT_T0_DpT1_,comdat
	.globl	_ZN2at6native12_GLOBAL__N_125multi_tensor_apply_kernelINS1_18TensorListMetadataILi2EEENS1_14UnaryOpFunctorIN3c108BFloat16ELi2ELi1ELi1EEEJNS0_3CosIfEEEEEvT_T0_DpT1_ ; -- Begin function _ZN2at6native12_GLOBAL__N_125multi_tensor_apply_kernelINS1_18TensorListMetadataILi2EEENS1_14UnaryOpFunctorIN3c108BFloat16ELi2ELi1ELi1EEEJNS0_3CosIfEEEEEvT_T0_DpT1_
	.p2align	8
	.type	_ZN2at6native12_GLOBAL__N_125multi_tensor_apply_kernelINS1_18TensorListMetadataILi2EEENS1_14UnaryOpFunctorIN3c108BFloat16ELi2ELi1ELi1EEEJNS0_3CosIfEEEEEvT_T0_DpT1_,@function
_ZN2at6native12_GLOBAL__N_125multi_tensor_apply_kernelINS1_18TensorListMetadataILi2EEENS1_14UnaryOpFunctorIN3c108BFloat16ELi2ELi1ELi1EEEJNS0_3CosIfEEEEEvT_T0_DpT1_: ; @_ZN2at6native12_GLOBAL__N_125multi_tensor_apply_kernelINS1_18TensorListMetadataILi2EEENS1_14UnaryOpFunctorIN3c108BFloat16ELi2ELi1ELi1EEEJNS0_3CosIfEEEEEvT_T0_DpT1_
; %bb.0:
	v_mov_b32_e32 v1, s6
	global_load_ubyte v1, v1, s[4:5] offset:1536
	s_add_u32 s0, s4, s6
	s_mul_hi_u32 s2, s6, 3
	s_mul_i32 s6, s6, 3
	s_addc_u32 s7, s5, 0
	s_add_u32 s6, s0, s6
	s_addc_u32 s7, s7, s2
	s_load_dword s6, s[6:7], 0x740
	s_mov_b32 s1, 0
	s_mov_b32 s3, s1
	s_waitcnt lgkmcnt(0)
	s_ashr_i32 s7, s6, 31
	s_lshl_b64 s[14:15], s[6:7], 17
	s_lshl_b64 s[6:7], s[6:7], 16
	s_waitcnt vmcnt(0)
	v_readfirstlane_b32 s0, v1
	s_lshl_b32 s0, s0, 3
	s_load_dwordx2 s[16:17], s[4:5], s0 offset:0x400
	s_load_dwordx2 s[10:11], s[4:5], s0 offset:0x0
	;; [unrolled: 1-line block ×3, first 2 shown]
	s_waitcnt lgkmcnt(0)
	s_add_u32 s0, s10, s14
	s_and_b32 s2, s8, 7
	s_and_b32 s0, s0, 7
	s_sub_u32 s12, s16, s6
	s_subb_u32 s13, s17, s7
	s_and_b32 s6, s16, 3
	s_mov_b32 s7, s1
	s_or_b64 s[2:3], s[2:3], s[6:7]
	s_or_b64 s[0:1], s[2:3], s[0:1]
	s_cmp_eq_u64 s[0:1], 0
	s_mov_b64 s[0:1], -1
	s_cbranch_scc0 .LBB218_21
; %bb.1:
	v_mov_b32_e32 v1, 0x10000
	v_mov_b32_e32 v2, 0
	v_cmp_lt_i64_e32 vcc, s[12:13], v[1:2]
	v_mov_b32_e32 v2, 0
	s_and_b64 s[0:1], vcc, exec
	s_cselect_b32 s17, s13, 0
	s_cselect_b32 s16, s12, 0x10000
	v_lshlrev_b32_e32 v1, 2, v0
	v_cmp_gt_i64_e32 vcc, s[16:17], v[1:2]
	s_and_saveexec_b64 s[18:19], vcc
	s_cbranch_execz .LBB218_20
; %bb.2:
	s_load_dword s0, s[4:5], 0xc5c
	v_lshlrev_b32_e32 v3, 3, v0
	v_mov_b32_e32 v1, v2
	v_mov_b32_e32 v4, s15
	v_add_co_u32_e32 v7, vcc, s14, v3
	s_waitcnt lgkmcnt(0)
	s_and_b32 s24, s0, 0xffff
	v_addc_co_u32_e32 v8, vcc, 0, v4, vcc
	v_mov_b32_e32 v4, v1
	s_lshl_b32 s25, s24, 3
	s_mov_b64 s[20:21], 0
	v_mov_b32_e32 v9, s11
	s_brev_b32 s26, 18
	s_mov_b32 s27, 0xfe5163ab
	s_mov_b32 s28, 0x3c439041
	;; [unrolled: 1-line block ×10, first 2 shown]
	v_mov_b32_e32 v10, 0xbe2aaa9d
	v_mov_b32_e32 v11, 0x3d2aabf7
	;; [unrolled: 1-line block ×3, first 2 shown]
	s_movk_i32 s38, 0x1f8
	s_movk_i32 s39, 0x7fff
	v_not_b32_e32 v13, 63
	v_not_b32_e32 v14, 31
	v_mov_b32_e32 v15, 0x7fc00000
	v_mov_b32_e32 v16, 0x7fc0
	;; [unrolled: 1-line block ×3, first 2 shown]
	s_branch .LBB218_4
.LBB218_3:                              ;   in Loop: Header=BB218_4 Depth=1
	s_or_b64 exec, exec, s[0:1]
	v_mul_f32_e32 v26, v24, v24
	v_mov_b32_e32 v27, 0x3c0881c4
	v_fmac_f32_e32 v27, 0xb94c1982, v26
	v_fma_f32 v27, v26, v27, v10
	v_mul_f32_e32 v27, v26, v27
	v_fmac_f32_e32 v24, v24, v27
	v_mov_b32_e32 v27, 0xbab64f3b
	v_fmac_f32_e32 v27, 0x37d75334, v26
	v_fma_f32 v27, v26, v27, v11
	v_fma_f32 v27, v26, v27, v12
	v_fma_f32 v26, v26, v27, 1.0
	v_and_b32_e32 v27, 1, v23
	v_cmp_eq_u32_e32 vcc, 0, v27
	v_lshlrev_b32_e32 v23, 30, v23
	v_cndmask_b32_e64 v24, -v24, v26, vcc
	v_and_b32_e32 v23, 0x80000000, v23
	v_xor_b32_e32 v23, v23, v24
	v_cmp_class_f32_e64 vcc, v5, s38
	v_cndmask_b32_e32 v23, v15, v23, vcc
	v_bfe_u32 v5, v23, 16, 1
	v_add3_u32 v5, v23, v5, s39
	v_lshrrev_b32_e32 v24, 16, v5
	v_mul_f32_e32 v5, v22, v22
	v_mov_b32_e32 v26, 0x3c0881c4
	v_fmac_f32_e32 v26, 0xb94c1982, v5
	v_fma_f32 v26, v5, v26, v10
	v_mul_f32_e32 v26, v5, v26
	v_fmac_f32_e32 v22, v22, v26
	v_mov_b32_e32 v26, 0xbab64f3b
	v_fmac_f32_e32 v26, 0x37d75334, v5
	v_fma_f32 v26, v5, v26, v11
	v_fma_f32 v26, v5, v26, v12
	v_fma_f32 v5, v5, v26, 1.0
	v_and_b32_e32 v26, 1, v21
	v_cmp_eq_u32_e32 vcc, 0, v26
	v_lshlrev_b32_e32 v21, 30, v21
	v_cndmask_b32_e64 v5, -v22, v5, vcc
	v_and_b32_e32 v21, 0x80000000, v21
	v_xor_b32_e32 v5, v21, v5
	v_cmp_class_f32_e64 vcc, v20, s38
	v_cndmask_b32_e32 v20, v15, v5, vcc
	v_bfe_u32 v5, v20, 16, 1
	v_add3_u32 v5, v20, v5, s39
	v_and_b32_e32 v21, 0xffff0000, v5
	v_mul_f32_e32 v5, v19, v19
	v_mov_b32_e32 v22, 0x3c0881c4
	v_fmac_f32_e32 v22, 0xb94c1982, v5
	v_fma_f32 v22, v5, v22, v10
	v_mul_f32_e32 v22, v5, v22
	v_fmac_f32_e32 v19, v19, v22
	v_mov_b32_e32 v22, 0xbab64f3b
	v_fmac_f32_e32 v22, 0x37d75334, v5
	v_fma_f32 v22, v5, v22, v11
	v_fma_f32 v22, v5, v22, v12
	v_fma_f32 v5, v5, v22, 1.0
	v_and_b32_e32 v22, 1, v18
	v_cmp_eq_u32_e32 vcc, 0, v22
	v_lshlrev_b32_e32 v18, 30, v18
	v_cndmask_b32_e64 v5, -v19, v5, vcc
	v_and_b32_e32 v18, 0x80000000, v18
	v_xor_b32_e32 v5, v18, v5
	v_cmp_class_f32_e64 vcc, v17, s38
	v_cndmask_b32_e32 v17, v15, v5, vcc
	v_bfe_u32 v5, v17, 16, 1
	v_add3_u32 v5, v17, v5, s39
	v_lshrrev_b32_e32 v18, 16, v5
	v_mul_f32_e32 v5, v25, v25
	v_mov_b32_e32 v19, 0x3c0881c4
	v_fmac_f32_e32 v19, 0xb94c1982, v5
	v_fma_f32 v19, v5, v19, v10
	v_mul_f32_e32 v19, v5, v19
	v_fmac_f32_e32 v25, v25, v19
	v_mov_b32_e32 v19, 0xbab64f3b
	v_fmac_f32_e32 v19, 0x37d75334, v5
	v_fma_f32 v19, v5, v19, v11
	v_fma_f32 v19, v5, v19, v12
	v_fma_f32 v5, v5, v19, 1.0
	v_and_b32_e32 v19, 1, v1
	v_cmp_eq_u32_e32 vcc, 0, v19
	v_lshlrev_b32_e32 v1, 30, v1
	v_cndmask_b32_e64 v5, -v25, v5, vcc
	v_and_b32_e32 v1, 0x80000000, v1
	v_xor_b32_e32 v1, v1, v5
	v_cmp_class_f32_e64 vcc, v6, s38
	v_cndmask_b32_e32 v1, v15, v1, vcc
	v_bfe_u32 v5, v1, 16, 1
	v_add3_u32 v19, v1, v5, s39
	v_mov_b32_e32 v6, s9
	v_add_co_u32_e32 v5, vcc, s8, v7
	v_addc_co_u32_e32 v6, vcc, v6, v8, vcc
	v_and_b32_e32 v19, 0xffff0000, v19
	v_cmp_o_f32_e32 vcc, v1, v1
	v_cndmask_b32_e32 v1, v15, v19, vcc
	v_cmp_o_f32_e32 vcc, v23, v23
	v_cndmask_b32_e32 v19, v16, v24, vcc
	;; [unrolled: 2-line block ×4, first 2 shown]
	v_add_co_u32_e32 v3, vcc, s24, v3
	v_addc_co_u32_e32 v4, vcc, 0, v4, vcc
	v_or_b32_e32 v17, v20, v17
	v_or3_b32 v18, 0, v19, v1
	v_lshlrev_b64 v[19:20], 2, v[3:4]
	v_or3_b32 v17, v17, 0, 0
	v_cmp_le_i64_e32 vcc, s[16:17], v[19:20]
	global_store_dwordx2 v[5:6], v[17:18], off
	s_or_b64 s[20:21], vcc, s[20:21]
	v_add_co_u32_e32 v7, vcc, s25, v7
	v_addc_co_u32_e32 v8, vcc, 0, v8, vcc
	s_andn2_b64 exec, exec, s[20:21]
	s_cbranch_execz .LBB218_20
.LBB218_4:                              ; =>This Inner Loop Header: Depth=1
	v_add_co_u32_e32 v5, vcc, s10, v7
	v_addc_co_u32_e32 v6, vcc, v9, v8, vcc
	global_load_dwordx2 v[5:6], v[5:6], off
                                        ; implicit-def: $vgpr18
                                        ; implicit-def: $vgpr19
	s_waitcnt vmcnt(0)
	v_lshlrev_b32_e32 v17, 16, v5
	v_cmp_nlt_f32_e64 s[0:1], |v17|, s26
	s_and_saveexec_b64 s[2:3], s[0:1]
	s_xor_b64 s[22:23], exec, s[2:3]
	s_cbranch_execz .LBB218_6
; %bb.5:                                ;   in Loop: Header=BB218_4 Depth=1
	v_and_b32_e32 v23, 0x7fffffff, v17
	v_and_b32_e32 v1, 0x7fffff, v23
	v_or_b32_e32 v25, 0x800000, v1
	v_mad_u64_u32 v[18:19], s[0:1], v25, s27, 0
	v_mov_b32_e32 v1, v19
	v_mad_u64_u32 v[19:20], s[0:1], v25, s28, v[1:2]
	v_mov_b32_e32 v1, v20
	;; [unrolled: 2-line block ×3, first 2 shown]
	v_mad_u64_u32 v[21:22], s[0:1], v25, s30, v[1:2]
	v_lshrrev_b32_e32 v1, 23, v23
	v_add_u32_e32 v24, 0xffffff88, v1
	v_mov_b32_e32 v1, v22
	v_mad_u64_u32 v[22:23], s[0:1], v25, s31, v[1:2]
	v_cmp_lt_u32_e32 vcc, 63, v24
	v_cndmask_b32_e32 v1, 0, v13, vcc
	v_add_u32_e32 v26, v1, v24
	v_mov_b32_e32 v1, v23
	v_mad_u64_u32 v[23:24], s[0:1], v25, s33, v[1:2]
	v_cmp_lt_u32_e64 s[0:1], 31, v26
	v_cndmask_b32_e64 v1, 0, v14, s[0:1]
	v_add_u32_e32 v26, v1, v26
	v_mov_b32_e32 v1, v24
	v_mad_u64_u32 v[24:25], s[2:3], v25, s34, v[1:2]
	v_cmp_lt_u32_e64 s[2:3], 31, v26
	v_cndmask_b32_e64 v1, 0, v14, s[2:3]
	v_add_u32_e32 v1, v1, v26
	v_cndmask_b32_e32 v26, v23, v21, vcc
	v_cndmask_b32_e32 v24, v24, v22, vcc
	;; [unrolled: 1-line block ×4, first 2 shown]
	v_cndmask_b32_e64 v25, v24, v26, s[0:1]
	v_cndmask_b32_e64 v23, v23, v24, s[0:1]
	;; [unrolled: 1-line block ×3, first 2 shown]
	v_cndmask_b32_e32 v19, v21, v19, vcc
	v_cndmask_b32_e64 v23, v23, v25, s[2:3]
	v_cndmask_b32_e64 v25, v25, v24, s[2:3]
	v_sub_u32_e32 v26, 32, v1
	v_cndmask_b32_e64 v21, v22, v19, s[0:1]
	v_alignbit_b32 v27, v23, v25, v26
	v_cmp_eq_u32_e64 s[6:7], 0, v1
	v_cndmask_b32_e64 v22, v24, v21, s[2:3]
	v_cndmask_b32_e64 v1, v27, v23, s[6:7]
	v_alignbit_b32 v23, v25, v22, v26
	v_cndmask_b32_e32 v18, v20, v18, vcc
	v_cndmask_b32_e64 v23, v23, v25, s[6:7]
	v_bfe_u32 v27, v1, 29, 1
	v_cndmask_b32_e64 v18, v19, v18, s[0:1]
	v_alignbit_b32 v24, v1, v23, 30
	v_sub_u32_e32 v28, 0, v27
	v_cndmask_b32_e64 v18, v21, v18, s[2:3]
	v_xor_b32_e32 v24, v24, v28
	v_alignbit_b32 v19, v22, v18, v26
	v_cndmask_b32_e64 v19, v19, v22, s[6:7]
	v_ffbh_u32_e32 v21, v24
	v_alignbit_b32 v20, v23, v19, 30
	v_min_u32_e32 v21, 32, v21
	v_alignbit_b32 v18, v19, v18, 30
	v_xor_b32_e32 v20, v20, v28
	v_sub_u32_e32 v22, 31, v21
	v_xor_b32_e32 v18, v18, v28
	v_alignbit_b32 v23, v24, v20, v22
	v_alignbit_b32 v18, v20, v18, v22
	;; [unrolled: 1-line block ×3, first 2 shown]
	v_ffbh_u32_e32 v20, v19
	v_min_u32_e32 v20, 32, v20
	v_lshrrev_b32_e32 v25, 29, v1
	v_not_b32_e32 v22, v20
	v_alignbit_b32 v18, v19, v18, v22
	v_lshlrev_b32_e32 v19, 31, v25
	v_or_b32_e32 v22, 0x33000000, v19
	v_add_lshl_u32 v20, v20, v21, 23
	v_lshrrev_b32_e32 v18, 9, v18
	v_sub_u32_e32 v20, v22, v20
	v_or_b32_e32 v19, 0.5, v19
	v_lshlrev_b32_e32 v21, 23, v21
	v_or_b32_e32 v18, v20, v18
	v_lshrrev_b32_e32 v20, 9, v23
	v_sub_u32_e32 v19, v19, v21
	v_or_b32_e32 v19, v20, v19
	v_mul_f32_e32 v20, 0x3fc90fda, v19
	v_fma_f32 v21, v19, s35, -v20
	v_fmac_f32_e32 v21, 0x33a22168, v19
	v_fmac_f32_e32 v21, 0x3fc90fda, v18
	v_lshrrev_b32_e32 v1, 30, v1
	v_add_f32_e32 v19, v20, v21
	v_add_u32_e32 v18, v27, v1
.LBB218_6:                              ;   in Loop: Header=BB218_4 Depth=1
	s_andn2_saveexec_b64 s[0:1], s[22:23]
; %bb.7:                                ;   in Loop: Header=BB218_4 Depth=1
	v_mul_f32_e64 v1, |v17|, s36
	v_rndne_f32_e32 v1, v1
	v_cvt_i32_f32_e32 v18, v1
	v_fma_f32 v19, v1, s37, |v17|
	v_fmac_f32_e32 v19, 0xb3a22168, v1
	v_fmac_f32_e32 v19, 0xa7c234c4, v1
; %bb.8:                                ;   in Loop: Header=BB218_4 Depth=1
	s_or_b64 exec, exec, s[0:1]
	v_and_b32_e32 v20, 0xffff0000, v5
	v_cmp_nlt_f32_e64 s[0:1], |v20|, s26
                                        ; implicit-def: $vgpr21
                                        ; implicit-def: $vgpr22
	s_and_saveexec_b64 s[2:3], s[0:1]
	s_xor_b64 s[22:23], exec, s[2:3]
	s_cbranch_execz .LBB218_10
; %bb.9:                                ;   in Loop: Header=BB218_4 Depth=1
	v_and_b32_e32 v26, 0x7fffffff, v20
	v_and_b32_e32 v1, 0x7fffff, v26
	v_or_b32_e32 v28, 0x800000, v1
	v_mad_u64_u32 v[21:22], s[0:1], v28, s27, 0
	v_mov_b32_e32 v1, v22
	v_mad_u64_u32 v[22:23], s[0:1], v28, s28, v[1:2]
	v_mov_b32_e32 v1, v23
	;; [unrolled: 2-line block ×3, first 2 shown]
	v_mad_u64_u32 v[24:25], s[0:1], v28, s30, v[1:2]
	v_lshrrev_b32_e32 v1, 23, v26
	v_add_u32_e32 v27, 0xffffff88, v1
	v_mov_b32_e32 v1, v25
	v_mad_u64_u32 v[25:26], s[0:1], v28, s31, v[1:2]
	v_cmp_lt_u32_e32 vcc, 63, v27
	v_cndmask_b32_e32 v1, 0, v13, vcc
	v_add_u32_e32 v29, v1, v27
	v_mov_b32_e32 v1, v26
	v_mad_u64_u32 v[26:27], s[0:1], v28, s33, v[1:2]
	v_cmp_lt_u32_e64 s[0:1], 31, v29
	v_cndmask_b32_e64 v1, 0, v14, s[0:1]
	v_add_u32_e32 v29, v1, v29
	v_mov_b32_e32 v1, v27
	v_mad_u64_u32 v[27:28], s[2:3], v28, s34, v[1:2]
	v_cmp_lt_u32_e64 s[2:3], 31, v29
	v_cndmask_b32_e64 v1, 0, v14, s[2:3]
	v_add_u32_e32 v1, v1, v29
	v_cndmask_b32_e32 v29, v26, v24, vcc
	v_cndmask_b32_e32 v27, v27, v25, vcc
	;; [unrolled: 1-line block ×4, first 2 shown]
	v_cndmask_b32_e64 v28, v27, v29, s[0:1]
	v_cndmask_b32_e64 v26, v26, v27, s[0:1]
	;; [unrolled: 1-line block ×3, first 2 shown]
	v_cndmask_b32_e32 v22, v24, v22, vcc
	v_cndmask_b32_e64 v26, v26, v28, s[2:3]
	v_cndmask_b32_e64 v28, v28, v27, s[2:3]
	v_sub_u32_e32 v29, 32, v1
	v_cndmask_b32_e64 v24, v25, v22, s[0:1]
	v_alignbit_b32 v30, v26, v28, v29
	v_cmp_eq_u32_e64 s[6:7], 0, v1
	v_cndmask_b32_e64 v25, v27, v24, s[2:3]
	v_cndmask_b32_e64 v1, v30, v26, s[6:7]
	v_alignbit_b32 v26, v28, v25, v29
	v_cndmask_b32_e32 v21, v23, v21, vcc
	v_cndmask_b32_e64 v26, v26, v28, s[6:7]
	v_bfe_u32 v30, v1, 29, 1
	v_cndmask_b32_e64 v21, v22, v21, s[0:1]
	v_alignbit_b32 v27, v1, v26, 30
	v_sub_u32_e32 v31, 0, v30
	v_cndmask_b32_e64 v21, v24, v21, s[2:3]
	v_xor_b32_e32 v27, v27, v31
	v_alignbit_b32 v22, v25, v21, v29
	v_cndmask_b32_e64 v22, v22, v25, s[6:7]
	v_ffbh_u32_e32 v24, v27
	v_alignbit_b32 v23, v26, v22, 30
	v_min_u32_e32 v24, 32, v24
	v_alignbit_b32 v21, v22, v21, 30
	v_xor_b32_e32 v23, v23, v31
	v_sub_u32_e32 v25, 31, v24
	v_xor_b32_e32 v21, v21, v31
	v_alignbit_b32 v26, v27, v23, v25
	v_alignbit_b32 v21, v23, v21, v25
	;; [unrolled: 1-line block ×3, first 2 shown]
	v_ffbh_u32_e32 v23, v22
	v_min_u32_e32 v23, 32, v23
	v_lshrrev_b32_e32 v28, 29, v1
	v_not_b32_e32 v25, v23
	v_alignbit_b32 v21, v22, v21, v25
	v_lshlrev_b32_e32 v22, 31, v28
	v_or_b32_e32 v25, 0x33000000, v22
	v_add_lshl_u32 v23, v23, v24, 23
	v_lshrrev_b32_e32 v21, 9, v21
	v_sub_u32_e32 v23, v25, v23
	v_or_b32_e32 v22, 0.5, v22
	v_lshlrev_b32_e32 v24, 23, v24
	v_or_b32_e32 v21, v23, v21
	v_lshrrev_b32_e32 v23, 9, v26
	v_sub_u32_e32 v22, v22, v24
	v_or_b32_e32 v22, v23, v22
	v_mul_f32_e32 v23, 0x3fc90fda, v22
	v_fma_f32 v24, v22, s35, -v23
	v_fmac_f32_e32 v24, 0x33a22168, v22
	v_fmac_f32_e32 v24, 0x3fc90fda, v21
	v_lshrrev_b32_e32 v1, 30, v1
	v_add_f32_e32 v22, v23, v24
	v_add_u32_e32 v21, v30, v1
.LBB218_10:                             ;   in Loop: Header=BB218_4 Depth=1
	s_andn2_saveexec_b64 s[0:1], s[22:23]
; %bb.11:                               ;   in Loop: Header=BB218_4 Depth=1
	v_mul_f32_e64 v1, |v20|, s36
	v_rndne_f32_e32 v1, v1
	v_cvt_i32_f32_e32 v21, v1
	v_fma_f32 v22, v1, s37, |v20|
	v_fmac_f32_e32 v22, 0xb3a22168, v1
	v_fmac_f32_e32 v22, 0xa7c234c4, v1
; %bb.12:                               ;   in Loop: Header=BB218_4 Depth=1
	s_or_b64 exec, exec, s[0:1]
	v_alignbit_b32 v1, v6, v5, 16
	v_and_b32_e32 v5, 0xffff0000, v1
	v_cmp_nlt_f32_e64 s[0:1], |v5|, s26
                                        ; implicit-def: $vgpr23
                                        ; implicit-def: $vgpr24
	s_and_saveexec_b64 s[2:3], s[0:1]
	s_xor_b64 s[22:23], exec, s[2:3]
	s_cbranch_execz .LBB218_14
; %bb.13:                               ;   in Loop: Header=BB218_4 Depth=1
	v_and_b32_e32 v28, 0x7fffffff, v5
	v_and_b32_e32 v1, 0x7fffff, v28
	v_or_b32_e32 v30, 0x800000, v1
	v_mad_u64_u32 v[23:24], s[0:1], v30, s27, 0
	v_mov_b32_e32 v1, v24
	v_mad_u64_u32 v[24:25], s[0:1], v30, s28, v[1:2]
	v_mov_b32_e32 v1, v25
	;; [unrolled: 2-line block ×3, first 2 shown]
	v_mad_u64_u32 v[26:27], s[0:1], v30, s30, v[1:2]
	v_lshrrev_b32_e32 v1, 23, v28
	v_add_u32_e32 v29, 0xffffff88, v1
	v_mov_b32_e32 v1, v27
	v_mad_u64_u32 v[27:28], s[0:1], v30, s31, v[1:2]
	v_cmp_lt_u32_e32 vcc, 63, v29
	v_cndmask_b32_e32 v1, 0, v13, vcc
	v_add_u32_e32 v31, v1, v29
	v_mov_b32_e32 v1, v28
	v_mad_u64_u32 v[28:29], s[0:1], v30, s33, v[1:2]
	v_cmp_lt_u32_e64 s[0:1], 31, v31
	v_cndmask_b32_e64 v1, 0, v14, s[0:1]
	v_add_u32_e32 v31, v1, v31
	v_mov_b32_e32 v1, v29
	v_mad_u64_u32 v[29:30], s[2:3], v30, s34, v[1:2]
	v_cmp_lt_u32_e64 s[2:3], 31, v31
	v_cndmask_b32_e64 v1, 0, v14, s[2:3]
	v_add_u32_e32 v1, v1, v31
	v_cndmask_b32_e32 v31, v28, v26, vcc
	v_cndmask_b32_e32 v29, v29, v27, vcc
	v_cndmask_b32_e32 v28, v30, v28, vcc
	v_cndmask_b32_e32 v27, v27, v25, vcc
	v_cndmask_b32_e64 v30, v29, v31, s[0:1]
	v_cndmask_b32_e64 v28, v28, v29, s[0:1]
	;; [unrolled: 1-line block ×3, first 2 shown]
	v_cndmask_b32_e32 v24, v26, v24, vcc
	v_cndmask_b32_e64 v28, v28, v30, s[2:3]
	v_cndmask_b32_e64 v30, v30, v29, s[2:3]
	v_sub_u32_e32 v31, 32, v1
	v_cndmask_b32_e64 v26, v27, v24, s[0:1]
	v_alignbit_b32 v32, v28, v30, v31
	v_cmp_eq_u32_e64 s[6:7], 0, v1
	v_cndmask_b32_e64 v27, v29, v26, s[2:3]
	v_cndmask_b32_e64 v1, v32, v28, s[6:7]
	v_alignbit_b32 v28, v30, v27, v31
	v_cndmask_b32_e32 v23, v25, v23, vcc
	v_cndmask_b32_e64 v28, v28, v30, s[6:7]
	v_bfe_u32 v32, v1, 29, 1
	v_cndmask_b32_e64 v23, v24, v23, s[0:1]
	v_alignbit_b32 v29, v1, v28, 30
	v_sub_u32_e32 v33, 0, v32
	v_cndmask_b32_e64 v23, v26, v23, s[2:3]
	v_xor_b32_e32 v29, v29, v33
	v_alignbit_b32 v24, v27, v23, v31
	v_cndmask_b32_e64 v24, v24, v27, s[6:7]
	v_ffbh_u32_e32 v26, v29
	v_alignbit_b32 v25, v28, v24, 30
	v_min_u32_e32 v26, 32, v26
	v_alignbit_b32 v23, v24, v23, 30
	v_xor_b32_e32 v25, v25, v33
	v_sub_u32_e32 v27, 31, v26
	v_xor_b32_e32 v23, v23, v33
	v_alignbit_b32 v28, v29, v25, v27
	v_alignbit_b32 v23, v25, v23, v27
	;; [unrolled: 1-line block ×3, first 2 shown]
	v_ffbh_u32_e32 v25, v24
	v_min_u32_e32 v25, 32, v25
	v_lshrrev_b32_e32 v30, 29, v1
	v_not_b32_e32 v27, v25
	v_alignbit_b32 v23, v24, v23, v27
	v_lshlrev_b32_e32 v24, 31, v30
	v_or_b32_e32 v27, 0x33000000, v24
	v_add_lshl_u32 v25, v25, v26, 23
	v_lshrrev_b32_e32 v23, 9, v23
	v_sub_u32_e32 v25, v27, v25
	v_or_b32_e32 v24, 0.5, v24
	v_lshlrev_b32_e32 v26, 23, v26
	v_or_b32_e32 v23, v25, v23
	v_lshrrev_b32_e32 v25, 9, v28
	v_sub_u32_e32 v24, v24, v26
	v_or_b32_e32 v24, v25, v24
	v_mul_f32_e32 v25, 0x3fc90fda, v24
	v_fma_f32 v26, v24, s35, -v25
	v_fmac_f32_e32 v26, 0x33a22168, v24
	v_fmac_f32_e32 v26, 0x3fc90fda, v23
	v_lshrrev_b32_e32 v1, 30, v1
	v_add_f32_e32 v24, v25, v26
	v_add_u32_e32 v23, v32, v1
.LBB218_14:                             ;   in Loop: Header=BB218_4 Depth=1
	s_andn2_saveexec_b64 s[0:1], s[22:23]
; %bb.15:                               ;   in Loop: Header=BB218_4 Depth=1
	v_mul_f32_e64 v1, |v5|, s36
	v_rndne_f32_e32 v1, v1
	v_cvt_i32_f32_e32 v23, v1
	v_fma_f32 v24, v1, s37, |v5|
	v_fmac_f32_e32 v24, 0xb3a22168, v1
	v_fmac_f32_e32 v24, 0xa7c234c4, v1
; %bb.16:                               ;   in Loop: Header=BB218_4 Depth=1
	s_or_b64 exec, exec, s[0:1]
	v_and_b32_e32 v6, 0xffff0000, v6
	v_cmp_nlt_f32_e64 s[0:1], |v6|, s26
                                        ; implicit-def: $vgpr1
                                        ; implicit-def: $vgpr25
	s_and_saveexec_b64 s[2:3], s[0:1]
	s_xor_b64 s[22:23], exec, s[2:3]
	s_cbranch_execz .LBB218_18
; %bb.17:                               ;   in Loop: Header=BB218_4 Depth=1
	v_and_b32_e32 v30, 0x7fffffff, v6
	v_and_b32_e32 v1, 0x7fffff, v30
	v_or_b32_e32 v32, 0x800000, v1
	v_mad_u64_u32 v[25:26], s[0:1], v32, s27, 0
	v_mov_b32_e32 v1, v26
	v_mad_u64_u32 v[26:27], s[0:1], v32, s28, v[1:2]
	v_mov_b32_e32 v1, v27
	;; [unrolled: 2-line block ×3, first 2 shown]
	v_mad_u64_u32 v[28:29], s[0:1], v32, s30, v[1:2]
	v_lshrrev_b32_e32 v1, 23, v30
	v_add_u32_e32 v31, 0xffffff88, v1
	v_mov_b32_e32 v1, v29
	v_mad_u64_u32 v[29:30], s[0:1], v32, s31, v[1:2]
	v_cmp_lt_u32_e32 vcc, 63, v31
	v_cndmask_b32_e32 v1, 0, v13, vcc
	v_add_u32_e32 v33, v1, v31
	v_mov_b32_e32 v1, v30
	v_mad_u64_u32 v[30:31], s[0:1], v32, s33, v[1:2]
	v_cmp_lt_u32_e64 s[0:1], 31, v33
	v_cndmask_b32_e64 v1, 0, v14, s[0:1]
	v_add_u32_e32 v33, v1, v33
	v_mov_b32_e32 v1, v31
	v_mad_u64_u32 v[31:32], s[2:3], v32, s34, v[1:2]
	v_cmp_lt_u32_e64 s[2:3], 31, v33
	v_cndmask_b32_e64 v1, 0, v14, s[2:3]
	v_add_u32_e32 v1, v1, v33
	v_cndmask_b32_e32 v33, v30, v28, vcc
	v_cndmask_b32_e32 v31, v31, v29, vcc
	;; [unrolled: 1-line block ×4, first 2 shown]
	v_cndmask_b32_e64 v32, v31, v33, s[0:1]
	v_cndmask_b32_e64 v30, v30, v31, s[0:1]
	;; [unrolled: 1-line block ×3, first 2 shown]
	v_cndmask_b32_e32 v26, v28, v26, vcc
	v_cndmask_b32_e64 v30, v30, v32, s[2:3]
	v_cndmask_b32_e64 v32, v32, v31, s[2:3]
	v_sub_u32_e32 v33, 32, v1
	v_cndmask_b32_e64 v28, v29, v26, s[0:1]
	v_alignbit_b32 v34, v30, v32, v33
	v_cmp_eq_u32_e64 s[6:7], 0, v1
	v_cndmask_b32_e64 v29, v31, v28, s[2:3]
	v_cndmask_b32_e64 v1, v34, v30, s[6:7]
	v_alignbit_b32 v30, v32, v29, v33
	v_cndmask_b32_e32 v25, v27, v25, vcc
	v_cndmask_b32_e64 v30, v30, v32, s[6:7]
	v_bfe_u32 v34, v1, 29, 1
	v_cndmask_b32_e64 v25, v26, v25, s[0:1]
	v_alignbit_b32 v31, v1, v30, 30
	v_sub_u32_e32 v35, 0, v34
	v_cndmask_b32_e64 v25, v28, v25, s[2:3]
	v_xor_b32_e32 v31, v31, v35
	v_alignbit_b32 v26, v29, v25, v33
	v_cndmask_b32_e64 v26, v26, v29, s[6:7]
	v_ffbh_u32_e32 v28, v31
	v_alignbit_b32 v27, v30, v26, 30
	v_min_u32_e32 v28, 32, v28
	v_alignbit_b32 v25, v26, v25, 30
	v_xor_b32_e32 v27, v27, v35
	v_sub_u32_e32 v29, 31, v28
	v_xor_b32_e32 v25, v25, v35
	v_alignbit_b32 v30, v31, v27, v29
	v_alignbit_b32 v25, v27, v25, v29
	;; [unrolled: 1-line block ×3, first 2 shown]
	v_ffbh_u32_e32 v27, v26
	v_min_u32_e32 v27, 32, v27
	v_lshrrev_b32_e32 v32, 29, v1
	v_not_b32_e32 v29, v27
	v_alignbit_b32 v25, v26, v25, v29
	v_lshlrev_b32_e32 v26, 31, v32
	v_or_b32_e32 v29, 0x33000000, v26
	v_add_lshl_u32 v27, v27, v28, 23
	v_lshrrev_b32_e32 v25, 9, v25
	v_sub_u32_e32 v27, v29, v27
	v_or_b32_e32 v26, 0.5, v26
	v_lshlrev_b32_e32 v28, 23, v28
	v_or_b32_e32 v25, v27, v25
	v_lshrrev_b32_e32 v27, 9, v30
	v_sub_u32_e32 v26, v26, v28
	v_or_b32_e32 v26, v27, v26
	v_mul_f32_e32 v27, 0x3fc90fda, v26
	v_fma_f32 v28, v26, s35, -v27
	v_fmac_f32_e32 v28, 0x33a22168, v26
	v_fmac_f32_e32 v28, 0x3fc90fda, v25
	v_lshrrev_b32_e32 v1, 30, v1
	v_add_f32_e32 v25, v27, v28
	v_add_u32_e32 v1, v34, v1
.LBB218_18:                             ;   in Loop: Header=BB218_4 Depth=1
	s_andn2_saveexec_b64 s[0:1], s[22:23]
	s_cbranch_execz .LBB218_3
; %bb.19:                               ;   in Loop: Header=BB218_4 Depth=1
	v_mul_f32_e64 v1, |v6|, s36
	v_rndne_f32_e32 v26, v1
	v_cvt_i32_f32_e32 v1, v26
	v_fma_f32 v25, v26, s37, |v6|
	v_fmac_f32_e32 v25, 0xb3a22168, v26
	v_fmac_f32_e32 v25, 0xa7c234c4, v26
	s_branch .LBB218_3
.LBB218_20:
	s_or_b64 exec, exec, s[18:19]
	s_mov_b64 s[0:1], 0
.LBB218_21:
	s_andn2_b64 vcc, exec, s[0:1]
	s_cbranch_vccnz .LBB218_57
; %bb.22:
	v_cmp_lt_i64_e64 s[0:1], s[12:13], 1
	s_and_b64 vcc, exec, s[0:1]
	s_cbranch_vccnz .LBB218_57
; %bb.23:
	v_mov_b32_e32 v3, 0x10000
	s_load_dword s2, s[4:5], 0xc5c
	v_mov_b32_e32 v4, 0
	v_cmp_lt_i64_e32 vcc, s[12:13], v[3:4]
	v_mov_b32_e32 v2, 0
	s_and_b64 s[0:1], vcc, exec
	v_cmp_lt_u64_e32 vcc, s[12:13], v[3:4]
	s_cselect_b32 s17, s13, 0
	s_cselect_b32 s16, s12, 0x10000
	s_waitcnt lgkmcnt(0)
	s_and_b32 s2, s2, 0xffff
	v_lshlrev_b32_e32 v1, 1, v0
	s_and_b64 s[0:1], vcc, exec
	v_mov_b32_e32 v4, s11
	v_add_co_u32_e32 v3, vcc, s10, v1
	v_mad_u64_u32 v[9:10], s[0:1], s2, 6, v[1:2]
	v_addc_co_u32_e32 v4, vcc, 0, v4, vcc
	v_mov_b32_e32 v6, s9
	v_add_co_u32_e32 v5, vcc, s8, v1
	v_addc_co_u32_e32 v6, vcc, 0, v6, vcc
	v_mov_b32_e32 v8, s11
	v_add_co_u32_e32 v7, vcc, s10, v9
	;; [unrolled: 3-line block ×3, first 2 shown]
	s_cselect_b32 s19, s13, 0
	s_cselect_b32 s18, s12, 0x10000
	s_lshl_b32 s24, s2, 2
	v_addc_co_u32_e32 v10, vcc, v11, v10, vcc
	v_add_co_u32_e32 v1, vcc, s24, v1
	v_addc_co_u32_e64 v14, s[0:1], 0, 0, vcc
	v_mov_b32_e32 v12, s11
	v_add_co_u32_e32 v11, vcc, s10, v1
	v_addc_co_u32_e32 v12, vcc, v12, v14, vcc
	v_mov_b32_e32 v15, s9
	v_add_co_u32_e32 v13, vcc, s8, v1
	v_addc_co_u32_e32 v14, vcc, v15, v14, vcc
	v_add_co_u32_e32 v15, vcc, s2, v0
	v_lshlrev_b32_e32 v1, 1, v15
	v_addc_co_u32_e64 v16, s[0:1], 0, 0, vcc
	v_mov_b32_e32 v18, s11
	v_add_co_u32_e32 v17, vcc, s10, v1
	v_addc_co_u32_e32 v18, vcc, 0, v18, vcc
	v_mov_b32_e32 v20, s9
	v_add_co_u32_e32 v19, vcc, s8, v1
	s_mul_i32 s4, s2, 3
	v_addc_co_u32_e32 v20, vcc, 0, v20, vcc
	s_lshl_b32 s3, s2, 1
	v_add_co_u32_e32 v21, vcc, s4, v0
	v_addc_co_u32_e64 v22, s[0:1], 0, 0, vcc
	v_add_co_u32_e32 v23, vcc, s3, v0
	s_lshl_b32 s25, s2, 3
	s_mov_b64 s[20:21], 0
	s_brev_b32 s26, 18
	s_mov_b32 s27, 0xfe5163ab
	s_mov_b32 s28, 0x3c439041
	;; [unrolled: 1-line block ×9, first 2 shown]
	s_movk_i32 s37, 0x7fff
	v_addc_co_u32_e64 v24, s[0:1], 0, 0, vcc
	v_mov_b32_e32 v25, 0xbe2aaa9d
	v_mov_b32_e32 v26, 0x3d2aabf7
	;; [unrolled: 1-line block ×3, first 2 shown]
	v_not_b32_e32 v28, 63
	v_not_b32_e32 v29, 31
	v_mov_b32_e32 v30, 0x7fc00000
	v_mov_b32_e32 v31, 0x7fc0
	s_branch .LBB218_25
.LBB218_24:                             ;   in Loop: Header=BB218_25 Depth=1
	s_or_b64 exec, exec, s[2:3]
	v_add_co_u32_e32 v3, vcc, s25, v3
	v_addc_co_u32_e32 v4, vcc, 0, v4, vcc
	v_add_co_u32_e32 v5, vcc, s25, v5
	v_addc_co_u32_e32 v6, vcc, 0, v6, vcc
	;; [unrolled: 2-line block ×6, first 2 shown]
	s_add_u32 s20, s20, s24
	v_add_co_u32_e32 v17, vcc, s25, v17
	v_mov_b32_e32 v33, s17
	s_addc_u32 s21, s21, 0
	v_addc_co_u32_e32 v18, vcc, 0, v18, vcc
	v_mov_b32_e32 v32, s16
	v_cmp_ge_i64_e32 vcc, s[20:21], v[32:33]
	v_add_co_u32_e64 v19, s[0:1], s25, v19
	v_addc_co_u32_e64 v20, s[0:1], 0, v20, s[0:1]
	s_cbranch_vccnz .LBB218_57
.LBB218_25:                             ; =>This Inner Loop Header: Depth=1
	v_mov_b32_e32 v1, s21
	v_add_co_u32_e32 v32, vcc, s20, v0
	v_addc_co_u32_e32 v33, vcc, 0, v1, vcc
	v_cmp_gt_u64_e32 vcc, s[18:19], v[32:33]
	v_mov_b32_e32 v35, 0
	s_and_saveexec_b64 s[2:3], vcc
	s_cbranch_execz .LBB218_27
; %bb.26:                               ;   in Loop: Header=BB218_25 Depth=1
	v_mov_b32_e32 v1, s15
	v_add_co_u32_e64 v32, s[0:1], s14, v3
	v_addc_co_u32_e64 v33, s[0:1], v4, v1, s[0:1]
	global_load_ushort v1, v[32:33], off
	s_waitcnt vmcnt(0)
	v_lshlrev_b32_e32 v1, 16, v1
	v_and_b32_e32 v35, 0x7fffffff, v1
.LBB218_27:                             ;   in Loop: Header=BB218_25 Depth=1
	s_or_b64 exec, exec, s[2:3]
	v_mov_b32_e32 v1, s21
	v_add_co_u32_e64 v32, s[0:1], s20, v15
	v_addc_co_u32_e64 v33, s[0:1], v16, v1, s[0:1]
	v_cmp_gt_u64_e64 s[4:5], s[18:19], v[32:33]
	v_mov_b32_e32 v32, 0
	v_mov_b32_e32 v34, 0
	s_and_saveexec_b64 s[2:3], s[4:5]
	s_cbranch_execz .LBB218_29
; %bb.28:                               ;   in Loop: Header=BB218_25 Depth=1
	v_mov_b32_e32 v1, s15
	v_add_co_u32_e64 v33, s[0:1], s14, v17
	v_addc_co_u32_e64 v34, s[0:1], v18, v1, s[0:1]
	global_load_ushort v1, v[33:34], off
	s_waitcnt vmcnt(0)
	v_lshlrev_b32_e32 v1, 16, v1
	v_and_b32_e32 v34, 0x7fffffff, v1
.LBB218_29:                             ;   in Loop: Header=BB218_25 Depth=1
	s_or_b64 exec, exec, s[2:3]
	v_mov_b32_e32 v1, s21
	v_add_co_u32_e64 v36, s[0:1], s20, v23
	v_addc_co_u32_e64 v37, s[0:1], v24, v1, s[0:1]
	v_cmp_gt_u64_e64 s[2:3], s[18:19], v[36:37]
	s_and_saveexec_b64 s[6:7], s[2:3]
	s_cbranch_execz .LBB218_31
; %bb.30:                               ;   in Loop: Header=BB218_25 Depth=1
	v_mov_b32_e32 v1, s15
	v_add_co_u32_e64 v32, s[0:1], s14, v11
	v_addc_co_u32_e64 v33, s[0:1], v12, v1, s[0:1]
	global_load_ushort v1, v[32:33], off
	s_waitcnt vmcnt(0)
	v_lshlrev_b32_e32 v1, 16, v1
	v_and_b32_e32 v32, 0x7fffffff, v1
.LBB218_31:                             ;   in Loop: Header=BB218_25 Depth=1
	s_or_b64 exec, exec, s[6:7]
	v_mov_b32_e32 v1, s21
	v_add_co_u32_e64 v36, s[0:1], s20, v21
	v_addc_co_u32_e64 v37, s[0:1], v22, v1, s[0:1]
	v_cmp_gt_u64_e64 s[0:1], s[18:19], v[36:37]
	v_mov_b32_e32 v33, 0
	s_and_saveexec_b64 s[8:9], s[0:1]
	s_cbranch_execz .LBB218_33
; %bb.32:                               ;   in Loop: Header=BB218_25 Depth=1
	v_mov_b32_e32 v1, s15
	v_add_co_u32_e64 v36, s[6:7], s14, v7
	v_addc_co_u32_e64 v37, s[6:7], v8, v1, s[6:7]
	global_load_ushort v1, v[36:37], off
	s_waitcnt vmcnt(0)
	v_lshlrev_b32_e32 v1, 16, v1
	v_and_b32_e32 v33, 0x7fffffff, v1
.LBB218_33:                             ;   in Loop: Header=BB218_25 Depth=1
	s_or_b64 exec, exec, s[8:9]
	v_cmp_ngt_f32_e64 s[6:7], s26, v35
                                        ; implicit-def: $vgpr37
                                        ; implicit-def: $vgpr36
	s_and_saveexec_b64 s[8:9], s[6:7]
	s_xor_b64 s[22:23], exec, s[8:9]
	s_cbranch_execz .LBB218_35
; %bb.34:                               ;   in Loop: Header=BB218_25 Depth=1
	v_and_b32_e32 v1, 0x7fffff, v35
	v_or_b32_e32 v43, 0x800000, v1
	v_mad_u64_u32 v[36:37], s[6:7], v43, s27, 0
	v_mov_b32_e32 v1, v37
	v_mad_u64_u32 v[37:38], s[6:7], v43, s28, v[1:2]
	v_mov_b32_e32 v1, v38
	;; [unrolled: 2-line block ×3, first 2 shown]
	v_mad_u64_u32 v[39:40], s[6:7], v43, s30, v[1:2]
	v_lshrrev_b32_e32 v1, 23, v35
	v_add_u32_e32 v42, 0xffffff88, v1
	v_mov_b32_e32 v1, v40
	v_mad_u64_u32 v[40:41], s[6:7], v43, s31, v[1:2]
	v_cmp_lt_u32_e64 s[6:7], 63, v42
	v_cndmask_b32_e64 v1, 0, v28, s[6:7]
	v_add_u32_e32 v44, v1, v42
	v_mov_b32_e32 v1, v41
	v_mad_u64_u32 v[41:42], s[8:9], v43, s33, v[1:2]
	v_cmp_lt_u32_e64 s[8:9], 31, v44
	v_cndmask_b32_e64 v1, 0, v29, s[8:9]
	;; [unrolled: 5-line block ×3, first 2 shown]
	v_add_u32_e32 v1, v1, v44
	v_cndmask_b32_e64 v44, v41, v39, s[6:7]
	v_cndmask_b32_e64 v42, v42, v40, s[6:7]
	;; [unrolled: 1-line block ×10, first 2 shown]
	v_sub_u32_e32 v44, 32, v1
	v_cndmask_b32_e64 v39, v40, v37, s[8:9]
	v_alignbit_b32 v45, v41, v43, v44
	v_cmp_eq_u32_e64 s[12:13], 0, v1
	v_cndmask_b32_e64 v40, v42, v39, s[10:11]
	v_cndmask_b32_e64 v1, v45, v41, s[12:13]
	v_alignbit_b32 v41, v43, v40, v44
	v_cndmask_b32_e64 v36, v38, v36, s[6:7]
	v_cndmask_b32_e64 v41, v41, v43, s[12:13]
	v_bfe_u32 v45, v1, 29, 1
	v_cndmask_b32_e64 v36, v37, v36, s[8:9]
	v_alignbit_b32 v42, v1, v41, 30
	v_sub_u32_e32 v46, 0, v45
	v_cndmask_b32_e64 v36, v39, v36, s[10:11]
	v_xor_b32_e32 v42, v42, v46
	v_alignbit_b32 v37, v40, v36, v44
	v_cndmask_b32_e64 v37, v37, v40, s[12:13]
	v_ffbh_u32_e32 v39, v42
	v_alignbit_b32 v38, v41, v37, 30
	v_min_u32_e32 v39, 32, v39
	v_alignbit_b32 v36, v37, v36, 30
	v_xor_b32_e32 v38, v38, v46
	v_sub_u32_e32 v40, 31, v39
	v_xor_b32_e32 v36, v36, v46
	v_alignbit_b32 v41, v42, v38, v40
	v_alignbit_b32 v36, v38, v36, v40
	;; [unrolled: 1-line block ×3, first 2 shown]
	v_ffbh_u32_e32 v38, v37
	v_min_u32_e32 v38, 32, v38
	v_lshrrev_b32_e32 v43, 29, v1
	v_not_b32_e32 v40, v38
	v_alignbit_b32 v36, v37, v36, v40
	v_lshlrev_b32_e32 v37, 31, v43
	v_or_b32_e32 v40, 0x33000000, v37
	v_add_lshl_u32 v38, v38, v39, 23
	v_lshrrev_b32_e32 v36, 9, v36
	v_sub_u32_e32 v38, v40, v38
	v_or_b32_e32 v37, 0.5, v37
	v_lshlrev_b32_e32 v39, 23, v39
	v_or_b32_e32 v36, v38, v36
	v_lshrrev_b32_e32 v38, 9, v41
	v_sub_u32_e32 v37, v37, v39
	v_or_b32_e32 v37, v38, v37
	v_mul_f32_e32 v38, 0x3fc90fda, v37
	v_fma_f32 v39, v37, s35, -v38
	v_fmac_f32_e32 v39, 0x33a22168, v37
	v_fmac_f32_e32 v39, 0x3fc90fda, v36
	v_lshrrev_b32_e32 v1, 30, v1
	v_add_f32_e32 v36, v38, v39
	v_add_u32_e32 v37, v45, v1
.LBB218_35:                             ;   in Loop: Header=BB218_25 Depth=1
	s_andn2_saveexec_b64 s[6:7], s[22:23]
	s_cbranch_execz .LBB218_37
; %bb.36:                               ;   in Loop: Header=BB218_25 Depth=1
	v_mul_f32_e32 v1, 0x3f22f983, v35
	v_rndne_f32_e32 v1, v1
	v_mov_b32_e32 v36, v35
	v_cvt_i32_f32_e32 v37, v1
	v_fmac_f32_e32 v36, 0xbfc90fda, v1
	v_fmac_f32_e32 v36, 0xb3a22168, v1
	;; [unrolled: 1-line block ×3, first 2 shown]
.LBB218_37:                             ;   in Loop: Header=BB218_25 Depth=1
	s_or_b64 exec, exec, s[6:7]
	v_cmp_ngt_f32_e64 s[6:7], s26, v34
                                        ; implicit-def: $vgpr39
                                        ; implicit-def: $vgpr38
	s_and_saveexec_b64 s[8:9], s[6:7]
	s_xor_b64 s[22:23], exec, s[8:9]
	s_cbranch_execz .LBB218_39
; %bb.38:                               ;   in Loop: Header=BB218_25 Depth=1
	v_and_b32_e32 v1, 0x7fffff, v34
	v_or_b32_e32 v45, 0x800000, v1
	v_mad_u64_u32 v[38:39], s[6:7], v45, s27, 0
	v_mov_b32_e32 v1, v39
	v_mad_u64_u32 v[39:40], s[6:7], v45, s28, v[1:2]
	v_mov_b32_e32 v1, v40
	;; [unrolled: 2-line block ×3, first 2 shown]
	v_mad_u64_u32 v[41:42], s[6:7], v45, s30, v[1:2]
	v_lshrrev_b32_e32 v1, 23, v34
	v_add_u32_e32 v44, 0xffffff88, v1
	v_mov_b32_e32 v1, v42
	v_mad_u64_u32 v[42:43], s[8:9], v45, s31, v[1:2]
	v_cmp_lt_u32_e64 s[6:7], 63, v44
	v_cndmask_b32_e64 v1, 0, v28, s[6:7]
	v_add_u32_e32 v46, v1, v44
	v_mov_b32_e32 v1, v43
	v_mad_u64_u32 v[43:44], s[10:11], v45, s33, v[1:2]
	v_cmp_lt_u32_e64 s[8:9], 31, v46
	v_cndmask_b32_e64 v1, 0, v29, s[8:9]
	v_add_u32_e32 v46, v1, v46
	v_mov_b32_e32 v1, v44
	v_mad_u64_u32 v[44:45], s[12:13], v45, s34, v[1:2]
	v_cmp_lt_u32_e64 s[10:11], 31, v46
	v_cndmask_b32_e64 v1, 0, v29, s[10:11]
	v_add_u32_e32 v1, v1, v46
	v_cndmask_b32_e64 v46, v43, v41, s[6:7]
	v_cndmask_b32_e64 v44, v44, v42, s[6:7]
	;; [unrolled: 1-line block ×10, first 2 shown]
	v_sub_u32_e32 v46, 32, v1
	v_cndmask_b32_e64 v41, v42, v39, s[8:9]
	v_alignbit_b32 v47, v43, v45, v46
	v_cmp_eq_u32_e64 s[12:13], 0, v1
	v_cndmask_b32_e64 v42, v44, v41, s[10:11]
	v_cndmask_b32_e64 v1, v47, v43, s[12:13]
	v_alignbit_b32 v43, v45, v42, v46
	v_cndmask_b32_e64 v38, v40, v38, s[6:7]
	v_cndmask_b32_e64 v43, v43, v45, s[12:13]
	v_bfe_u32 v47, v1, 29, 1
	v_cndmask_b32_e64 v38, v39, v38, s[8:9]
	v_alignbit_b32 v44, v1, v43, 30
	v_sub_u32_e32 v48, 0, v47
	v_cndmask_b32_e64 v38, v41, v38, s[10:11]
	v_xor_b32_e32 v44, v44, v48
	v_alignbit_b32 v39, v42, v38, v46
	v_cndmask_b32_e64 v39, v39, v42, s[12:13]
	v_ffbh_u32_e32 v41, v44
	v_alignbit_b32 v40, v43, v39, 30
	v_min_u32_e32 v41, 32, v41
	v_alignbit_b32 v38, v39, v38, 30
	v_xor_b32_e32 v40, v40, v48
	v_sub_u32_e32 v42, 31, v41
	v_xor_b32_e32 v38, v38, v48
	v_alignbit_b32 v43, v44, v40, v42
	v_alignbit_b32 v38, v40, v38, v42
	;; [unrolled: 1-line block ×3, first 2 shown]
	v_ffbh_u32_e32 v40, v39
	v_min_u32_e32 v40, 32, v40
	v_lshrrev_b32_e32 v45, 29, v1
	v_not_b32_e32 v42, v40
	v_alignbit_b32 v38, v39, v38, v42
	v_lshlrev_b32_e32 v39, 31, v45
	v_or_b32_e32 v42, 0x33000000, v39
	v_add_lshl_u32 v40, v40, v41, 23
	v_lshrrev_b32_e32 v38, 9, v38
	v_sub_u32_e32 v40, v42, v40
	v_or_b32_e32 v39, 0.5, v39
	v_lshlrev_b32_e32 v41, 23, v41
	v_or_b32_e32 v38, v40, v38
	v_lshrrev_b32_e32 v40, 9, v43
	v_sub_u32_e32 v39, v39, v41
	v_or_b32_e32 v39, v40, v39
	v_mul_f32_e32 v40, 0x3fc90fda, v39
	v_fma_f32 v41, v39, s35, -v40
	v_fmac_f32_e32 v41, 0x33a22168, v39
	v_fmac_f32_e32 v41, 0x3fc90fda, v38
	v_lshrrev_b32_e32 v1, 30, v1
	v_add_f32_e32 v38, v40, v41
	v_add_u32_e32 v39, v47, v1
.LBB218_39:                             ;   in Loop: Header=BB218_25 Depth=1
	s_andn2_saveexec_b64 s[6:7], s[22:23]
	s_cbranch_execz .LBB218_41
; %bb.40:                               ;   in Loop: Header=BB218_25 Depth=1
	v_mul_f32_e32 v1, 0x3f22f983, v34
	v_rndne_f32_e32 v1, v1
	v_mov_b32_e32 v38, v34
	v_cvt_i32_f32_e32 v39, v1
	v_fmac_f32_e32 v38, 0xbfc90fda, v1
	v_fmac_f32_e32 v38, 0xb3a22168, v1
	;; [unrolled: 1-line block ×3, first 2 shown]
.LBB218_41:                             ;   in Loop: Header=BB218_25 Depth=1
	s_or_b64 exec, exec, s[6:7]
	v_cmp_ngt_f32_e64 s[6:7], s26, v32
                                        ; implicit-def: $vgpr41
                                        ; implicit-def: $vgpr40
	s_and_saveexec_b64 s[8:9], s[6:7]
	s_xor_b64 s[22:23], exec, s[8:9]
	s_cbranch_execz .LBB218_43
; %bb.42:                               ;   in Loop: Header=BB218_25 Depth=1
	v_and_b32_e32 v1, 0x7fffff, v32
	v_or_b32_e32 v47, 0x800000, v1
	v_mad_u64_u32 v[40:41], s[6:7], v47, s27, 0
	v_mov_b32_e32 v1, v41
	v_mad_u64_u32 v[41:42], s[6:7], v47, s28, v[1:2]
	v_mov_b32_e32 v1, v42
	v_mad_u64_u32 v[42:43], s[6:7], v47, s29, v[1:2]
	v_mov_b32_e32 v1, v43
	v_mad_u64_u32 v[43:44], s[6:7], v47, s30, v[1:2]
	v_lshrrev_b32_e32 v1, 23, v32
	v_add_u32_e32 v46, 0xffffff88, v1
	v_mov_b32_e32 v1, v44
	v_mad_u64_u32 v[44:45], s[6:7], v47, s31, v[1:2]
	v_cmp_lt_u32_e64 s[6:7], 63, v46
	v_cndmask_b32_e64 v1, 0, v28, s[6:7]
	v_add_u32_e32 v48, v1, v46
	v_mov_b32_e32 v1, v45
	v_mad_u64_u32 v[45:46], s[8:9], v47, s33, v[1:2]
	v_cmp_lt_u32_e64 s[8:9], 31, v48
	v_cndmask_b32_e64 v1, 0, v29, s[8:9]
	;; [unrolled: 5-line block ×3, first 2 shown]
	v_add_u32_e32 v1, v1, v48
	v_cndmask_b32_e64 v48, v45, v43, s[6:7]
	v_cndmask_b32_e64 v46, v46, v44, s[6:7]
	;; [unrolled: 1-line block ×10, first 2 shown]
	v_sub_u32_e32 v48, 32, v1
	v_cndmask_b32_e64 v43, v44, v41, s[8:9]
	v_alignbit_b32 v49, v45, v47, v48
	v_cmp_eq_u32_e64 s[12:13], 0, v1
	v_cndmask_b32_e64 v44, v46, v43, s[10:11]
	v_cndmask_b32_e64 v1, v49, v45, s[12:13]
	v_alignbit_b32 v45, v47, v44, v48
	v_cndmask_b32_e64 v40, v42, v40, s[6:7]
	v_cndmask_b32_e64 v45, v45, v47, s[12:13]
	v_bfe_u32 v49, v1, 29, 1
	v_cndmask_b32_e64 v40, v41, v40, s[8:9]
	v_alignbit_b32 v46, v1, v45, 30
	v_sub_u32_e32 v50, 0, v49
	v_cndmask_b32_e64 v40, v43, v40, s[10:11]
	v_xor_b32_e32 v46, v46, v50
	v_alignbit_b32 v41, v44, v40, v48
	v_cndmask_b32_e64 v41, v41, v44, s[12:13]
	v_ffbh_u32_e32 v43, v46
	v_alignbit_b32 v42, v45, v41, 30
	v_min_u32_e32 v43, 32, v43
	v_alignbit_b32 v40, v41, v40, 30
	v_xor_b32_e32 v42, v42, v50
	v_sub_u32_e32 v44, 31, v43
	v_xor_b32_e32 v40, v40, v50
	v_alignbit_b32 v45, v46, v42, v44
	v_alignbit_b32 v40, v42, v40, v44
	;; [unrolled: 1-line block ×3, first 2 shown]
	v_ffbh_u32_e32 v42, v41
	v_min_u32_e32 v42, 32, v42
	v_lshrrev_b32_e32 v47, 29, v1
	v_not_b32_e32 v44, v42
	v_alignbit_b32 v40, v41, v40, v44
	v_lshlrev_b32_e32 v41, 31, v47
	v_or_b32_e32 v44, 0x33000000, v41
	v_add_lshl_u32 v42, v42, v43, 23
	v_lshrrev_b32_e32 v40, 9, v40
	v_sub_u32_e32 v42, v44, v42
	v_or_b32_e32 v41, 0.5, v41
	v_lshlrev_b32_e32 v43, 23, v43
	v_or_b32_e32 v40, v42, v40
	v_lshrrev_b32_e32 v42, 9, v45
	v_sub_u32_e32 v41, v41, v43
	v_or_b32_e32 v41, v42, v41
	v_mul_f32_e32 v42, 0x3fc90fda, v41
	v_fma_f32 v43, v41, s35, -v42
	v_fmac_f32_e32 v43, 0x33a22168, v41
	v_fmac_f32_e32 v43, 0x3fc90fda, v40
	v_lshrrev_b32_e32 v1, 30, v1
	v_add_f32_e32 v40, v42, v43
	v_add_u32_e32 v41, v49, v1
.LBB218_43:                             ;   in Loop: Header=BB218_25 Depth=1
	s_andn2_saveexec_b64 s[6:7], s[22:23]
	s_cbranch_execz .LBB218_45
; %bb.44:                               ;   in Loop: Header=BB218_25 Depth=1
	v_mul_f32_e32 v1, 0x3f22f983, v32
	v_rndne_f32_e32 v1, v1
	v_mov_b32_e32 v40, v32
	v_cvt_i32_f32_e32 v41, v1
	v_fmac_f32_e32 v40, 0xbfc90fda, v1
	v_fmac_f32_e32 v40, 0xb3a22168, v1
	;; [unrolled: 1-line block ×3, first 2 shown]
.LBB218_45:                             ;   in Loop: Header=BB218_25 Depth=1
	s_or_b64 exec, exec, s[6:7]
	v_cmp_ngt_f32_e64 s[6:7], s26, v33
                                        ; implicit-def: $vgpr42
                                        ; implicit-def: $vgpr1
	s_and_saveexec_b64 s[8:9], s[6:7]
	s_xor_b64 s[22:23], exec, s[8:9]
	s_cbranch_execnz .LBB218_51
; %bb.46:                               ;   in Loop: Header=BB218_25 Depth=1
	s_andn2_saveexec_b64 s[6:7], s[22:23]
	s_cbranch_execnz .LBB218_52
.LBB218_47:                             ;   in Loop: Header=BB218_25 Depth=1
	s_or_b64 exec, exec, s[6:7]
	s_and_saveexec_b64 s[6:7], vcc
	s_xor_b64 s[6:7], exec, s[6:7]
	s_cbranch_execnz .LBB218_53
.LBB218_48:                             ;   in Loop: Header=BB218_25 Depth=1
	s_or_b64 exec, exec, s[6:7]
	s_and_saveexec_b64 s[6:7], s[4:5]
	s_cbranch_execnz .LBB218_54
.LBB218_49:                             ;   in Loop: Header=BB218_25 Depth=1
	s_or_b64 exec, exec, s[6:7]
	s_and_saveexec_b64 s[4:5], s[2:3]
	s_cbranch_execnz .LBB218_55
.LBB218_50:                             ;   in Loop: Header=BB218_25 Depth=1
	s_or_b64 exec, exec, s[4:5]
	s_and_saveexec_b64 s[2:3], s[0:1]
	s_cbranch_execz .LBB218_24
	s_branch .LBB218_56
.LBB218_51:                             ;   in Loop: Header=BB218_25 Depth=1
	v_and_b32_e32 v1, 0x7fffff, v33
	v_or_b32_e32 v49, 0x800000, v1
	v_mad_u64_u32 v[42:43], s[6:7], v49, s27, 0
	v_mov_b32_e32 v1, v43
	v_mad_u64_u32 v[43:44], s[6:7], v49, s28, v[1:2]
	v_mov_b32_e32 v1, v44
	;; [unrolled: 2-line block ×3, first 2 shown]
	v_mad_u64_u32 v[45:46], s[6:7], v49, s30, v[1:2]
	v_lshrrev_b32_e32 v1, 23, v33
	v_add_u32_e32 v48, 0xffffff88, v1
	v_mov_b32_e32 v1, v46
	v_mad_u64_u32 v[46:47], s[6:7], v49, s31, v[1:2]
	v_cmp_lt_u32_e64 s[6:7], 63, v48
	v_cndmask_b32_e64 v1, 0, v28, s[6:7]
	v_add_u32_e32 v50, v1, v48
	v_mov_b32_e32 v1, v47
	v_mad_u64_u32 v[47:48], s[8:9], v49, s33, v[1:2]
	v_cmp_lt_u32_e64 s[8:9], 31, v50
	v_cndmask_b32_e64 v1, 0, v29, s[8:9]
	;; [unrolled: 5-line block ×3, first 2 shown]
	v_add_u32_e32 v1, v1, v50
	v_cndmask_b32_e64 v50, v47, v45, s[6:7]
	v_cndmask_b32_e64 v48, v48, v46, s[6:7]
	;; [unrolled: 1-line block ×7, first 2 shown]
	v_sub_u32_e32 v50, 32, v1
	v_cmp_eq_u32_e64 s[12:13], 0, v1
	v_cndmask_b32_e64 v1, v45, v43, s[6:7]
	v_cndmask_b32_e64 v47, v47, v49, s[10:11]
	;; [unrolled: 1-line block ×4, first 2 shown]
	v_alignbit_b32 v51, v47, v49, v50
	v_cndmask_b32_e64 v45, v48, v43, s[10:11]
	v_cndmask_b32_e64 v47, v51, v47, s[12:13]
	v_alignbit_b32 v46, v49, v45, v50
	v_cndmask_b32_e64 v42, v44, v42, s[6:7]
	v_cndmask_b32_e64 v46, v46, v49, s[12:13]
	v_bfe_u32 v51, v47, 29, 1
	v_cndmask_b32_e64 v1, v1, v42, s[8:9]
	v_alignbit_b32 v48, v47, v46, 30
	v_sub_u32_e32 v52, 0, v51
	v_cndmask_b32_e64 v1, v43, v1, s[10:11]
	v_xor_b32_e32 v48, v48, v52
	v_alignbit_b32 v42, v45, v1, v50
	v_cndmask_b32_e64 v42, v42, v45, s[12:13]
	v_ffbh_u32_e32 v44, v48
	v_alignbit_b32 v43, v46, v42, 30
	v_min_u32_e32 v44, 32, v44
	v_alignbit_b32 v1, v42, v1, 30
	v_xor_b32_e32 v43, v43, v52
	v_sub_u32_e32 v45, 31, v44
	v_xor_b32_e32 v1, v1, v52
	v_alignbit_b32 v46, v48, v43, v45
	v_alignbit_b32 v1, v43, v1, v45
	;; [unrolled: 1-line block ×3, first 2 shown]
	v_ffbh_u32_e32 v43, v42
	v_min_u32_e32 v43, 32, v43
	v_lshrrev_b32_e32 v49, 29, v47
	v_not_b32_e32 v45, v43
	v_alignbit_b32 v1, v42, v1, v45
	v_lshlrev_b32_e32 v42, 31, v49
	v_or_b32_e32 v45, 0x33000000, v42
	v_add_lshl_u32 v43, v43, v44, 23
	v_lshrrev_b32_e32 v1, 9, v1
	v_sub_u32_e32 v43, v45, v43
	v_or_b32_e32 v42, 0.5, v42
	v_lshlrev_b32_e32 v44, 23, v44
	v_or_b32_e32 v1, v43, v1
	v_lshrrev_b32_e32 v43, 9, v46
	v_sub_u32_e32 v42, v42, v44
	v_or_b32_e32 v42, v43, v42
	v_mul_f32_e32 v43, 0x3fc90fda, v42
	v_fma_f32 v44, v42, s35, -v43
	v_fmac_f32_e32 v44, 0x33a22168, v42
	v_fmac_f32_e32 v44, 0x3fc90fda, v1
	v_lshrrev_b32_e32 v42, 30, v47
	v_add_f32_e32 v1, v43, v44
	v_add_u32_e32 v42, v51, v42
	s_andn2_saveexec_b64 s[6:7], s[22:23]
	s_cbranch_execz .LBB218_47
.LBB218_52:                             ;   in Loop: Header=BB218_25 Depth=1
	v_mul_f32_e32 v1, 0x3f22f983, v33
	v_rndne_f32_e32 v43, v1
	v_mov_b32_e32 v1, v33
	v_cvt_i32_f32_e32 v42, v43
	v_fmac_f32_e32 v1, 0xbfc90fda, v43
	v_fmac_f32_e32 v1, 0xb3a22168, v43
	;; [unrolled: 1-line block ×3, first 2 shown]
	s_or_b64 exec, exec, s[6:7]
	s_and_saveexec_b64 s[6:7], vcc
	s_xor_b64 s[6:7], exec, s[6:7]
	s_cbranch_execz .LBB218_48
.LBB218_53:                             ;   in Loop: Header=BB218_25 Depth=1
	v_mul_f32_e32 v43, v36, v36
	v_mov_b32_e32 v44, 0x3c0881c4
	v_fmac_f32_e32 v44, 0xb94c1982, v43
	v_fma_f32 v44, v43, v44, v25
	v_mul_f32_e32 v44, v43, v44
	v_fmac_f32_e32 v36, v36, v44
	v_mov_b32_e32 v44, 0xbab64f3b
	v_fmac_f32_e32 v44, 0x37d75334, v43
	v_fma_f32 v44, v43, v44, v26
	v_fma_f32 v44, v43, v44, v27
	v_fma_f32 v43, v43, v44, 1.0
	v_and_b32_e32 v44, 1, v37
	v_cmp_eq_u32_e32 vcc, 0, v44
	v_lshlrev_b32_e32 v37, 30, v37
	v_cndmask_b32_e64 v36, -v36, v43, vcc
	v_and_b32_e32 v37, 0x80000000, v37
	v_xor_b32_e32 v36, v37, v36
	v_cmp_lg_f32_e32 vcc, s36, v35
	v_cndmask_b32_e32 v35, v30, v36, vcc
	v_bfe_u32 v36, v35, 16, 1
	v_add3_u32 v36, v35, v36, s37
	v_cmp_o_f32_e32 vcc, v35, v35
	v_cndmask_b32_sdwa v37, v31, v36, vcc dst_sel:DWORD dst_unused:UNUSED_PAD src0_sel:DWORD src1_sel:WORD_1
	v_mov_b32_e32 v36, s15
	v_add_co_u32_e32 v35, vcc, s14, v5
	v_addc_co_u32_e32 v36, vcc, v6, v36, vcc
	global_store_short v[35:36], v37, off
	s_or_b64 exec, exec, s[6:7]
	s_and_saveexec_b64 s[6:7], s[4:5]
	s_cbranch_execz .LBB218_49
.LBB218_54:                             ;   in Loop: Header=BB218_25 Depth=1
	v_mul_f32_e32 v35, v38, v38
	v_mov_b32_e32 v36, 0x3c0881c4
	v_fmac_f32_e32 v36, 0xb94c1982, v35
	v_fma_f32 v36, v35, v36, v25
	v_mul_f32_e32 v36, v35, v36
	v_fmac_f32_e32 v38, v38, v36
	v_mov_b32_e32 v36, 0xbab64f3b
	v_fmac_f32_e32 v36, 0x37d75334, v35
	v_fma_f32 v36, v35, v36, v26
	v_fma_f32 v36, v35, v36, v27
	v_fma_f32 v35, v35, v36, 1.0
	v_and_b32_e32 v36, 1, v39
	v_cmp_eq_u32_e32 vcc, 0, v36
	v_lshlrev_b32_e32 v36, 30, v39
	v_cndmask_b32_e64 v35, -v38, v35, vcc
	v_and_b32_e32 v36, 0x80000000, v36
	v_xor_b32_e32 v35, v36, v35
	v_cmp_lg_f32_e32 vcc, s36, v34
	v_cndmask_b32_e32 v34, v30, v35, vcc
	v_bfe_u32 v35, v34, 16, 1
	v_add3_u32 v35, v34, v35, s37
	v_cmp_o_f32_e32 vcc, v34, v34
	v_cndmask_b32_sdwa v36, v31, v35, vcc dst_sel:DWORD dst_unused:UNUSED_PAD src0_sel:DWORD src1_sel:WORD_1
	v_mov_b32_e32 v35, s15
	v_add_co_u32_e32 v34, vcc, s14, v19
	v_addc_co_u32_e32 v35, vcc, v20, v35, vcc
	global_store_short v[34:35], v36, off
	s_or_b64 exec, exec, s[6:7]
	s_and_saveexec_b64 s[4:5], s[2:3]
	s_cbranch_execz .LBB218_50
.LBB218_55:                             ;   in Loop: Header=BB218_25 Depth=1
	v_mul_f32_e32 v34, v40, v40
	v_mov_b32_e32 v35, 0x3c0881c4
	v_fmac_f32_e32 v35, 0xb94c1982, v34
	v_fma_f32 v35, v34, v35, v25
	v_mul_f32_e32 v35, v34, v35
	v_fmac_f32_e32 v40, v40, v35
	v_mov_b32_e32 v35, 0xbab64f3b
	v_fmac_f32_e32 v35, 0x37d75334, v34
	v_fma_f32 v35, v34, v35, v26
	v_fma_f32 v35, v34, v35, v27
	v_fma_f32 v34, v34, v35, 1.0
	v_and_b32_e32 v35, 1, v41
	v_cmp_eq_u32_e32 vcc, 0, v35
	v_lshlrev_b32_e32 v35, 30, v41
	v_cndmask_b32_e64 v34, -v40, v34, vcc
	v_and_b32_e32 v35, 0x80000000, v35
	v_xor_b32_e32 v34, v35, v34
	v_cmp_lg_f32_e32 vcc, s36, v32
	v_cndmask_b32_e32 v32, v30, v34, vcc
	v_bfe_u32 v34, v32, 16, 1
	v_add3_u32 v34, v32, v34, s37
	v_cmp_o_f32_e32 vcc, v32, v32
	v_cndmask_b32_sdwa v32, v31, v34, vcc dst_sel:DWORD dst_unused:UNUSED_PAD src0_sel:DWORD src1_sel:WORD_1
	v_mov_b32_e32 v35, s15
	v_add_co_u32_e32 v34, vcc, s14, v13
	v_addc_co_u32_e32 v35, vcc, v14, v35, vcc
	global_store_short v[34:35], v32, off
	s_or_b64 exec, exec, s[4:5]
	s_and_saveexec_b64 s[2:3], s[0:1]
	s_cbranch_execz .LBB218_24
.LBB218_56:                             ;   in Loop: Header=BB218_25 Depth=1
	v_mul_f32_e32 v32, v1, v1
	v_mov_b32_e32 v34, 0x3c0881c4
	v_fmac_f32_e32 v34, 0xb94c1982, v32
	v_fma_f32 v34, v32, v34, v25
	v_mul_f32_e32 v34, v32, v34
	v_fmac_f32_e32 v1, v1, v34
	v_mov_b32_e32 v34, 0xbab64f3b
	v_fmac_f32_e32 v34, 0x37d75334, v32
	v_fma_f32 v34, v32, v34, v26
	v_fma_f32 v34, v32, v34, v27
	v_fma_f32 v32, v32, v34, 1.0
	v_and_b32_e32 v34, 1, v42
	v_cmp_eq_u32_e32 vcc, 0, v34
	v_cndmask_b32_e64 v1, -v1, v32, vcc
	v_lshlrev_b32_e32 v32, 30, v42
	v_and_b32_e32 v32, 0x80000000, v32
	v_xor_b32_e32 v1, v32, v1
	v_cmp_lg_f32_e32 vcc, s36, v33
	v_cndmask_b32_e32 v1, v30, v1, vcc
	v_bfe_u32 v32, v1, 16, 1
	v_add3_u32 v32, v1, v32, s37
	v_cmp_o_f32_e32 vcc, v1, v1
	v_cndmask_b32_sdwa v1, v31, v32, vcc dst_sel:DWORD dst_unused:UNUSED_PAD src0_sel:DWORD src1_sel:WORD_1
	v_mov_b32_e32 v33, s15
	v_add_co_u32_e32 v32, vcc, s14, v9
	v_addc_co_u32_e32 v33, vcc, v10, v33, vcc
	global_store_short v[32:33], v1, off
	s_branch .LBB218_24
.LBB218_57:
	s_endpgm
	.section	.rodata,"a",@progbits
	.p2align	6, 0x0
	.amdhsa_kernel _ZN2at6native12_GLOBAL__N_125multi_tensor_apply_kernelINS1_18TensorListMetadataILi2EEENS1_14UnaryOpFunctorIN3c108BFloat16ELi2ELi1ELi1EEEJNS0_3CosIfEEEEEvT_T0_DpT1_
		.amdhsa_group_segment_fixed_size 0
		.amdhsa_private_segment_fixed_size 0
		.amdhsa_kernarg_size 3408
		.amdhsa_user_sgpr_count 6
		.amdhsa_user_sgpr_private_segment_buffer 1
		.amdhsa_user_sgpr_dispatch_ptr 0
		.amdhsa_user_sgpr_queue_ptr 0
		.amdhsa_user_sgpr_kernarg_segment_ptr 1
		.amdhsa_user_sgpr_dispatch_id 0
		.amdhsa_user_sgpr_flat_scratch_init 0
		.amdhsa_user_sgpr_private_segment_size 0
		.amdhsa_uses_dynamic_stack 0
		.amdhsa_system_sgpr_private_segment_wavefront_offset 0
		.amdhsa_system_sgpr_workgroup_id_x 1
		.amdhsa_system_sgpr_workgroup_id_y 0
		.amdhsa_system_sgpr_workgroup_id_z 0
		.amdhsa_system_sgpr_workgroup_info 0
		.amdhsa_system_vgpr_workitem_id 0
		.amdhsa_next_free_vgpr 53
		.amdhsa_next_free_sgpr 40
		.amdhsa_reserve_vcc 1
		.amdhsa_reserve_flat_scratch 0
		.amdhsa_float_round_mode_32 0
		.amdhsa_float_round_mode_16_64 0
		.amdhsa_float_denorm_mode_32 3
		.amdhsa_float_denorm_mode_16_64 3
		.amdhsa_dx10_clamp 1
		.amdhsa_ieee_mode 1
		.amdhsa_fp16_overflow 0
		.amdhsa_exception_fp_ieee_invalid_op 0
		.amdhsa_exception_fp_denorm_src 0
		.amdhsa_exception_fp_ieee_div_zero 0
		.amdhsa_exception_fp_ieee_overflow 0
		.amdhsa_exception_fp_ieee_underflow 0
		.amdhsa_exception_fp_ieee_inexact 0
		.amdhsa_exception_int_div_zero 0
	.end_amdhsa_kernel
	.section	.text._ZN2at6native12_GLOBAL__N_125multi_tensor_apply_kernelINS1_18TensorListMetadataILi2EEENS1_14UnaryOpFunctorIN3c108BFloat16ELi2ELi1ELi1EEEJNS0_3CosIfEEEEEvT_T0_DpT1_,"axG",@progbits,_ZN2at6native12_GLOBAL__N_125multi_tensor_apply_kernelINS1_18TensorListMetadataILi2EEENS1_14UnaryOpFunctorIN3c108BFloat16ELi2ELi1ELi1EEEJNS0_3CosIfEEEEEvT_T0_DpT1_,comdat
.Lfunc_end218:
	.size	_ZN2at6native12_GLOBAL__N_125multi_tensor_apply_kernelINS1_18TensorListMetadataILi2EEENS1_14UnaryOpFunctorIN3c108BFloat16ELi2ELi1ELi1EEEJNS0_3CosIfEEEEEvT_T0_DpT1_, .Lfunc_end218-_ZN2at6native12_GLOBAL__N_125multi_tensor_apply_kernelINS1_18TensorListMetadataILi2EEENS1_14UnaryOpFunctorIN3c108BFloat16ELi2ELi1ELi1EEEJNS0_3CosIfEEEEEvT_T0_DpT1_
                                        ; -- End function
	.set _ZN2at6native12_GLOBAL__N_125multi_tensor_apply_kernelINS1_18TensorListMetadataILi2EEENS1_14UnaryOpFunctorIN3c108BFloat16ELi2ELi1ELi1EEEJNS0_3CosIfEEEEEvT_T0_DpT1_.num_vgpr, 53
	.set _ZN2at6native12_GLOBAL__N_125multi_tensor_apply_kernelINS1_18TensorListMetadataILi2EEENS1_14UnaryOpFunctorIN3c108BFloat16ELi2ELi1ELi1EEEJNS0_3CosIfEEEEEvT_T0_DpT1_.num_agpr, 0
	.set _ZN2at6native12_GLOBAL__N_125multi_tensor_apply_kernelINS1_18TensorListMetadataILi2EEENS1_14UnaryOpFunctorIN3c108BFloat16ELi2ELi1ELi1EEEJNS0_3CosIfEEEEEvT_T0_DpT1_.numbered_sgpr, 40
	.set _ZN2at6native12_GLOBAL__N_125multi_tensor_apply_kernelINS1_18TensorListMetadataILi2EEENS1_14UnaryOpFunctorIN3c108BFloat16ELi2ELi1ELi1EEEJNS0_3CosIfEEEEEvT_T0_DpT1_.num_named_barrier, 0
	.set _ZN2at6native12_GLOBAL__N_125multi_tensor_apply_kernelINS1_18TensorListMetadataILi2EEENS1_14UnaryOpFunctorIN3c108BFloat16ELi2ELi1ELi1EEEJNS0_3CosIfEEEEEvT_T0_DpT1_.private_seg_size, 0
	.set _ZN2at6native12_GLOBAL__N_125multi_tensor_apply_kernelINS1_18TensorListMetadataILi2EEENS1_14UnaryOpFunctorIN3c108BFloat16ELi2ELi1ELi1EEEJNS0_3CosIfEEEEEvT_T0_DpT1_.uses_vcc, 1
	.set _ZN2at6native12_GLOBAL__N_125multi_tensor_apply_kernelINS1_18TensorListMetadataILi2EEENS1_14UnaryOpFunctorIN3c108BFloat16ELi2ELi1ELi1EEEJNS0_3CosIfEEEEEvT_T0_DpT1_.uses_flat_scratch, 0
	.set _ZN2at6native12_GLOBAL__N_125multi_tensor_apply_kernelINS1_18TensorListMetadataILi2EEENS1_14UnaryOpFunctorIN3c108BFloat16ELi2ELi1ELi1EEEJNS0_3CosIfEEEEEvT_T0_DpT1_.has_dyn_sized_stack, 0
	.set _ZN2at6native12_GLOBAL__N_125multi_tensor_apply_kernelINS1_18TensorListMetadataILi2EEENS1_14UnaryOpFunctorIN3c108BFloat16ELi2ELi1ELi1EEEJNS0_3CosIfEEEEEvT_T0_DpT1_.has_recursion, 0
	.set _ZN2at6native12_GLOBAL__N_125multi_tensor_apply_kernelINS1_18TensorListMetadataILi2EEENS1_14UnaryOpFunctorIN3c108BFloat16ELi2ELi1ELi1EEEJNS0_3CosIfEEEEEvT_T0_DpT1_.has_indirect_call, 0
	.section	.AMDGPU.csdata,"",@progbits
; Kernel info:
; codeLenInByte = 7688
; TotalNumSgprs: 44
; NumVgprs: 53
; ScratchSize: 0
; MemoryBound: 0
; FloatMode: 240
; IeeeMode: 1
; LDSByteSize: 0 bytes/workgroup (compile time only)
; SGPRBlocks: 5
; VGPRBlocks: 13
; NumSGPRsForWavesPerEU: 44
; NumVGPRsForWavesPerEU: 53
; Occupancy: 4
; WaveLimiterHint : 0
; COMPUTE_PGM_RSRC2:SCRATCH_EN: 0
; COMPUTE_PGM_RSRC2:USER_SGPR: 6
; COMPUTE_PGM_RSRC2:TRAP_HANDLER: 0
; COMPUTE_PGM_RSRC2:TGID_X_EN: 1
; COMPUTE_PGM_RSRC2:TGID_Y_EN: 0
; COMPUTE_PGM_RSRC2:TGID_Z_EN: 0
; COMPUTE_PGM_RSRC2:TIDIG_COMP_CNT: 0
	.section	.text._ZN2at6native12_GLOBAL__N_125multi_tensor_apply_kernelINS1_18TensorListMetadataILi1EEENS1_14UnaryOpFunctorIdLi1ELi1ELi0EEEJNS0_3CosIdEEEEEvT_T0_DpT1_,"axG",@progbits,_ZN2at6native12_GLOBAL__N_125multi_tensor_apply_kernelINS1_18TensorListMetadataILi1EEENS1_14UnaryOpFunctorIdLi1ELi1ELi0EEEJNS0_3CosIdEEEEEvT_T0_DpT1_,comdat
	.globl	_ZN2at6native12_GLOBAL__N_125multi_tensor_apply_kernelINS1_18TensorListMetadataILi1EEENS1_14UnaryOpFunctorIdLi1ELi1ELi0EEEJNS0_3CosIdEEEEEvT_T0_DpT1_ ; -- Begin function _ZN2at6native12_GLOBAL__N_125multi_tensor_apply_kernelINS1_18TensorListMetadataILi1EEENS1_14UnaryOpFunctorIdLi1ELi1ELi0EEEJNS0_3CosIdEEEEEvT_T0_DpT1_
	.p2align	8
	.type	_ZN2at6native12_GLOBAL__N_125multi_tensor_apply_kernelINS1_18TensorListMetadataILi1EEENS1_14UnaryOpFunctorIdLi1ELi1ELi0EEEJNS0_3CosIdEEEEEvT_T0_DpT1_,@function
_ZN2at6native12_GLOBAL__N_125multi_tensor_apply_kernelINS1_18TensorListMetadataILi1EEENS1_14UnaryOpFunctorIdLi1ELi1ELi0EEEJNS0_3CosIdEEEEEvT_T0_DpT1_: ; @_ZN2at6native12_GLOBAL__N_125multi_tensor_apply_kernelINS1_18TensorListMetadataILi1EEENS1_14UnaryOpFunctorIdLi1ELi1ELi0EEEJNS0_3CosIdEEEEEvT_T0_DpT1_
; %bb.0:
	v_mov_b32_e32 v1, s6
	global_load_ubyte v1, v1, s[4:5] offset:1760
	s_add_u32 s0, s4, s6
	s_mul_hi_u32 s1, s6, 3
	s_mul_i32 s6, s6, 3
	s_addc_u32 s2, s5, 0
	s_add_u32 s0, s0, s6
	s_addc_u32 s1, s2, s1
	s_load_dword s0, s[0:1], 0x820
	s_mov_b32 s7, 0
	s_waitcnt vmcnt(0)
	v_readfirstlane_b32 s1, v1
	s_lshl_b32 s1, s1, 3
	s_load_dwordx2 s[2:3], s[4:5], s1 offset:0x370
	s_load_dwordx2 s[12:13], s[4:5], s1 offset:0x0
	s_waitcnt lgkmcnt(0)
	s_ashr_i32 s1, s0, 31
	s_lshl_b64 s[14:15], s[0:1], 19
	s_lshl_b64 s[0:1], s[0:1], 16
	s_and_b32 s6, s12, 31
	s_sub_u32 s16, s2, s0
	s_subb_u32 s17, s3, s1
	s_and_b32 s0, s2, 3
	s_mov_b32 s1, s7
	s_or_b64 s[0:1], s[6:7], s[0:1]
	s_cmp_eq_u64 s[0:1], 0
	s_cbranch_scc1 .LBB219_37
; %bb.1:
	v_cmp_lt_i64_e64 s[0:1], s[16:17], 1
	s_and_b64 vcc, exec, s[0:1]
	s_cbranch_vccnz .LBB219_36
; %bb.2:
	v_mov_b32_e32 v2, 0x10000
	s_load_dword s2, s[4:5], 0xd3c
	v_mov_b32_e32 v3, 0
	v_cmp_lt_i64_e32 vcc, s[16:17], v[2:3]
	s_mov_b32 s24, 0
	s_and_b64 s[0:1], vcc, exec
	v_cmp_lt_u64_e32 vcc, s[16:17], v[2:3]
	s_cselect_b32 s19, s17, 0
	s_cselect_b32 s18, s16, 0x10000
	s_waitcnt lgkmcnt(0)
	s_and_b32 s2, s2, 0xffff
	s_and_b64 s[0:1], vcc, exec
	s_cselect_b32 s21, s17, 0
	s_cselect_b32 s20, s16, 0x10000
	s_lshl_b32 s3, s2, 1
	s_lshl_b32 s33, s2, 2
	s_add_u32 s6, s12, s14
	v_lshlrev_b32_e32 v2, 3, v0
	s_addc_u32 s7, s13, s15
	v_mov_b32_e32 v4, s7
	v_add_co_u32_e32 v3, vcc, s6, v2
	s_mul_i32 s0, s2, 3
	v_addc_co_u32_e32 v4, vcc, 0, v4, vcc
	v_add_co_u32_e32 v35, vcc, s0, v0
	v_addc_co_u32_e64 v36, s[0:1], 0, 0, vcc
	v_add_co_u32_e32 v37, vcc, s3, v0
	v_addc_co_u32_e64 v38, s[0:1], 0, 0, vcc
	v_add_co_u32_e32 v39, vcc, s2, v0
	v_lshlrev_b32_e32 v2, 3, v39
	v_addc_co_u32_e64 v40, s[0:1], 0, 0, vcc
	v_mov_b32_e32 v6, s7
	v_add_co_u32_e32 v5, vcc, s6, v2
	s_mov_b32 s26, 0
	s_mov_b32 s28, 0
	;; [unrolled: 1-line block ×15, first 2 shown]
	v_mov_b32_e32 v1, 0
	s_lshl_b32 s68, s2, 5
	s_mul_i32 s69, s2, 24
	s_lshl_b32 s70, s2, 4
	v_addc_co_u32_e32 v6, vcc, 0, v6, vcc
	s_mov_b64 s[22:23], 0
	s_mov_b32 s25, 0x41d00000
	s_mov_b32 s27, 0x7b000000
	s_movk_i32 s71, 0xff80
	s_mov_b32 s29, 0x7ff00000
	s_mov_b32 s31, 0x3ff921fb
	;; [unrolled: 1-line block ×18, first 2 shown]
	v_mov_b32_e32 v41, 0x40100000
	v_mov_b32_e32 v42, 0x3ff00000
	v_mov_b32_e32 v7, 0x9037ab78
	v_mov_b32_e32 v8, 0x3e21eeb6
	v_mov_b32_e32 v9, 0xb42fdfa7
	v_mov_b32_e32 v10, 0xbe5ae600
	v_mov_b32_e32 v43, 0x7ff80000
	s_branch .LBB219_4
.LBB219_3:                              ;   in Loop: Header=BB219_4 Depth=1
	s_or_b64 exec, exec, s[2:3]
	s_add_u32 s22, s22, s33
	v_add_co_u32_e32 v3, vcc, s68, v3
	v_mov_b32_e32 v11, s18
	s_addc_u32 s23, s23, 0
	v_addc_co_u32_e32 v4, vcc, 0, v4, vcc
	v_mov_b32_e32 v12, s19
	v_cmp_ge_i64_e32 vcc, s[22:23], v[11:12]
	v_add_co_u32_e64 v5, s[0:1], s68, v5
	v_addc_co_u32_e64 v6, s[0:1], 0, v6, s[0:1]
	s_cbranch_vccnz .LBB219_36
.LBB219_4:                              ; =>This Inner Loop Header: Depth=1
	v_mov_b32_e32 v2, s23
	v_add_co_u32_e32 v11, vcc, s22, v0
	v_addc_co_u32_e32 v12, vcc, 0, v2, vcc
	v_cmp_gt_u64_e64 s[6:7], s[20:21], v[11:12]
	v_mov_b32_e32 v15, 0
	v_mov_b32_e32 v17, 0
	;; [unrolled: 1-line block ×4, first 2 shown]
	s_and_saveexec_b64 s[0:1], s[6:7]
	s_cbranch_execz .LBB219_6
; %bb.5:                                ;   in Loop: Header=BB219_4 Depth=1
	global_load_dwordx2 v[17:18], v[3:4], off
	s_waitcnt vmcnt(0)
	v_and_b32_e32 v18, 0x7fffffff, v18
.LBB219_6:                              ;   in Loop: Header=BB219_4 Depth=1
	s_or_b64 exec, exec, s[0:1]
	v_mov_b32_e32 v2, s23
	v_add_co_u32_e32 v11, vcc, s22, v39
	v_addc_co_u32_e32 v12, vcc, v40, v2, vcc
	v_cmp_gt_u64_e64 s[2:3], s[20:21], v[11:12]
	s_and_saveexec_b64 s[0:1], s[2:3]
	s_cbranch_execz .LBB219_8
; %bb.7:                                ;   in Loop: Header=BB219_4 Depth=1
	global_load_dwordx2 v[15:16], v[5:6], off
	s_waitcnt vmcnt(0)
	v_and_b32_e32 v16, 0x7fffffff, v16
.LBB219_8:                              ;   in Loop: Header=BB219_4 Depth=1
	s_or_b64 exec, exec, s[0:1]
	v_mov_b32_e32 v2, s23
	v_add_co_u32_e32 v11, vcc, s22, v37
	v_addc_co_u32_e32 v12, vcc, v38, v2, vcc
	v_cmp_gt_u64_e64 s[0:1], s[20:21], v[11:12]
	v_mov_b32_e32 v11, 0
	v_mov_b32_e32 v13, 0
	;; [unrolled: 1-line block ×4, first 2 shown]
	s_and_saveexec_b64 s[8:9], s[0:1]
	s_cbranch_execz .LBB219_10
; %bb.9:                                ;   in Loop: Header=BB219_4 Depth=1
	v_add_co_u32_e32 v13, vcc, s70, v3
	v_addc_co_u32_e32 v14, vcc, 0, v4, vcc
	global_load_dwordx2 v[13:14], v[13:14], off
	s_waitcnt vmcnt(0)
	v_and_b32_e32 v14, 0x7fffffff, v14
.LBB219_10:                             ;   in Loop: Header=BB219_4 Depth=1
	s_or_b64 exec, exec, s[8:9]
	v_mov_b32_e32 v2, s23
	v_add_co_u32_e32 v19, vcc, s22, v35
	v_addc_co_u32_e32 v20, vcc, v36, v2, vcc
	v_cmp_gt_u64_e32 vcc, s[20:21], v[19:20]
	s_and_saveexec_b64 s[10:11], vcc
	s_cbranch_execz .LBB219_12
; %bb.11:                               ;   in Loop: Header=BB219_4 Depth=1
	v_add_co_u32_e64 v11, s[8:9], s69, v3
	v_addc_co_u32_e64 v12, s[8:9], 0, v4, s[8:9]
	global_load_dwordx2 v[11:12], v[11:12], off
	s_waitcnt vmcnt(0)
	v_and_b32_e32 v12, 0x7fffffff, v12
.LBB219_12:                             ;   in Loop: Header=BB219_4 Depth=1
	s_or_b64 exec, exec, s[10:11]
	v_cmp_ngt_f64_e64 s[8:9], s[24:25], v[17:18]
                                        ; implicit-def: $vgpr44
                                        ; implicit-def: $vgpr19_vgpr20
                                        ; implicit-def: $vgpr21_vgpr22
	s_and_saveexec_b64 s[10:11], s[8:9]
	s_xor_b64 s[66:67], exec, s[10:11]
	s_cbranch_execz .LBB219_14
; %bb.13:                               ;   in Loop: Header=BB219_4 Depth=1
	v_trig_preop_f64 v[19:20], v[17:18], 0
	v_ldexp_f64 v[23:24], v[17:18], s71
	v_cmp_le_f64_e64 s[8:9], s[26:27], v[17:18]
	v_trig_preop_f64 v[21:22], v[17:18], 1
	v_trig_preop_f64 v[31:32], v[17:18], 2
	s_mov_b32 s30, s34
	s_mov_b32 s39, s37
	v_cndmask_b32_e64 v24, v18, v24, s[8:9]
	v_cndmask_b32_e64 v23, v17, v23, s[8:9]
	v_mul_f64 v[25:26], v[19:20], v[23:24]
	v_mul_f64 v[27:28], v[21:22], v[23:24]
	;; [unrolled: 1-line block ×3, first 2 shown]
	v_fma_f64 v[19:20], v[19:20], v[23:24], -v[25:26]
	v_fma_f64 v[21:22], v[21:22], v[23:24], -v[27:28]
	;; [unrolled: 1-line block ×3, first 2 shown]
	v_add_f64 v[29:30], v[27:28], v[19:20]
	v_add_f64 v[33:34], v[29:30], -v[27:28]
	v_add_f64 v[48:49], v[25:26], v[29:30]
	v_add_f64 v[44:45], v[29:30], -v[33:34]
	v_add_f64 v[19:20], v[19:20], -v[33:34]
	v_add_f64 v[33:34], v[46:47], v[21:22]
	v_add_f64 v[25:26], v[48:49], -v[25:26]
	v_add_f64 v[27:28], v[27:28], -v[44:45]
	v_ldexp_f64 v[44:45], v[48:49], -2
	v_add_f64 v[50:51], v[33:34], -v[46:47]
	v_add_f64 v[25:26], v[29:30], -v[25:26]
	v_add_f64 v[19:20], v[19:20], v[27:28]
	v_fract_f64_e32 v[27:28], v[44:45]
	v_cmp_neq_f64_e64 s[8:9], |v[44:45]|, s[28:29]
	v_add_f64 v[21:22], v[21:22], -v[50:51]
	v_add_f64 v[29:30], v[33:34], v[19:20]
	v_ldexp_f64 v[27:28], v[27:28], 2
	v_add_f64 v[44:45], v[25:26], v[29:30]
	v_cndmask_b32_e64 v28, 0, v28, s[8:9]
	v_cndmask_b32_e64 v27, 0, v27, s[8:9]
	v_add_f64 v[52:53], v[29:30], -v[33:34]
	v_add_f64 v[48:49], v[44:45], v[27:28]
	v_add_f64 v[25:26], v[44:45], -v[25:26]
	v_add_f64 v[54:55], v[29:30], -v[52:53]
	;; [unrolled: 1-line block ×3, first 2 shown]
	v_cmp_gt_f64_e64 s[8:9], 0, v[48:49]
	v_add_f64 v[48:49], v[33:34], -v[50:51]
	v_add_f64 v[25:26], v[29:30], -v[25:26]
	;; [unrolled: 1-line block ×3, first 2 shown]
	v_cndmask_b32_e64 v2, 0, v41, s[8:9]
	v_add_f64 v[27:28], v[27:28], v[1:2]
	v_add_f64 v[48:49], v[46:47], -v[48:49]
	v_add_f64 v[19:20], v[19:20], v[33:34]
	v_add_f64 v[56:57], v[44:45], v[27:28]
	;; [unrolled: 1-line block ×3, first 2 shown]
	v_cvt_i32_f64_e32 v2, v[56:57]
	v_add_f64 v[19:20], v[21:22], v[19:20]
	v_cvt_f64_i32_e32 v[50:51], v2
	v_add_f64 v[27:28], v[27:28], -v[50:51]
	v_add_f64 v[19:20], v[23:24], v[19:20]
	v_add_f64 v[21:22], v[44:45], v[27:28]
	v_add_f64 v[19:20], v[25:26], v[19:20]
	v_add_f64 v[23:24], v[21:22], -v[27:28]
	v_cmp_le_f64_e64 s[8:9], 0.5, v[21:22]
	v_add_f64 v[23:24], v[44:45], -v[23:24]
	v_addc_co_u32_e64 v44, s[10:11], 0, v2, s[8:9]
	v_cndmask_b32_e64 v2, 0, v42, s[8:9]
	v_add_f64 v[21:22], v[21:22], -v[1:2]
	v_add_f64 v[19:20], v[19:20], v[23:24]
	v_add_f64 v[23:24], v[21:22], v[19:20]
	v_mul_f64 v[25:26], v[23:24], s[30:31]
	v_add_f64 v[21:22], v[23:24], -v[21:22]
	v_fma_f64 v[27:28], v[23:24], s[30:31], -v[25:26]
	v_add_f64 v[19:20], v[19:20], -v[21:22]
	v_fma_f64 v[21:22], v[23:24], s[38:39], v[27:28]
	v_fma_f64 v[21:22], v[19:20], s[30:31], v[21:22]
	v_add_f64 v[19:20], v[25:26], v[21:22]
	v_add_f64 v[23:24], v[19:20], -v[25:26]
	v_add_f64 v[21:22], v[21:22], -v[23:24]
.LBB219_14:                             ;   in Loop: Header=BB219_4 Depth=1
	s_andn2_saveexec_b64 s[8:9], s[66:67]
	s_cbranch_execz .LBB219_16
; %bb.15:                               ;   in Loop: Header=BB219_4 Depth=1
	v_mul_f64 v[19:20], v[17:18], s[40:41]
	s_mov_b32 s36, s42
	v_rndne_f64_e32 v[23:24], v[19:20]
	v_fma_f64 v[19:20], v[23:24], s[34:35], v[17:18]
	v_mul_f64 v[21:22], v[23:24], s[42:43]
	v_cvt_i32_f64_e32 v44, v[23:24]
	v_fma_f64 v[29:30], v[23:24], s[42:43], v[19:20]
	v_add_f64 v[25:26], v[19:20], v[21:22]
	v_add_f64 v[27:28], v[19:20], -v[25:26]
	v_add_f64 v[25:26], v[25:26], -v[29:30]
	v_add_f64 v[19:20], v[27:28], v[21:22]
	v_fma_f64 v[21:22], v[23:24], s[36:37], v[21:22]
	v_add_f64 v[19:20], v[25:26], v[19:20]
	v_add_f64 v[19:20], v[19:20], -v[21:22]
	v_fma_f64 v[21:22], v[23:24], s[44:45], v[19:20]
	v_add_f64 v[19:20], v[29:30], v[21:22]
	v_add_f64 v[25:26], v[19:20], -v[29:30]
	v_add_f64 v[21:22], v[21:22], -v[25:26]
.LBB219_16:                             ;   in Loop: Header=BB219_4 Depth=1
	s_or_b64 exec, exec, s[8:9]
	v_cmp_ngt_f64_e64 s[8:9], s[24:25], v[15:16]
                                        ; implicit-def: $vgpr45
                                        ; implicit-def: $vgpr23_vgpr24
                                        ; implicit-def: $vgpr25_vgpr26
	s_and_saveexec_b64 s[10:11], s[8:9]
	s_xor_b64 s[66:67], exec, s[10:11]
	s_cbranch_execz .LBB219_18
; %bb.17:                               ;   in Loop: Header=BB219_4 Depth=1
	v_trig_preop_f64 v[23:24], v[15:16], 0
	v_ldexp_f64 v[27:28], v[15:16], s71
	v_cmp_le_f64_e64 s[8:9], s[26:27], v[15:16]
	v_trig_preop_f64 v[25:26], v[15:16], 1
	v_trig_preop_f64 v[45:46], v[15:16], 2
	s_mov_b32 s30, s34
	s_mov_b32 s39, s37
	v_cndmask_b32_e64 v28, v16, v28, s[8:9]
	v_cndmask_b32_e64 v27, v15, v27, s[8:9]
	v_mul_f64 v[29:30], v[23:24], v[27:28]
	v_mul_f64 v[31:32], v[25:26], v[27:28]
	;; [unrolled: 1-line block ×3, first 2 shown]
	v_fma_f64 v[23:24], v[23:24], v[27:28], -v[29:30]
	v_fma_f64 v[25:26], v[25:26], v[27:28], -v[31:32]
	;; [unrolled: 1-line block ×3, first 2 shown]
	v_add_f64 v[33:34], v[31:32], v[23:24]
	v_add_f64 v[47:48], v[33:34], -v[31:32]
	v_add_f64 v[53:54], v[29:30], v[33:34]
	v_add_f64 v[49:50], v[33:34], -v[47:48]
	v_add_f64 v[23:24], v[23:24], -v[47:48]
	v_add_f64 v[47:48], v[51:52], v[25:26]
	v_add_f64 v[29:30], v[53:54], -v[29:30]
	v_add_f64 v[31:32], v[31:32], -v[49:50]
	v_ldexp_f64 v[49:50], v[53:54], -2
	v_add_f64 v[55:56], v[47:48], -v[51:52]
	v_add_f64 v[29:30], v[33:34], -v[29:30]
	v_add_f64 v[23:24], v[23:24], v[31:32]
	v_fract_f64_e32 v[31:32], v[49:50]
	v_cmp_neq_f64_e64 s[8:9], |v[49:50]|, s[28:29]
	v_add_f64 v[25:26], v[25:26], -v[55:56]
	v_add_f64 v[33:34], v[47:48], v[23:24]
	v_ldexp_f64 v[31:32], v[31:32], 2
	v_add_f64 v[49:50], v[29:30], v[33:34]
	v_cndmask_b32_e64 v32, 0, v32, s[8:9]
	v_cndmask_b32_e64 v31, 0, v31, s[8:9]
	v_add_f64 v[57:58], v[33:34], -v[47:48]
	v_add_f64 v[53:54], v[49:50], v[31:32]
	v_add_f64 v[29:30], v[49:50], -v[29:30]
	v_add_f64 v[59:60], v[33:34], -v[57:58]
	;; [unrolled: 1-line block ×3, first 2 shown]
	v_cmp_gt_f64_e64 s[8:9], 0, v[53:54]
	v_add_f64 v[53:54], v[47:48], -v[55:56]
	v_add_f64 v[29:30], v[33:34], -v[29:30]
	;; [unrolled: 1-line block ×3, first 2 shown]
	v_cndmask_b32_e64 v2, 0, v41, s[8:9]
	v_add_f64 v[31:32], v[31:32], v[1:2]
	v_add_f64 v[53:54], v[51:52], -v[53:54]
	v_add_f64 v[23:24], v[23:24], v[47:48]
	v_add_f64 v[61:62], v[49:50], v[31:32]
	v_add_f64 v[25:26], v[25:26], v[53:54]
	v_cvt_i32_f64_e32 v2, v[61:62]
	v_add_f64 v[23:24], v[25:26], v[23:24]
	v_cvt_f64_i32_e32 v[55:56], v2
	v_add_f64 v[31:32], v[31:32], -v[55:56]
	v_add_f64 v[23:24], v[27:28], v[23:24]
	v_add_f64 v[25:26], v[49:50], v[31:32]
	;; [unrolled: 1-line block ×3, first 2 shown]
	v_add_f64 v[27:28], v[25:26], -v[31:32]
	v_cmp_le_f64_e64 s[8:9], 0.5, v[25:26]
	v_add_f64 v[27:28], v[49:50], -v[27:28]
	v_addc_co_u32_e64 v45, s[10:11], 0, v2, s[8:9]
	v_cndmask_b32_e64 v2, 0, v42, s[8:9]
	v_add_f64 v[25:26], v[25:26], -v[1:2]
	v_add_f64 v[23:24], v[23:24], v[27:28]
	v_add_f64 v[27:28], v[25:26], v[23:24]
	v_mul_f64 v[29:30], v[27:28], s[30:31]
	v_add_f64 v[25:26], v[27:28], -v[25:26]
	v_fma_f64 v[31:32], v[27:28], s[30:31], -v[29:30]
	v_add_f64 v[23:24], v[23:24], -v[25:26]
	v_fma_f64 v[25:26], v[27:28], s[38:39], v[31:32]
	v_fma_f64 v[25:26], v[23:24], s[30:31], v[25:26]
	v_add_f64 v[23:24], v[29:30], v[25:26]
	v_add_f64 v[27:28], v[23:24], -v[29:30]
	v_add_f64 v[25:26], v[25:26], -v[27:28]
.LBB219_18:                             ;   in Loop: Header=BB219_4 Depth=1
	s_andn2_saveexec_b64 s[8:9], s[66:67]
	s_cbranch_execz .LBB219_20
; %bb.19:                               ;   in Loop: Header=BB219_4 Depth=1
	v_mul_f64 v[23:24], v[15:16], s[40:41]
	s_mov_b32 s36, s42
	v_rndne_f64_e32 v[27:28], v[23:24]
	v_fma_f64 v[23:24], v[27:28], s[34:35], v[15:16]
	v_mul_f64 v[25:26], v[27:28], s[42:43]
	v_cvt_i32_f64_e32 v45, v[27:28]
	v_fma_f64 v[33:34], v[27:28], s[42:43], v[23:24]
	v_add_f64 v[29:30], v[23:24], v[25:26]
	v_add_f64 v[31:32], v[23:24], -v[29:30]
	v_add_f64 v[29:30], v[29:30], -v[33:34]
	v_add_f64 v[23:24], v[31:32], v[25:26]
	v_fma_f64 v[25:26], v[27:28], s[36:37], v[25:26]
	v_add_f64 v[23:24], v[29:30], v[23:24]
	v_add_f64 v[23:24], v[23:24], -v[25:26]
	v_fma_f64 v[25:26], v[27:28], s[44:45], v[23:24]
	v_add_f64 v[23:24], v[33:34], v[25:26]
	v_add_f64 v[29:30], v[23:24], -v[33:34]
	v_add_f64 v[25:26], v[25:26], -v[29:30]
.LBB219_20:                             ;   in Loop: Header=BB219_4 Depth=1
	s_or_b64 exec, exec, s[8:9]
	v_cmp_ngt_f64_e64 s[8:9], s[24:25], v[13:14]
                                        ; implicit-def: $vgpr46
                                        ; implicit-def: $vgpr27_vgpr28
                                        ; implicit-def: $vgpr29_vgpr30
	s_and_saveexec_b64 s[10:11], s[8:9]
	s_xor_b64 s[66:67], exec, s[10:11]
	s_cbranch_execz .LBB219_22
; %bb.21:                               ;   in Loop: Header=BB219_4 Depth=1
	v_trig_preop_f64 v[27:28], v[13:14], 0
	v_cmp_le_f64_e64 s[8:9], s[26:27], v[13:14]
	v_ldexp_f64 v[31:32], v[13:14], s71
	v_trig_preop_f64 v[29:30], v[13:14], 1
	s_mov_b32 s30, s34
	s_mov_b32 s39, s37
	v_cndmask_b32_e64 v32, v14, v32, s[8:9]
	v_cndmask_b32_e64 v31, v13, v31, s[8:9]
	v_mul_f64 v[46:47], v[27:28], v[31:32]
	v_mul_f64 v[33:34], v[29:30], v[31:32]
	v_fma_f64 v[27:28], v[27:28], v[31:32], -v[46:47]
	v_fma_f64 v[29:30], v[29:30], v[31:32], -v[33:34]
	v_add_f64 v[48:49], v[33:34], v[27:28]
	v_add_f64 v[56:57], v[48:49], -v[33:34]
	v_add_f64 v[50:51], v[46:47], v[48:49]
	v_add_f64 v[27:28], v[27:28], -v[56:57]
	v_add_f64 v[56:57], v[48:49], -v[56:57]
	v_ldexp_f64 v[52:53], v[50:51], -2
	v_add_f64 v[46:47], v[50:51], -v[46:47]
	v_add_f64 v[56:57], v[33:34], -v[56:57]
	v_trig_preop_f64 v[33:34], v[13:14], 2
	v_fract_f64_e32 v[54:55], v[52:53]
	v_add_f64 v[46:47], v[48:49], -v[46:47]
	v_cmp_neq_f64_e64 s[8:9], |v[52:53]|, s[28:29]
	v_add_f64 v[27:28], v[27:28], v[56:57]
	v_mul_f64 v[56:57], v[33:34], v[31:32]
	v_add_f64 v[58:59], v[56:57], v[29:30]
	v_add_f64 v[60:61], v[58:59], v[27:28]
	v_add_f64 v[50:51], v[60:61], -v[58:59]
	v_add_f64 v[48:49], v[46:47], v[60:61]
	v_add_f64 v[27:28], v[27:28], -v[50:51]
	v_add_f64 v[50:51], v[60:61], -v[50:51]
	;; [unrolled: 1-line block ×5, first 2 shown]
	v_add_f64 v[27:28], v[27:28], v[50:51]
	v_add_f64 v[50:51], v[58:59], -v[56:57]
	v_add_f64 v[29:30], v[29:30], -v[50:51]
	;; [unrolled: 1-line block ×4, first 2 shown]
	v_add_f64 v[29:30], v[29:30], v[50:51]
	v_add_f64 v[27:28], v[29:30], v[27:28]
	v_fma_f64 v[29:30], v[33:34], v[31:32], -v[56:57]
	v_add_f64 v[27:28], v[29:30], v[27:28]
	v_ldexp_f64 v[29:30], v[54:55], 2
	v_add_f64 v[27:28], v[46:47], v[27:28]
	v_cndmask_b32_e64 v30, 0, v30, s[8:9]
	v_cndmask_b32_e64 v29, 0, v29, s[8:9]
	v_add_f64 v[31:32], v[48:49], v[29:30]
	v_cmp_gt_f64_e64 s[8:9], 0, v[31:32]
	v_cndmask_b32_e64 v2, 0, v41, s[8:9]
	v_add_f64 v[29:30], v[29:30], v[1:2]
	v_add_f64 v[31:32], v[48:49], v[29:30]
	v_cvt_i32_f64_e32 v2, v[31:32]
	v_cvt_f64_i32_e32 v[31:32], v2
	v_add_f64 v[29:30], v[29:30], -v[31:32]
	v_add_f64 v[31:32], v[48:49], v[29:30]
	v_add_f64 v[29:30], v[31:32], -v[29:30]
	v_cmp_le_f64_e64 s[8:9], 0.5, v[31:32]
	v_add_f64 v[29:30], v[48:49], -v[29:30]
	v_addc_co_u32_e64 v46, s[10:11], 0, v2, s[8:9]
	v_cndmask_b32_e64 v2, 0, v42, s[8:9]
	v_add_f64 v[27:28], v[27:28], v[29:30]
	v_add_f64 v[29:30], v[31:32], -v[1:2]
	v_add_f64 v[31:32], v[29:30], v[27:28]
	v_add_f64 v[29:30], v[31:32], -v[29:30]
	v_add_f64 v[27:28], v[27:28], -v[29:30]
	v_mul_f64 v[29:30], v[31:32], s[30:31]
	v_fma_f64 v[33:34], v[31:32], s[30:31], -v[29:30]
	v_fma_f64 v[31:32], v[31:32], s[38:39], v[33:34]
	v_fma_f64 v[31:32], v[27:28], s[30:31], v[31:32]
	v_add_f64 v[27:28], v[29:30], v[31:32]
	v_add_f64 v[29:30], v[27:28], -v[29:30]
	v_add_f64 v[29:30], v[31:32], -v[29:30]
.LBB219_22:                             ;   in Loop: Header=BB219_4 Depth=1
	s_andn2_saveexec_b64 s[8:9], s[66:67]
	s_cbranch_execz .LBB219_24
; %bb.23:                               ;   in Loop: Header=BB219_4 Depth=1
	v_mul_f64 v[27:28], v[13:14], s[40:41]
	s_mov_b32 s36, s42
	v_rndne_f64_e32 v[31:32], v[27:28]
	v_fma_f64 v[27:28], v[31:32], s[34:35], v[13:14]
	v_mul_f64 v[29:30], v[31:32], s[42:43]
	v_fma_f64 v[48:49], v[31:32], s[42:43], v[27:28]
	v_add_f64 v[33:34], v[27:28], v[29:30]
	v_add_f64 v[46:47], v[27:28], -v[33:34]
	v_add_f64 v[33:34], v[33:34], -v[48:49]
	v_add_f64 v[27:28], v[46:47], v[29:30]
	v_fma_f64 v[29:30], v[31:32], s[36:37], v[29:30]
	v_cvt_i32_f64_e32 v46, v[31:32]
	v_add_f64 v[27:28], v[33:34], v[27:28]
	v_add_f64 v[27:28], v[27:28], -v[29:30]
	v_fma_f64 v[29:30], v[31:32], s[44:45], v[27:28]
	v_add_f64 v[27:28], v[48:49], v[29:30]
	v_add_f64 v[33:34], v[27:28], -v[48:49]
	v_add_f64 v[29:30], v[29:30], -v[33:34]
.LBB219_24:                             ;   in Loop: Header=BB219_4 Depth=1
	s_or_b64 exec, exec, s[8:9]
	v_cmp_ngt_f64_e64 s[8:9], s[24:25], v[11:12]
                                        ; implicit-def: $vgpr2
                                        ; implicit-def: $vgpr31_vgpr32
                                        ; implicit-def: $vgpr33_vgpr34
	s_and_saveexec_b64 s[10:11], s[8:9]
	s_xor_b64 s[10:11], exec, s[10:11]
	s_cbranch_execnz .LBB219_30
; %bb.25:                               ;   in Loop: Header=BB219_4 Depth=1
	s_andn2_saveexec_b64 s[8:9], s[10:11]
	s_cbranch_execnz .LBB219_31
.LBB219_26:                             ;   in Loop: Header=BB219_4 Depth=1
	s_or_b64 exec, exec, s[8:9]
	s_and_saveexec_b64 s[8:9], s[6:7]
	s_xor_b64 s[8:9], exec, s[8:9]
	s_cbranch_execnz .LBB219_32
.LBB219_27:                             ;   in Loop: Header=BB219_4 Depth=1
	s_or_b64 exec, exec, s[8:9]
	s_and_saveexec_b64 s[8:9], s[2:3]
	s_cbranch_execnz .LBB219_33
.LBB219_28:                             ;   in Loop: Header=BB219_4 Depth=1
	s_or_b64 exec, exec, s[8:9]
	s_and_saveexec_b64 s[6:7], s[0:1]
	s_cbranch_execnz .LBB219_34
.LBB219_29:                             ;   in Loop: Header=BB219_4 Depth=1
	s_or_b64 exec, exec, s[6:7]
	s_and_saveexec_b64 s[2:3], vcc
	s_cbranch_execz .LBB219_3
	s_branch .LBB219_35
.LBB219_30:                             ;   in Loop: Header=BB219_4 Depth=1
	v_trig_preop_f64 v[31:32], v[11:12], 0
	v_ldexp_f64 v[33:34], v[11:12], s71
	v_cmp_le_f64_e64 s[8:9], s[26:27], v[11:12]
	v_trig_preop_f64 v[47:48], v[11:12], 1
	v_trig_preop_f64 v[55:56], v[11:12], 2
	s_mov_b32 s30, s34
	s_mov_b32 s39, s37
	v_cndmask_b32_e64 v34, v12, v34, s[8:9]
	v_cndmask_b32_e64 v33, v11, v33, s[8:9]
	v_mul_f64 v[49:50], v[31:32], v[33:34]
	v_mul_f64 v[51:52], v[47:48], v[33:34]
	;; [unrolled: 1-line block ×3, first 2 shown]
	v_fma_f64 v[31:32], v[31:32], v[33:34], -v[49:50]
	v_fma_f64 v[47:48], v[47:48], v[33:34], -v[51:52]
	;; [unrolled: 1-line block ×3, first 2 shown]
	v_add_f64 v[53:54], v[51:52], v[31:32]
	v_add_f64 v[57:58], v[53:54], -v[51:52]
	v_add_f64 v[63:64], v[49:50], v[53:54]
	v_add_f64 v[59:60], v[53:54], -v[57:58]
	v_add_f64 v[31:32], v[31:32], -v[57:58]
	v_add_f64 v[57:58], v[61:62], v[47:48]
	v_add_f64 v[49:50], v[63:64], -v[49:50]
	v_add_f64 v[51:52], v[51:52], -v[59:60]
	v_ldexp_f64 v[59:60], v[63:64], -2
	v_add_f64 v[49:50], v[53:54], -v[49:50]
	v_add_f64 v[31:32], v[31:32], v[51:52]
	v_fract_f64_e32 v[51:52], v[59:60]
	v_cmp_neq_f64_e64 s[8:9], |v[59:60]|, s[28:29]
	v_add_f64 v[53:54], v[57:58], v[31:32]
	v_ldexp_f64 v[51:52], v[51:52], 2
	v_add_f64 v[59:60], v[49:50], v[53:54]
	v_cndmask_b32_e64 v52, 0, v52, s[8:9]
	v_cndmask_b32_e64 v51, 0, v51, s[8:9]
	v_add_f64 v[65:66], v[53:54], -v[57:58]
	v_add_f64 v[63:64], v[59:60], v[51:52]
	v_add_f64 v[49:50], v[59:60], -v[49:50]
	v_add_f64 v[69:70], v[53:54], -v[65:66]
	;; [unrolled: 1-line block ×3, first 2 shown]
	v_cmp_gt_f64_e64 s[8:9], 0, v[63:64]
	v_add_f64 v[63:64], v[57:58], -v[61:62]
	v_add_f64 v[49:50], v[53:54], -v[49:50]
	v_cndmask_b32_e64 v2, 0, v41, s[8:9]
	v_add_f64 v[51:52], v[51:52], v[1:2]
	v_add_f64 v[67:68], v[57:58], -v[63:64]
	v_add_f64 v[47:48], v[47:48], -v[63:64]
	;; [unrolled: 1-line block ×3, first 2 shown]
	v_add_f64 v[71:72], v[59:60], v[51:52]
	v_add_f64 v[63:64], v[61:62], -v[67:68]
	v_add_f64 v[31:32], v[31:32], v[57:58]
	v_cvt_i32_f64_e32 v67, v[71:72]
	v_add_f64 v[47:48], v[47:48], v[63:64]
	v_cvt_f64_i32_e32 v[65:66], v67
	v_add_f64 v[51:52], v[51:52], -v[65:66]
	v_add_f64 v[31:32], v[47:48], v[31:32]
	v_add_f64 v[47:48], v[59:60], v[51:52]
	;; [unrolled: 1-line block ×3, first 2 shown]
	v_add_f64 v[33:34], v[47:48], -v[51:52]
	v_cmp_le_f64_e64 s[8:9], 0.5, v[47:48]
	v_add_f64 v[31:32], v[49:50], v[31:32]
	v_add_f64 v[33:34], v[59:60], -v[33:34]
	v_cndmask_b32_e64 v2, 0, v42, s[8:9]
	v_add_f64 v[31:32], v[31:32], v[33:34]
	v_add_f64 v[33:34], v[47:48], -v[1:2]
	v_addc_co_u32_e64 v2, s[8:9], 0, v67, s[8:9]
	v_add_f64 v[47:48], v[33:34], v[31:32]
	v_mul_f64 v[49:50], v[47:48], s[30:31]
	v_add_f64 v[33:34], v[47:48], -v[33:34]
	v_fma_f64 v[51:52], v[47:48], s[30:31], -v[49:50]
	v_add_f64 v[31:32], v[31:32], -v[33:34]
	v_fma_f64 v[33:34], v[47:48], s[38:39], v[51:52]
	v_fma_f64 v[33:34], v[31:32], s[30:31], v[33:34]
	v_add_f64 v[31:32], v[49:50], v[33:34]
	v_add_f64 v[47:48], v[31:32], -v[49:50]
	v_add_f64 v[33:34], v[33:34], -v[47:48]
	s_andn2_saveexec_b64 s[8:9], s[10:11]
	s_cbranch_execz .LBB219_26
.LBB219_31:                             ;   in Loop: Header=BB219_4 Depth=1
	v_mul_f64 v[31:32], v[11:12], s[40:41]
	s_mov_b32 s36, s42
	v_rndne_f64_e32 v[47:48], v[31:32]
	v_fma_f64 v[31:32], v[47:48], s[34:35], v[11:12]
	v_mul_f64 v[33:34], v[47:48], s[42:43]
	v_cvt_i32_f64_e32 v2, v[47:48]
	v_fma_f64 v[53:54], v[47:48], s[42:43], v[31:32]
	v_add_f64 v[49:50], v[31:32], v[33:34]
	v_add_f64 v[51:52], v[31:32], -v[49:50]
	v_add_f64 v[49:50], v[49:50], -v[53:54]
	v_add_f64 v[31:32], v[51:52], v[33:34]
	v_fma_f64 v[33:34], v[47:48], s[36:37], v[33:34]
	v_add_f64 v[31:32], v[49:50], v[31:32]
	v_add_f64 v[31:32], v[31:32], -v[33:34]
	v_fma_f64 v[33:34], v[47:48], s[44:45], v[31:32]
	v_add_f64 v[31:32], v[53:54], v[33:34]
	v_add_f64 v[49:50], v[31:32], -v[53:54]
	v_add_f64 v[33:34], v[33:34], -v[49:50]
	s_or_b64 exec, exec, s[8:9]
	s_and_saveexec_b64 s[8:9], s[6:7]
	s_xor_b64 s[8:9], exec, s[8:9]
	s_cbranch_execz .LBB219_27
.LBB219_32:                             ;   in Loop: Header=BB219_4 Depth=1
	v_mul_f64 v[47:48], v[19:20], v[19:20]
	s_mov_b32 s64, s54
	v_mul_f64 v[49:50], v[47:48], 0.5
	v_fma_f64 v[55:56], v[47:48], s[46:47], v[7:8]
	v_add_f64 v[51:52], -v[49:50], 1.0
	v_fma_f64 v[55:56], v[47:48], v[55:56], s[48:49]
	v_add_f64 v[53:54], -v[51:52], 1.0
	v_fma_f64 v[55:56], v[47:48], v[55:56], s[50:51]
	v_add_f64 v[49:50], v[53:54], -v[49:50]
	v_fma_f64 v[55:56], v[47:48], v[55:56], s[52:53]
	v_mul_f64 v[53:54], v[47:48], v[47:48]
	v_fma_f64 v[49:50], v[19:20], -v[21:22], v[49:50]
	v_fma_f64 v[55:56], v[47:48], v[55:56], s[54:55]
	v_fma_f64 v[49:50], v[53:54], v[55:56], v[49:50]
	v_mul_f64 v[53:54], v[19:20], -v[47:48]
	v_mul_f64 v[55:56], v[21:22], 0.5
	v_add_f64 v[49:50], v[51:52], v[49:50]
	v_fma_f64 v[51:52], v[47:48], s[56:57], v[9:10]
	v_fma_f64 v[51:52], v[47:48], v[51:52], s[58:59]
	;; [unrolled: 1-line block ×5, first 2 shown]
	v_fma_f64 v[21:22], v[47:48], v[51:52], -v[21:22]
	v_fma_f64 v[21:22], v[53:54], s[64:65], v[21:22]
	v_add_f64 v[19:20], v[19:20], -v[21:22]
	v_and_b32_e32 v21, 1, v44
	v_cmp_eq_u32_e64 s[6:7], 0, v21
	v_lshlrev_b32_e32 v21, 30, v44
	v_and_b32_e32 v21, 0x80000000, v21
	v_xor_b32_e32 v20, 0x80000000, v20
	v_cndmask_b32_e64 v19, v19, v49, s[6:7]
	v_cndmask_b32_e64 v20, v20, v50, s[6:7]
	v_cmp_lg_f64_e64 s[6:7], s[28:29], v[17:18]
	v_xor_b32_e32 v20, v20, v21
	v_cndmask_b32_e64 v17, 0, v19, s[6:7]
	v_cndmask_b32_e64 v18, v43, v20, s[6:7]
	global_store_dwordx2 v[3:4], v[17:18], off
	s_or_b64 exec, exec, s[8:9]
	s_and_saveexec_b64 s[8:9], s[2:3]
	s_cbranch_execz .LBB219_28
.LBB219_33:                             ;   in Loop: Header=BB219_4 Depth=1
	v_mul_f64 v[17:18], v[23:24], v[23:24]
	v_mul_f64 v[51:52], v[25:26], 0.5
	s_mov_b32 s64, s54
	v_cmp_lg_f64_e64 s[6:7], s[28:29], v[15:16]
	v_lshlrev_b32_e32 v16, 30, v45
	v_and_b32_e32 v16, 0x80000000, v16
	v_fma_f64 v[19:20], v[17:18], s[56:57], v[9:10]
	v_fma_f64 v[21:22], v[17:18], s[46:47], v[7:8]
	v_mul_f64 v[47:48], v[17:18], 0.5
	v_mul_f64 v[53:54], v[23:24], -v[17:18]
	v_fma_f64 v[19:20], v[17:18], v[19:20], s[58:59]
	v_fma_f64 v[21:22], v[17:18], v[21:22], s[48:49]
	v_add_f64 v[49:50], -v[47:48], 1.0
	v_fma_f64 v[19:20], v[17:18], v[19:20], s[60:61]
	v_fma_f64 v[21:22], v[17:18], v[21:22], s[50:51]
	v_add_f64 v[55:56], -v[49:50], 1.0
	v_fma_f64 v[19:20], v[17:18], v[19:20], s[62:63]
	v_fma_f64 v[21:22], v[17:18], v[21:22], s[52:53]
	v_add_f64 v[47:48], v[55:56], -v[47:48]
	v_fma_f64 v[19:20], v[53:54], v[19:20], v[51:52]
	v_mul_f64 v[51:52], v[17:18], v[17:18]
	v_fma_f64 v[21:22], v[17:18], v[21:22], s[54:55]
	v_fma_f64 v[47:48], v[23:24], -v[25:26], v[47:48]
	v_fma_f64 v[17:18], v[17:18], v[19:20], -v[25:26]
	v_fma_f64 v[19:20], v[51:52], v[21:22], v[47:48]
	v_and_b32_e32 v21, 1, v45
	v_cmp_eq_u32_e64 s[2:3], 0, v21
	v_fma_f64 v[17:18], v[53:54], s[64:65], v[17:18]
	v_add_f64 v[19:20], v[49:50], v[19:20]
	v_add_f64 v[17:18], v[23:24], -v[17:18]
	v_xor_b32_e32 v15, 0x80000000, v18
	v_cndmask_b32_e64 v15, v15, v20, s[2:3]
	v_cndmask_b32_e64 v17, v17, v19, s[2:3]
	v_xor_b32_e32 v16, v15, v16
	v_cndmask_b32_e64 v15, 0, v17, s[6:7]
	v_cndmask_b32_e64 v16, v43, v16, s[6:7]
	global_store_dwordx2 v[5:6], v[15:16], off
	s_or_b64 exec, exec, s[8:9]
	s_and_saveexec_b64 s[6:7], s[0:1]
	s_cbranch_execz .LBB219_29
.LBB219_34:                             ;   in Loop: Header=BB219_4 Depth=1
	v_mul_f64 v[15:16], v[27:28], v[27:28]
	v_mul_f64 v[25:26], v[29:30], 0.5
	s_mov_b32 s64, s54
	v_cmp_lg_f64_e64 s[2:3], s[28:29], v[13:14]
	v_lshlrev_b32_e32 v13, 30, v46
	v_and_b32_e32 v14, 0x80000000, v13
	v_fma_f64 v[17:18], v[15:16], s[56:57], v[9:10]
	v_fma_f64 v[19:20], v[15:16], s[46:47], v[7:8]
	v_mul_f64 v[21:22], v[15:16], 0.5
	v_mul_f64 v[44:45], v[27:28], -v[15:16]
	v_fma_f64 v[17:18], v[15:16], v[17:18], s[58:59]
	v_fma_f64 v[19:20], v[15:16], v[19:20], s[48:49]
	v_add_f64 v[23:24], -v[21:22], 1.0
	v_fma_f64 v[17:18], v[15:16], v[17:18], s[60:61]
	v_fma_f64 v[19:20], v[15:16], v[19:20], s[50:51]
	v_add_f64 v[47:48], -v[23:24], 1.0
	v_fma_f64 v[17:18], v[15:16], v[17:18], s[62:63]
	v_fma_f64 v[19:20], v[15:16], v[19:20], s[52:53]
	v_add_f64 v[21:22], v[47:48], -v[21:22]
	v_fma_f64 v[17:18], v[44:45], v[17:18], v[25:26]
	v_mul_f64 v[25:26], v[15:16], v[15:16]
	v_fma_f64 v[19:20], v[15:16], v[19:20], s[54:55]
	v_fma_f64 v[21:22], v[27:28], -v[29:30], v[21:22]
	v_fma_f64 v[15:16], v[15:16], v[17:18], -v[29:30]
	v_fma_f64 v[17:18], v[25:26], v[19:20], v[21:22]
	v_and_b32_e32 v19, 1, v46
	v_cmp_eq_u32_e64 s[0:1], 0, v19
	v_fma_f64 v[15:16], v[44:45], s[64:65], v[15:16]
	v_add_f64 v[17:18], v[23:24], v[17:18]
	v_add_f64 v[15:16], v[27:28], -v[15:16]
	v_xor_b32_e32 v13, 0x80000000, v16
	v_cndmask_b32_e64 v15, v15, v17, s[0:1]
	v_cndmask_b32_e64 v16, v13, v18, s[0:1]
	;; [unrolled: 1-line block ×3, first 2 shown]
	v_xor_b32_e32 v14, v16, v14
	v_add_co_u32_e64 v15, s[0:1], s70, v3
	v_cndmask_b32_e64 v14, v43, v14, s[2:3]
	v_addc_co_u32_e64 v16, s[0:1], 0, v4, s[0:1]
	global_store_dwordx2 v[15:16], v[13:14], off
	s_or_b64 exec, exec, s[6:7]
	s_and_saveexec_b64 s[2:3], vcc
	s_cbranch_execz .LBB219_3
.LBB219_35:                             ;   in Loop: Header=BB219_4 Depth=1
	v_mul_f64 v[13:14], v[31:32], v[31:32]
	v_mul_f64 v[23:24], v[33:34], 0.5
	s_mov_b32 s64, s54
	v_cmp_lg_f64_e64 s[0:1], s[28:29], v[11:12]
	v_fma_f64 v[15:16], v[13:14], s[56:57], v[9:10]
	v_fma_f64 v[17:18], v[13:14], s[46:47], v[7:8]
	v_mul_f64 v[19:20], v[13:14], 0.5
	v_mul_f64 v[25:26], v[31:32], -v[13:14]
	v_fma_f64 v[15:16], v[13:14], v[15:16], s[58:59]
	v_fma_f64 v[17:18], v[13:14], v[17:18], s[48:49]
	v_add_f64 v[21:22], -v[19:20], 1.0
	v_fma_f64 v[15:16], v[13:14], v[15:16], s[60:61]
	v_fma_f64 v[17:18], v[13:14], v[17:18], s[50:51]
	v_add_f64 v[27:28], -v[21:22], 1.0
	v_fma_f64 v[15:16], v[13:14], v[15:16], s[62:63]
	v_fma_f64 v[17:18], v[13:14], v[17:18], s[52:53]
	v_add_f64 v[19:20], v[27:28], -v[19:20]
	v_fma_f64 v[15:16], v[25:26], v[15:16], v[23:24]
	v_mul_f64 v[23:24], v[13:14], v[13:14]
	v_fma_f64 v[17:18], v[13:14], v[17:18], s[54:55]
	v_fma_f64 v[19:20], v[31:32], -v[33:34], v[19:20]
	v_fma_f64 v[13:14], v[13:14], v[15:16], -v[33:34]
	v_fma_f64 v[15:16], v[23:24], v[17:18], v[19:20]
	v_and_b32_e32 v17, 1, v2
	v_cmp_eq_u32_e32 vcc, 0, v17
	v_lshlrev_b32_e32 v2, 30, v2
	v_and_b32_e32 v2, 0x80000000, v2
	v_fma_f64 v[13:14], v[25:26], s[64:65], v[13:14]
	v_add_f64 v[15:16], v[21:22], v[15:16]
	v_add_f64 v[13:14], v[31:32], -v[13:14]
	v_xor_b32_e32 v11, 0x80000000, v14
	v_cndmask_b32_e32 v13, v13, v15, vcc
	v_cndmask_b32_e32 v12, v11, v16, vcc
	v_cndmask_b32_e64 v11, 0, v13, s[0:1]
	v_xor_b32_e32 v2, v12, v2
	v_add_co_u32_e32 v13, vcc, s69, v3
	v_cndmask_b32_e64 v12, v43, v2, s[0:1]
	v_addc_co_u32_e32 v14, vcc, 0, v4, vcc
	global_store_dwordx2 v[13:14], v[11:12], off
	s_branch .LBB219_3
.LBB219_36:
	s_cbranch_execz .LBB219_38
	s_branch .LBB219_57
.LBB219_37:
.LBB219_38:
	v_mov_b32_e32 v1, 0x10000
	v_mov_b32_e32 v2, 0
	v_cmp_lt_i64_e32 vcc, s[16:17], v[1:2]
	v_mov_b32_e32 v10, 0
	s_and_b64 s[0:1], vcc, exec
	s_cselect_b32 s3, s17, 0
	s_cselect_b32 s2, s16, 0x10000
	v_lshlrev_b32_e32 v1, 2, v0
	v_mov_b32_e32 v2, v10
	v_cmp_gt_i64_e32 vcc, s[2:3], v[1:2]
	s_and_saveexec_b64 s[0:1], vcc
	s_cbranch_execz .LBB219_57
; %bb.39:
	s_load_dword s0, s[4:5], 0xd3c
	v_lshlrev_b32_e32 v2, 5, v0
	s_mov_b32 s6, 0
	s_mov_b32 s8, 0
	s_mov_b32 s10, 0
	s_waitcnt lgkmcnt(0)
	s_and_b32 s33, s0, 0xffff
	s_add_u32 s0, s12, s14
	s_addc_u32 s1, s13, s15
	v_mov_b32_e32 v3, s1
	v_add_co_u32_e32 v2, vcc, s0, v2
	v_addc_co_u32_e32 v3, vcc, 0, v3, vcc
	v_add_co_u32_e32 v12, vcc, 16, v2
	s_mov_b32 s14, 0x54442d18
	s_mov_b32 s20, 0x6dc9c883
	;; [unrolled: 1-line block ×15, first 2 shown]
	v_mov_b32_e32 v1, v10
	v_addc_co_u32_e32 v13, vcc, 0, v3, vcc
	s_lshl_b32 s54, s33, 5
	s_mov_b64 s[4:5], 0
	s_mov_b32 s7, 0x41d00000
	s_mov_b32 s9, 0x7b000000
	s_movk_i32 s55, 0xff80
	s_mov_b32 s11, 0x7ff00000
	s_mov_b32 s13, 0x3ff921fb
	;; [unrolled: 1-line block ×20, first 2 shown]
	s_movk_i32 s56, 0x1f8
	v_mov_b32_e32 v34, 0x40100000
	v_mov_b32_e32 v35, 0x3ff00000
	;; [unrolled: 1-line block ×3, first 2 shown]
	s_branch .LBB219_41
.LBB219_40:                             ;   in Loop: Header=BB219_41 Depth=1
	s_or_b64 exec, exec, s[0:1]
	v_mul_f64 v[41:42], v[30:31], v[30:31]
	v_mul_f64 v[49:50], v[32:33], 0.5
	s_mov_b32 s50, s38
	v_mul_f64 v[26:27], v[41:42], 0.5
	v_mul_f64 v[45:46], v[41:42], v[41:42]
	v_add_f64 v[43:44], -v[26:27], 1.0
	v_add_f64 v[28:29], -v[43:44], 1.0
	v_add_f64 v[26:27], v[28:29], -v[26:27]
	v_mov_b32_e32 v29, s27
	v_mov_b32_e32 v28, s26
	v_fma_f64 v[47:48], v[41:42], s[28:29], v[28:29]
	v_fma_f64 v[26:27], v[30:31], -v[32:33], v[26:27]
	v_fma_f64 v[47:48], v[41:42], v[47:48], s[30:31]
	v_fma_f64 v[47:48], v[41:42], v[47:48], s[34:35]
	;; [unrolled: 1-line block ×5, first 2 shown]
	v_mul_f64 v[47:48], v[30:31], -v[41:42]
	v_add_f64 v[43:44], v[43:44], v[26:27]
	v_mov_b32_e32 v26, s40
	v_mov_b32_e32 v27, s41
	v_fma_f64 v[45:46], v[41:42], s[42:43], v[26:27]
	v_fma_f64 v[45:46], v[41:42], v[45:46], s[44:45]
	;; [unrolled: 1-line block ×5, first 2 shown]
	v_fma_f64 v[32:33], v[41:42], v[45:46], -v[32:33]
	v_fma_f64 v[32:33], v[47:48], s[50:51], v[32:33]
	v_add_f64 v[30:31], v[30:31], -v[32:33]
	v_xor_b32_e32 v11, 0x80000000, v31
	v_and_b32_e32 v31, 1, v40
	v_cmp_eq_u32_e32 vcc, 0, v31
	v_cndmask_b32_e32 v30, v30, v43, vcc
	v_cndmask_b32_e32 v11, v11, v44, vcc
	v_cmp_class_f64_e64 vcc, v[2:3], s56
	v_lshlrev_b32_e32 v31, 30, v40
	v_and_b32_e32 v31, 0x80000000, v31
	v_xor_b32_e32 v11, v11, v31
	v_cndmask_b32_e32 v2, 0, v30, vcc
	v_mul_f64 v[30:31], v[18:19], v[18:19]
	v_cndmask_b32_e32 v3, v36, v11, vcc
	v_mul_f64 v[32:33], v[30:31], 0.5
	v_fma_f64 v[44:45], v[30:31], s[28:29], v[28:29]
	v_add_f64 v[40:41], -v[32:33], 1.0
	v_fma_f64 v[44:45], v[30:31], v[44:45], s[30:31]
	v_add_f64 v[42:43], -v[40:41], 1.0
	v_fma_f64 v[44:45], v[30:31], v[44:45], s[34:35]
	v_add_f64 v[32:33], v[42:43], -v[32:33]
	v_fma_f64 v[44:45], v[30:31], v[44:45], s[36:37]
	v_mul_f64 v[42:43], v[30:31], v[30:31]
	v_fma_f64 v[32:33], v[18:19], -v[20:21], v[32:33]
	v_fma_f64 v[44:45], v[30:31], v[44:45], s[38:39]
	v_fma_f64 v[32:33], v[42:43], v[44:45], v[32:33]
	v_mul_f64 v[42:43], v[18:19], -v[30:31]
	v_mul_f64 v[44:45], v[20:21], 0.5
	v_add_f64 v[32:33], v[40:41], v[32:33]
	v_fma_f64 v[40:41], v[30:31], s[42:43], v[26:27]
	v_fma_f64 v[40:41], v[30:31], v[40:41], s[44:45]
	;; [unrolled: 1-line block ×5, first 2 shown]
	v_fma_f64 v[20:21], v[30:31], v[40:41], -v[20:21]
	v_fma_f64 v[20:21], v[42:43], s[50:51], v[20:21]
	v_add_f64 v[18:19], v[18:19], -v[20:21]
	v_xor_b32_e32 v11, 0x80000000, v19
	v_and_b32_e32 v19, 1, v38
	v_cmp_eq_u32_e32 vcc, 0, v19
	v_cndmask_b32_e32 v18, v18, v32, vcc
	v_cndmask_b32_e32 v11, v11, v33, vcc
	v_cmp_class_f64_e64 vcc, v[8:9], s56
	v_lshlrev_b32_e32 v19, 30, v38
	v_and_b32_e32 v19, 0x80000000, v19
	v_xor_b32_e32 v11, v11, v19
	v_cndmask_b32_e32 v8, 0, v18, vcc
	v_mul_f64 v[18:19], v[14:15], v[14:15]
	v_cndmask_b32_e32 v9, v36, v11, vcc
	v_mul_f64 v[20:21], v[18:19], 0.5
	v_fma_f64 v[40:41], v[18:19], s[28:29], v[28:29]
	v_add_f64 v[30:31], -v[20:21], 1.0
	v_fma_f64 v[40:41], v[18:19], v[40:41], s[30:31]
	v_add_f64 v[32:33], -v[30:31], 1.0
	v_fma_f64 v[40:41], v[18:19], v[40:41], s[34:35]
	v_add_f64 v[20:21], v[32:33], -v[20:21]
	v_fma_f64 v[40:41], v[18:19], v[40:41], s[36:37]
	v_mul_f64 v[32:33], v[18:19], v[18:19]
	v_fma_f64 v[20:21], v[14:15], -v[16:17], v[20:21]
	v_fma_f64 v[40:41], v[18:19], v[40:41], s[38:39]
	v_fma_f64 v[20:21], v[32:33], v[40:41], v[20:21]
	v_mul_f64 v[32:33], v[14:15], -v[18:19]
	v_mul_f64 v[40:41], v[16:17], 0.5
	v_add_f64 v[20:21], v[30:31], v[20:21]
	v_fma_f64 v[30:31], v[18:19], s[42:43], v[26:27]
	v_fma_f64 v[30:31], v[18:19], v[30:31], s[44:45]
	;; [unrolled: 1-line block ×5, first 2 shown]
	v_fma_f64 v[16:17], v[18:19], v[30:31], -v[16:17]
	v_fma_f64 v[16:17], v[32:33], s[50:51], v[16:17]
	v_add_f64 v[14:15], v[14:15], -v[16:17]
	v_xor_b32_e32 v11, 0x80000000, v15
	v_and_b32_e32 v15, 1, v37
	v_cmp_eq_u32_e32 vcc, 0, v15
	v_cndmask_b32_e32 v14, v14, v20, vcc
	v_cndmask_b32_e32 v11, v11, v21, vcc
	v_cmp_class_f64_e64 vcc, v[6:7], s56
	v_lshlrev_b32_e32 v15, 30, v37
	v_and_b32_e32 v15, 0x80000000, v15
	v_xor_b32_e32 v11, v11, v15
	v_cndmask_b32_e32 v6, 0, v14, vcc
	v_mul_f64 v[14:15], v[22:23], v[22:23]
	v_cndmask_b32_e32 v7, v36, v11, vcc
	v_mul_f64 v[16:17], v[14:15], 0.5
	v_fma_f64 v[28:29], v[14:15], s[28:29], v[28:29]
	v_add_f64 v[18:19], -v[16:17], 1.0
	v_fma_f64 v[28:29], v[14:15], v[28:29], s[30:31]
	v_add_f64 v[20:21], -v[18:19], 1.0
	v_fma_f64 v[28:29], v[14:15], v[28:29], s[34:35]
	v_add_f64 v[16:17], v[20:21], -v[16:17]
	v_fma_f64 v[28:29], v[14:15], v[28:29], s[36:37]
	v_mul_f64 v[20:21], v[14:15], v[14:15]
	v_fma_f64 v[16:17], v[22:23], -v[24:25], v[16:17]
	v_fma_f64 v[28:29], v[14:15], v[28:29], s[38:39]
	v_fma_f64 v[16:17], v[20:21], v[28:29], v[16:17]
	v_mul_f64 v[20:21], v[22:23], -v[14:15]
	v_add_f64 v[16:17], v[18:19], v[16:17]
	v_fma_f64 v[18:19], v[14:15], s[42:43], v[26:27]
	v_mul_f64 v[26:27], v[24:25], 0.5
	v_fma_f64 v[18:19], v[14:15], v[18:19], s[44:45]
	v_fma_f64 v[18:19], v[14:15], v[18:19], s[46:47]
	;; [unrolled: 1-line block ×4, first 2 shown]
	v_fma_f64 v[14:15], v[14:15], v[18:19], -v[24:25]
	v_fma_f64 v[14:15], v[20:21], s[50:51], v[14:15]
	v_add_f64 v[14:15], v[22:23], -v[14:15]
	v_xor_b32_e32 v11, 0x80000000, v15
	v_and_b32_e32 v15, 1, v39
	v_cmp_eq_u32_e32 vcc, 0, v15
	v_cndmask_b32_e32 v14, v14, v16, vcc
	v_cndmask_b32_e32 v11, v11, v17, vcc
	v_cmp_class_f64_e64 vcc, v[4:5], s56
	v_lshlrev_b32_e32 v15, 30, v39
	v_and_b32_e32 v15, 0x80000000, v15
	v_xor_b32_e32 v11, v11, v15
	v_cndmask_b32_e32 v4, 0, v14, vcc
	v_cndmask_b32_e32 v5, v36, v11, vcc
	v_add_co_u32_e32 v0, vcc, s33, v0
	v_addc_co_u32_e32 v1, vcc, 0, v1, vcc
	global_store_dwordx4 v[12:13], v[6:9], off offset:-16
	global_store_dwordx4 v[12:13], v[2:5], off
	v_add_co_u32_e32 v12, vcc, s54, v12
	v_lshlrev_b64 v[2:3], 2, v[0:1]
	v_addc_co_u32_e32 v13, vcc, 0, v13, vcc
	v_cmp_le_i64_e32 vcc, s[2:3], v[2:3]
	s_or_b64 s[4:5], vcc, s[4:5]
	s_andn2_b64 exec, exec, s[4:5]
	s_cbranch_execz .LBB219_57
.LBB219_41:                             ; =>This Inner Loop Header: Depth=1
	global_load_dwordx4 v[6:9], v[12:13], off offset:-16
	global_load_dwordx4 v[2:5], v[12:13], off
                                        ; implicit-def: $vgpr37
                                        ; implicit-def: $vgpr14_vgpr15
                                        ; implicit-def: $vgpr16_vgpr17
	s_waitcnt vmcnt(1)
	v_cmp_nlt_f64_e64 s[0:1], |v[6:7]|, s[6:7]
	s_and_saveexec_b64 s[52:53], s[0:1]
	s_xor_b64 s[52:53], exec, s[52:53]
	s_cbranch_execz .LBB219_43
; %bb.42:                               ;   in Loop: Header=BB219_41 Depth=1
	v_trig_preop_f64 v[14:15], |v[6:7]|, 0
	v_ldexp_f64 v[18:19], |v[6:7]|, s55
	v_cmp_ge_f64_e64 vcc, |v[6:7]|, s[8:9]
	v_trig_preop_f64 v[16:17], |v[6:7]|, 1
	v_and_b32_e32 v11, 0x7fffffff, v7
	v_trig_preop_f64 v[26:27], |v[6:7]|, 2
	s_mov_b32 s12, s14
	s_mov_b32 s19, s17
	v_cndmask_b32_e32 v19, v11, v19, vcc
	v_cndmask_b32_e32 v18, v6, v18, vcc
	v_mul_f64 v[20:21], v[14:15], v[18:19]
	v_mul_f64 v[22:23], v[16:17], v[18:19]
	;; [unrolled: 1-line block ×3, first 2 shown]
	v_fma_f64 v[14:15], v[14:15], v[18:19], -v[20:21]
	v_fma_f64 v[16:17], v[16:17], v[18:19], -v[22:23]
	;; [unrolled: 1-line block ×3, first 2 shown]
	v_add_f64 v[24:25], v[22:23], v[14:15]
	v_add_f64 v[28:29], v[24:25], -v[22:23]
	v_add_f64 v[37:38], v[20:21], v[24:25]
	v_add_f64 v[30:31], v[24:25], -v[28:29]
	v_add_f64 v[14:15], v[14:15], -v[28:29]
	v_add_f64 v[28:29], v[32:33], v[16:17]
	v_add_f64 v[20:21], v[37:38], -v[20:21]
	v_add_f64 v[22:23], v[22:23], -v[30:31]
	v_ldexp_f64 v[30:31], v[37:38], -2
	v_add_f64 v[39:40], v[28:29], -v[32:33]
	v_add_f64 v[20:21], v[24:25], -v[20:21]
	v_add_f64 v[14:15], v[14:15], v[22:23]
	v_fract_f64_e32 v[22:23], v[30:31]
	v_cmp_neq_f64_e64 vcc, |v[30:31]|, s[10:11]
	v_add_f64 v[16:17], v[16:17], -v[39:40]
	v_add_f64 v[24:25], v[28:29], v[14:15]
	v_ldexp_f64 v[22:23], v[22:23], 2
	v_add_f64 v[30:31], v[20:21], v[24:25]
	v_cndmask_b32_e32 v23, 0, v23, vcc
	v_cndmask_b32_e32 v22, 0, v22, vcc
	v_add_f64 v[41:42], v[24:25], -v[28:29]
	v_add_f64 v[37:38], v[30:31], v[22:23]
	v_add_f64 v[20:21], v[30:31], -v[20:21]
	v_add_f64 v[43:44], v[24:25], -v[41:42]
	;; [unrolled: 1-line block ×3, first 2 shown]
	v_cmp_gt_f64_e32 vcc, 0, v[37:38]
	v_add_f64 v[37:38], v[28:29], -v[39:40]
	v_add_f64 v[20:21], v[24:25], -v[20:21]
	v_add_f64 v[28:29], v[28:29], -v[43:44]
	v_cndmask_b32_e32 v11, 0, v34, vcc
	v_add_f64 v[22:23], v[22:23], v[10:11]
	v_add_f64 v[37:38], v[32:33], -v[37:38]
	v_add_f64 v[14:15], v[14:15], v[28:29]
	v_add_f64 v[45:46], v[30:31], v[22:23]
	;; [unrolled: 1-line block ×3, first 2 shown]
	v_cvt_i32_f64_e32 v11, v[45:46]
	v_add_f64 v[14:15], v[16:17], v[14:15]
	v_cvt_f64_i32_e32 v[39:40], v11
	v_add_f64 v[22:23], v[22:23], -v[39:40]
	v_add_f64 v[14:15], v[18:19], v[14:15]
	v_add_f64 v[16:17], v[30:31], v[22:23]
	;; [unrolled: 1-line block ×3, first 2 shown]
	v_add_f64 v[18:19], v[16:17], -v[22:23]
	v_cmp_le_f64_e32 vcc, 0.5, v[16:17]
	v_add_f64 v[18:19], v[30:31], -v[18:19]
	v_addc_co_u32_e64 v37, s[0:1], 0, v11, vcc
	v_cndmask_b32_e32 v11, 0, v35, vcc
	v_add_f64 v[16:17], v[16:17], -v[10:11]
	v_add_f64 v[14:15], v[14:15], v[18:19]
	v_add_f64 v[18:19], v[16:17], v[14:15]
	v_mul_f64 v[20:21], v[18:19], s[12:13]
	v_add_f64 v[16:17], v[18:19], -v[16:17]
	v_fma_f64 v[22:23], v[18:19], s[12:13], -v[20:21]
	v_add_f64 v[14:15], v[14:15], -v[16:17]
	v_fma_f64 v[16:17], v[18:19], s[18:19], v[22:23]
	v_fma_f64 v[16:17], v[14:15], s[12:13], v[16:17]
	v_add_f64 v[14:15], v[20:21], v[16:17]
	v_add_f64 v[18:19], v[14:15], -v[20:21]
	v_add_f64 v[16:17], v[16:17], -v[18:19]
.LBB219_43:                             ;   in Loop: Header=BB219_41 Depth=1
	s_andn2_saveexec_b64 s[0:1], s[52:53]
	s_cbranch_execz .LBB219_45
; %bb.44:                               ;   in Loop: Header=BB219_41 Depth=1
	v_mul_f64 v[14:15], |v[6:7]|, s[20:21]
	s_mov_b32 s16, s22
	v_rndne_f64_e32 v[18:19], v[14:15]
	v_fma_f64 v[14:15], v[18:19], s[14:15], |v[6:7]|
	v_mul_f64 v[16:17], v[18:19], s[22:23]
	v_cvt_i32_f64_e32 v37, v[18:19]
	v_fma_f64 v[24:25], v[18:19], s[22:23], v[14:15]
	v_add_f64 v[20:21], v[14:15], v[16:17]
	v_add_f64 v[22:23], v[14:15], -v[20:21]
	v_add_f64 v[20:21], v[20:21], -v[24:25]
	v_add_f64 v[14:15], v[22:23], v[16:17]
	v_fma_f64 v[16:17], v[18:19], s[16:17], v[16:17]
	v_add_f64 v[14:15], v[20:21], v[14:15]
	v_add_f64 v[14:15], v[14:15], -v[16:17]
	v_fma_f64 v[16:17], v[18:19], s[24:25], v[14:15]
	v_add_f64 v[14:15], v[24:25], v[16:17]
	v_add_f64 v[20:21], v[14:15], -v[24:25]
	v_add_f64 v[16:17], v[16:17], -v[20:21]
.LBB219_45:                             ;   in Loop: Header=BB219_41 Depth=1
	s_or_b64 exec, exec, s[0:1]
	v_cmp_nlt_f64_e64 s[0:1], |v[8:9]|, s[6:7]
                                        ; implicit-def: $vgpr38
                                        ; implicit-def: $vgpr18_vgpr19
                                        ; implicit-def: $vgpr20_vgpr21
	s_and_saveexec_b64 s[52:53], s[0:1]
	s_xor_b64 s[52:53], exec, s[52:53]
	s_cbranch_execz .LBB219_47
; %bb.46:                               ;   in Loop: Header=BB219_41 Depth=1
	v_trig_preop_f64 v[18:19], |v[8:9]|, 0
	v_ldexp_f64 v[22:23], |v[8:9]|, s55
	v_cmp_ge_f64_e64 vcc, |v[8:9]|, s[8:9]
	v_trig_preop_f64 v[20:21], |v[8:9]|, 1
	v_and_b32_e32 v11, 0x7fffffff, v9
	v_trig_preop_f64 v[30:31], |v[8:9]|, 2
	s_mov_b32 s12, s14
	s_mov_b32 s19, s17
	v_cndmask_b32_e32 v23, v11, v23, vcc
	v_cndmask_b32_e32 v22, v8, v22, vcc
	v_mul_f64 v[24:25], v[18:19], v[22:23]
	v_mul_f64 v[26:27], v[20:21], v[22:23]
	;; [unrolled: 1-line block ×3, first 2 shown]
	v_fma_f64 v[18:19], v[18:19], v[22:23], -v[24:25]
	v_fma_f64 v[20:21], v[20:21], v[22:23], -v[26:27]
	;; [unrolled: 1-line block ×3, first 2 shown]
	v_add_f64 v[28:29], v[26:27], v[18:19]
	v_add_f64 v[32:33], v[28:29], -v[26:27]
	v_add_f64 v[42:43], v[24:25], v[28:29]
	v_add_f64 v[38:39], v[28:29], -v[32:33]
	v_add_f64 v[18:19], v[18:19], -v[32:33]
	v_add_f64 v[32:33], v[40:41], v[20:21]
	v_add_f64 v[24:25], v[42:43], -v[24:25]
	v_add_f64 v[26:27], v[26:27], -v[38:39]
	v_ldexp_f64 v[38:39], v[42:43], -2
	v_add_f64 v[44:45], v[32:33], -v[40:41]
	v_add_f64 v[24:25], v[28:29], -v[24:25]
	v_add_f64 v[18:19], v[18:19], v[26:27]
	v_fract_f64_e32 v[26:27], v[38:39]
	v_cmp_neq_f64_e64 vcc, |v[38:39]|, s[10:11]
	v_add_f64 v[20:21], v[20:21], -v[44:45]
	v_add_f64 v[28:29], v[32:33], v[18:19]
	v_ldexp_f64 v[26:27], v[26:27], 2
	v_add_f64 v[38:39], v[24:25], v[28:29]
	v_cndmask_b32_e32 v27, 0, v27, vcc
	v_cndmask_b32_e32 v26, 0, v26, vcc
	v_add_f64 v[46:47], v[28:29], -v[32:33]
	v_add_f64 v[42:43], v[38:39], v[26:27]
	v_add_f64 v[24:25], v[38:39], -v[24:25]
	v_add_f64 v[48:49], v[28:29], -v[46:47]
	;; [unrolled: 1-line block ×3, first 2 shown]
	v_cmp_gt_f64_e32 vcc, 0, v[42:43]
	v_add_f64 v[42:43], v[32:33], -v[44:45]
	v_add_f64 v[24:25], v[28:29], -v[24:25]
	;; [unrolled: 1-line block ×3, first 2 shown]
	v_cndmask_b32_e32 v11, 0, v34, vcc
	v_add_f64 v[26:27], v[26:27], v[10:11]
	v_add_f64 v[42:43], v[40:41], -v[42:43]
	v_add_f64 v[18:19], v[18:19], v[32:33]
	v_add_f64 v[50:51], v[38:39], v[26:27]
	;; [unrolled: 1-line block ×3, first 2 shown]
	v_cvt_i32_f64_e32 v11, v[50:51]
	v_add_f64 v[18:19], v[20:21], v[18:19]
	v_cvt_f64_i32_e32 v[44:45], v11
	v_add_f64 v[26:27], v[26:27], -v[44:45]
	v_add_f64 v[18:19], v[22:23], v[18:19]
	v_add_f64 v[20:21], v[38:39], v[26:27]
	;; [unrolled: 1-line block ×3, first 2 shown]
	v_add_f64 v[22:23], v[20:21], -v[26:27]
	v_cmp_le_f64_e32 vcc, 0.5, v[20:21]
	v_add_f64 v[22:23], v[38:39], -v[22:23]
	v_addc_co_u32_e64 v38, s[0:1], 0, v11, vcc
	v_cndmask_b32_e32 v11, 0, v35, vcc
	v_add_f64 v[20:21], v[20:21], -v[10:11]
	v_add_f64 v[18:19], v[18:19], v[22:23]
	v_add_f64 v[22:23], v[20:21], v[18:19]
	v_mul_f64 v[24:25], v[22:23], s[12:13]
	v_add_f64 v[20:21], v[22:23], -v[20:21]
	v_fma_f64 v[26:27], v[22:23], s[12:13], -v[24:25]
	v_add_f64 v[18:19], v[18:19], -v[20:21]
	v_fma_f64 v[20:21], v[22:23], s[18:19], v[26:27]
	v_fma_f64 v[20:21], v[18:19], s[12:13], v[20:21]
	v_add_f64 v[18:19], v[24:25], v[20:21]
	v_add_f64 v[22:23], v[18:19], -v[24:25]
	v_add_f64 v[20:21], v[20:21], -v[22:23]
.LBB219_47:                             ;   in Loop: Header=BB219_41 Depth=1
	s_andn2_saveexec_b64 s[0:1], s[52:53]
	s_cbranch_execz .LBB219_49
; %bb.48:                               ;   in Loop: Header=BB219_41 Depth=1
	v_mul_f64 v[18:19], |v[8:9]|, s[20:21]
	s_mov_b32 s16, s22
	v_rndne_f64_e32 v[22:23], v[18:19]
	v_fma_f64 v[18:19], v[22:23], s[14:15], |v[8:9]|
	v_mul_f64 v[20:21], v[22:23], s[22:23]
	v_cvt_i32_f64_e32 v38, v[22:23]
	v_fma_f64 v[28:29], v[22:23], s[22:23], v[18:19]
	v_add_f64 v[24:25], v[18:19], v[20:21]
	v_add_f64 v[26:27], v[18:19], -v[24:25]
	v_add_f64 v[24:25], v[24:25], -v[28:29]
	v_add_f64 v[18:19], v[26:27], v[20:21]
	v_fma_f64 v[20:21], v[22:23], s[16:17], v[20:21]
	v_add_f64 v[18:19], v[24:25], v[18:19]
	v_add_f64 v[18:19], v[18:19], -v[20:21]
	v_fma_f64 v[20:21], v[22:23], s[24:25], v[18:19]
	v_add_f64 v[18:19], v[28:29], v[20:21]
	v_add_f64 v[24:25], v[18:19], -v[28:29]
	v_add_f64 v[20:21], v[20:21], -v[24:25]
.LBB219_49:                             ;   in Loop: Header=BB219_41 Depth=1
	s_or_b64 exec, exec, s[0:1]
	s_waitcnt vmcnt(0)
	v_cmp_nlt_f64_e64 s[0:1], |v[2:3]|, s[6:7]
                                        ; implicit-def: $vgpr40
                                        ; implicit-def: $vgpr30_vgpr31
                                        ; implicit-def: $vgpr32_vgpr33
	s_and_saveexec_b64 s[52:53], s[0:1]
	s_xor_b64 s[52:53], exec, s[52:53]
	s_cbranch_execz .LBB219_51
; %bb.50:                               ;   in Loop: Header=BB219_41 Depth=1
	v_trig_preop_f64 v[22:23], |v[2:3]|, 0
	v_ldexp_f64 v[26:27], |v[2:3]|, s55
	v_cmp_ge_f64_e64 vcc, |v[2:3]|, s[8:9]
	v_trig_preop_f64 v[24:25], |v[2:3]|, 1
	v_and_b32_e32 v11, 0x7fffffff, v3
	v_trig_preop_f64 v[39:40], |v[2:3]|, 2
	s_mov_b32 s12, s14
	s_mov_b32 s19, s17
	v_cndmask_b32_e32 v27, v11, v27, vcc
	v_cndmask_b32_e32 v26, v2, v26, vcc
	v_mul_f64 v[28:29], v[22:23], v[26:27]
	v_mul_f64 v[30:31], v[24:25], v[26:27]
	;; [unrolled: 1-line block ×3, first 2 shown]
	v_fma_f64 v[22:23], v[22:23], v[26:27], -v[28:29]
	v_fma_f64 v[24:25], v[24:25], v[26:27], -v[30:31]
	;; [unrolled: 1-line block ×3, first 2 shown]
	v_add_f64 v[32:33], v[30:31], v[22:23]
	v_add_f64 v[41:42], v[32:33], -v[30:31]
	v_add_f64 v[47:48], v[28:29], v[32:33]
	v_add_f64 v[43:44], v[32:33], -v[41:42]
	v_add_f64 v[22:23], v[22:23], -v[41:42]
	v_add_f64 v[41:42], v[45:46], v[24:25]
	v_add_f64 v[28:29], v[47:48], -v[28:29]
	v_add_f64 v[30:31], v[30:31], -v[43:44]
	v_ldexp_f64 v[43:44], v[47:48], -2
	v_add_f64 v[49:50], v[41:42], -v[45:46]
	v_add_f64 v[28:29], v[32:33], -v[28:29]
	v_add_f64 v[22:23], v[22:23], v[30:31]
	v_fract_f64_e32 v[30:31], v[43:44]
	v_cmp_neq_f64_e64 vcc, |v[43:44]|, s[10:11]
	v_add_f64 v[24:25], v[24:25], -v[49:50]
	v_add_f64 v[32:33], v[41:42], v[22:23]
	v_ldexp_f64 v[30:31], v[30:31], 2
	v_add_f64 v[43:44], v[28:29], v[32:33]
	v_cndmask_b32_e32 v31, 0, v31, vcc
	v_cndmask_b32_e32 v30, 0, v30, vcc
	v_add_f64 v[51:52], v[32:33], -v[41:42]
	v_add_f64 v[47:48], v[43:44], v[30:31]
	v_add_f64 v[28:29], v[43:44], -v[28:29]
	v_add_f64 v[53:54], v[32:33], -v[51:52]
	;; [unrolled: 1-line block ×3, first 2 shown]
	v_cmp_gt_f64_e32 vcc, 0, v[47:48]
	v_add_f64 v[47:48], v[41:42], -v[49:50]
	v_add_f64 v[28:29], v[32:33], -v[28:29]
	;; [unrolled: 1-line block ×3, first 2 shown]
	v_cndmask_b32_e32 v11, 0, v34, vcc
	v_add_f64 v[30:31], v[30:31], v[10:11]
	v_add_f64 v[47:48], v[45:46], -v[47:48]
	v_add_f64 v[22:23], v[22:23], v[41:42]
	v_add_f64 v[55:56], v[43:44], v[30:31]
	;; [unrolled: 1-line block ×3, first 2 shown]
	v_cvt_i32_f64_e32 v11, v[55:56]
	v_add_f64 v[22:23], v[24:25], v[22:23]
	v_cvt_f64_i32_e32 v[49:50], v11
	v_add_f64 v[30:31], v[30:31], -v[49:50]
	v_add_f64 v[22:23], v[26:27], v[22:23]
	v_add_f64 v[24:25], v[43:44], v[30:31]
	;; [unrolled: 1-line block ×3, first 2 shown]
	v_add_f64 v[26:27], v[24:25], -v[30:31]
	v_cmp_le_f64_e32 vcc, 0.5, v[24:25]
	v_add_f64 v[26:27], v[43:44], -v[26:27]
	v_addc_co_u32_e64 v40, s[0:1], 0, v11, vcc
	v_cndmask_b32_e32 v11, 0, v35, vcc
	v_add_f64 v[24:25], v[24:25], -v[10:11]
	v_add_f64 v[22:23], v[22:23], v[26:27]
	v_add_f64 v[26:27], v[24:25], v[22:23]
	v_mul_f64 v[28:29], v[26:27], s[12:13]
	v_add_f64 v[24:25], v[26:27], -v[24:25]
	v_fma_f64 v[30:31], v[26:27], s[12:13], -v[28:29]
	v_add_f64 v[22:23], v[22:23], -v[24:25]
	v_fma_f64 v[24:25], v[26:27], s[18:19], v[30:31]
	v_fma_f64 v[22:23], v[22:23], s[12:13], v[24:25]
	v_add_f64 v[30:31], v[28:29], v[22:23]
	v_add_f64 v[24:25], v[30:31], -v[28:29]
	v_add_f64 v[32:33], v[22:23], -v[24:25]
.LBB219_51:                             ;   in Loop: Header=BB219_41 Depth=1
	s_andn2_saveexec_b64 s[0:1], s[52:53]
	s_cbranch_execz .LBB219_53
; %bb.52:                               ;   in Loop: Header=BB219_41 Depth=1
	v_mul_f64 v[22:23], |v[2:3]|, s[20:21]
	s_mov_b32 s16, s22
	v_rndne_f64_e32 v[22:23], v[22:23]
	v_fma_f64 v[24:25], v[22:23], s[14:15], |v[2:3]|
	v_mul_f64 v[26:27], v[22:23], s[22:23]
	v_cvt_i32_f64_e32 v40, v[22:23]
	v_add_f64 v[28:29], v[24:25], v[26:27]
	v_add_f64 v[30:31], v[24:25], -v[28:29]
	v_fma_f64 v[24:25], v[22:23], s[22:23], v[24:25]
	v_add_f64 v[30:31], v[30:31], v[26:27]
	v_add_f64 v[28:29], v[28:29], -v[24:25]
	v_fma_f64 v[26:27], v[22:23], s[16:17], v[26:27]
	;; [unrolled: 3-line block ×3, first 2 shown]
	v_add_f64 v[30:31], v[24:25], v[26:27]
	v_add_f64 v[24:25], v[30:31], -v[24:25]
	v_add_f64 v[32:33], v[26:27], -v[24:25]
.LBB219_53:                             ;   in Loop: Header=BB219_41 Depth=1
	s_or_b64 exec, exec, s[0:1]
	v_cmp_nlt_f64_e64 s[0:1], |v[4:5]|, s[6:7]
                                        ; implicit-def: $vgpr39
                                        ; implicit-def: $vgpr22_vgpr23
                                        ; implicit-def: $vgpr24_vgpr25
	s_and_saveexec_b64 s[52:53], s[0:1]
	s_xor_b64 s[52:53], exec, s[52:53]
	s_cbranch_execz .LBB219_55
; %bb.54:                               ;   in Loop: Header=BB219_41 Depth=1
	v_trig_preop_f64 v[22:23], |v[4:5]|, 0
	v_ldexp_f64 v[26:27], |v[4:5]|, s55
	v_cmp_ge_f64_e64 vcc, |v[4:5]|, s[8:9]
	v_trig_preop_f64 v[24:25], |v[4:5]|, 1
	v_and_b32_e32 v11, 0x7fffffff, v5
	v_trig_preop_f64 v[45:46], |v[4:5]|, 2
	s_mov_b32 s12, s14
	s_mov_b32 s19, s17
	v_cndmask_b32_e32 v27, v11, v27, vcc
	v_cndmask_b32_e32 v26, v4, v26, vcc
	v_mul_f64 v[28:29], v[22:23], v[26:27]
	v_mul_f64 v[41:42], v[24:25], v[26:27]
	v_mul_f64 v[51:52], v[45:46], v[26:27]
	v_fma_f64 v[22:23], v[22:23], v[26:27], -v[28:29]
	v_fma_f64 v[24:25], v[24:25], v[26:27], -v[41:42]
	;; [unrolled: 1-line block ×3, first 2 shown]
	v_add_f64 v[43:44], v[41:42], v[22:23]
	v_add_f64 v[47:48], v[43:44], -v[41:42]
	v_add_f64 v[53:54], v[28:29], v[43:44]
	v_add_f64 v[49:50], v[43:44], -v[47:48]
	v_add_f64 v[22:23], v[22:23], -v[47:48]
	v_add_f64 v[47:48], v[51:52], v[24:25]
	v_add_f64 v[28:29], v[53:54], -v[28:29]
	v_add_f64 v[41:42], v[41:42], -v[49:50]
	v_ldexp_f64 v[49:50], v[53:54], -2
	v_add_f64 v[55:56], v[47:48], -v[51:52]
	v_add_f64 v[28:29], v[43:44], -v[28:29]
	v_add_f64 v[22:23], v[22:23], v[41:42]
	v_fract_f64_e32 v[41:42], v[49:50]
	v_cmp_neq_f64_e64 vcc, |v[49:50]|, s[10:11]
	v_add_f64 v[24:25], v[24:25], -v[55:56]
	v_add_f64 v[43:44], v[47:48], v[22:23]
	v_ldexp_f64 v[41:42], v[41:42], 2
	v_add_f64 v[49:50], v[28:29], v[43:44]
	v_cndmask_b32_e32 v42, 0, v42, vcc
	v_cndmask_b32_e32 v41, 0, v41, vcc
	v_add_f64 v[57:58], v[43:44], -v[47:48]
	v_add_f64 v[53:54], v[49:50], v[41:42]
	v_add_f64 v[28:29], v[49:50], -v[28:29]
	v_add_f64 v[59:60], v[43:44], -v[57:58]
	;; [unrolled: 1-line block ×3, first 2 shown]
	v_cmp_gt_f64_e32 vcc, 0, v[53:54]
	v_add_f64 v[53:54], v[47:48], -v[55:56]
	v_add_f64 v[28:29], v[43:44], -v[28:29]
	;; [unrolled: 1-line block ×3, first 2 shown]
	v_cndmask_b32_e32 v11, 0, v34, vcc
	v_add_f64 v[41:42], v[41:42], v[10:11]
	v_add_f64 v[53:54], v[51:52], -v[53:54]
	v_add_f64 v[22:23], v[22:23], v[47:48]
	v_add_f64 v[61:62], v[49:50], v[41:42]
	;; [unrolled: 1-line block ×3, first 2 shown]
	v_cvt_i32_f64_e32 v11, v[61:62]
	v_add_f64 v[22:23], v[24:25], v[22:23]
	v_cvt_f64_i32_e32 v[55:56], v11
	v_add_f64 v[41:42], v[41:42], -v[55:56]
	v_add_f64 v[22:23], v[26:27], v[22:23]
	v_add_f64 v[24:25], v[49:50], v[41:42]
	;; [unrolled: 1-line block ×3, first 2 shown]
	v_add_f64 v[26:27], v[24:25], -v[41:42]
	v_cmp_le_f64_e32 vcc, 0.5, v[24:25]
	v_add_f64 v[26:27], v[49:50], -v[26:27]
	v_addc_co_u32_e64 v39, s[0:1], 0, v11, vcc
	v_cndmask_b32_e32 v11, 0, v35, vcc
	v_add_f64 v[24:25], v[24:25], -v[10:11]
	v_add_f64 v[22:23], v[22:23], v[26:27]
	v_add_f64 v[26:27], v[24:25], v[22:23]
	v_mul_f64 v[28:29], v[26:27], s[12:13]
	v_add_f64 v[24:25], v[26:27], -v[24:25]
	v_fma_f64 v[41:42], v[26:27], s[12:13], -v[28:29]
	v_add_f64 v[22:23], v[22:23], -v[24:25]
	v_fma_f64 v[24:25], v[26:27], s[18:19], v[41:42]
	v_fma_f64 v[24:25], v[22:23], s[12:13], v[24:25]
	v_add_f64 v[22:23], v[28:29], v[24:25]
	v_add_f64 v[26:27], v[22:23], -v[28:29]
	v_add_f64 v[24:25], v[24:25], -v[26:27]
.LBB219_55:                             ;   in Loop: Header=BB219_41 Depth=1
	s_andn2_saveexec_b64 s[0:1], s[52:53]
	s_cbranch_execz .LBB219_40
; %bb.56:                               ;   in Loop: Header=BB219_41 Depth=1
	v_mul_f64 v[22:23], |v[4:5]|, s[20:21]
	s_mov_b32 s16, s22
	v_rndne_f64_e32 v[26:27], v[22:23]
	v_fma_f64 v[22:23], v[26:27], s[14:15], |v[4:5]|
	v_mul_f64 v[24:25], v[26:27], s[22:23]
	v_cvt_i32_f64_e32 v39, v[26:27]
	v_fma_f64 v[43:44], v[26:27], s[22:23], v[22:23]
	v_add_f64 v[28:29], v[22:23], v[24:25]
	v_add_f64 v[41:42], v[22:23], -v[28:29]
	v_add_f64 v[28:29], v[28:29], -v[43:44]
	v_add_f64 v[22:23], v[41:42], v[24:25]
	v_fma_f64 v[24:25], v[26:27], s[16:17], v[24:25]
	v_add_f64 v[22:23], v[28:29], v[22:23]
	v_add_f64 v[22:23], v[22:23], -v[24:25]
	v_fma_f64 v[24:25], v[26:27], s[24:25], v[22:23]
	v_add_f64 v[22:23], v[43:44], v[24:25]
	v_add_f64 v[28:29], v[22:23], -v[43:44]
	v_add_f64 v[24:25], v[24:25], -v[28:29]
	s_branch .LBB219_40
.LBB219_57:
	s_endpgm
	.section	.rodata,"a",@progbits
	.p2align	6, 0x0
	.amdhsa_kernel _ZN2at6native12_GLOBAL__N_125multi_tensor_apply_kernelINS1_18TensorListMetadataILi1EEENS1_14UnaryOpFunctorIdLi1ELi1ELi0EEEJNS0_3CosIdEEEEEvT_T0_DpT1_
		.amdhsa_group_segment_fixed_size 0
		.amdhsa_private_segment_fixed_size 0
		.amdhsa_kernarg_size 3632
		.amdhsa_user_sgpr_count 6
		.amdhsa_user_sgpr_private_segment_buffer 1
		.amdhsa_user_sgpr_dispatch_ptr 0
		.amdhsa_user_sgpr_queue_ptr 0
		.amdhsa_user_sgpr_kernarg_segment_ptr 1
		.amdhsa_user_sgpr_dispatch_id 0
		.amdhsa_user_sgpr_flat_scratch_init 0
		.amdhsa_user_sgpr_private_segment_size 0
		.amdhsa_uses_dynamic_stack 0
		.amdhsa_system_sgpr_private_segment_wavefront_offset 0
		.amdhsa_system_sgpr_workgroup_id_x 1
		.amdhsa_system_sgpr_workgroup_id_y 0
		.amdhsa_system_sgpr_workgroup_id_z 0
		.amdhsa_system_sgpr_workgroup_info 0
		.amdhsa_system_vgpr_workitem_id 0
		.amdhsa_next_free_vgpr 73
		.amdhsa_next_free_sgpr 72
		.amdhsa_reserve_vcc 1
		.amdhsa_reserve_flat_scratch 0
		.amdhsa_float_round_mode_32 0
		.amdhsa_float_round_mode_16_64 0
		.amdhsa_float_denorm_mode_32 3
		.amdhsa_float_denorm_mode_16_64 3
		.amdhsa_dx10_clamp 1
		.amdhsa_ieee_mode 1
		.amdhsa_fp16_overflow 0
		.amdhsa_exception_fp_ieee_invalid_op 0
		.amdhsa_exception_fp_denorm_src 0
		.amdhsa_exception_fp_ieee_div_zero 0
		.amdhsa_exception_fp_ieee_overflow 0
		.amdhsa_exception_fp_ieee_underflow 0
		.amdhsa_exception_fp_ieee_inexact 0
		.amdhsa_exception_int_div_zero 0
	.end_amdhsa_kernel
	.section	.text._ZN2at6native12_GLOBAL__N_125multi_tensor_apply_kernelINS1_18TensorListMetadataILi1EEENS1_14UnaryOpFunctorIdLi1ELi1ELi0EEEJNS0_3CosIdEEEEEvT_T0_DpT1_,"axG",@progbits,_ZN2at6native12_GLOBAL__N_125multi_tensor_apply_kernelINS1_18TensorListMetadataILi1EEENS1_14UnaryOpFunctorIdLi1ELi1ELi0EEEJNS0_3CosIdEEEEEvT_T0_DpT1_,comdat
.Lfunc_end219:
	.size	_ZN2at6native12_GLOBAL__N_125multi_tensor_apply_kernelINS1_18TensorListMetadataILi1EEENS1_14UnaryOpFunctorIdLi1ELi1ELi0EEEJNS0_3CosIdEEEEEvT_T0_DpT1_, .Lfunc_end219-_ZN2at6native12_GLOBAL__N_125multi_tensor_apply_kernelINS1_18TensorListMetadataILi1EEENS1_14UnaryOpFunctorIdLi1ELi1ELi0EEEJNS0_3CosIdEEEEEvT_T0_DpT1_
                                        ; -- End function
	.set _ZN2at6native12_GLOBAL__N_125multi_tensor_apply_kernelINS1_18TensorListMetadataILi1EEENS1_14UnaryOpFunctorIdLi1ELi1ELi0EEEJNS0_3CosIdEEEEEvT_T0_DpT1_.num_vgpr, 73
	.set _ZN2at6native12_GLOBAL__N_125multi_tensor_apply_kernelINS1_18TensorListMetadataILi1EEENS1_14UnaryOpFunctorIdLi1ELi1ELi0EEEJNS0_3CosIdEEEEEvT_T0_DpT1_.num_agpr, 0
	.set _ZN2at6native12_GLOBAL__N_125multi_tensor_apply_kernelINS1_18TensorListMetadataILi1EEENS1_14UnaryOpFunctorIdLi1ELi1ELi0EEEJNS0_3CosIdEEEEEvT_T0_DpT1_.numbered_sgpr, 72
	.set _ZN2at6native12_GLOBAL__N_125multi_tensor_apply_kernelINS1_18TensorListMetadataILi1EEENS1_14UnaryOpFunctorIdLi1ELi1ELi0EEEJNS0_3CosIdEEEEEvT_T0_DpT1_.num_named_barrier, 0
	.set _ZN2at6native12_GLOBAL__N_125multi_tensor_apply_kernelINS1_18TensorListMetadataILi1EEENS1_14UnaryOpFunctorIdLi1ELi1ELi0EEEJNS0_3CosIdEEEEEvT_T0_DpT1_.private_seg_size, 0
	.set _ZN2at6native12_GLOBAL__N_125multi_tensor_apply_kernelINS1_18TensorListMetadataILi1EEENS1_14UnaryOpFunctorIdLi1ELi1ELi0EEEJNS0_3CosIdEEEEEvT_T0_DpT1_.uses_vcc, 1
	.set _ZN2at6native12_GLOBAL__N_125multi_tensor_apply_kernelINS1_18TensorListMetadataILi1EEENS1_14UnaryOpFunctorIdLi1ELi1ELi0EEEJNS0_3CosIdEEEEEvT_T0_DpT1_.uses_flat_scratch, 0
	.set _ZN2at6native12_GLOBAL__N_125multi_tensor_apply_kernelINS1_18TensorListMetadataILi1EEENS1_14UnaryOpFunctorIdLi1ELi1ELi0EEEJNS0_3CosIdEEEEEvT_T0_DpT1_.has_dyn_sized_stack, 0
	.set _ZN2at6native12_GLOBAL__N_125multi_tensor_apply_kernelINS1_18TensorListMetadataILi1EEENS1_14UnaryOpFunctorIdLi1ELi1ELi0EEEJNS0_3CosIdEEEEEvT_T0_DpT1_.has_recursion, 0
	.set _ZN2at6native12_GLOBAL__N_125multi_tensor_apply_kernelINS1_18TensorListMetadataILi1EEENS1_14UnaryOpFunctorIdLi1ELi1ELi0EEEJNS0_3CosIdEEEEEvT_T0_DpT1_.has_indirect_call, 0
	.section	.AMDGPU.csdata,"",@progbits
; Kernel info:
; codeLenInByte = 9584
; TotalNumSgprs: 76
; NumVgprs: 73
; ScratchSize: 0
; MemoryBound: 1
; FloatMode: 240
; IeeeMode: 1
; LDSByteSize: 0 bytes/workgroup (compile time only)
; SGPRBlocks: 9
; VGPRBlocks: 18
; NumSGPRsForWavesPerEU: 76
; NumVGPRsForWavesPerEU: 73
; Occupancy: 3
; WaveLimiterHint : 0
; COMPUTE_PGM_RSRC2:SCRATCH_EN: 0
; COMPUTE_PGM_RSRC2:USER_SGPR: 6
; COMPUTE_PGM_RSRC2:TRAP_HANDLER: 0
; COMPUTE_PGM_RSRC2:TGID_X_EN: 1
; COMPUTE_PGM_RSRC2:TGID_Y_EN: 0
; COMPUTE_PGM_RSRC2:TGID_Z_EN: 0
; COMPUTE_PGM_RSRC2:TIDIG_COMP_CNT: 0
	.section	.text._ZN2at6native12_GLOBAL__N_125multi_tensor_apply_kernelINS1_18TensorListMetadataILi1EEENS1_14UnaryOpFunctorIfLi1ELi1ELi0EEEJNS0_3CosIfEEEEEvT_T0_DpT1_,"axG",@progbits,_ZN2at6native12_GLOBAL__N_125multi_tensor_apply_kernelINS1_18TensorListMetadataILi1EEENS1_14UnaryOpFunctorIfLi1ELi1ELi0EEEJNS0_3CosIfEEEEEvT_T0_DpT1_,comdat
	.globl	_ZN2at6native12_GLOBAL__N_125multi_tensor_apply_kernelINS1_18TensorListMetadataILi1EEENS1_14UnaryOpFunctorIfLi1ELi1ELi0EEEJNS0_3CosIfEEEEEvT_T0_DpT1_ ; -- Begin function _ZN2at6native12_GLOBAL__N_125multi_tensor_apply_kernelINS1_18TensorListMetadataILi1EEENS1_14UnaryOpFunctorIfLi1ELi1ELi0EEEJNS0_3CosIfEEEEEvT_T0_DpT1_
	.p2align	8
	.type	_ZN2at6native12_GLOBAL__N_125multi_tensor_apply_kernelINS1_18TensorListMetadataILi1EEENS1_14UnaryOpFunctorIfLi1ELi1ELi0EEEJNS0_3CosIfEEEEEvT_T0_DpT1_,@function
_ZN2at6native12_GLOBAL__N_125multi_tensor_apply_kernelINS1_18TensorListMetadataILi1EEENS1_14UnaryOpFunctorIfLi1ELi1ELi0EEEJNS0_3CosIfEEEEEvT_T0_DpT1_: ; @_ZN2at6native12_GLOBAL__N_125multi_tensor_apply_kernelINS1_18TensorListMetadataILi1EEENS1_14UnaryOpFunctorIfLi1ELi1ELi0EEEJNS0_3CosIfEEEEEvT_T0_DpT1_
; %bb.0:
	v_mov_b32_e32 v1, s6
	global_load_ubyte v1, v1, s[4:5] offset:1760
	s_add_u32 s0, s4, s6
	s_mul_hi_u32 s1, s6, 3
	s_mul_i32 s6, s6, 3
	s_addc_u32 s2, s5, 0
	s_add_u32 s0, s0, s6
	s_addc_u32 s1, s2, s1
	s_load_dword s0, s[0:1], 0x820
	s_mov_b32 s7, 0
	s_waitcnt vmcnt(0)
	v_readfirstlane_b32 s1, v1
	s_lshl_b32 s1, s1, 3
	s_load_dwordx2 s[2:3], s[4:5], s1 offset:0x370
	s_load_dwordx2 s[16:17], s[4:5], s1 offset:0x0
	s_waitcnt lgkmcnt(0)
	s_ashr_i32 s1, s0, 31
	s_lshl_b64 s[18:19], s[0:1], 18
	s_lshl_b64 s[0:1], s[0:1], 16
	s_and_b32 s6, s16, 15
	s_sub_u32 s20, s2, s0
	s_subb_u32 s21, s3, s1
	s_and_b32 s0, s2, 3
	s_mov_b32 s1, s7
	s_or_b64 s[0:1], s[6:7], s[0:1]
	s_cmp_eq_u64 s[0:1], 0
	s_cbranch_scc1 .LBB220_37
; %bb.1:
	v_cmp_lt_i64_e64 s[0:1], s[20:21], 1
	s_and_b64 vcc, exec, s[0:1]
	s_cbranch_vccnz .LBB220_36
; %bb.2:
	v_mov_b32_e32 v3, 0x10000
	s_load_dword s2, s[4:5], 0xd3c
	v_mov_b32_e32 v4, 0
	v_cmp_lt_i64_e32 vcc, s[20:21], v[3:4]
	v_lshlrev_b32_e32 v1, 2, v0
	s_and_b64 s[0:1], vcc, exec
	v_cmp_lt_u64_e32 vcc, s[20:21], v[3:4]
	s_cselect_b32 s23, s21, 0
	s_cselect_b32 s22, s20, 0x10000
	s_waitcnt lgkmcnt(0)
	s_and_b32 s2, s2, 0xffff
	s_and_b64 s[0:1], vcc, exec
	s_cselect_b32 s25, s21, 0
	s_cselect_b32 s24, s20, 0x10000
	s_lshl_b32 s3, s2, 1
	s_lshl_b32 s30, s2, 2
	s_add_u32 s6, s16, s18
	s_addc_u32 s7, s17, s19
	v_mov_b32_e32 v4, s7
	v_add_co_u32_e32 v3, vcc, s6, v1
	s_mul_i32 s0, s2, 3
	v_addc_co_u32_e32 v4, vcc, 0, v4, vcc
	v_add_co_u32_e32 v7, vcc, s0, v0
	v_addc_co_u32_e64 v8, s[0:1], 0, 0, vcc
	v_add_co_u32_e32 v9, vcc, s3, v0
	v_addc_co_u32_e64 v10, s[0:1], 0, 0, vcc
	v_add_co_u32_e32 v11, vcc, s2, v0
	v_lshlrev_b32_e32 v1, 2, v11
	v_addc_co_u32_e64 v12, s[0:1], 0, 0, vcc
	v_mov_b32_e32 v6, s7
	v_add_co_u32_e32 v5, vcc, s6, v1
	v_mov_b32_e32 v2, 0
	s_lshl_b32 s31, s2, 4
	s_mul_i32 s33, s2, 12
	s_lshl_b32 s34, s2, 3
	v_addc_co_u32_e32 v6, vcc, 0, v6, vcc
	s_mov_b64 s[26:27], 0
	s_brev_b32 s35, 18
	s_mov_b32 s36, 0xfe5163ab
	s_mov_b32 s37, 0x3c439041
	;; [unrolled: 1-line block ×8, first 2 shown]
	v_mov_b32_e32 v13, 0xbe2aaa9d
	v_mov_b32_e32 v14, 0x3d2aabf7
	;; [unrolled: 1-line block ×3, first 2 shown]
	s_mov_b32 s44, 0x7f800000
	v_not_b32_e32 v16, 63
	v_not_b32_e32 v17, 31
	v_mov_b32_e32 v18, 0x7fc00000
	s_branch .LBB220_4
.LBB220_3:                              ;   in Loop: Header=BB220_4 Depth=1
	s_or_b64 exec, exec, s[0:1]
	s_add_u32 s26, s26, s30
	v_add_co_u32_e32 v3, vcc, s31, v3
	v_mov_b32_e32 v19, s22
	s_addc_u32 s27, s27, 0
	v_addc_co_u32_e32 v4, vcc, 0, v4, vcc
	v_mov_b32_e32 v20, s23
	v_cmp_ge_i64_e32 vcc, s[26:27], v[19:20]
	v_add_co_u32_e64 v5, s[0:1], s31, v5
	v_addc_co_u32_e64 v6, s[0:1], 0, v6, s[0:1]
	s_cbranch_vccnz .LBB220_36
.LBB220_4:                              ; =>This Inner Loop Header: Depth=1
	v_mov_b32_e32 v1, s27
	v_add_co_u32_e32 v19, vcc, s26, v0
	v_addc_co_u32_e32 v20, vcc, 0, v1, vcc
	v_cmp_gt_u64_e64 s[6:7], s[24:25], v[19:20]
	v_mov_b32_e32 v22, 0
	s_and_saveexec_b64 s[0:1], s[6:7]
	s_cbranch_execz .LBB220_6
; %bb.5:                                ;   in Loop: Header=BB220_4 Depth=1
	global_load_dword v1, v[3:4], off
	s_waitcnt vmcnt(0)
	v_and_b32_e32 v22, 0x7fffffff, v1
.LBB220_6:                              ;   in Loop: Header=BB220_4 Depth=1
	s_or_b64 exec, exec, s[0:1]
	v_mov_b32_e32 v1, s27
	v_add_co_u32_e32 v19, vcc, s26, v11
	v_addc_co_u32_e32 v20, vcc, v12, v1, vcc
	v_cmp_gt_u64_e64 s[2:3], s[24:25], v[19:20]
	v_mov_b32_e32 v19, 0
	v_mov_b32_e32 v21, 0
	s_and_saveexec_b64 s[0:1], s[2:3]
	s_cbranch_execz .LBB220_8
; %bb.7:                                ;   in Loop: Header=BB220_4 Depth=1
	global_load_dword v1, v[5:6], off
	s_waitcnt vmcnt(0)
	v_and_b32_e32 v21, 0x7fffffff, v1
.LBB220_8:                              ;   in Loop: Header=BB220_4 Depth=1
	s_or_b64 exec, exec, s[0:1]
	v_mov_b32_e32 v1, s27
	v_add_co_u32_e32 v23, vcc, s26, v9
	v_addc_co_u32_e32 v24, vcc, v10, v1, vcc
	v_cmp_gt_u64_e64 s[0:1], s[24:25], v[23:24]
	s_and_saveexec_b64 s[8:9], s[0:1]
	s_cbranch_execz .LBB220_10
; %bb.9:                                ;   in Loop: Header=BB220_4 Depth=1
	v_add_co_u32_e32 v19, vcc, s34, v3
	v_addc_co_u32_e32 v20, vcc, 0, v4, vcc
	global_load_dword v1, v[19:20], off
	s_waitcnt vmcnt(0)
	v_and_b32_e32 v19, 0x7fffffff, v1
.LBB220_10:                             ;   in Loop: Header=BB220_4 Depth=1
	s_or_b64 exec, exec, s[8:9]
	v_mov_b32_e32 v1, s27
	v_add_co_u32_e32 v23, vcc, s26, v7
	v_addc_co_u32_e32 v24, vcc, v8, v1, vcc
	v_cmp_gt_u64_e32 vcc, s[24:25], v[23:24]
	v_mov_b32_e32 v20, 0
	s_and_saveexec_b64 s[10:11], vcc
	s_cbranch_execz .LBB220_12
; %bb.11:                               ;   in Loop: Header=BB220_4 Depth=1
	v_add_co_u32_e64 v23, s[8:9], s33, v3
	v_addc_co_u32_e64 v24, s[8:9], 0, v4, s[8:9]
	global_load_dword v1, v[23:24], off
	s_waitcnt vmcnt(0)
	v_and_b32_e32 v20, 0x7fffffff, v1
.LBB220_12:                             ;   in Loop: Header=BB220_4 Depth=1
	s_or_b64 exec, exec, s[10:11]
	v_cmp_ngt_f32_e64 s[8:9], s35, v22
                                        ; implicit-def: $vgpr24
                                        ; implicit-def: $vgpr23
	s_and_saveexec_b64 s[10:11], s[8:9]
	s_xor_b64 s[28:29], exec, s[10:11]
	s_cbranch_execz .LBB220_14
; %bb.13:                               ;   in Loop: Header=BB220_4 Depth=1
	v_and_b32_e32 v1, 0x7fffff, v22
	v_or_b32_e32 v30, 0x800000, v1
	v_mad_u64_u32 v[23:24], s[8:9], v30, s36, 0
	v_mov_b32_e32 v1, v24
	v_mad_u64_u32 v[24:25], s[8:9], v30, s37, v[1:2]
	v_mov_b32_e32 v1, v25
	;; [unrolled: 2-line block ×3, first 2 shown]
	v_mad_u64_u32 v[26:27], s[8:9], v30, s39, v[1:2]
	v_lshrrev_b32_e32 v1, 23, v22
	v_add_u32_e32 v29, 0xffffff88, v1
	v_mov_b32_e32 v1, v27
	v_mad_u64_u32 v[27:28], s[8:9], v30, s40, v[1:2]
	v_cmp_lt_u32_e64 s[8:9], 63, v29
	v_cndmask_b32_e64 v1, 0, v16, s[8:9]
	v_add_u32_e32 v31, v1, v29
	v_mov_b32_e32 v1, v28
	v_mad_u64_u32 v[28:29], s[10:11], v30, s41, v[1:2]
	v_cmp_lt_u32_e64 s[10:11], 31, v31
	v_cndmask_b32_e64 v1, 0, v17, s[10:11]
	;; [unrolled: 5-line block ×3, first 2 shown]
	v_add_u32_e32 v1, v1, v31
	v_cndmask_b32_e64 v31, v28, v26, s[8:9]
	v_cndmask_b32_e64 v29, v29, v27, s[8:9]
	;; [unrolled: 1-line block ×10, first 2 shown]
	v_sub_u32_e32 v31, 32, v1
	v_cndmask_b32_e64 v26, v27, v24, s[10:11]
	v_alignbit_b32 v32, v28, v30, v31
	v_cmp_eq_u32_e64 s[14:15], 0, v1
	v_cndmask_b32_e64 v27, v29, v26, s[12:13]
	v_cndmask_b32_e64 v1, v32, v28, s[14:15]
	v_alignbit_b32 v28, v30, v27, v31
	v_cndmask_b32_e64 v23, v25, v23, s[8:9]
	v_cndmask_b32_e64 v28, v28, v30, s[14:15]
	v_bfe_u32 v32, v1, 29, 1
	v_cndmask_b32_e64 v23, v24, v23, s[10:11]
	v_alignbit_b32 v29, v1, v28, 30
	v_sub_u32_e32 v33, 0, v32
	v_cndmask_b32_e64 v23, v26, v23, s[12:13]
	v_xor_b32_e32 v29, v29, v33
	v_alignbit_b32 v24, v27, v23, v31
	v_cndmask_b32_e64 v24, v24, v27, s[14:15]
	v_ffbh_u32_e32 v26, v29
	v_alignbit_b32 v25, v28, v24, 30
	v_min_u32_e32 v26, 32, v26
	v_alignbit_b32 v23, v24, v23, 30
	v_xor_b32_e32 v25, v25, v33
	v_sub_u32_e32 v27, 31, v26
	v_xor_b32_e32 v23, v23, v33
	v_alignbit_b32 v28, v29, v25, v27
	v_alignbit_b32 v23, v25, v23, v27
	;; [unrolled: 1-line block ×3, first 2 shown]
	v_ffbh_u32_e32 v25, v24
	v_min_u32_e32 v25, 32, v25
	v_lshrrev_b32_e32 v30, 29, v1
	v_not_b32_e32 v27, v25
	v_alignbit_b32 v23, v24, v23, v27
	v_lshlrev_b32_e32 v24, 31, v30
	v_or_b32_e32 v27, 0x33000000, v24
	v_add_lshl_u32 v25, v25, v26, 23
	v_lshrrev_b32_e32 v23, 9, v23
	v_sub_u32_e32 v25, v27, v25
	v_or_b32_e32 v24, 0.5, v24
	v_lshlrev_b32_e32 v26, 23, v26
	v_or_b32_e32 v23, v25, v23
	v_lshrrev_b32_e32 v25, 9, v28
	v_sub_u32_e32 v24, v24, v26
	v_or_b32_e32 v24, v25, v24
	v_mul_f32_e32 v25, 0x3fc90fda, v24
	v_fma_f32 v26, v24, s43, -v25
	v_fmac_f32_e32 v26, 0x33a22168, v24
	v_fmac_f32_e32 v26, 0x3fc90fda, v23
	v_lshrrev_b32_e32 v1, 30, v1
	v_add_f32_e32 v23, v25, v26
	v_add_u32_e32 v24, v32, v1
.LBB220_14:                             ;   in Loop: Header=BB220_4 Depth=1
	s_andn2_saveexec_b64 s[8:9], s[28:29]
	s_cbranch_execz .LBB220_16
; %bb.15:                               ;   in Loop: Header=BB220_4 Depth=1
	v_mul_f32_e32 v1, 0x3f22f983, v22
	v_rndne_f32_e32 v1, v1
	v_mov_b32_e32 v23, v22
	v_cvt_i32_f32_e32 v24, v1
	v_fmac_f32_e32 v23, 0xbfc90fda, v1
	v_fmac_f32_e32 v23, 0xb3a22168, v1
	;; [unrolled: 1-line block ×3, first 2 shown]
.LBB220_16:                             ;   in Loop: Header=BB220_4 Depth=1
	s_or_b64 exec, exec, s[8:9]
	v_cmp_ngt_f32_e64 s[8:9], s35, v21
                                        ; implicit-def: $vgpr26
                                        ; implicit-def: $vgpr25
	s_and_saveexec_b64 s[10:11], s[8:9]
	s_xor_b64 s[28:29], exec, s[10:11]
	s_cbranch_execz .LBB220_18
; %bb.17:                               ;   in Loop: Header=BB220_4 Depth=1
	v_and_b32_e32 v1, 0x7fffff, v21
	v_or_b32_e32 v32, 0x800000, v1
	v_mad_u64_u32 v[25:26], s[8:9], v32, s36, 0
	v_mov_b32_e32 v1, v26
	v_mad_u64_u32 v[26:27], s[8:9], v32, s37, v[1:2]
	v_mov_b32_e32 v1, v27
	v_mad_u64_u32 v[27:28], s[8:9], v32, s38, v[1:2]
	v_mov_b32_e32 v1, v28
	v_mad_u64_u32 v[28:29], s[8:9], v32, s39, v[1:2]
	v_lshrrev_b32_e32 v1, 23, v21
	v_add_u32_e32 v31, 0xffffff88, v1
	v_mov_b32_e32 v1, v29
	v_mad_u64_u32 v[29:30], s[8:9], v32, s40, v[1:2]
	v_cmp_lt_u32_e64 s[8:9], 63, v31
	v_cndmask_b32_e64 v1, 0, v16, s[8:9]
	v_add_u32_e32 v33, v1, v31
	v_mov_b32_e32 v1, v30
	v_mad_u64_u32 v[30:31], s[10:11], v32, s41, v[1:2]
	v_cmp_lt_u32_e64 s[10:11], 31, v33
	v_cndmask_b32_e64 v1, 0, v17, s[10:11]
	v_add_u32_e32 v33, v1, v33
	v_mov_b32_e32 v1, v31
	v_mad_u64_u32 v[31:32], s[12:13], v32, s42, v[1:2]
	v_cmp_lt_u32_e64 s[12:13], 31, v33
	v_cndmask_b32_e64 v1, 0, v17, s[12:13]
	v_add_u32_e32 v1, v1, v33
	v_cndmask_b32_e64 v33, v30, v28, s[8:9]
	v_cndmask_b32_e64 v31, v31, v29, s[8:9]
	;; [unrolled: 1-line block ×10, first 2 shown]
	v_sub_u32_e32 v33, 32, v1
	v_cndmask_b32_e64 v28, v29, v26, s[10:11]
	v_alignbit_b32 v34, v30, v32, v33
	v_cmp_eq_u32_e64 s[14:15], 0, v1
	v_cndmask_b32_e64 v29, v31, v28, s[12:13]
	v_cndmask_b32_e64 v1, v34, v30, s[14:15]
	v_alignbit_b32 v30, v32, v29, v33
	v_cndmask_b32_e64 v25, v27, v25, s[8:9]
	v_cndmask_b32_e64 v30, v30, v32, s[14:15]
	v_bfe_u32 v34, v1, 29, 1
	v_cndmask_b32_e64 v25, v26, v25, s[10:11]
	v_alignbit_b32 v31, v1, v30, 30
	v_sub_u32_e32 v35, 0, v34
	v_cndmask_b32_e64 v25, v28, v25, s[12:13]
	v_xor_b32_e32 v31, v31, v35
	v_alignbit_b32 v26, v29, v25, v33
	v_cndmask_b32_e64 v26, v26, v29, s[14:15]
	v_ffbh_u32_e32 v28, v31
	v_alignbit_b32 v27, v30, v26, 30
	v_min_u32_e32 v28, 32, v28
	v_alignbit_b32 v25, v26, v25, 30
	v_xor_b32_e32 v27, v27, v35
	v_sub_u32_e32 v29, 31, v28
	v_xor_b32_e32 v25, v25, v35
	v_alignbit_b32 v30, v31, v27, v29
	v_alignbit_b32 v25, v27, v25, v29
	;; [unrolled: 1-line block ×3, first 2 shown]
	v_ffbh_u32_e32 v27, v26
	v_min_u32_e32 v27, 32, v27
	v_lshrrev_b32_e32 v32, 29, v1
	v_not_b32_e32 v29, v27
	v_alignbit_b32 v25, v26, v25, v29
	v_lshlrev_b32_e32 v26, 31, v32
	v_or_b32_e32 v29, 0x33000000, v26
	v_add_lshl_u32 v27, v27, v28, 23
	v_lshrrev_b32_e32 v25, 9, v25
	v_sub_u32_e32 v27, v29, v27
	v_or_b32_e32 v26, 0.5, v26
	v_lshlrev_b32_e32 v28, 23, v28
	v_or_b32_e32 v25, v27, v25
	v_lshrrev_b32_e32 v27, 9, v30
	v_sub_u32_e32 v26, v26, v28
	v_or_b32_e32 v26, v27, v26
	v_mul_f32_e32 v27, 0x3fc90fda, v26
	v_fma_f32 v28, v26, s43, -v27
	v_fmac_f32_e32 v28, 0x33a22168, v26
	v_fmac_f32_e32 v28, 0x3fc90fda, v25
	v_lshrrev_b32_e32 v1, 30, v1
	v_add_f32_e32 v25, v27, v28
	v_add_u32_e32 v26, v34, v1
.LBB220_18:                             ;   in Loop: Header=BB220_4 Depth=1
	s_andn2_saveexec_b64 s[8:9], s[28:29]
	s_cbranch_execz .LBB220_20
; %bb.19:                               ;   in Loop: Header=BB220_4 Depth=1
	v_mul_f32_e32 v1, 0x3f22f983, v21
	v_rndne_f32_e32 v1, v1
	v_mov_b32_e32 v25, v21
	v_cvt_i32_f32_e32 v26, v1
	v_fmac_f32_e32 v25, 0xbfc90fda, v1
	v_fmac_f32_e32 v25, 0xb3a22168, v1
	;; [unrolled: 1-line block ×3, first 2 shown]
.LBB220_20:                             ;   in Loop: Header=BB220_4 Depth=1
	s_or_b64 exec, exec, s[8:9]
	v_cmp_ngt_f32_e64 s[8:9], s35, v19
                                        ; implicit-def: $vgpr28
                                        ; implicit-def: $vgpr27
	s_and_saveexec_b64 s[10:11], s[8:9]
	s_xor_b64 s[28:29], exec, s[10:11]
	s_cbranch_execz .LBB220_22
; %bb.21:                               ;   in Loop: Header=BB220_4 Depth=1
	v_and_b32_e32 v1, 0x7fffff, v19
	v_or_b32_e32 v34, 0x800000, v1
	v_mad_u64_u32 v[27:28], s[8:9], v34, s36, 0
	v_mov_b32_e32 v1, v28
	v_mad_u64_u32 v[28:29], s[8:9], v34, s37, v[1:2]
	v_mov_b32_e32 v1, v29
	v_mad_u64_u32 v[29:30], s[8:9], v34, s38, v[1:2]
	v_mov_b32_e32 v1, v30
	v_mad_u64_u32 v[30:31], s[8:9], v34, s39, v[1:2]
	v_lshrrev_b32_e32 v1, 23, v19
	v_add_u32_e32 v33, 0xffffff88, v1
	v_mov_b32_e32 v1, v31
	v_mad_u64_u32 v[31:32], s[8:9], v34, s40, v[1:2]
	v_cmp_lt_u32_e64 s[8:9], 63, v33
	v_cndmask_b32_e64 v1, 0, v16, s[8:9]
	v_add_u32_e32 v35, v1, v33
	v_mov_b32_e32 v1, v32
	v_mad_u64_u32 v[32:33], s[10:11], v34, s41, v[1:2]
	v_cmp_lt_u32_e64 s[10:11], 31, v35
	v_cndmask_b32_e64 v1, 0, v17, s[10:11]
	v_add_u32_e32 v35, v1, v35
	v_mov_b32_e32 v1, v33
	v_mad_u64_u32 v[33:34], s[12:13], v34, s42, v[1:2]
	v_cmp_lt_u32_e64 s[12:13], 31, v35
	v_cndmask_b32_e64 v1, 0, v17, s[12:13]
	v_add_u32_e32 v1, v1, v35
	v_cndmask_b32_e64 v35, v32, v30, s[8:9]
	v_cndmask_b32_e64 v33, v33, v31, s[8:9]
	;; [unrolled: 1-line block ×10, first 2 shown]
	v_sub_u32_e32 v35, 32, v1
	v_cndmask_b32_e64 v30, v31, v28, s[10:11]
	v_alignbit_b32 v36, v32, v34, v35
	v_cmp_eq_u32_e64 s[14:15], 0, v1
	v_cndmask_b32_e64 v31, v33, v30, s[12:13]
	v_cndmask_b32_e64 v1, v36, v32, s[14:15]
	v_alignbit_b32 v32, v34, v31, v35
	v_cndmask_b32_e64 v27, v29, v27, s[8:9]
	v_cndmask_b32_e64 v32, v32, v34, s[14:15]
	v_bfe_u32 v36, v1, 29, 1
	v_cndmask_b32_e64 v27, v28, v27, s[10:11]
	v_alignbit_b32 v33, v1, v32, 30
	v_sub_u32_e32 v37, 0, v36
	v_cndmask_b32_e64 v27, v30, v27, s[12:13]
	v_xor_b32_e32 v33, v33, v37
	v_alignbit_b32 v28, v31, v27, v35
	v_cndmask_b32_e64 v28, v28, v31, s[14:15]
	v_ffbh_u32_e32 v30, v33
	v_alignbit_b32 v29, v32, v28, 30
	v_min_u32_e32 v30, 32, v30
	v_alignbit_b32 v27, v28, v27, 30
	v_xor_b32_e32 v29, v29, v37
	v_sub_u32_e32 v31, 31, v30
	v_xor_b32_e32 v27, v27, v37
	v_alignbit_b32 v32, v33, v29, v31
	v_alignbit_b32 v27, v29, v27, v31
	v_alignbit_b32 v28, v32, v27, 9
	v_ffbh_u32_e32 v29, v28
	v_min_u32_e32 v29, 32, v29
	v_lshrrev_b32_e32 v34, 29, v1
	v_not_b32_e32 v31, v29
	v_alignbit_b32 v27, v28, v27, v31
	v_lshlrev_b32_e32 v28, 31, v34
	v_or_b32_e32 v31, 0x33000000, v28
	v_add_lshl_u32 v29, v29, v30, 23
	v_lshrrev_b32_e32 v27, 9, v27
	v_sub_u32_e32 v29, v31, v29
	v_or_b32_e32 v28, 0.5, v28
	v_lshlrev_b32_e32 v30, 23, v30
	v_or_b32_e32 v27, v29, v27
	v_lshrrev_b32_e32 v29, 9, v32
	v_sub_u32_e32 v28, v28, v30
	v_or_b32_e32 v28, v29, v28
	v_mul_f32_e32 v29, 0x3fc90fda, v28
	v_fma_f32 v30, v28, s43, -v29
	v_fmac_f32_e32 v30, 0x33a22168, v28
	v_fmac_f32_e32 v30, 0x3fc90fda, v27
	v_lshrrev_b32_e32 v1, 30, v1
	v_add_f32_e32 v27, v29, v30
	v_add_u32_e32 v28, v36, v1
.LBB220_22:                             ;   in Loop: Header=BB220_4 Depth=1
	s_andn2_saveexec_b64 s[8:9], s[28:29]
	s_cbranch_execz .LBB220_24
; %bb.23:                               ;   in Loop: Header=BB220_4 Depth=1
	v_mul_f32_e32 v1, 0x3f22f983, v19
	v_rndne_f32_e32 v1, v1
	v_mov_b32_e32 v27, v19
	v_cvt_i32_f32_e32 v28, v1
	v_fmac_f32_e32 v27, 0xbfc90fda, v1
	v_fmac_f32_e32 v27, 0xb3a22168, v1
	;; [unrolled: 1-line block ×3, first 2 shown]
.LBB220_24:                             ;   in Loop: Header=BB220_4 Depth=1
	s_or_b64 exec, exec, s[8:9]
	v_cmp_ngt_f32_e64 s[8:9], s35, v20
                                        ; implicit-def: $vgpr29
                                        ; implicit-def: $vgpr1
	s_and_saveexec_b64 s[10:11], s[8:9]
	s_xor_b64 s[28:29], exec, s[10:11]
	s_cbranch_execnz .LBB220_30
; %bb.25:                               ;   in Loop: Header=BB220_4 Depth=1
	s_andn2_saveexec_b64 s[8:9], s[28:29]
	s_cbranch_execnz .LBB220_31
.LBB220_26:                             ;   in Loop: Header=BB220_4 Depth=1
	s_or_b64 exec, exec, s[8:9]
	s_and_saveexec_b64 s[8:9], s[6:7]
	s_xor_b64 s[8:9], exec, s[8:9]
	s_cbranch_execnz .LBB220_32
.LBB220_27:                             ;   in Loop: Header=BB220_4 Depth=1
	s_or_b64 exec, exec, s[8:9]
	s_and_saveexec_b64 s[6:7], s[2:3]
	s_cbranch_execnz .LBB220_33
.LBB220_28:                             ;   in Loop: Header=BB220_4 Depth=1
	s_or_b64 exec, exec, s[6:7]
	s_and_saveexec_b64 s[2:3], s[0:1]
	s_cbranch_execnz .LBB220_34
.LBB220_29:                             ;   in Loop: Header=BB220_4 Depth=1
	s_or_b64 exec, exec, s[2:3]
	s_and_saveexec_b64 s[0:1], vcc
	s_cbranch_execz .LBB220_3
	s_branch .LBB220_35
.LBB220_30:                             ;   in Loop: Header=BB220_4 Depth=1
	v_and_b32_e32 v1, 0x7fffff, v20
	v_or_b32_e32 v36, 0x800000, v1
	v_mad_u64_u32 v[29:30], s[8:9], v36, s36, 0
	v_mov_b32_e32 v1, v30
	v_mad_u64_u32 v[30:31], s[8:9], v36, s37, v[1:2]
	v_mov_b32_e32 v1, v31
	;; [unrolled: 2-line block ×3, first 2 shown]
	v_mad_u64_u32 v[32:33], s[8:9], v36, s39, v[1:2]
	v_lshrrev_b32_e32 v1, 23, v20
	v_add_u32_e32 v35, 0xffffff88, v1
	v_mov_b32_e32 v1, v33
	v_mad_u64_u32 v[33:34], s[10:11], v36, s40, v[1:2]
	v_cmp_lt_u32_e64 s[8:9], 63, v35
	v_cndmask_b32_e64 v1, 0, v16, s[8:9]
	v_add_u32_e32 v37, v1, v35
	v_mov_b32_e32 v1, v34
	v_mad_u64_u32 v[34:35], s[12:13], v36, s41, v[1:2]
	v_cmp_lt_u32_e64 s[10:11], 31, v37
	v_cndmask_b32_e64 v1, 0, v17, s[10:11]
	;; [unrolled: 5-line block ×3, first 2 shown]
	v_add_u32_e32 v1, v1, v37
	v_cndmask_b32_e64 v37, v34, v32, s[8:9]
	v_cndmask_b32_e64 v35, v35, v33, s[8:9]
	;; [unrolled: 1-line block ×7, first 2 shown]
	v_sub_u32_e32 v37, 32, v1
	v_cmp_eq_u32_e64 s[14:15], 0, v1
	v_cndmask_b32_e64 v1, v32, v30, s[8:9]
	v_cndmask_b32_e64 v34, v34, v36, s[12:13]
	;; [unrolled: 1-line block ×4, first 2 shown]
	v_alignbit_b32 v38, v34, v36, v37
	v_cndmask_b32_e64 v32, v35, v30, s[12:13]
	v_cndmask_b32_e64 v34, v38, v34, s[14:15]
	v_alignbit_b32 v33, v36, v32, v37
	v_cndmask_b32_e64 v29, v31, v29, s[8:9]
	v_cndmask_b32_e64 v33, v33, v36, s[14:15]
	v_bfe_u32 v38, v34, 29, 1
	v_cndmask_b32_e64 v1, v1, v29, s[10:11]
	v_alignbit_b32 v35, v34, v33, 30
	v_sub_u32_e32 v39, 0, v38
	v_cndmask_b32_e64 v1, v30, v1, s[12:13]
	v_xor_b32_e32 v35, v35, v39
	v_alignbit_b32 v29, v32, v1, v37
	v_cndmask_b32_e64 v29, v29, v32, s[14:15]
	v_ffbh_u32_e32 v31, v35
	v_alignbit_b32 v30, v33, v29, 30
	v_min_u32_e32 v31, 32, v31
	v_alignbit_b32 v1, v29, v1, 30
	v_xor_b32_e32 v30, v30, v39
	v_sub_u32_e32 v32, 31, v31
	v_xor_b32_e32 v1, v1, v39
	v_alignbit_b32 v33, v35, v30, v32
	v_alignbit_b32 v1, v30, v1, v32
	;; [unrolled: 1-line block ×3, first 2 shown]
	v_ffbh_u32_e32 v30, v29
	v_min_u32_e32 v30, 32, v30
	v_lshrrev_b32_e32 v36, 29, v34
	v_not_b32_e32 v32, v30
	v_alignbit_b32 v1, v29, v1, v32
	v_lshlrev_b32_e32 v29, 31, v36
	v_or_b32_e32 v32, 0x33000000, v29
	v_add_lshl_u32 v30, v30, v31, 23
	v_lshrrev_b32_e32 v1, 9, v1
	v_sub_u32_e32 v30, v32, v30
	v_or_b32_e32 v29, 0.5, v29
	v_lshlrev_b32_e32 v31, 23, v31
	v_or_b32_e32 v1, v30, v1
	v_lshrrev_b32_e32 v30, 9, v33
	v_sub_u32_e32 v29, v29, v31
	v_or_b32_e32 v29, v30, v29
	v_mul_f32_e32 v30, 0x3fc90fda, v29
	v_fma_f32 v31, v29, s43, -v30
	v_fmac_f32_e32 v31, 0x33a22168, v29
	v_fmac_f32_e32 v31, 0x3fc90fda, v1
	v_lshrrev_b32_e32 v29, 30, v34
	v_add_f32_e32 v1, v30, v31
	v_add_u32_e32 v29, v38, v29
	s_andn2_saveexec_b64 s[8:9], s[28:29]
	s_cbranch_execz .LBB220_26
.LBB220_31:                             ;   in Loop: Header=BB220_4 Depth=1
	v_mul_f32_e32 v1, 0x3f22f983, v20
	v_rndne_f32_e32 v30, v1
	v_mov_b32_e32 v1, v20
	v_cvt_i32_f32_e32 v29, v30
	v_fmac_f32_e32 v1, 0xbfc90fda, v30
	v_fmac_f32_e32 v1, 0xb3a22168, v30
	;; [unrolled: 1-line block ×3, first 2 shown]
	s_or_b64 exec, exec, s[8:9]
	s_and_saveexec_b64 s[8:9], s[6:7]
	s_xor_b64 s[8:9], exec, s[8:9]
	s_cbranch_execz .LBB220_27
.LBB220_32:                             ;   in Loop: Header=BB220_4 Depth=1
	v_mul_f32_e32 v30, v23, v23
	v_mov_b32_e32 v31, 0x3c0881c4
	v_fmac_f32_e32 v31, 0xb94c1982, v30
	v_fma_f32 v31, v30, v31, v13
	v_mul_f32_e32 v31, v30, v31
	v_fmac_f32_e32 v23, v23, v31
	v_mov_b32_e32 v31, 0xbab64f3b
	v_fmac_f32_e32 v31, 0x37d75334, v30
	v_fma_f32 v31, v30, v31, v14
	v_fma_f32 v31, v30, v31, v15
	v_fma_f32 v30, v30, v31, 1.0
	v_and_b32_e32 v31, 1, v24
	v_cmp_eq_u32_e64 s[6:7], 0, v31
	v_lshlrev_b32_e32 v24, 30, v24
	v_cndmask_b32_e64 v23, -v23, v30, s[6:7]
	v_and_b32_e32 v24, 0x80000000, v24
	v_xor_b32_e32 v23, v24, v23
	v_cmp_lg_f32_e64 s[6:7], s44, v22
	v_cndmask_b32_e64 v22, v18, v23, s[6:7]
	global_store_dword v[3:4], v22, off
	s_or_b64 exec, exec, s[8:9]
	s_and_saveexec_b64 s[6:7], s[2:3]
	s_cbranch_execz .LBB220_28
.LBB220_33:                             ;   in Loop: Header=BB220_4 Depth=1
	v_mul_f32_e32 v22, v25, v25
	v_mov_b32_e32 v23, 0x3c0881c4
	v_fmac_f32_e32 v23, 0xb94c1982, v22
	v_fma_f32 v23, v22, v23, v13
	v_mul_f32_e32 v23, v22, v23
	v_fmac_f32_e32 v25, v25, v23
	v_mov_b32_e32 v23, 0xbab64f3b
	v_fmac_f32_e32 v23, 0x37d75334, v22
	v_fma_f32 v23, v22, v23, v14
	v_fma_f32 v23, v22, v23, v15
	v_fma_f32 v22, v22, v23, 1.0
	v_and_b32_e32 v23, 1, v26
	v_cmp_eq_u32_e64 s[2:3], 0, v23
	v_lshlrev_b32_e32 v23, 30, v26
	v_cndmask_b32_e64 v22, -v25, v22, s[2:3]
	v_and_b32_e32 v23, 0x80000000, v23
	v_xor_b32_e32 v22, v23, v22
	v_cmp_lg_f32_e64 s[2:3], s44, v21
	v_cndmask_b32_e64 v21, v18, v22, s[2:3]
	global_store_dword v[5:6], v21, off
	s_or_b64 exec, exec, s[6:7]
	s_and_saveexec_b64 s[2:3], s[0:1]
	s_cbranch_execz .LBB220_29
.LBB220_34:                             ;   in Loop: Header=BB220_4 Depth=1
	v_mul_f32_e32 v21, v27, v27
	v_mov_b32_e32 v22, 0x3c0881c4
	v_fmac_f32_e32 v22, 0xb94c1982, v21
	v_fma_f32 v22, v21, v22, v13
	v_mul_f32_e32 v22, v21, v22
	v_fmac_f32_e32 v27, v27, v22
	v_mov_b32_e32 v22, 0xbab64f3b
	v_fmac_f32_e32 v22, 0x37d75334, v21
	v_fma_f32 v22, v21, v22, v14
	v_fma_f32 v22, v21, v22, v15
	v_fma_f32 v21, v21, v22, 1.0
	v_and_b32_e32 v22, 1, v28
	v_cmp_eq_u32_e64 s[0:1], 0, v22
	v_lshlrev_b32_e32 v22, 30, v28
	v_cndmask_b32_e64 v21, -v27, v21, s[0:1]
	v_and_b32_e32 v22, 0x80000000, v22
	v_xor_b32_e32 v21, v22, v21
	v_cmp_lg_f32_e64 s[0:1], s44, v19
	v_cndmask_b32_e64 v19, v18, v21, s[0:1]
	v_add_co_u32_e64 v21, s[0:1], s34, v3
	v_addc_co_u32_e64 v22, s[0:1], 0, v4, s[0:1]
	global_store_dword v[21:22], v19, off
	s_or_b64 exec, exec, s[2:3]
	s_and_saveexec_b64 s[0:1], vcc
	s_cbranch_execz .LBB220_3
.LBB220_35:                             ;   in Loop: Header=BB220_4 Depth=1
	v_mul_f32_e32 v19, v1, v1
	v_mov_b32_e32 v21, 0x3c0881c4
	v_fmac_f32_e32 v21, 0xb94c1982, v19
	v_fma_f32 v21, v19, v21, v13
	v_mul_f32_e32 v21, v19, v21
	v_fmac_f32_e32 v1, v1, v21
	v_mov_b32_e32 v21, 0xbab64f3b
	v_fmac_f32_e32 v21, 0x37d75334, v19
	v_fma_f32 v21, v19, v21, v14
	v_fma_f32 v21, v19, v21, v15
	v_fma_f32 v19, v19, v21, 1.0
	v_and_b32_e32 v21, 1, v29
	v_cmp_eq_u32_e32 vcc, 0, v21
	v_cndmask_b32_e64 v1, -v1, v19, vcc
	v_lshlrev_b32_e32 v19, 30, v29
	v_and_b32_e32 v19, 0x80000000, v19
	v_xor_b32_e32 v1, v19, v1
	v_cmp_lg_f32_e32 vcc, s44, v20
	v_cndmask_b32_e32 v1, v18, v1, vcc
	v_add_co_u32_e32 v19, vcc, s33, v3
	v_addc_co_u32_e32 v20, vcc, 0, v4, vcc
	global_store_dword v[19:20], v1, off
	s_branch .LBB220_3
.LBB220_36:
	s_cbranch_execz .LBB220_38
	s_branch .LBB220_57
.LBB220_37:
.LBB220_38:
	v_mov_b32_e32 v1, 0x10000
	v_mov_b32_e32 v2, 0
	v_cmp_lt_i64_e32 vcc, s[20:21], v[1:2]
	v_mov_b32_e32 v7, 0
	s_and_b64 s[0:1], vcc, exec
	s_cselect_b32 s7, s21, 0
	s_cselect_b32 s6, s20, 0x10000
	v_lshlrev_b32_e32 v6, 2, v0
	v_cmp_gt_i64_e32 vcc, s[6:7], v[6:7]
	s_and_saveexec_b64 s[0:1], vcc
	s_cbranch_execz .LBB220_57
; %bb.39:
	s_load_dword s0, s[4:5], 0xd3c
	v_lshlrev_b32_e32 v2, 4, v0
	v_mov_b32_e32 v1, v7
	s_mov_b64 s[8:9], 0
	s_brev_b32 s14, 18
	s_waitcnt lgkmcnt(0)
	s_and_b32 s12, s0, 0xffff
	s_add_u32 s0, s16, s18
	s_addc_u32 s1, s17, s19
	v_mov_b32_e32 v3, s1
	v_add_co_u32_e32 v2, vcc, s0, v2
	v_addc_co_u32_e32 v3, vcc, 0, v3, vcc
	v_add_co_u32_e32 v8, vcc, 8, v2
	v_addc_co_u32_e32 v9, vcc, 0, v3, vcc
	s_lshl_b32 s13, s12, 4
	s_mov_b32 s15, 0xfe5163ab
	s_mov_b32 s16, 0x3c439041
	;; [unrolled: 1-line block ×10, first 2 shown]
	v_mov_b32_e32 v10, 0xbe2aaa9d
	v_mov_b32_e32 v11, 0x3d2aabf7
	;; [unrolled: 1-line block ×3, first 2 shown]
	s_movk_i32 s25, 0x1f8
	v_not_b32_e32 v13, 63
	v_not_b32_e32 v14, 31
	v_mov_b32_e32 v15, 0x7fc00000
	s_branch .LBB220_41
.LBB220_40:                             ;   in Loop: Header=BB220_41 Depth=1
	s_or_b64 exec, exec, s[0:1]
	v_mul_f32_e32 v23, v21, v21
	v_mov_b32_e32 v24, 0x3c0881c4
	v_fmac_f32_e32 v24, 0xb94c1982, v23
	v_fma_f32 v24, v23, v24, v10
	v_mul_f32_e32 v24, v23, v24
	v_fmac_f32_e32 v21, v21, v24
	v_mov_b32_e32 v24, 0xbab64f3b
	v_fmac_f32_e32 v24, 0x37d75334, v23
	v_fma_f32 v24, v23, v24, v11
	v_fma_f32 v24, v23, v24, v12
	v_fma_f32 v23, v23, v24, 1.0
	v_and_b32_e32 v24, 1, v20
	v_cmp_eq_u32_e32 vcc, 0, v24
	v_lshlrev_b32_e32 v20, 30, v20
	v_cndmask_b32_e64 v21, -v21, v23, vcc
	v_and_b32_e32 v20, 0x80000000, v20
	v_xor_b32_e32 v20, v20, v21
	v_cmp_class_f32_e64 vcc, v4, s25
	v_cndmask_b32_e32 v4, v15, v20, vcc
	v_mul_f32_e32 v20, v19, v19
	v_mov_b32_e32 v21, 0x3c0881c4
	v_fmac_f32_e32 v21, 0xb94c1982, v20
	v_fma_f32 v21, v20, v21, v10
	v_mul_f32_e32 v21, v20, v21
	v_fmac_f32_e32 v19, v19, v21
	v_mov_b32_e32 v21, 0xbab64f3b
	v_fmac_f32_e32 v21, 0x37d75334, v20
	v_fma_f32 v21, v20, v21, v11
	v_fma_f32 v21, v20, v21, v12
	v_fma_f32 v20, v20, v21, 1.0
	v_and_b32_e32 v21, 1, v18
	v_cmp_eq_u32_e32 vcc, 0, v21
	v_lshlrev_b32_e32 v18, 30, v18
	v_cndmask_b32_e64 v19, -v19, v20, vcc
	v_and_b32_e32 v18, 0x80000000, v18
	v_xor_b32_e32 v18, v18, v19
	v_cmp_class_f32_e64 vcc, v3, s25
	v_cndmask_b32_e32 v3, v15, v18, vcc
	;; [unrolled: 19-line block ×3, first 2 shown]
	v_mul_f32_e32 v16, v22, v22
	v_mov_b32_e32 v17, 0x3c0881c4
	v_fmac_f32_e32 v17, 0xb94c1982, v16
	v_fma_f32 v17, v16, v17, v10
	v_mul_f32_e32 v17, v16, v17
	v_fmac_f32_e32 v22, v22, v17
	v_mov_b32_e32 v17, 0xbab64f3b
	v_fmac_f32_e32 v17, 0x37d75334, v16
	v_fma_f32 v17, v16, v17, v11
	v_fma_f32 v17, v16, v17, v12
	v_fma_f32 v16, v16, v17, 1.0
	v_and_b32_e32 v17, 1, v6
	v_cmp_eq_u32_e32 vcc, 0, v17
	v_cndmask_b32_e64 v16, -v22, v16, vcc
	v_lshlrev_b32_e32 v6, 30, v6
	v_add_co_u32_e32 v0, vcc, s12, v0
	v_and_b32_e32 v6, 0x80000000, v6
	v_addc_co_u32_e32 v1, vcc, 0, v1, vcc
	v_xor_b32_e32 v6, v6, v16
	v_lshlrev_b64 v[16:17], 2, v[0:1]
	v_cmp_class_f32_e64 vcc, v5, s25
	v_cndmask_b32_e32 v5, v15, v6, vcc
	v_cmp_le_i64_e32 vcc, s[6:7], v[16:17]
	global_store_dwordx4 v[8:9], v[2:5], off offset:-8
	s_or_b64 s[8:9], vcc, s[8:9]
	v_add_co_u32_e32 v8, vcc, s13, v8
	v_addc_co_u32_e32 v9, vcc, 0, v9, vcc
	s_andn2_b64 exec, exec, s[8:9]
	s_cbranch_execz .LBB220_57
.LBB220_41:                             ; =>This Inner Loop Header: Depth=1
	global_load_dwordx4 v[2:5], v[8:9], off offset:-8
                                        ; implicit-def: $vgpr16
                                        ; implicit-def: $vgpr17
	s_waitcnt vmcnt(0)
	v_cmp_nlt_f32_e64 s[0:1], |v2|, s14
	s_and_saveexec_b64 s[2:3], s[0:1]
	s_xor_b64 s[10:11], exec, s[2:3]
	s_cbranch_execz .LBB220_43
; %bb.42:                               ;   in Loop: Header=BB220_41 Depth=1
	v_and_b32_e32 v20, 0x7fffffff, v2
	v_and_b32_e32 v6, 0x7fffff, v20
	v_or_b32_e32 v23, 0x800000, v6
	v_mad_u64_u32 v[16:17], s[0:1], v23, s15, 0
	v_lshrrev_b32_e32 v21, 23, v20
	v_add_u32_e32 v22, 0xffffff88, v21
	v_mov_b32_e32 v6, v17
	v_mad_u64_u32 v[17:18], s[0:1], v23, s16, v[6:7]
	v_cmp_lt_u32_e32 vcc, 63, v22
	v_cndmask_b32_e32 v24, 0, v13, vcc
	v_mov_b32_e32 v6, v18
	v_mad_u64_u32 v[18:19], s[0:1], v23, s17, v[6:7]
	v_add_u32_e32 v24, v24, v22
	v_mov_b32_e32 v6, v19
	v_mad_u64_u32 v[19:20], s[0:1], v23, s18, v[6:7]
	v_cndmask_b32_e32 v16, v18, v16, vcc
	v_mov_b32_e32 v6, v20
	v_mad_u64_u32 v[20:21], s[0:1], v23, s19, v[6:7]
	v_cmp_lt_u32_e64 s[0:1], 31, v24
	v_cndmask_b32_e64 v25, 0, v14, s[0:1]
	v_mov_b32_e32 v6, v21
	v_mad_u64_u32 v[21:22], s[2:3], v23, s20, v[6:7]
	v_add_u32_e32 v24, v25, v24
	v_cmp_lt_u32_e64 s[2:3], 31, v24
	v_mov_b32_e32 v6, v22
	v_mad_u64_u32 v[22:23], s[4:5], v23, s21, v[6:7]
	v_cndmask_b32_e64 v25, 0, v14, s[2:3]
	v_cndmask_b32_e32 v17, v19, v17, vcc
	v_cndmask_b32_e32 v19, v21, v19, vcc
	;; [unrolled: 1-line block ×5, first 2 shown]
	v_add_u32_e32 v6, v25, v24
	v_cndmask_b32_e64 v23, v22, v19, s[0:1]
	v_cndmask_b32_e64 v21, v21, v22, s[0:1]
	v_cndmask_b32_e64 v19, v19, v20, s[0:1]
	v_cndmask_b32_e64 v21, v21, v23, s[2:3]
	v_cndmask_b32_e64 v22, v23, v19, s[2:3]
	v_sub_u32_e32 v23, 32, v6
	v_cndmask_b32_e64 v20, v20, v17, s[0:1]
	v_alignbit_b32 v24, v21, v22, v23
	v_cmp_eq_u32_e64 s[4:5], 0, v6
	v_cndmask_b32_e64 v19, v19, v20, s[2:3]
	v_cndmask_b32_e64 v6, v24, v21, s[4:5]
	v_alignbit_b32 v21, v22, v19, v23
	v_cndmask_b32_e64 v21, v21, v22, s[4:5]
	v_bfe_u32 v18, v6, 29, 1
	v_cndmask_b32_e64 v16, v17, v16, s[0:1]
	v_alignbit_b32 v22, v6, v21, 30
	v_sub_u32_e32 v25, 0, v18
	v_cndmask_b32_e64 v16, v20, v16, s[2:3]
	v_xor_b32_e32 v22, v22, v25
	v_alignbit_b32 v17, v19, v16, v23
	v_cndmask_b32_e64 v17, v17, v19, s[4:5]
	v_ffbh_u32_e32 v20, v22
	v_alignbit_b32 v19, v21, v17, 30
	v_min_u32_e32 v20, 32, v20
	v_alignbit_b32 v16, v17, v16, 30
	v_xor_b32_e32 v19, v19, v25
	v_sub_u32_e32 v21, 31, v20
	v_xor_b32_e32 v16, v16, v25
	v_alignbit_b32 v22, v22, v19, v21
	v_alignbit_b32 v16, v19, v16, v21
	;; [unrolled: 1-line block ×3, first 2 shown]
	v_ffbh_u32_e32 v19, v17
	v_min_u32_e32 v19, 32, v19
	v_lshrrev_b32_e32 v24, 29, v6
	v_not_b32_e32 v21, v19
	v_alignbit_b32 v16, v17, v16, v21
	v_lshlrev_b32_e32 v17, 31, v24
	v_or_b32_e32 v21, 0x33000000, v17
	v_add_lshl_u32 v19, v19, v20, 23
	v_lshrrev_b32_e32 v16, 9, v16
	v_sub_u32_e32 v19, v21, v19
	v_or_b32_e32 v17, 0.5, v17
	v_lshlrev_b32_e32 v20, 23, v20
	v_or_b32_e32 v16, v19, v16
	v_lshrrev_b32_e32 v19, 9, v22
	v_sub_u32_e32 v17, v17, v20
	v_or_b32_e32 v17, v19, v17
	v_mul_f32_e32 v19, 0x3fc90fda, v17
	v_fma_f32 v20, v17, s22, -v19
	v_fmac_f32_e32 v20, 0x33a22168, v17
	v_fmac_f32_e32 v20, 0x3fc90fda, v16
	v_lshrrev_b32_e32 v6, 30, v6
	v_add_f32_e32 v17, v19, v20
	v_add_u32_e32 v16, v18, v6
.LBB220_43:                             ;   in Loop: Header=BB220_41 Depth=1
	s_andn2_saveexec_b64 s[0:1], s[10:11]
; %bb.44:                               ;   in Loop: Header=BB220_41 Depth=1
	v_mul_f32_e64 v6, |v2|, s23
	v_rndne_f32_e32 v6, v6
	v_cvt_i32_f32_e32 v16, v6
	v_fma_f32 v17, v6, s24, |v2|
	v_fmac_f32_e32 v17, 0xb3a22168, v6
	v_fmac_f32_e32 v17, 0xa7c234c4, v6
; %bb.45:                               ;   in Loop: Header=BB220_41 Depth=1
	s_or_b64 exec, exec, s[0:1]
	v_cmp_nlt_f32_e64 s[0:1], |v3|, s14
                                        ; implicit-def: $vgpr18
                                        ; implicit-def: $vgpr19
	s_and_saveexec_b64 s[2:3], s[0:1]
	s_xor_b64 s[10:11], exec, s[2:3]
	s_cbranch_execz .LBB220_47
; %bb.46:                               ;   in Loop: Header=BB220_41 Depth=1
	v_and_b32_e32 v23, 0x7fffffff, v3
	v_and_b32_e32 v6, 0x7fffff, v23
	v_or_b32_e32 v25, 0x800000, v6
	v_mad_u64_u32 v[18:19], s[0:1], v25, s15, 0
	v_mov_b32_e32 v6, v19
	v_mad_u64_u32 v[19:20], s[0:1], v25, s16, v[6:7]
	v_mov_b32_e32 v6, v20
	v_mad_u64_u32 v[20:21], s[0:1], v25, s17, v[6:7]
	v_mov_b32_e32 v6, v21
	v_mad_u64_u32 v[21:22], s[0:1], v25, s18, v[6:7]
	v_lshrrev_b32_e32 v6, 23, v23
	v_add_u32_e32 v24, 0xffffff88, v6
	v_mov_b32_e32 v6, v22
	v_mad_u64_u32 v[22:23], s[0:1], v25, s19, v[6:7]
	v_cmp_lt_u32_e32 vcc, 63, v24
	v_cndmask_b32_e32 v6, 0, v13, vcc
	v_add_u32_e32 v26, v6, v24
	v_mov_b32_e32 v6, v23
	v_mad_u64_u32 v[23:24], s[0:1], v25, s20, v[6:7]
	v_cmp_lt_u32_e64 s[0:1], 31, v26
	v_cndmask_b32_e64 v6, 0, v14, s[0:1]
	v_add_u32_e32 v26, v6, v26
	v_mov_b32_e32 v6, v24
	v_mad_u64_u32 v[24:25], s[2:3], v25, s21, v[6:7]
	v_cmp_lt_u32_e64 s[2:3], 31, v26
	v_cndmask_b32_e64 v6, 0, v14, s[2:3]
	v_add_u32_e32 v6, v6, v26
	v_cndmask_b32_e32 v26, v23, v21, vcc
	v_cndmask_b32_e32 v23, v25, v23, vcc
	;; [unrolled: 1-line block ×4, first 2 shown]
	v_cndmask_b32_e64 v25, v24, v26, s[0:1]
	v_cndmask_b32_e64 v23, v23, v24, s[0:1]
	;; [unrolled: 1-line block ×3, first 2 shown]
	v_cndmask_b32_e32 v19, v21, v19, vcc
	v_cndmask_b32_e64 v23, v23, v25, s[2:3]
	v_cndmask_b32_e64 v25, v25, v24, s[2:3]
	v_sub_u32_e32 v26, 32, v6
	v_cndmask_b32_e64 v21, v22, v19, s[0:1]
	v_alignbit_b32 v27, v23, v25, v26
	v_cmp_eq_u32_e64 s[4:5], 0, v6
	v_cndmask_b32_e64 v22, v24, v21, s[2:3]
	v_cndmask_b32_e64 v6, v27, v23, s[4:5]
	v_alignbit_b32 v23, v25, v22, v26
	v_cndmask_b32_e32 v18, v20, v18, vcc
	v_cndmask_b32_e64 v23, v23, v25, s[4:5]
	v_bfe_u32 v27, v6, 29, 1
	v_cndmask_b32_e64 v18, v19, v18, s[0:1]
	v_alignbit_b32 v24, v6, v23, 30
	v_sub_u32_e32 v28, 0, v27
	v_cndmask_b32_e64 v18, v21, v18, s[2:3]
	v_xor_b32_e32 v24, v24, v28
	v_alignbit_b32 v19, v22, v18, v26
	v_cndmask_b32_e64 v19, v19, v22, s[4:5]
	v_ffbh_u32_e32 v21, v24
	v_alignbit_b32 v20, v23, v19, 30
	v_min_u32_e32 v21, 32, v21
	v_alignbit_b32 v18, v19, v18, 30
	v_xor_b32_e32 v20, v20, v28
	v_sub_u32_e32 v22, 31, v21
	v_xor_b32_e32 v18, v18, v28
	v_alignbit_b32 v23, v24, v20, v22
	v_alignbit_b32 v18, v20, v18, v22
	;; [unrolled: 1-line block ×3, first 2 shown]
	v_ffbh_u32_e32 v20, v19
	v_min_u32_e32 v20, 32, v20
	v_lshrrev_b32_e32 v25, 29, v6
	v_not_b32_e32 v22, v20
	v_alignbit_b32 v18, v19, v18, v22
	v_lshlrev_b32_e32 v19, 31, v25
	v_or_b32_e32 v22, 0x33000000, v19
	v_add_lshl_u32 v20, v20, v21, 23
	v_lshrrev_b32_e32 v18, 9, v18
	v_sub_u32_e32 v20, v22, v20
	v_or_b32_e32 v19, 0.5, v19
	v_lshlrev_b32_e32 v21, 23, v21
	v_or_b32_e32 v18, v20, v18
	v_lshrrev_b32_e32 v20, 9, v23
	v_sub_u32_e32 v19, v19, v21
	v_or_b32_e32 v19, v20, v19
	v_mul_f32_e32 v20, 0x3fc90fda, v19
	v_fma_f32 v21, v19, s22, -v20
	v_fmac_f32_e32 v21, 0x33a22168, v19
	v_fmac_f32_e32 v21, 0x3fc90fda, v18
	v_lshrrev_b32_e32 v6, 30, v6
	v_add_f32_e32 v19, v20, v21
	v_add_u32_e32 v18, v27, v6
.LBB220_47:                             ;   in Loop: Header=BB220_41 Depth=1
	s_andn2_saveexec_b64 s[0:1], s[10:11]
; %bb.48:                               ;   in Loop: Header=BB220_41 Depth=1
	v_mul_f32_e64 v6, |v3|, s23
	v_rndne_f32_e32 v6, v6
	v_cvt_i32_f32_e32 v18, v6
	v_fma_f32 v19, v6, s24, |v3|
	v_fmac_f32_e32 v19, 0xb3a22168, v6
	v_fmac_f32_e32 v19, 0xa7c234c4, v6
; %bb.49:                               ;   in Loop: Header=BB220_41 Depth=1
	s_or_b64 exec, exec, s[0:1]
	v_cmp_nlt_f32_e64 s[0:1], |v4|, s14
                                        ; implicit-def: $vgpr20
                                        ; implicit-def: $vgpr21
	s_and_saveexec_b64 s[2:3], s[0:1]
	s_xor_b64 s[10:11], exec, s[2:3]
	s_cbranch_execz .LBB220_51
; %bb.50:                               ;   in Loop: Header=BB220_41 Depth=1
	v_and_b32_e32 v25, 0x7fffffff, v4
	v_and_b32_e32 v6, 0x7fffff, v25
	v_or_b32_e32 v27, 0x800000, v6
	v_mad_u64_u32 v[20:21], s[0:1], v27, s15, 0
	v_mov_b32_e32 v6, v21
	v_mad_u64_u32 v[21:22], s[0:1], v27, s16, v[6:7]
	v_mov_b32_e32 v6, v22
	;; [unrolled: 2-line block ×3, first 2 shown]
	v_mad_u64_u32 v[23:24], s[0:1], v27, s18, v[6:7]
	v_lshrrev_b32_e32 v6, 23, v25
	v_add_u32_e32 v26, 0xffffff88, v6
	v_mov_b32_e32 v6, v24
	v_mad_u64_u32 v[24:25], s[0:1], v27, s19, v[6:7]
	v_cmp_lt_u32_e32 vcc, 63, v26
	v_cndmask_b32_e32 v6, 0, v13, vcc
	v_add_u32_e32 v28, v6, v26
	v_mov_b32_e32 v6, v25
	v_mad_u64_u32 v[25:26], s[0:1], v27, s20, v[6:7]
	v_cmp_lt_u32_e64 s[0:1], 31, v28
	v_cndmask_b32_e64 v6, 0, v14, s[0:1]
	v_add_u32_e32 v28, v6, v28
	v_mov_b32_e32 v6, v26
	v_mad_u64_u32 v[26:27], s[2:3], v27, s21, v[6:7]
	v_cmp_lt_u32_e64 s[2:3], 31, v28
	v_cndmask_b32_e64 v6, 0, v14, s[2:3]
	v_add_u32_e32 v6, v6, v28
	v_cndmask_b32_e32 v28, v25, v23, vcc
	v_cndmask_b32_e32 v26, v26, v24, vcc
	v_cndmask_b32_e32 v25, v27, v25, vcc
	v_cndmask_b32_e32 v24, v24, v22, vcc
	v_cndmask_b32_e64 v27, v26, v28, s[0:1]
	v_cndmask_b32_e64 v25, v25, v26, s[0:1]
	;; [unrolled: 1-line block ×3, first 2 shown]
	v_cndmask_b32_e32 v21, v23, v21, vcc
	v_cndmask_b32_e64 v25, v25, v27, s[2:3]
	v_cndmask_b32_e64 v27, v27, v26, s[2:3]
	v_sub_u32_e32 v28, 32, v6
	v_cndmask_b32_e64 v23, v24, v21, s[0:1]
	v_alignbit_b32 v29, v25, v27, v28
	v_cmp_eq_u32_e64 s[4:5], 0, v6
	v_cndmask_b32_e64 v24, v26, v23, s[2:3]
	v_cndmask_b32_e64 v6, v29, v25, s[4:5]
	v_alignbit_b32 v25, v27, v24, v28
	v_cndmask_b32_e32 v20, v22, v20, vcc
	v_cndmask_b32_e64 v25, v25, v27, s[4:5]
	v_bfe_u32 v29, v6, 29, 1
	v_cndmask_b32_e64 v20, v21, v20, s[0:1]
	v_alignbit_b32 v26, v6, v25, 30
	v_sub_u32_e32 v30, 0, v29
	v_cndmask_b32_e64 v20, v23, v20, s[2:3]
	v_xor_b32_e32 v26, v26, v30
	v_alignbit_b32 v21, v24, v20, v28
	v_cndmask_b32_e64 v21, v21, v24, s[4:5]
	v_ffbh_u32_e32 v23, v26
	v_alignbit_b32 v22, v25, v21, 30
	v_min_u32_e32 v23, 32, v23
	v_alignbit_b32 v20, v21, v20, 30
	v_xor_b32_e32 v22, v22, v30
	v_sub_u32_e32 v24, 31, v23
	v_xor_b32_e32 v20, v20, v30
	v_alignbit_b32 v25, v26, v22, v24
	v_alignbit_b32 v20, v22, v20, v24
	;; [unrolled: 1-line block ×3, first 2 shown]
	v_ffbh_u32_e32 v22, v21
	v_min_u32_e32 v22, 32, v22
	v_lshrrev_b32_e32 v27, 29, v6
	v_not_b32_e32 v24, v22
	v_alignbit_b32 v20, v21, v20, v24
	v_lshlrev_b32_e32 v21, 31, v27
	v_or_b32_e32 v24, 0x33000000, v21
	v_add_lshl_u32 v22, v22, v23, 23
	v_lshrrev_b32_e32 v20, 9, v20
	v_sub_u32_e32 v22, v24, v22
	v_or_b32_e32 v21, 0.5, v21
	v_lshlrev_b32_e32 v23, 23, v23
	v_or_b32_e32 v20, v22, v20
	v_lshrrev_b32_e32 v22, 9, v25
	v_sub_u32_e32 v21, v21, v23
	v_or_b32_e32 v21, v22, v21
	v_mul_f32_e32 v22, 0x3fc90fda, v21
	v_fma_f32 v23, v21, s22, -v22
	v_fmac_f32_e32 v23, 0x33a22168, v21
	v_fmac_f32_e32 v23, 0x3fc90fda, v20
	v_lshrrev_b32_e32 v6, 30, v6
	v_add_f32_e32 v21, v22, v23
	v_add_u32_e32 v20, v29, v6
.LBB220_51:                             ;   in Loop: Header=BB220_41 Depth=1
	s_andn2_saveexec_b64 s[0:1], s[10:11]
; %bb.52:                               ;   in Loop: Header=BB220_41 Depth=1
	v_mul_f32_e64 v6, |v4|, s23
	v_rndne_f32_e32 v6, v6
	v_cvt_i32_f32_e32 v20, v6
	v_fma_f32 v21, v6, s24, |v4|
	v_fmac_f32_e32 v21, 0xb3a22168, v6
	v_fmac_f32_e32 v21, 0xa7c234c4, v6
; %bb.53:                               ;   in Loop: Header=BB220_41 Depth=1
	s_or_b64 exec, exec, s[0:1]
	v_cmp_nlt_f32_e64 s[0:1], |v5|, s14
                                        ; implicit-def: $vgpr6
                                        ; implicit-def: $vgpr22
	s_and_saveexec_b64 s[2:3], s[0:1]
	s_xor_b64 s[10:11], exec, s[2:3]
	s_cbranch_execz .LBB220_55
; %bb.54:                               ;   in Loop: Header=BB220_41 Depth=1
	v_and_b32_e32 v27, 0x7fffffff, v5
	v_and_b32_e32 v6, 0x7fffff, v27
	v_or_b32_e32 v29, 0x800000, v6
	v_mad_u64_u32 v[22:23], s[0:1], v29, s15, 0
	v_mov_b32_e32 v6, v23
	v_mad_u64_u32 v[23:24], s[0:1], v29, s16, v[6:7]
	v_mov_b32_e32 v6, v24
	;; [unrolled: 2-line block ×3, first 2 shown]
	v_mad_u64_u32 v[25:26], s[0:1], v29, s18, v[6:7]
	v_lshrrev_b32_e32 v6, 23, v27
	v_add_u32_e32 v28, 0xffffff88, v6
	v_mov_b32_e32 v6, v26
	v_mad_u64_u32 v[26:27], s[0:1], v29, s19, v[6:7]
	v_cmp_lt_u32_e32 vcc, 63, v28
	v_cndmask_b32_e32 v6, 0, v13, vcc
	v_add_u32_e32 v30, v6, v28
	v_mov_b32_e32 v6, v27
	v_mad_u64_u32 v[27:28], s[0:1], v29, s20, v[6:7]
	v_cmp_lt_u32_e64 s[0:1], 31, v30
	v_cndmask_b32_e64 v6, 0, v14, s[0:1]
	v_add_u32_e32 v30, v6, v30
	v_mov_b32_e32 v6, v28
	v_mad_u64_u32 v[28:29], s[2:3], v29, s21, v[6:7]
	v_cmp_lt_u32_e64 s[2:3], 31, v30
	v_cndmask_b32_e64 v6, 0, v14, s[2:3]
	v_add_u32_e32 v6, v6, v30
	v_cndmask_b32_e32 v30, v27, v25, vcc
	v_cndmask_b32_e32 v28, v28, v26, vcc
	;; [unrolled: 1-line block ×4, first 2 shown]
	v_cndmask_b32_e64 v29, v28, v30, s[0:1]
	v_cndmask_b32_e64 v27, v27, v28, s[0:1]
	v_cndmask_b32_e64 v28, v30, v26, s[0:1]
	v_cndmask_b32_e32 v23, v25, v23, vcc
	v_cndmask_b32_e64 v27, v27, v29, s[2:3]
	v_cndmask_b32_e64 v29, v29, v28, s[2:3]
	v_sub_u32_e32 v30, 32, v6
	v_cndmask_b32_e64 v25, v26, v23, s[0:1]
	v_alignbit_b32 v31, v27, v29, v30
	v_cmp_eq_u32_e64 s[4:5], 0, v6
	v_cndmask_b32_e64 v26, v28, v25, s[2:3]
	v_cndmask_b32_e64 v6, v31, v27, s[4:5]
	v_alignbit_b32 v27, v29, v26, v30
	v_cndmask_b32_e32 v22, v24, v22, vcc
	v_cndmask_b32_e64 v27, v27, v29, s[4:5]
	v_bfe_u32 v31, v6, 29, 1
	v_cndmask_b32_e64 v22, v23, v22, s[0:1]
	v_alignbit_b32 v28, v6, v27, 30
	v_sub_u32_e32 v32, 0, v31
	v_cndmask_b32_e64 v22, v25, v22, s[2:3]
	v_xor_b32_e32 v28, v28, v32
	v_alignbit_b32 v23, v26, v22, v30
	v_cndmask_b32_e64 v23, v23, v26, s[4:5]
	v_ffbh_u32_e32 v25, v28
	v_alignbit_b32 v24, v27, v23, 30
	v_min_u32_e32 v25, 32, v25
	v_alignbit_b32 v22, v23, v22, 30
	v_xor_b32_e32 v24, v24, v32
	v_sub_u32_e32 v26, 31, v25
	v_xor_b32_e32 v22, v22, v32
	v_alignbit_b32 v27, v28, v24, v26
	v_alignbit_b32 v22, v24, v22, v26
	;; [unrolled: 1-line block ×3, first 2 shown]
	v_ffbh_u32_e32 v24, v23
	v_min_u32_e32 v24, 32, v24
	v_lshrrev_b32_e32 v29, 29, v6
	v_not_b32_e32 v26, v24
	v_alignbit_b32 v22, v23, v22, v26
	v_lshlrev_b32_e32 v23, 31, v29
	v_or_b32_e32 v26, 0x33000000, v23
	v_add_lshl_u32 v24, v24, v25, 23
	v_lshrrev_b32_e32 v22, 9, v22
	v_sub_u32_e32 v24, v26, v24
	v_or_b32_e32 v23, 0.5, v23
	v_lshlrev_b32_e32 v25, 23, v25
	v_or_b32_e32 v22, v24, v22
	v_lshrrev_b32_e32 v24, 9, v27
	v_sub_u32_e32 v23, v23, v25
	v_or_b32_e32 v23, v24, v23
	v_mul_f32_e32 v24, 0x3fc90fda, v23
	v_fma_f32 v25, v23, s22, -v24
	v_fmac_f32_e32 v25, 0x33a22168, v23
	v_fmac_f32_e32 v25, 0x3fc90fda, v22
	v_lshrrev_b32_e32 v6, 30, v6
	v_add_f32_e32 v22, v24, v25
	v_add_u32_e32 v6, v31, v6
.LBB220_55:                             ;   in Loop: Header=BB220_41 Depth=1
	s_andn2_saveexec_b64 s[0:1], s[10:11]
	s_cbranch_execz .LBB220_40
; %bb.56:                               ;   in Loop: Header=BB220_41 Depth=1
	v_mul_f32_e64 v6, |v5|, s23
	v_rndne_f32_e32 v23, v6
	v_cvt_i32_f32_e32 v6, v23
	v_fma_f32 v22, v23, s24, |v5|
	v_fmac_f32_e32 v22, 0xb3a22168, v23
	v_fmac_f32_e32 v22, 0xa7c234c4, v23
	s_branch .LBB220_40
.LBB220_57:
	s_endpgm
	.section	.rodata,"a",@progbits
	.p2align	6, 0x0
	.amdhsa_kernel _ZN2at6native12_GLOBAL__N_125multi_tensor_apply_kernelINS1_18TensorListMetadataILi1EEENS1_14UnaryOpFunctorIfLi1ELi1ELi0EEEJNS0_3CosIfEEEEEvT_T0_DpT1_
		.amdhsa_group_segment_fixed_size 0
		.amdhsa_private_segment_fixed_size 0
		.amdhsa_kernarg_size 3632
		.amdhsa_user_sgpr_count 6
		.amdhsa_user_sgpr_private_segment_buffer 1
		.amdhsa_user_sgpr_dispatch_ptr 0
		.amdhsa_user_sgpr_queue_ptr 0
		.amdhsa_user_sgpr_kernarg_segment_ptr 1
		.amdhsa_user_sgpr_dispatch_id 0
		.amdhsa_user_sgpr_flat_scratch_init 0
		.amdhsa_user_sgpr_private_segment_size 0
		.amdhsa_uses_dynamic_stack 0
		.amdhsa_system_sgpr_private_segment_wavefront_offset 0
		.amdhsa_system_sgpr_workgroup_id_x 1
		.amdhsa_system_sgpr_workgroup_id_y 0
		.amdhsa_system_sgpr_workgroup_id_z 0
		.amdhsa_system_sgpr_workgroup_info 0
		.amdhsa_system_vgpr_workitem_id 0
		.amdhsa_next_free_vgpr 40
		.amdhsa_next_free_sgpr 45
		.amdhsa_reserve_vcc 1
		.amdhsa_reserve_flat_scratch 0
		.amdhsa_float_round_mode_32 0
		.amdhsa_float_round_mode_16_64 0
		.amdhsa_float_denorm_mode_32 3
		.amdhsa_float_denorm_mode_16_64 3
		.amdhsa_dx10_clamp 1
		.amdhsa_ieee_mode 1
		.amdhsa_fp16_overflow 0
		.amdhsa_exception_fp_ieee_invalid_op 0
		.amdhsa_exception_fp_denorm_src 0
		.amdhsa_exception_fp_ieee_div_zero 0
		.amdhsa_exception_fp_ieee_overflow 0
		.amdhsa_exception_fp_ieee_underflow 0
		.amdhsa_exception_fp_ieee_inexact 0
		.amdhsa_exception_int_div_zero 0
	.end_amdhsa_kernel
	.section	.text._ZN2at6native12_GLOBAL__N_125multi_tensor_apply_kernelINS1_18TensorListMetadataILi1EEENS1_14UnaryOpFunctorIfLi1ELi1ELi0EEEJNS0_3CosIfEEEEEvT_T0_DpT1_,"axG",@progbits,_ZN2at6native12_GLOBAL__N_125multi_tensor_apply_kernelINS1_18TensorListMetadataILi1EEENS1_14UnaryOpFunctorIfLi1ELi1ELi0EEEJNS0_3CosIfEEEEEvT_T0_DpT1_,comdat
.Lfunc_end220:
	.size	_ZN2at6native12_GLOBAL__N_125multi_tensor_apply_kernelINS1_18TensorListMetadataILi1EEENS1_14UnaryOpFunctorIfLi1ELi1ELi0EEEJNS0_3CosIfEEEEEvT_T0_DpT1_, .Lfunc_end220-_ZN2at6native12_GLOBAL__N_125multi_tensor_apply_kernelINS1_18TensorListMetadataILi1EEENS1_14UnaryOpFunctorIfLi1ELi1ELi0EEEJNS0_3CosIfEEEEEvT_T0_DpT1_
                                        ; -- End function
	.set _ZN2at6native12_GLOBAL__N_125multi_tensor_apply_kernelINS1_18TensorListMetadataILi1EEENS1_14UnaryOpFunctorIfLi1ELi1ELi0EEEJNS0_3CosIfEEEEEvT_T0_DpT1_.num_vgpr, 40
	.set _ZN2at6native12_GLOBAL__N_125multi_tensor_apply_kernelINS1_18TensorListMetadataILi1EEENS1_14UnaryOpFunctorIfLi1ELi1ELi0EEEJNS0_3CosIfEEEEEvT_T0_DpT1_.num_agpr, 0
	.set _ZN2at6native12_GLOBAL__N_125multi_tensor_apply_kernelINS1_18TensorListMetadataILi1EEENS1_14UnaryOpFunctorIfLi1ELi1ELi0EEEJNS0_3CosIfEEEEEvT_T0_DpT1_.numbered_sgpr, 45
	.set _ZN2at6native12_GLOBAL__N_125multi_tensor_apply_kernelINS1_18TensorListMetadataILi1EEENS1_14UnaryOpFunctorIfLi1ELi1ELi0EEEJNS0_3CosIfEEEEEvT_T0_DpT1_.num_named_barrier, 0
	.set _ZN2at6native12_GLOBAL__N_125multi_tensor_apply_kernelINS1_18TensorListMetadataILi1EEENS1_14UnaryOpFunctorIfLi1ELi1ELi0EEEJNS0_3CosIfEEEEEvT_T0_DpT1_.private_seg_size, 0
	.set _ZN2at6native12_GLOBAL__N_125multi_tensor_apply_kernelINS1_18TensorListMetadataILi1EEENS1_14UnaryOpFunctorIfLi1ELi1ELi0EEEJNS0_3CosIfEEEEEvT_T0_DpT1_.uses_vcc, 1
	.set _ZN2at6native12_GLOBAL__N_125multi_tensor_apply_kernelINS1_18TensorListMetadataILi1EEENS1_14UnaryOpFunctorIfLi1ELi1ELi0EEEJNS0_3CosIfEEEEEvT_T0_DpT1_.uses_flat_scratch, 0
	.set _ZN2at6native12_GLOBAL__N_125multi_tensor_apply_kernelINS1_18TensorListMetadataILi1EEENS1_14UnaryOpFunctorIfLi1ELi1ELi0EEEJNS0_3CosIfEEEEEvT_T0_DpT1_.has_dyn_sized_stack, 0
	.set _ZN2at6native12_GLOBAL__N_125multi_tensor_apply_kernelINS1_18TensorListMetadataILi1EEENS1_14UnaryOpFunctorIfLi1ELi1ELi0EEEJNS0_3CosIfEEEEEvT_T0_DpT1_.has_recursion, 0
	.set _ZN2at6native12_GLOBAL__N_125multi_tensor_apply_kernelINS1_18TensorListMetadataILi1EEENS1_14UnaryOpFunctorIfLi1ELi1ELi0EEEJNS0_3CosIfEEEEEvT_T0_DpT1_.has_indirect_call, 0
	.section	.AMDGPU.csdata,"",@progbits
; Kernel info:
; codeLenInByte = 7112
; TotalNumSgprs: 49
; NumVgprs: 40
; ScratchSize: 0
; MemoryBound: 0
; FloatMode: 240
; IeeeMode: 1
; LDSByteSize: 0 bytes/workgroup (compile time only)
; SGPRBlocks: 6
; VGPRBlocks: 9
; NumSGPRsForWavesPerEU: 49
; NumVGPRsForWavesPerEU: 40
; Occupancy: 6
; WaveLimiterHint : 0
; COMPUTE_PGM_RSRC2:SCRATCH_EN: 0
; COMPUTE_PGM_RSRC2:USER_SGPR: 6
; COMPUTE_PGM_RSRC2:TRAP_HANDLER: 0
; COMPUTE_PGM_RSRC2:TGID_X_EN: 1
; COMPUTE_PGM_RSRC2:TGID_Y_EN: 0
; COMPUTE_PGM_RSRC2:TGID_Z_EN: 0
; COMPUTE_PGM_RSRC2:TIDIG_COMP_CNT: 0
	.section	.text._ZN2at6native12_GLOBAL__N_125multi_tensor_apply_kernelINS1_18TensorListMetadataILi1EEENS1_14UnaryOpFunctorIN3c107complexIdEELi1ELi1ELi0EEEJNS0_3CosIS8_EEEEEvT_T0_DpT1_,"axG",@progbits,_ZN2at6native12_GLOBAL__N_125multi_tensor_apply_kernelINS1_18TensorListMetadataILi1EEENS1_14UnaryOpFunctorIN3c107complexIdEELi1ELi1ELi0EEEJNS0_3CosIS8_EEEEEvT_T0_DpT1_,comdat
	.globl	_ZN2at6native12_GLOBAL__N_125multi_tensor_apply_kernelINS1_18TensorListMetadataILi1EEENS1_14UnaryOpFunctorIN3c107complexIdEELi1ELi1ELi0EEEJNS0_3CosIS8_EEEEEvT_T0_DpT1_ ; -- Begin function _ZN2at6native12_GLOBAL__N_125multi_tensor_apply_kernelINS1_18TensorListMetadataILi1EEENS1_14UnaryOpFunctorIN3c107complexIdEELi1ELi1ELi0EEEJNS0_3CosIS8_EEEEEvT_T0_DpT1_
	.p2align	8
	.type	_ZN2at6native12_GLOBAL__N_125multi_tensor_apply_kernelINS1_18TensorListMetadataILi1EEENS1_14UnaryOpFunctorIN3c107complexIdEELi1ELi1ELi0EEEJNS0_3CosIS8_EEEEEvT_T0_DpT1_,@function
_ZN2at6native12_GLOBAL__N_125multi_tensor_apply_kernelINS1_18TensorListMetadataILi1EEENS1_14UnaryOpFunctorIN3c107complexIdEELi1ELi1ELi0EEEJNS0_3CosIS8_EEEEEvT_T0_DpT1_: ; @_ZN2at6native12_GLOBAL__N_125multi_tensor_apply_kernelINS1_18TensorListMetadataILi1EEENS1_14UnaryOpFunctorIN3c107complexIdEELi1ELi1ELi0EEEJNS0_3CosIS8_EEEEEvT_T0_DpT1_
; %bb.0:
	v_mov_b32_e32 v58, v0
	v_mov_b32_e32 v0, s6
	global_load_ubyte v0, v0, s[4:5] offset:1760
	s_add_u32 s0, s0, s7
	s_addc_u32 s1, s1, 0
	s_mov_b64 s[34:35], s[4:5]
	s_add_u32 s4, s34, s6
	s_mul_hi_u32 s5, s6, 3
	s_mul_i32 s6, s6, 3
	s_addc_u32 s7, s35, 0
	s_add_u32 s4, s4, s6
	s_addc_u32 s5, s7, s5
	s_load_dword s4, s[4:5], 0x820
	s_mov_b32 s9, 0
	s_mov_b32 s32, 0
	s_waitcnt vmcnt(0)
	v_readfirstlane_b32 s5, v0
	s_lshl_b32 s5, s5, 3
	s_load_dwordx2 s[50:51], s[34:35], s5 offset:0x0
	s_load_dwordx2 s[6:7], s[34:35], s5 offset:0x370
	s_waitcnt lgkmcnt(0)
	s_ashr_i32 s5, s4, 31
	s_lshl_b64 s[52:53], s[4:5], 20
	s_add_u32 s33, s50, s52
	s_addc_u32 s64, s51, s53
	s_lshl_b64 s[4:5], s[4:5], 16
	s_and_b32 s8, s33, 63
	s_sub_u32 s54, s6, s4
	s_subb_u32 s55, s7, s5
	s_and_b32 s4, s6, 3
	s_mov_b32 s5, s9
	s_or_b64 s[4:5], s[8:9], s[4:5]
	s_cmp_eq_u64 s[4:5], 0
	s_cbranch_scc1 .LBB221_21
; %bb.1:
	v_cmp_lt_i64_e64 s[4:5], s[54:55], 1
	s_and_b64 vcc, exec, s[4:5]
	s_cbranch_vccnz .LBB221_20
; %bb.2:
	v_mov_b32_e32 v0, 0x10000
	s_load_dword s6, s[34:35], 0xd3c
	v_mov_b32_e32 v1, 0
	v_cmp_lt_i64_e32 vcc, s[54:55], v[0:1]
	v_mov_b32_e32 v60, 0
	s_and_b64 s[4:5], vcc, exec
	v_cmp_lt_u64_e32 vcc, s[54:55], v[0:1]
	s_cselect_b32 s57, s55, 0
	s_cselect_b32 s56, s54, 0x10000
	s_waitcnt lgkmcnt(0)
	s_and_b32 s6, s6, 0xffff
	s_and_b64 s[4:5], vcc, exec
	s_mul_i32 s8, s6, 3
	v_add_co_u32_e32 v62, vcc, s6, v58
	v_lshlrev_b32_e32 v59, 4, v58
	v_addc_co_u32_e64 v63, s[4:5], 0, 0, vcc
	v_add_co_u32_e32 v64, vcc, s8, v58
	v_mad_u64_u32 v[60:61], s[4:5], s6, 48, v[59:60]
	v_addc_co_u32_e64 v65, s[4:5], 0, 0, vcc
	s_cselect_b32 s59, s55, 0
	s_cselect_b32 s58, s54, 0x10000
	s_lshl_b32 s4, s6, 5
	s_lshl_b32 s7, s6, 1
	v_add_co_u32_e32 v0, vcc, s4, v59
	v_addc_co_u32_e64 v67, s[4:5], 0, 0, vcc
	v_add_co_u32_e32 v69, vcc, s7, v58
	s_lshl_b32 s65, s6, 2
	s_lshl_b32 s66, s6, 6
	v_or_b32_e32 v60, 8, v60
	v_lshlrev_b32_e32 v66, 4, v62
	v_or_b32_e32 v68, 8, v0
	v_addc_co_u32_e64 v70, s[4:5], 0, 0, vcc
	s_mov_b64 s[60:61], 0
	s_branch .LBB221_4
.LBB221_3:                              ;   in Loop: Header=BB221_4 Depth=1
	s_or_b64 exec, exec, s[38:39]
	s_add_u32 s60, s60, s65
	v_mov_b32_e32 v0, s56
	s_addc_u32 s61, s61, 0
	v_mov_b32_e32 v1, s57
	v_cmp_lt_i64_e32 vcc, s[60:61], v[0:1]
	s_add_u32 s33, s33, s66
	s_addc_u32 s64, s64, 0
	s_cbranch_vccz .LBB221_20
.LBB221_4:                              ; =>This Inner Loop Header: Depth=1
	v_mov_b32_e32 v1, s61
	v_add_co_u32_e32 v0, vcc, s60, v58
	v_addc_co_u32_e32 v1, vcc, 0, v1, vcc
	v_cmp_gt_u64_e32 vcc, s[58:59], v[0:1]
	s_waitcnt vmcnt(0)
	v_mov_b32_e32 v46, 0
	v_mov_b32_e32 v4, 0
	;; [unrolled: 1-line block ×6, first 2 shown]
	s_and_saveexec_b64 s[6:7], vcc
	s_cbranch_execz .LBB221_6
; %bb.5:                                ;   in Loop: Header=BB221_4 Depth=1
	v_mov_b32_e32 v1, s64
	v_add_co_u32_e64 v0, s[4:5], s33, v59
	v_addc_co_u32_e64 v1, s[4:5], 0, v1, s[4:5]
	global_load_dwordx4 v[2:5], v[0:1], off
.LBB221_6:                              ;   in Loop: Header=BB221_4 Depth=1
	s_or_b64 exec, exec, s[6:7]
	v_mov_b32_e32 v1, s61
	v_add_co_u32_e64 v0, s[4:5], s60, v62
	v_addc_co_u32_e64 v1, s[4:5], v63, v1, s[4:5]
	v_cmp_gt_u64_e64 s[48:49], s[58:59], v[0:1]
	v_mov_b32_e32 v44, 0
	v_mov_b32_e32 v45, 0
	s_and_saveexec_b64 s[6:7], s[48:49]
	s_cbranch_execz .LBB221_8
; %bb.7:                                ;   in Loop: Header=BB221_4 Depth=1
	v_mov_b32_e32 v1, s64
	v_add_co_u32_e64 v0, s[4:5], s33, v66
	v_addc_co_u32_e64 v1, s[4:5], 0, v1, s[4:5]
	global_load_dwordx4 v[44:47], v[0:1], off
.LBB221_8:                              ;   in Loop: Header=BB221_4 Depth=1
	s_or_b64 exec, exec, s[6:7]
	v_mov_b32_e32 v1, s61
	v_add_co_u32_e64 v0, s[4:5], s60, v69
	v_addc_co_u32_e64 v1, s[4:5], v70, v1, s[4:5]
	v_cmp_gt_u64_e64 s[38:39], s[58:59], v[0:1]
	v_mov_b32_e32 v42, 0
	v_mov_b32_e32 v56, 0
	;; [unrolled: 1-line block ×6, first 2 shown]
	s_and_saveexec_b64 s[6:7], s[38:39]
	s_cbranch_execz .LBB221_10
; %bb.9:                                ;   in Loop: Header=BB221_4 Depth=1
	v_mov_b32_e32 v1, s64
	v_add_co_u32_e64 v0, s[4:5], s33, v68
	v_addc_co_u32_e64 v1, s[4:5], v1, v67, s[4:5]
	global_load_dwordx4 v[54:57], v[0:1], off offset:-8
.LBB221_10:                             ;   in Loop: Header=BB221_4 Depth=1
	s_or_b64 exec, exec, s[6:7]
	v_mov_b32_e32 v1, s61
	v_add_co_u32_e64 v0, s[4:5], s60, v64
	v_addc_co_u32_e64 v1, s[4:5], v65, v1, s[4:5]
	v_cmp_gt_u64_e64 s[36:37], s[58:59], v[0:1]
	v_mov_b32_e32 v40, 0
	v_mov_b32_e32 v41, 0
	s_and_saveexec_b64 s[6:7], s[36:37]
	s_cbranch_execnz .LBB221_15
; %bb.11:                               ;   in Loop: Header=BB221_4 Depth=1
	s_or_b64 exec, exec, s[6:7]
	s_and_saveexec_b64 s[62:63], vcc
	s_cbranch_execnz .LBB221_16
.LBB221_12:                             ;   in Loop: Header=BB221_4 Depth=1
	s_or_b64 exec, exec, s[62:63]
	s_and_saveexec_b64 s[62:63], s[48:49]
	s_cbranch_execnz .LBB221_17
.LBB221_13:                             ;   in Loop: Header=BB221_4 Depth=1
	s_or_b64 exec, exec, s[62:63]
	s_and_saveexec_b64 s[48:49], s[38:39]
	s_cbranch_execnz .LBB221_18
.LBB221_14:                             ;   in Loop: Header=BB221_4 Depth=1
	s_or_b64 exec, exec, s[48:49]
	s_and_saveexec_b64 s[38:39], s[36:37]
	s_cbranch_execz .LBB221_3
	s_branch .LBB221_19
.LBB221_15:                             ;   in Loop: Header=BB221_4 Depth=1
	v_mov_b32_e32 v1, s64
	v_add_co_u32_e64 v0, s[4:5], s33, v60
	v_addc_co_u32_e64 v1, s[4:5], v1, v61, s[4:5]
	global_load_dwordx4 v[40:43], v[0:1], off offset:-8
	s_or_b64 exec, exec, s[6:7]
	s_and_saveexec_b64 s[62:63], vcc
	s_cbranch_execz .LBB221_12
.LBB221_16:                             ;   in Loop: Header=BB221_4 Depth=1
	s_waitcnt vmcnt(0)
	v_xor_b32_e32 v1, 0x80000000, v5
	s_getpc_b64 s[4:5]
	s_add_u32 s4, s4, _ZN6thrust23THRUST_200600_302600_NS6detail7complex5ccoshERKNS0_7complexIdEE@rel32@lo+4
	s_addc_u32 s5, s5, _ZN6thrust23THRUST_200600_302600_NS6detail7complex5ccoshERKNS0_7complexIdEE@rel32@hi+12
	v_mov_b32_e32 v0, v4
	s_swappc_b64 s[30:31], s[4:5]
	v_mov_b32_e32 v5, s64
	v_add_co_u32_e32 v4, vcc, s33, v59
	v_addc_co_u32_e32 v5, vcc, 0, v5, vcc
	global_store_dwordx4 v[4:5], v[0:3], off
	s_or_b64 exec, exec, s[62:63]
	s_and_saveexec_b64 s[62:63], s[48:49]
	s_cbranch_execz .LBB221_13
.LBB221_17:                             ;   in Loop: Header=BB221_4 Depth=1
	s_waitcnt vmcnt(0)
	v_xor_b32_e32 v1, 0x80000000, v47
	s_getpc_b64 s[4:5]
	s_add_u32 s4, s4, _ZN6thrust23THRUST_200600_302600_NS6detail7complex5ccoshERKNS0_7complexIdEE@rel32@lo+4
	s_addc_u32 s5, s5, _ZN6thrust23THRUST_200600_302600_NS6detail7complex5ccoshERKNS0_7complexIdEE@rel32@hi+12
	v_mov_b32_e32 v0, v46
	v_mov_b32_e32 v2, v44
	;; [unrolled: 1-line block ×3, first 2 shown]
	s_swappc_b64 s[30:31], s[4:5]
	v_mov_b32_e32 v5, s64
	v_add_co_u32_e32 v4, vcc, s33, v66
	v_addc_co_u32_e32 v5, vcc, 0, v5, vcc
	global_store_dwordx4 v[4:5], v[0:3], off
	s_or_b64 exec, exec, s[62:63]
	s_and_saveexec_b64 s[48:49], s[38:39]
	s_cbranch_execz .LBB221_14
.LBB221_18:                             ;   in Loop: Header=BB221_4 Depth=1
	s_waitcnt vmcnt(0)
	v_xor_b32_e32 v1, 0x80000000, v57
	s_getpc_b64 s[4:5]
	s_add_u32 s4, s4, _ZN6thrust23THRUST_200600_302600_NS6detail7complex5ccoshERKNS0_7complexIdEE@rel32@lo+4
	s_addc_u32 s5, s5, _ZN6thrust23THRUST_200600_302600_NS6detail7complex5ccoshERKNS0_7complexIdEE@rel32@hi+12
	v_mov_b32_e32 v0, v56
	v_mov_b32_e32 v2, v54
	;; [unrolled: 1-line block ×3, first 2 shown]
	s_swappc_b64 s[30:31], s[4:5]
	v_mov_b32_e32 v5, s64
	v_add_co_u32_e32 v4, vcc, s33, v68
	v_addc_co_u32_e32 v5, vcc, v5, v67, vcc
	global_store_dwordx4 v[4:5], v[0:3], off offset:-8
	s_or_b64 exec, exec, s[48:49]
	s_and_saveexec_b64 s[38:39], s[36:37]
	s_cbranch_execz .LBB221_3
.LBB221_19:                             ;   in Loop: Header=BB221_4 Depth=1
	s_waitcnt vmcnt(0)
	v_xor_b32_e32 v1, 0x80000000, v43
	s_getpc_b64 s[4:5]
	s_add_u32 s4, s4, _ZN6thrust23THRUST_200600_302600_NS6detail7complex5ccoshERKNS0_7complexIdEE@rel32@lo+4
	s_addc_u32 s5, s5, _ZN6thrust23THRUST_200600_302600_NS6detail7complex5ccoshERKNS0_7complexIdEE@rel32@hi+12
	v_mov_b32_e32 v0, v42
	v_mov_b32_e32 v2, v40
	v_mov_b32_e32 v3, v41
	s_swappc_b64 s[30:31], s[4:5]
	v_mov_b32_e32 v5, s64
	v_add_co_u32_e32 v4, vcc, s33, v60
	v_addc_co_u32_e32 v5, vcc, v5, v61, vcc
	global_store_dwordx4 v[4:5], v[0:3], off offset:-8
	s_branch .LBB221_3
.LBB221_20:
	s_cbranch_execz .LBB221_22
	s_branch .LBB221_25
.LBB221_21:
.LBB221_22:
	v_mov_b32_e32 v0, 0x10000
	v_mov_b32_e32 v1, 0
	v_cmp_lt_i64_e32 vcc, s[54:55], v[0:1]
	v_mov_b32_e32 v1, 0
	s_and_b64 s[4:5], vcc, exec
	s_cselect_b32 s37, s55, 0
	s_cselect_b32 s36, s54, 0x10000
	v_lshlrev_b32_e32 v0, 2, v58
	v_cmp_gt_i64_e32 vcc, s[36:37], v[0:1]
	s_and_saveexec_b64 s[4:5], vcc
	s_cbranch_execz .LBB221_25
; %bb.23:
	s_load_dword s4, s[34:35], 0xd3c
	v_lshlrev_b32_e32 v0, 6, v58
	v_mov_b32_e32 v59, v1
	s_mov_b64 s[34:35], 0
	s_waitcnt lgkmcnt(0)
	s_and_b32 s33, s4, 0xffff
	s_add_u32 s4, s50, s52
	s_addc_u32 s5, s51, s53
	v_mov_b32_e32 v1, s5
	v_add_co_u32_e32 v64, vcc, s4, v0
	v_addc_co_u32_e32 v65, vcc, 0, v1, vcc
	s_lshl_b32 s38, s33, 6
.LBB221_24:                             ; =>This Inner Loop Header: Depth=1
	global_load_dwordx4 v[2:5], v[64:65], off
	global_load_dwordx4 v[40:43], v[64:65], off offset:16
	global_load_dwordx4 v[44:47], v[64:65], off offset:48
	;; [unrolled: 1-line block ×3, first 2 shown]
	s_getpc_b64 s[48:49]
	s_add_u32 s48, s48, _ZN6thrust23THRUST_200600_302600_NS6detail7complex5ccoshERKNS0_7complexIdEE@rel32@lo+4
	s_addc_u32 s49, s49, _ZN6thrust23THRUST_200600_302600_NS6detail7complex5ccoshERKNS0_7complexIdEE@rel32@hi+12
	s_waitcnt vmcnt(3)
	v_xor_b32_e32 v1, 0x80000000, v5
	v_mov_b32_e32 v0, v4
	s_swappc_b64 s[30:31], s[48:49]
	v_mov_b32_e32 v60, v0
	v_mov_b32_e32 v61, v1
	v_mov_b32_e32 v62, v2
	v_mov_b32_e32 v63, v3
	v_xor_b32_e32 v1, 0x80000000, v43
	v_mov_b32_e32 v0, v42
	v_mov_b32_e32 v2, v40
	v_mov_b32_e32 v3, v41
	s_swappc_b64 s[30:31], s[48:49]
	v_mov_b32_e32 v40, v0
	v_mov_b32_e32 v41, v1
	v_mov_b32_e32 v42, v2
	v_mov_b32_e32 v43, v3
	v_xor_b32_e32 v1, 0x80000000, v57
	v_mov_b32_e32 v0, v56
	v_mov_b32_e32 v2, v54
	;; [unrolled: 9-line block ×3, first 2 shown]
	v_mov_b32_e32 v3, v45
	s_swappc_b64 s[30:31], s[48:49]
	v_add_co_u32_e32 v58, vcc, s33, v58
	v_addc_co_u32_e32 v59, vcc, 0, v59, vcc
	global_store_dwordx4 v[64:65], v[60:63], off
	global_store_dwordx4 v[64:65], v[40:43], off offset:16
	global_store_dwordx4 v[64:65], v[54:57], off offset:32
	;; [unrolled: 1-line block ×3, first 2 shown]
	v_add_co_u32_e32 v64, vcc, s38, v64
	v_lshlrev_b64 v[0:1], 2, v[58:59]
	v_addc_co_u32_e32 v65, vcc, 0, v65, vcc
	v_cmp_le_i64_e64 s[4:5], s[36:37], v[0:1]
	s_or_b64 s[34:35], s[4:5], s[34:35]
	s_andn2_b64 exec, exec, s[34:35]
	s_cbranch_execnz .LBB221_24
.LBB221_25:
	s_endpgm
	.section	.rodata,"a",@progbits
	.p2align	6, 0x0
	.amdhsa_kernel _ZN2at6native12_GLOBAL__N_125multi_tensor_apply_kernelINS1_18TensorListMetadataILi1EEENS1_14UnaryOpFunctorIN3c107complexIdEELi1ELi1ELi0EEEJNS0_3CosIS8_EEEEEvT_T0_DpT1_
		.amdhsa_group_segment_fixed_size 0
		.amdhsa_private_segment_fixed_size 0
		.amdhsa_kernarg_size 3632
		.amdhsa_user_sgpr_count 6
		.amdhsa_user_sgpr_private_segment_buffer 1
		.amdhsa_user_sgpr_dispatch_ptr 0
		.amdhsa_user_sgpr_queue_ptr 0
		.amdhsa_user_sgpr_kernarg_segment_ptr 1
		.amdhsa_user_sgpr_dispatch_id 0
		.amdhsa_user_sgpr_flat_scratch_init 0
		.amdhsa_user_sgpr_private_segment_size 0
		.amdhsa_uses_dynamic_stack 0
		.amdhsa_system_sgpr_private_segment_wavefront_offset 0
		.amdhsa_system_sgpr_workgroup_id_x 1
		.amdhsa_system_sgpr_workgroup_id_y 0
		.amdhsa_system_sgpr_workgroup_id_z 0
		.amdhsa_system_sgpr_workgroup_info 0
		.amdhsa_system_vgpr_workitem_id 0
		.amdhsa_next_free_vgpr 71
		.amdhsa_next_free_sgpr 67
		.amdhsa_reserve_vcc 1
		.amdhsa_reserve_flat_scratch 0
		.amdhsa_float_round_mode_32 0
		.amdhsa_float_round_mode_16_64 0
		.amdhsa_float_denorm_mode_32 3
		.amdhsa_float_denorm_mode_16_64 3
		.amdhsa_dx10_clamp 1
		.amdhsa_ieee_mode 1
		.amdhsa_fp16_overflow 0
		.amdhsa_exception_fp_ieee_invalid_op 0
		.amdhsa_exception_fp_denorm_src 0
		.amdhsa_exception_fp_ieee_div_zero 0
		.amdhsa_exception_fp_ieee_overflow 0
		.amdhsa_exception_fp_ieee_underflow 0
		.amdhsa_exception_fp_ieee_inexact 0
		.amdhsa_exception_int_div_zero 0
	.end_amdhsa_kernel
	.section	.text._ZN2at6native12_GLOBAL__N_125multi_tensor_apply_kernelINS1_18TensorListMetadataILi1EEENS1_14UnaryOpFunctorIN3c107complexIdEELi1ELi1ELi0EEEJNS0_3CosIS8_EEEEEvT_T0_DpT1_,"axG",@progbits,_ZN2at6native12_GLOBAL__N_125multi_tensor_apply_kernelINS1_18TensorListMetadataILi1EEENS1_14UnaryOpFunctorIN3c107complexIdEELi1ELi1ELi0EEEJNS0_3CosIS8_EEEEEvT_T0_DpT1_,comdat
.Lfunc_end221:
	.size	_ZN2at6native12_GLOBAL__N_125multi_tensor_apply_kernelINS1_18TensorListMetadataILi1EEENS1_14UnaryOpFunctorIN3c107complexIdEELi1ELi1ELi0EEEJNS0_3CosIS8_EEEEEvT_T0_DpT1_, .Lfunc_end221-_ZN2at6native12_GLOBAL__N_125multi_tensor_apply_kernelINS1_18TensorListMetadataILi1EEENS1_14UnaryOpFunctorIN3c107complexIdEELi1ELi1ELi0EEEJNS0_3CosIS8_EEEEEvT_T0_DpT1_
                                        ; -- End function
	.set _ZN2at6native12_GLOBAL__N_125multi_tensor_apply_kernelINS1_18TensorListMetadataILi1EEENS1_14UnaryOpFunctorIN3c107complexIdEELi1ELi1ELi0EEEJNS0_3CosIS8_EEEEEvT_T0_DpT1_.num_vgpr, max(71, .L_ZN6thrust23THRUST_200600_302600_NS6detail7complex5ccoshERKNS0_7complexIdEE.num_vgpr)
	.set _ZN2at6native12_GLOBAL__N_125multi_tensor_apply_kernelINS1_18TensorListMetadataILi1EEENS1_14UnaryOpFunctorIN3c107complexIdEELi1ELi1ELi0EEEJNS0_3CosIS8_EEEEEvT_T0_DpT1_.num_agpr, max(0, .L_ZN6thrust23THRUST_200600_302600_NS6detail7complex5ccoshERKNS0_7complexIdEE.num_agpr)
	.set _ZN2at6native12_GLOBAL__N_125multi_tensor_apply_kernelINS1_18TensorListMetadataILi1EEENS1_14UnaryOpFunctorIN3c107complexIdEELi1ELi1ELi0EEEJNS0_3CosIS8_EEEEEvT_T0_DpT1_.numbered_sgpr, max(67, .L_ZN6thrust23THRUST_200600_302600_NS6detail7complex5ccoshERKNS0_7complexIdEE.numbered_sgpr)
	.set _ZN2at6native12_GLOBAL__N_125multi_tensor_apply_kernelINS1_18TensorListMetadataILi1EEENS1_14UnaryOpFunctorIN3c107complexIdEELi1ELi1ELi0EEEJNS0_3CosIS8_EEEEEvT_T0_DpT1_.num_named_barrier, max(0, .L_ZN6thrust23THRUST_200600_302600_NS6detail7complex5ccoshERKNS0_7complexIdEE.num_named_barrier)
	.set _ZN2at6native12_GLOBAL__N_125multi_tensor_apply_kernelINS1_18TensorListMetadataILi1EEENS1_14UnaryOpFunctorIN3c107complexIdEELi1ELi1ELi0EEEJNS0_3CosIS8_EEEEEvT_T0_DpT1_.private_seg_size, 0+max(.L_ZN6thrust23THRUST_200600_302600_NS6detail7complex5ccoshERKNS0_7complexIdEE.private_seg_size)
	.set _ZN2at6native12_GLOBAL__N_125multi_tensor_apply_kernelINS1_18TensorListMetadataILi1EEENS1_14UnaryOpFunctorIN3c107complexIdEELi1ELi1ELi0EEEJNS0_3CosIS8_EEEEEvT_T0_DpT1_.uses_vcc, or(1, .L_ZN6thrust23THRUST_200600_302600_NS6detail7complex5ccoshERKNS0_7complexIdEE.uses_vcc)
	.set _ZN2at6native12_GLOBAL__N_125multi_tensor_apply_kernelINS1_18TensorListMetadataILi1EEENS1_14UnaryOpFunctorIN3c107complexIdEELi1ELi1ELi0EEEJNS0_3CosIS8_EEEEEvT_T0_DpT1_.uses_flat_scratch, or(0, .L_ZN6thrust23THRUST_200600_302600_NS6detail7complex5ccoshERKNS0_7complexIdEE.uses_flat_scratch)
	.set _ZN2at6native12_GLOBAL__N_125multi_tensor_apply_kernelINS1_18TensorListMetadataILi1EEENS1_14UnaryOpFunctorIN3c107complexIdEELi1ELi1ELi0EEEJNS0_3CosIS8_EEEEEvT_T0_DpT1_.has_dyn_sized_stack, or(0, .L_ZN6thrust23THRUST_200600_302600_NS6detail7complex5ccoshERKNS0_7complexIdEE.has_dyn_sized_stack)
	.set _ZN2at6native12_GLOBAL__N_125multi_tensor_apply_kernelINS1_18TensorListMetadataILi1EEENS1_14UnaryOpFunctorIN3c107complexIdEELi1ELi1ELi0EEEJNS0_3CosIS8_EEEEEvT_T0_DpT1_.has_recursion, or(0, .L_ZN6thrust23THRUST_200600_302600_NS6detail7complex5ccoshERKNS0_7complexIdEE.has_recursion)
	.set _ZN2at6native12_GLOBAL__N_125multi_tensor_apply_kernelINS1_18TensorListMetadataILi1EEENS1_14UnaryOpFunctorIN3c107complexIdEELi1ELi1ELi0EEEJNS0_3CosIS8_EEEEEvT_T0_DpT1_.has_indirect_call, or(0, .L_ZN6thrust23THRUST_200600_302600_NS6detail7complex5ccoshERKNS0_7complexIdEE.has_indirect_call)
	.section	.AMDGPU.csdata,"",@progbits
; Kernel info:
; codeLenInByte = 1460
; TotalNumSgprs: 71
; NumVgprs: 71
; ScratchSize: 0
; MemoryBound: 1
; FloatMode: 240
; IeeeMode: 1
; LDSByteSize: 0 bytes/workgroup (compile time only)
; SGPRBlocks: 8
; VGPRBlocks: 17
; NumSGPRsForWavesPerEU: 71
; NumVGPRsForWavesPerEU: 71
; Occupancy: 3
; WaveLimiterHint : 0
; COMPUTE_PGM_RSRC2:SCRATCH_EN: 0
; COMPUTE_PGM_RSRC2:USER_SGPR: 6
; COMPUTE_PGM_RSRC2:TRAP_HANDLER: 0
; COMPUTE_PGM_RSRC2:TGID_X_EN: 1
; COMPUTE_PGM_RSRC2:TGID_Y_EN: 0
; COMPUTE_PGM_RSRC2:TGID_Z_EN: 0
; COMPUTE_PGM_RSRC2:TIDIG_COMP_CNT: 0
	.section	.text._ZN2at6native12_GLOBAL__N_125multi_tensor_apply_kernelINS1_18TensorListMetadataILi1EEENS1_14UnaryOpFunctorIN3c107complexIfEELi1ELi1ELi0EEEJNS0_3CosIS8_EEEEEvT_T0_DpT1_,"axG",@progbits,_ZN2at6native12_GLOBAL__N_125multi_tensor_apply_kernelINS1_18TensorListMetadataILi1EEENS1_14UnaryOpFunctorIN3c107complexIfEELi1ELi1ELi0EEEJNS0_3CosIS8_EEEEEvT_T0_DpT1_,comdat
	.globl	_ZN2at6native12_GLOBAL__N_125multi_tensor_apply_kernelINS1_18TensorListMetadataILi1EEENS1_14UnaryOpFunctorIN3c107complexIfEELi1ELi1ELi0EEEJNS0_3CosIS8_EEEEEvT_T0_DpT1_ ; -- Begin function _ZN2at6native12_GLOBAL__N_125multi_tensor_apply_kernelINS1_18TensorListMetadataILi1EEENS1_14UnaryOpFunctorIN3c107complexIfEELi1ELi1ELi0EEEJNS0_3CosIS8_EEEEEvT_T0_DpT1_
	.p2align	8
	.type	_ZN2at6native12_GLOBAL__N_125multi_tensor_apply_kernelINS1_18TensorListMetadataILi1EEENS1_14UnaryOpFunctorIN3c107complexIfEELi1ELi1ELi0EEEJNS0_3CosIS8_EEEEEvT_T0_DpT1_,@function
_ZN2at6native12_GLOBAL__N_125multi_tensor_apply_kernelINS1_18TensorListMetadataILi1EEENS1_14UnaryOpFunctorIN3c107complexIfEELi1ELi1ELi0EEEJNS0_3CosIS8_EEEEEvT_T0_DpT1_: ; @_ZN2at6native12_GLOBAL__N_125multi_tensor_apply_kernelINS1_18TensorListMetadataILi1EEENS1_14UnaryOpFunctorIN3c107complexIfEELi1ELi1ELi0EEEJNS0_3CosIS8_EEEEEvT_T0_DpT1_
; %bb.0:
	v_mov_b32_e32 v20, v0
	v_mov_b32_e32 v0, s6
	global_load_ubyte v0, v0, s[4:5] offset:1760
	s_add_u32 s0, s0, s7
	s_addc_u32 s1, s1, 0
	s_mov_b64 s[26:27], s[4:5]
	s_add_u32 s4, s26, s6
	s_mul_hi_u32 s5, s6, 3
	s_mul_i32 s6, s6, 3
	s_addc_u32 s7, s27, 0
	s_add_u32 s4, s4, s6
	s_addc_u32 s5, s7, s5
	s_load_dword s4, s[4:5], 0x820
	s_mov_b32 s9, 0
	s_mov_b32 s32, 0
	s_waitcnt vmcnt(0)
	v_readfirstlane_b32 s5, v0
	s_lshl_b32 s5, s5, 3
	s_load_dwordx2 s[38:39], s[26:27], s5 offset:0x0
	s_load_dwordx2 s[6:7], s[26:27], s5 offset:0x370
	s_waitcnt lgkmcnt(0)
	s_ashr_i32 s5, s4, 31
	s_lshl_b64 s[40:41], s[4:5], 19
	s_add_u32 s33, s38, s40
	s_addc_u32 s52, s39, s41
	s_lshl_b64 s[4:5], s[4:5], 16
	s_and_b32 s8, s33, 31
	s_sub_u32 s42, s6, s4
	s_subb_u32 s43, s7, s5
	s_and_b32 s4, s6, 3
	s_mov_b32 s5, s9
	s_or_b64 s[4:5], s[8:9], s[4:5]
	s_cmp_eq_u64 s[4:5], 0
	s_cbranch_scc1 .LBB222_21
; %bb.1:
	v_cmp_lt_i64_e64 s[4:5], s[42:43], 1
	s_and_b64 vcc, exec, s[4:5]
	s_cbranch_vccnz .LBB222_20
; %bb.2:
	v_mov_b32_e32 v0, 0x10000
	s_load_dword s6, s[26:27], 0xd3c
	v_mov_b32_e32 v1, 0
	v_cmp_lt_i64_e32 vcc, s[42:43], v[0:1]
	v_mov_b32_e32 v28, 0
	s_and_b64 s[4:5], vcc, exec
	v_cmp_lt_u64_e32 vcc, s[42:43], v[0:1]
	s_cselect_b32 s45, s43, 0
	s_cselect_b32 s44, s42, 0x10000
	s_waitcnt lgkmcnt(0)
	s_and_b32 s6, s6, 0xffff
	s_and_b64 s[4:5], vcc, exec
	s_mul_i32 s8, s6, 3
	v_add_co_u32_e32 v30, vcc, s6, v20
	v_lshlrev_b32_e32 v27, 3, v20
	v_addc_co_u32_e64 v31, s[4:5], 0, 0, vcc
	v_add_co_u32_e32 v32, vcc, s8, v20
	v_mad_u64_u32 v[28:29], s[4:5], s6, 24, v[27:28]
	v_addc_co_u32_e64 v33, s[4:5], 0, 0, vcc
	s_cselect_b32 s47, s43, 0
	s_cselect_b32 s46, s42, 0x10000
	s_lshl_b32 s4, s6, 4
	s_lshl_b32 s7, s6, 1
	v_add_co_u32_e32 v0, vcc, s4, v27
	v_addc_co_u32_e64 v35, s[4:5], 0, 0, vcc
	v_add_co_u32_e32 v37, vcc, s7, v20
	s_lshl_b32 s53, s6, 2
	s_lshl_b32 s54, s6, 5
	v_or_b32_e32 v28, 4, v28
	v_lshlrev_b32_e32 v34, 3, v30
	v_or_b32_e32 v36, 4, v0
	v_addc_co_u32_e64 v38, s[4:5], 0, 0, vcc
	s_mov_b64 s[48:49], 0
	s_branch .LBB222_4
.LBB222_3:                              ;   in Loop: Header=BB222_4 Depth=1
	s_or_b64 exec, exec, s[28:29]
	s_add_u32 s48, s48, s53
	s_waitcnt vmcnt(0)
	v_mov_b32_e32 v0, s44
	s_addc_u32 s49, s49, 0
	v_mov_b32_e32 v1, s45
	v_cmp_lt_i64_e32 vcc, s[48:49], v[0:1]
	s_add_u32 s33, s33, s54
	s_addc_u32 s52, s52, 0
	s_cbranch_vccz .LBB222_20
.LBB222_4:                              ; =>This Inner Loop Header: Depth=1
	v_mov_b32_e32 v1, s49
	v_add_co_u32_e32 v0, vcc, s48, v20
	v_addc_co_u32_e32 v1, vcc, 0, v1, vcc
	v_cmp_gt_u64_e32 vcc, s[46:47], v[0:1]
	v_mov_b32_e32 v2, 0
	v_mov_b32_e32 v1, 0
	s_and_saveexec_b64 s[6:7], vcc
	s_cbranch_execz .LBB222_6
; %bb.5:                                ;   in Loop: Header=BB222_4 Depth=1
	v_mov_b32_e32 v1, s52
	v_add_co_u32_e64 v0, s[4:5], s33, v27
	v_addc_co_u32_e64 v1, s[4:5], 0, v1, s[4:5]
	global_load_dwordx2 v[1:2], v[0:1], off
.LBB222_6:                              ;   in Loop: Header=BB222_4 Depth=1
	s_or_b64 exec, exec, s[6:7]
	v_mov_b32_e32 v0, s49
	v_add_co_u32_e64 v3, s[4:5], s48, v30
	v_addc_co_u32_e64 v4, s[4:5], v31, v0, s[4:5]
	v_cmp_gt_u64_e64 s[28:29], s[46:47], v[3:4]
	v_mov_b32_e32 v22, 0
	v_mov_b32_e32 v24, 0
	;; [unrolled: 1-line block ×3, first 2 shown]
	s_and_saveexec_b64 s[6:7], s[28:29]
	s_cbranch_execz .LBB222_8
; %bb.7:                                ;   in Loop: Header=BB222_4 Depth=1
	v_mov_b32_e32 v0, s52
	v_add_co_u32_e64 v3, s[4:5], s33, v34
	v_addc_co_u32_e64 v4, s[4:5], 0, v0, s[4:5]
	global_load_dwordx2 v[23:24], v[3:4], off
.LBB222_8:                              ;   in Loop: Header=BB222_4 Depth=1
	s_or_b64 exec, exec, s[6:7]
	v_mov_b32_e32 v0, s49
	v_add_co_u32_e64 v3, s[4:5], s48, v37
	v_addc_co_u32_e64 v4, s[4:5], v38, v0, s[4:5]
	v_cmp_gt_u64_e64 s[34:35], s[46:47], v[3:4]
	v_mov_b32_e32 v21, 0
	s_and_saveexec_b64 s[6:7], s[34:35]
	s_cbranch_execz .LBB222_10
; %bb.9:                                ;   in Loop: Header=BB222_4 Depth=1
	v_mov_b32_e32 v0, s52
	v_add_co_u32_e64 v3, s[4:5], s33, v36
	v_addc_co_u32_e64 v4, s[4:5], v0, v35, s[4:5]
	global_load_dwordx2 v[21:22], v[3:4], off offset:-4
.LBB222_10:                             ;   in Loop: Header=BB222_4 Depth=1
	s_or_b64 exec, exec, s[6:7]
	v_mov_b32_e32 v0, s49
	v_add_co_u32_e64 v3, s[4:5], s48, v32
	v_addc_co_u32_e64 v4, s[4:5], v33, v0, s[4:5]
	v_cmp_gt_u64_e64 s[36:37], s[46:47], v[3:4]
	v_mov_b32_e32 v26, 0
	v_mov_b32_e32 v25, 0
	s_and_saveexec_b64 s[6:7], s[36:37]
	s_cbranch_execnz .LBB222_15
; %bb.11:                               ;   in Loop: Header=BB222_4 Depth=1
	s_or_b64 exec, exec, s[6:7]
	s_and_saveexec_b64 s[50:51], vcc
	s_cbranch_execnz .LBB222_16
.LBB222_12:                             ;   in Loop: Header=BB222_4 Depth=1
	s_or_b64 exec, exec, s[50:51]
	s_and_saveexec_b64 s[50:51], s[28:29]
	s_cbranch_execnz .LBB222_17
.LBB222_13:                             ;   in Loop: Header=BB222_4 Depth=1
	s_or_b64 exec, exec, s[50:51]
	s_and_saveexec_b64 s[28:29], s[34:35]
	s_cbranch_execnz .LBB222_18
.LBB222_14:                             ;   in Loop: Header=BB222_4 Depth=1
	s_or_b64 exec, exec, s[28:29]
	s_and_saveexec_b64 s[28:29], s[36:37]
	s_cbranch_execz .LBB222_3
	s_branch .LBB222_19
.LBB222_15:                             ;   in Loop: Header=BB222_4 Depth=1
	v_mov_b32_e32 v0, s52
	v_add_co_u32_e64 v3, s[4:5], s33, v28
	v_addc_co_u32_e64 v4, s[4:5], v0, v29, s[4:5]
	global_load_dwordx2 v[25:26], v[3:4], off offset:-4
	s_or_b64 exec, exec, s[6:7]
	s_and_saveexec_b64 s[50:51], vcc
	s_cbranch_execz .LBB222_12
.LBB222_16:                             ;   in Loop: Header=BB222_4 Depth=1
	s_waitcnt vmcnt(0)
	v_xor_b32_e32 v0, 0x80000000, v2
	s_getpc_b64 s[4:5]
	s_add_u32 s4, s4, _ZN6thrust23THRUST_200600_302600_NS6detail7complex6ccoshfERKNS0_7complexIfEE@rel32@lo+4
	s_addc_u32 s5, s5, _ZN6thrust23THRUST_200600_302600_NS6detail7complex6ccoshfERKNS0_7complexIfEE@rel32@hi+12
	s_swappc_b64 s[30:31], s[4:5]
	v_mov_b32_e32 v3, s52
	v_add_co_u32_e32 v2, vcc, s33, v27
	v_addc_co_u32_e32 v3, vcc, 0, v3, vcc
	global_store_dwordx2 v[2:3], v[0:1], off
	s_or_b64 exec, exec, s[50:51]
	s_and_saveexec_b64 s[50:51], s[28:29]
	s_cbranch_execz .LBB222_13
.LBB222_17:                             ;   in Loop: Header=BB222_4 Depth=1
	s_waitcnt vmcnt(0)
	v_xor_b32_e32 v0, 0x80000000, v24
	s_getpc_b64 s[4:5]
	s_add_u32 s4, s4, _ZN6thrust23THRUST_200600_302600_NS6detail7complex6ccoshfERKNS0_7complexIfEE@rel32@lo+4
	s_addc_u32 s5, s5, _ZN6thrust23THRUST_200600_302600_NS6detail7complex6ccoshfERKNS0_7complexIfEE@rel32@hi+12
	v_mov_b32_e32 v1, v23
	s_swappc_b64 s[30:31], s[4:5]
	v_mov_b32_e32 v3, s52
	v_add_co_u32_e32 v2, vcc, s33, v34
	v_addc_co_u32_e32 v3, vcc, 0, v3, vcc
	global_store_dwordx2 v[2:3], v[0:1], off
	s_or_b64 exec, exec, s[50:51]
	s_and_saveexec_b64 s[28:29], s[34:35]
	s_cbranch_execz .LBB222_14
.LBB222_18:                             ;   in Loop: Header=BB222_4 Depth=1
	s_waitcnt vmcnt(0)
	v_xor_b32_e32 v0, 0x80000000, v22
	s_getpc_b64 s[4:5]
	s_add_u32 s4, s4, _ZN6thrust23THRUST_200600_302600_NS6detail7complex6ccoshfERKNS0_7complexIfEE@rel32@lo+4
	s_addc_u32 s5, s5, _ZN6thrust23THRUST_200600_302600_NS6detail7complex6ccoshfERKNS0_7complexIfEE@rel32@hi+12
	v_mov_b32_e32 v1, v21
	s_swappc_b64 s[30:31], s[4:5]
	v_mov_b32_e32 v3, s52
	v_add_co_u32_e32 v2, vcc, s33, v36
	v_addc_co_u32_e32 v3, vcc, v3, v35, vcc
	global_store_dwordx2 v[2:3], v[0:1], off offset:-4
	s_or_b64 exec, exec, s[28:29]
	s_and_saveexec_b64 s[28:29], s[36:37]
	s_cbranch_execz .LBB222_3
.LBB222_19:                             ;   in Loop: Header=BB222_4 Depth=1
	s_waitcnt vmcnt(0)
	v_xor_b32_e32 v0, 0x80000000, v26
	s_getpc_b64 s[4:5]
	s_add_u32 s4, s4, _ZN6thrust23THRUST_200600_302600_NS6detail7complex6ccoshfERKNS0_7complexIfEE@rel32@lo+4
	s_addc_u32 s5, s5, _ZN6thrust23THRUST_200600_302600_NS6detail7complex6ccoshfERKNS0_7complexIfEE@rel32@hi+12
	v_mov_b32_e32 v1, v25
	s_swappc_b64 s[30:31], s[4:5]
	v_mov_b32_e32 v3, s52
	v_add_co_u32_e32 v2, vcc, s33, v28
	v_addc_co_u32_e32 v3, vcc, v3, v29, vcc
	global_store_dwordx2 v[2:3], v[0:1], off offset:-4
	s_branch .LBB222_3
.LBB222_20:
	s_cbranch_execz .LBB222_22
	s_branch .LBB222_25
.LBB222_21:
.LBB222_22:
	v_mov_b32_e32 v0, 0x10000
	v_mov_b32_e32 v1, 0
	v_cmp_lt_i64_e32 vcc, s[42:43], v[0:1]
	v_mov_b32_e32 v1, 0
	s_and_b64 s[4:5], vcc, exec
	s_cselect_b32 s29, s43, 0
	s_cselect_b32 s28, s42, 0x10000
	v_lshlrev_b32_e32 v0, 2, v20
	v_cmp_gt_i64_e32 vcc, s[28:29], v[0:1]
	s_and_saveexec_b64 s[4:5], vcc
	s_cbranch_execz .LBB222_25
; %bb.23:
	s_load_dword s4, s[26:27], 0xd3c
	v_lshlrev_b32_e32 v0, 5, v20
	v_mov_b32_e32 v21, v1
	s_mov_b64 s[26:27], 0
	s_waitcnt lgkmcnt(0)
	s_and_b32 s33, s4, 0xffff
	s_add_u32 s4, s38, s40
	s_addc_u32 s5, s39, s41
	v_mov_b32_e32 v1, s5
	v_add_co_u32_e32 v30, vcc, s4, v0
	v_addc_co_u32_e32 v31, vcc, 0, v1, vcc
	s_lshl_b32 s34, s33, 5
.LBB222_24:                             ; =>This Inner Loop Header: Depth=1
	global_load_dwordx4 v[22:25], v[30:31], off
	global_load_dwordx4 v[26:29], v[30:31], off offset:16
	s_getpc_b64 s[36:37]
	s_add_u32 s36, s36, _ZN6thrust23THRUST_200600_302600_NS6detail7complex6ccoshfERKNS0_7complexIfEE@rel32@lo+4
	s_addc_u32 s37, s37, _ZN6thrust23THRUST_200600_302600_NS6detail7complex6ccoshfERKNS0_7complexIfEE@rel32@hi+12
	s_waitcnt vmcnt(1)
	v_xor_b32_e32 v0, 0x80000000, v23
	v_mov_b32_e32 v1, v22
	s_swappc_b64 s[30:31], s[36:37]
	v_mov_b32_e32 v22, v0
	v_mov_b32_e32 v23, v1
	v_xor_b32_e32 v0, 0x80000000, v25
	v_mov_b32_e32 v1, v24
	s_swappc_b64 s[30:31], s[36:37]
	v_mov_b32_e32 v24, v0
	v_mov_b32_e32 v25, v1
	;; [unrolled: 5-line block ×3, first 2 shown]
	v_xor_b32_e32 v0, 0x80000000, v29
	v_mov_b32_e32 v1, v28
	s_swappc_b64 s[30:31], s[36:37]
	v_add_co_u32_e32 v20, vcc, s33, v20
	v_addc_co_u32_e32 v21, vcc, 0, v21, vcc
	v_mov_b32_e32 v28, v0
	v_mov_b32_e32 v29, v1
	v_lshlrev_b64 v[0:1], 2, v[20:21]
	global_store_dwordx4 v[30:31], v[22:25], off
	v_cmp_le_i64_e64 s[4:5], s[28:29], v[0:1]
	global_store_dwordx4 v[30:31], v[26:29], off offset:16
	v_add_co_u32_e32 v30, vcc, s34, v30
	s_or_b64 s[26:27], s[4:5], s[26:27]
	v_addc_co_u32_e32 v31, vcc, 0, v31, vcc
	s_andn2_b64 exec, exec, s[26:27]
	s_cbranch_execnz .LBB222_24
.LBB222_25:
	s_endpgm
	.section	.rodata,"a",@progbits
	.p2align	6, 0x0
	.amdhsa_kernel _ZN2at6native12_GLOBAL__N_125multi_tensor_apply_kernelINS1_18TensorListMetadataILi1EEENS1_14UnaryOpFunctorIN3c107complexIfEELi1ELi1ELi0EEEJNS0_3CosIS8_EEEEEvT_T0_DpT1_
		.amdhsa_group_segment_fixed_size 0
		.amdhsa_private_segment_fixed_size 0
		.amdhsa_kernarg_size 3632
		.amdhsa_user_sgpr_count 6
		.amdhsa_user_sgpr_private_segment_buffer 1
		.amdhsa_user_sgpr_dispatch_ptr 0
		.amdhsa_user_sgpr_queue_ptr 0
		.amdhsa_user_sgpr_kernarg_segment_ptr 1
		.amdhsa_user_sgpr_dispatch_id 0
		.amdhsa_user_sgpr_flat_scratch_init 0
		.amdhsa_user_sgpr_private_segment_size 0
		.amdhsa_uses_dynamic_stack 0
		.amdhsa_system_sgpr_private_segment_wavefront_offset 0
		.amdhsa_system_sgpr_workgroup_id_x 1
		.amdhsa_system_sgpr_workgroup_id_y 0
		.amdhsa_system_sgpr_workgroup_id_z 0
		.amdhsa_system_sgpr_workgroup_info 0
		.amdhsa_system_vgpr_workitem_id 0
		.amdhsa_next_free_vgpr 39
		.amdhsa_next_free_sgpr 55
		.amdhsa_reserve_vcc 1
		.amdhsa_reserve_flat_scratch 0
		.amdhsa_float_round_mode_32 0
		.amdhsa_float_round_mode_16_64 0
		.amdhsa_float_denorm_mode_32 3
		.amdhsa_float_denorm_mode_16_64 3
		.amdhsa_dx10_clamp 1
		.amdhsa_ieee_mode 1
		.amdhsa_fp16_overflow 0
		.amdhsa_exception_fp_ieee_invalid_op 0
		.amdhsa_exception_fp_denorm_src 0
		.amdhsa_exception_fp_ieee_div_zero 0
		.amdhsa_exception_fp_ieee_overflow 0
		.amdhsa_exception_fp_ieee_underflow 0
		.amdhsa_exception_fp_ieee_inexact 0
		.amdhsa_exception_int_div_zero 0
	.end_amdhsa_kernel
	.section	.text._ZN2at6native12_GLOBAL__N_125multi_tensor_apply_kernelINS1_18TensorListMetadataILi1EEENS1_14UnaryOpFunctorIN3c107complexIfEELi1ELi1ELi0EEEJNS0_3CosIS8_EEEEEvT_T0_DpT1_,"axG",@progbits,_ZN2at6native12_GLOBAL__N_125multi_tensor_apply_kernelINS1_18TensorListMetadataILi1EEENS1_14UnaryOpFunctorIN3c107complexIfEELi1ELi1ELi0EEEJNS0_3CosIS8_EEEEEvT_T0_DpT1_,comdat
.Lfunc_end222:
	.size	_ZN2at6native12_GLOBAL__N_125multi_tensor_apply_kernelINS1_18TensorListMetadataILi1EEENS1_14UnaryOpFunctorIN3c107complexIfEELi1ELi1ELi0EEEJNS0_3CosIS8_EEEEEvT_T0_DpT1_, .Lfunc_end222-_ZN2at6native12_GLOBAL__N_125multi_tensor_apply_kernelINS1_18TensorListMetadataILi1EEENS1_14UnaryOpFunctorIN3c107complexIfEELi1ELi1ELi0EEEJNS0_3CosIS8_EEEEEvT_T0_DpT1_
                                        ; -- End function
	.set _ZN2at6native12_GLOBAL__N_125multi_tensor_apply_kernelINS1_18TensorListMetadataILi1EEENS1_14UnaryOpFunctorIN3c107complexIfEELi1ELi1ELi0EEEJNS0_3CosIS8_EEEEEvT_T0_DpT1_.num_vgpr, max(39, .L_ZN6thrust23THRUST_200600_302600_NS6detail7complex6ccoshfERKNS0_7complexIfEE.num_vgpr)
	.set _ZN2at6native12_GLOBAL__N_125multi_tensor_apply_kernelINS1_18TensorListMetadataILi1EEENS1_14UnaryOpFunctorIN3c107complexIfEELi1ELi1ELi0EEEJNS0_3CosIS8_EEEEEvT_T0_DpT1_.num_agpr, max(0, .L_ZN6thrust23THRUST_200600_302600_NS6detail7complex6ccoshfERKNS0_7complexIfEE.num_agpr)
	.set _ZN2at6native12_GLOBAL__N_125multi_tensor_apply_kernelINS1_18TensorListMetadataILi1EEENS1_14UnaryOpFunctorIN3c107complexIfEELi1ELi1ELi0EEEJNS0_3CosIS8_EEEEEvT_T0_DpT1_.numbered_sgpr, max(55, .L_ZN6thrust23THRUST_200600_302600_NS6detail7complex6ccoshfERKNS0_7complexIfEE.numbered_sgpr)
	.set _ZN2at6native12_GLOBAL__N_125multi_tensor_apply_kernelINS1_18TensorListMetadataILi1EEENS1_14UnaryOpFunctorIN3c107complexIfEELi1ELi1ELi0EEEJNS0_3CosIS8_EEEEEvT_T0_DpT1_.num_named_barrier, max(0, .L_ZN6thrust23THRUST_200600_302600_NS6detail7complex6ccoshfERKNS0_7complexIfEE.num_named_barrier)
	.set _ZN2at6native12_GLOBAL__N_125multi_tensor_apply_kernelINS1_18TensorListMetadataILi1EEENS1_14UnaryOpFunctorIN3c107complexIfEELi1ELi1ELi0EEEJNS0_3CosIS8_EEEEEvT_T0_DpT1_.private_seg_size, 0+max(.L_ZN6thrust23THRUST_200600_302600_NS6detail7complex6ccoshfERKNS0_7complexIfEE.private_seg_size)
	.set _ZN2at6native12_GLOBAL__N_125multi_tensor_apply_kernelINS1_18TensorListMetadataILi1EEENS1_14UnaryOpFunctorIN3c107complexIfEELi1ELi1ELi0EEEJNS0_3CosIS8_EEEEEvT_T0_DpT1_.uses_vcc, or(1, .L_ZN6thrust23THRUST_200600_302600_NS6detail7complex6ccoshfERKNS0_7complexIfEE.uses_vcc)
	.set _ZN2at6native12_GLOBAL__N_125multi_tensor_apply_kernelINS1_18TensorListMetadataILi1EEENS1_14UnaryOpFunctorIN3c107complexIfEELi1ELi1ELi0EEEJNS0_3CosIS8_EEEEEvT_T0_DpT1_.uses_flat_scratch, or(0, .L_ZN6thrust23THRUST_200600_302600_NS6detail7complex6ccoshfERKNS0_7complexIfEE.uses_flat_scratch)
	.set _ZN2at6native12_GLOBAL__N_125multi_tensor_apply_kernelINS1_18TensorListMetadataILi1EEENS1_14UnaryOpFunctorIN3c107complexIfEELi1ELi1ELi0EEEJNS0_3CosIS8_EEEEEvT_T0_DpT1_.has_dyn_sized_stack, or(0, .L_ZN6thrust23THRUST_200600_302600_NS6detail7complex6ccoshfERKNS0_7complexIfEE.has_dyn_sized_stack)
	.set _ZN2at6native12_GLOBAL__N_125multi_tensor_apply_kernelINS1_18TensorListMetadataILi1EEENS1_14UnaryOpFunctorIN3c107complexIfEELi1ELi1ELi0EEEJNS0_3CosIS8_EEEEEvT_T0_DpT1_.has_recursion, or(0, .L_ZN6thrust23THRUST_200600_302600_NS6detail7complex6ccoshfERKNS0_7complexIfEE.has_recursion)
	.set _ZN2at6native12_GLOBAL__N_125multi_tensor_apply_kernelINS1_18TensorListMetadataILi1EEENS1_14UnaryOpFunctorIN3c107complexIfEELi1ELi1ELi0EEEJNS0_3CosIS8_EEEEEvT_T0_DpT1_.has_indirect_call, or(0, .L_ZN6thrust23THRUST_200600_302600_NS6detail7complex6ccoshfERKNS0_7complexIfEE.has_indirect_call)
	.section	.AMDGPU.csdata,"",@progbits
; Kernel info:
; codeLenInByte = 1328
; TotalNumSgprs: 59
; NumVgprs: 39
; ScratchSize: 0
; MemoryBound: 0
; FloatMode: 240
; IeeeMode: 1
; LDSByteSize: 0 bytes/workgroup (compile time only)
; SGPRBlocks: 7
; VGPRBlocks: 9
; NumSGPRsForWavesPerEU: 59
; NumVGPRsForWavesPerEU: 39
; Occupancy: 6
; WaveLimiterHint : 0
; COMPUTE_PGM_RSRC2:SCRATCH_EN: 0
; COMPUTE_PGM_RSRC2:USER_SGPR: 6
; COMPUTE_PGM_RSRC2:TRAP_HANDLER: 0
; COMPUTE_PGM_RSRC2:TGID_X_EN: 1
; COMPUTE_PGM_RSRC2:TGID_Y_EN: 0
; COMPUTE_PGM_RSRC2:TGID_Z_EN: 0
; COMPUTE_PGM_RSRC2:TIDIG_COMP_CNT: 0
	.section	.text._ZN2at6native12_GLOBAL__N_125multi_tensor_apply_kernelINS1_18TensorListMetadataILi1EEENS1_14UnaryOpFunctorIN3c104HalfELi1ELi1ELi0EEEJNS0_3CosIfEEEEEvT_T0_DpT1_,"axG",@progbits,_ZN2at6native12_GLOBAL__N_125multi_tensor_apply_kernelINS1_18TensorListMetadataILi1EEENS1_14UnaryOpFunctorIN3c104HalfELi1ELi1ELi0EEEJNS0_3CosIfEEEEEvT_T0_DpT1_,comdat
	.globl	_ZN2at6native12_GLOBAL__N_125multi_tensor_apply_kernelINS1_18TensorListMetadataILi1EEENS1_14UnaryOpFunctorIN3c104HalfELi1ELi1ELi0EEEJNS0_3CosIfEEEEEvT_T0_DpT1_ ; -- Begin function _ZN2at6native12_GLOBAL__N_125multi_tensor_apply_kernelINS1_18TensorListMetadataILi1EEENS1_14UnaryOpFunctorIN3c104HalfELi1ELi1ELi0EEEJNS0_3CosIfEEEEEvT_T0_DpT1_
	.p2align	8
	.type	_ZN2at6native12_GLOBAL__N_125multi_tensor_apply_kernelINS1_18TensorListMetadataILi1EEENS1_14UnaryOpFunctorIN3c104HalfELi1ELi1ELi0EEEJNS0_3CosIfEEEEEvT_T0_DpT1_,@function
_ZN2at6native12_GLOBAL__N_125multi_tensor_apply_kernelINS1_18TensorListMetadataILi1EEENS1_14UnaryOpFunctorIN3c104HalfELi1ELi1ELi0EEEJNS0_3CosIfEEEEEvT_T0_DpT1_: ; @_ZN2at6native12_GLOBAL__N_125multi_tensor_apply_kernelINS1_18TensorListMetadataILi1EEENS1_14UnaryOpFunctorIN3c104HalfELi1ELi1ELi0EEEJNS0_3CosIfEEEEEvT_T0_DpT1_
; %bb.0:
	v_mov_b32_e32 v1, s6
	global_load_ubyte v1, v1, s[4:5] offset:1760
	s_add_u32 s0, s4, s6
	s_mul_hi_u32 s1, s6, 3
	s_mul_i32 s6, s6, 3
	s_addc_u32 s2, s5, 0
	s_add_u32 s0, s0, s6
	s_addc_u32 s1, s2, s1
	s_load_dword s0, s[0:1], 0x820
	s_mov_b32 s7, 0
	s_waitcnt vmcnt(0)
	v_readfirstlane_b32 s1, v1
	s_lshl_b32 s1, s1, 3
	s_load_dwordx2 s[2:3], s[4:5], s1 offset:0x370
	s_load_dwordx2 s[16:17], s[4:5], s1 offset:0x0
	s_waitcnt lgkmcnt(0)
	s_ashr_i32 s1, s0, 31
	s_lshl_b64 s[18:19], s[0:1], 17
	s_lshl_b64 s[0:1], s[0:1], 16
	s_and_b32 s6, s16, 7
	s_sub_u32 s20, s2, s0
	s_subb_u32 s21, s3, s1
	s_and_b32 s0, s2, 3
	s_mov_b32 s1, s7
	s_or_b64 s[0:1], s[6:7], s[0:1]
	s_cmp_eq_u64 s[0:1], 0
	s_cbranch_scc1 .LBB223_37
; %bb.1:
	v_cmp_lt_i64_e64 s[0:1], s[20:21], 1
	s_and_b64 vcc, exec, s[0:1]
	s_cbranch_vccnz .LBB223_36
; %bb.2:
	v_mov_b32_e32 v3, 0x10000
	s_load_dword s2, s[4:5], 0xd3c
	v_mov_b32_e32 v4, 0
	v_cmp_lt_i64_e32 vcc, s[20:21], v[3:4]
	v_lshlrev_b32_e32 v1, 1, v0
	s_and_b64 s[0:1], vcc, exec
	v_cmp_lt_u64_e32 vcc, s[20:21], v[3:4]
	s_cselect_b32 s23, s21, 0
	s_cselect_b32 s22, s20, 0x10000
	s_waitcnt lgkmcnt(0)
	s_and_b32 s2, s2, 0xffff
	s_and_b64 s[0:1], vcc, exec
	s_cselect_b32 s25, s21, 0
	s_cselect_b32 s24, s20, 0x10000
	s_lshl_b32 s3, s2, 1
	s_lshl_b32 s30, s2, 2
	s_add_u32 s6, s16, s18
	s_addc_u32 s7, s17, s19
	v_mov_b32_e32 v4, s7
	v_add_co_u32_e32 v3, vcc, s6, v1
	s_mul_i32 s0, s2, 3
	v_addc_co_u32_e32 v4, vcc, 0, v4, vcc
	v_add_co_u32_e32 v7, vcc, s0, v0
	v_addc_co_u32_e64 v8, s[0:1], 0, 0, vcc
	v_add_co_u32_e32 v9, vcc, s3, v0
	v_addc_co_u32_e64 v10, s[0:1], 0, 0, vcc
	v_add_co_u32_e32 v11, vcc, s2, v0
	v_lshlrev_b32_e32 v1, 1, v11
	v_addc_co_u32_e64 v12, s[0:1], 0, 0, vcc
	v_mov_b32_e32 v6, s7
	v_add_co_u32_e32 v5, vcc, s6, v1
	v_mov_b32_e32 v2, 0
	s_lshl_b32 s31, s2, 3
	s_mul_i32 s33, s2, 6
	v_addc_co_u32_e32 v6, vcc, 0, v6, vcc
	s_mov_b64 s[26:27], 0
	s_brev_b32 s34, 18
	s_mov_b32 s35, 0xfe5163ab
	s_mov_b32 s36, 0x3c439041
	;; [unrolled: 1-line block ×8, first 2 shown]
	v_mov_b32_e32 v13, 0xbe2aaa9d
	v_mov_b32_e32 v14, 0x3d2aabf7
	;; [unrolled: 1-line block ×3, first 2 shown]
	s_movk_i32 s43, 0x7c00
	v_not_b32_e32 v16, 63
	v_not_b32_e32 v17, 31
	v_mov_b32_e32 v18, 0x7e00
	s_branch .LBB223_4
.LBB223_3:                              ;   in Loop: Header=BB223_4 Depth=1
	s_or_b64 exec, exec, s[0:1]
	s_add_u32 s26, s26, s30
	v_add_co_u32_e32 v3, vcc, s31, v3
	v_mov_b32_e32 v19, s22
	s_addc_u32 s27, s27, 0
	v_addc_co_u32_e32 v4, vcc, 0, v4, vcc
	v_mov_b32_e32 v20, s23
	v_cmp_ge_i64_e32 vcc, s[26:27], v[19:20]
	v_add_co_u32_e64 v5, s[0:1], s31, v5
	v_addc_co_u32_e64 v6, s[0:1], 0, v6, s[0:1]
	s_cbranch_vccnz .LBB223_36
.LBB223_4:                              ; =>This Inner Loop Header: Depth=1
	v_mov_b32_e32 v1, s27
	v_add_co_u32_e32 v19, vcc, s26, v0
	v_addc_co_u32_e32 v20, vcc, 0, v1, vcc
	v_cmp_gt_u64_e64 s[6:7], s[24:25], v[19:20]
	v_mov_b32_e32 v22, 0
	s_and_saveexec_b64 s[0:1], s[6:7]
	s_cbranch_execz .LBB223_6
; %bb.5:                                ;   in Loop: Header=BB223_4 Depth=1
	global_load_ushort v1, v[3:4], off
	s_waitcnt vmcnt(0)
	v_and_b32_e32 v22, 0x7fff, v1
.LBB223_6:                              ;   in Loop: Header=BB223_4 Depth=1
	s_or_b64 exec, exec, s[0:1]
	v_mov_b32_e32 v1, s27
	v_add_co_u32_e32 v19, vcc, s26, v11
	v_addc_co_u32_e32 v20, vcc, v12, v1, vcc
	v_cmp_gt_u64_e64 s[2:3], s[24:25], v[19:20]
	v_mov_b32_e32 v19, 0
	v_mov_b32_e32 v21, 0
	s_and_saveexec_b64 s[0:1], s[2:3]
	s_cbranch_execz .LBB223_8
; %bb.7:                                ;   in Loop: Header=BB223_4 Depth=1
	global_load_ushort v1, v[5:6], off
	s_waitcnt vmcnt(0)
	v_and_b32_e32 v21, 0x7fff, v1
.LBB223_8:                              ;   in Loop: Header=BB223_4 Depth=1
	s_or_b64 exec, exec, s[0:1]
	v_mov_b32_e32 v1, s27
	v_add_co_u32_e32 v23, vcc, s26, v9
	v_addc_co_u32_e32 v24, vcc, v10, v1, vcc
	v_cmp_gt_u64_e64 s[0:1], s[24:25], v[23:24]
	s_and_saveexec_b64 s[8:9], s[0:1]
	s_cbranch_execz .LBB223_10
; %bb.9:                                ;   in Loop: Header=BB223_4 Depth=1
	v_add_co_u32_e32 v19, vcc, s30, v3
	v_addc_co_u32_e32 v20, vcc, 0, v4, vcc
	global_load_ushort v1, v[19:20], off
	s_waitcnt vmcnt(0)
	v_and_b32_e32 v19, 0x7fff, v1
.LBB223_10:                             ;   in Loop: Header=BB223_4 Depth=1
	s_or_b64 exec, exec, s[8:9]
	v_mov_b32_e32 v1, s27
	v_add_co_u32_e32 v23, vcc, s26, v7
	v_addc_co_u32_e32 v24, vcc, v8, v1, vcc
	v_cmp_gt_u64_e32 vcc, s[24:25], v[23:24]
	v_mov_b32_e32 v20, 0
	s_and_saveexec_b64 s[10:11], vcc
	s_cbranch_execz .LBB223_12
; %bb.11:                               ;   in Loop: Header=BB223_4 Depth=1
	v_add_co_u32_e64 v23, s[8:9], s33, v3
	v_addc_co_u32_e64 v24, s[8:9], 0, v4, s[8:9]
	global_load_ushort v1, v[23:24], off
	s_waitcnt vmcnt(0)
	v_and_b32_e32 v20, 0x7fff, v1
.LBB223_12:                             ;   in Loop: Header=BB223_4 Depth=1
	s_or_b64 exec, exec, s[10:11]
	v_cvt_f32_f16_e32 v23, v22
                                        ; implicit-def: $vgpr24
	v_cmp_ngt_f32_e64 s[8:9], s34, v23
	s_and_saveexec_b64 s[10:11], s[8:9]
	s_xor_b64 s[28:29], exec, s[10:11]
	s_cbranch_execz .LBB223_14
; %bb.13:                               ;   in Loop: Header=BB223_4 Depth=1
	v_and_b32_e32 v1, 0x7fffff, v23
	v_or_b32_e32 v31, 0x800000, v1
	v_mad_u64_u32 v[24:25], s[8:9], v31, s35, 0
	v_mov_b32_e32 v1, v25
	v_mad_u64_u32 v[25:26], s[8:9], v31, s36, v[1:2]
	v_mov_b32_e32 v1, v26
	;; [unrolled: 2-line block ×3, first 2 shown]
	v_mad_u64_u32 v[27:28], s[8:9], v31, s38, v[1:2]
	v_lshrrev_b32_e32 v1, 23, v23
	v_add_u32_e32 v23, 0xffffff88, v1
	v_mov_b32_e32 v1, v28
	v_mad_u64_u32 v[28:29], s[8:9], v31, s39, v[1:2]
	v_cmp_lt_u32_e64 s[8:9], 63, v23
	v_cndmask_b32_e64 v1, 0, v16, s[8:9]
	v_add_u32_e32 v23, v1, v23
	v_mov_b32_e32 v1, v29
	v_mad_u64_u32 v[29:30], s[10:11], v31, s40, v[1:2]
	v_cmp_lt_u32_e64 s[10:11], 31, v23
	v_cndmask_b32_e64 v1, 0, v17, s[10:11]
	;; [unrolled: 5-line block ×3, first 2 shown]
	v_add_u32_e32 v1, v1, v23
	v_cndmask_b32_e64 v23, v29, v27, s[8:9]
	v_cndmask_b32_e64 v30, v30, v28, s[8:9]
	;; [unrolled: 1-line block ×10, first 2 shown]
	v_sub_u32_e32 v31, 32, v1
	v_cndmask_b32_e64 v27, v28, v25, s[10:11]
	v_alignbit_b32 v32, v29, v30, v31
	v_cmp_eq_u32_e64 s[14:15], 0, v1
	v_cndmask_b32_e64 v23, v23, v27, s[12:13]
	v_cndmask_b32_e64 v1, v32, v29, s[14:15]
	v_alignbit_b32 v28, v30, v23, v31
	v_cndmask_b32_e64 v24, v26, v24, s[8:9]
	v_cndmask_b32_e64 v28, v28, v30, s[14:15]
	v_bfe_u32 v32, v1, 29, 1
	v_cndmask_b32_e64 v24, v25, v24, s[10:11]
	v_alignbit_b32 v29, v1, v28, 30
	v_sub_u32_e32 v33, 0, v32
	v_cndmask_b32_e64 v24, v27, v24, s[12:13]
	v_xor_b32_e32 v29, v29, v33
	v_alignbit_b32 v25, v23, v24, v31
	v_cndmask_b32_e64 v23, v25, v23, s[14:15]
	v_ffbh_u32_e32 v26, v29
	v_alignbit_b32 v25, v28, v23, 30
	v_min_u32_e32 v26, 32, v26
	v_alignbit_b32 v23, v23, v24, 30
	v_xor_b32_e32 v25, v25, v33
	v_sub_u32_e32 v27, 31, v26
	v_xor_b32_e32 v23, v23, v33
	v_alignbit_b32 v28, v29, v25, v27
	v_alignbit_b32 v23, v25, v23, v27
	;; [unrolled: 1-line block ×3, first 2 shown]
	v_ffbh_u32_e32 v25, v24
	v_min_u32_e32 v25, 32, v25
	v_lshrrev_b32_e32 v30, 29, v1
	v_not_b32_e32 v27, v25
	v_alignbit_b32 v23, v24, v23, v27
	v_lshlrev_b32_e32 v24, 31, v30
	v_or_b32_e32 v27, 0x33000000, v24
	v_add_lshl_u32 v25, v25, v26, 23
	v_lshrrev_b32_e32 v23, 9, v23
	v_sub_u32_e32 v25, v27, v25
	v_or_b32_e32 v24, 0.5, v24
	v_lshlrev_b32_e32 v26, 23, v26
	v_or_b32_e32 v23, v25, v23
	v_lshrrev_b32_e32 v25, 9, v28
	v_sub_u32_e32 v24, v24, v26
	v_or_b32_e32 v24, v25, v24
	v_mul_f32_e32 v25, 0x3fc90fda, v24
	v_fma_f32 v26, v24, s42, -v25
	v_fmac_f32_e32 v26, 0x33a22168, v24
	v_fmac_f32_e32 v26, 0x3fc90fda, v23
	v_lshrrev_b32_e32 v1, 30, v1
	v_add_f32_e32 v23, v25, v26
	v_add_u32_e32 v24, v32, v1
.LBB223_14:                             ;   in Loop: Header=BB223_4 Depth=1
	s_andn2_saveexec_b64 s[8:9], s[28:29]
; %bb.15:                               ;   in Loop: Header=BB223_4 Depth=1
	v_mul_f32_e32 v1, 0x3f22f983, v23
	v_rndne_f32_e32 v1, v1
	v_cvt_i32_f32_e32 v24, v1
	v_fmac_f32_e32 v23, 0xbfc90fda, v1
	v_fmac_f32_e32 v23, 0xb3a22168, v1
	;; [unrolled: 1-line block ×3, first 2 shown]
; %bb.16:                               ;   in Loop: Header=BB223_4 Depth=1
	s_or_b64 exec, exec, s[8:9]
	v_cvt_f32_f16_e32 v25, v21
                                        ; implicit-def: $vgpr26
	v_cmp_ngt_f32_e64 s[8:9], s34, v25
	s_and_saveexec_b64 s[10:11], s[8:9]
	s_xor_b64 s[28:29], exec, s[10:11]
	s_cbranch_execz .LBB223_18
; %bb.17:                               ;   in Loop: Header=BB223_4 Depth=1
	v_and_b32_e32 v1, 0x7fffff, v25
	v_or_b32_e32 v33, 0x800000, v1
	v_mad_u64_u32 v[26:27], s[8:9], v33, s35, 0
	v_mov_b32_e32 v1, v27
	v_mad_u64_u32 v[27:28], s[8:9], v33, s36, v[1:2]
	v_mov_b32_e32 v1, v28
	;; [unrolled: 2-line block ×3, first 2 shown]
	v_mad_u64_u32 v[29:30], s[8:9], v33, s38, v[1:2]
	v_lshrrev_b32_e32 v1, 23, v25
	v_add_u32_e32 v25, 0xffffff88, v1
	v_mov_b32_e32 v1, v30
	v_mad_u64_u32 v[30:31], s[8:9], v33, s39, v[1:2]
	v_cmp_lt_u32_e64 s[8:9], 63, v25
	v_cndmask_b32_e64 v1, 0, v16, s[8:9]
	v_add_u32_e32 v25, v1, v25
	v_mov_b32_e32 v1, v31
	v_mad_u64_u32 v[31:32], s[10:11], v33, s40, v[1:2]
	v_cmp_lt_u32_e64 s[10:11], 31, v25
	v_cndmask_b32_e64 v1, 0, v17, s[10:11]
	;; [unrolled: 5-line block ×3, first 2 shown]
	v_add_u32_e32 v1, v1, v25
	v_cndmask_b32_e64 v25, v31, v29, s[8:9]
	v_cndmask_b32_e64 v32, v32, v30, s[8:9]
	;; [unrolled: 1-line block ×10, first 2 shown]
	v_sub_u32_e32 v33, 32, v1
	v_cndmask_b32_e64 v29, v30, v27, s[10:11]
	v_alignbit_b32 v34, v31, v32, v33
	v_cmp_eq_u32_e64 s[14:15], 0, v1
	v_cndmask_b32_e64 v25, v25, v29, s[12:13]
	v_cndmask_b32_e64 v1, v34, v31, s[14:15]
	v_alignbit_b32 v30, v32, v25, v33
	v_cndmask_b32_e64 v26, v28, v26, s[8:9]
	v_cndmask_b32_e64 v30, v30, v32, s[14:15]
	v_bfe_u32 v34, v1, 29, 1
	v_cndmask_b32_e64 v26, v27, v26, s[10:11]
	v_alignbit_b32 v31, v1, v30, 30
	v_sub_u32_e32 v35, 0, v34
	v_cndmask_b32_e64 v26, v29, v26, s[12:13]
	v_xor_b32_e32 v31, v31, v35
	v_alignbit_b32 v27, v25, v26, v33
	v_cndmask_b32_e64 v25, v27, v25, s[14:15]
	v_ffbh_u32_e32 v28, v31
	v_alignbit_b32 v27, v30, v25, 30
	v_min_u32_e32 v28, 32, v28
	v_alignbit_b32 v25, v25, v26, 30
	v_xor_b32_e32 v27, v27, v35
	v_sub_u32_e32 v29, 31, v28
	v_xor_b32_e32 v25, v25, v35
	v_alignbit_b32 v30, v31, v27, v29
	v_alignbit_b32 v25, v27, v25, v29
	;; [unrolled: 1-line block ×3, first 2 shown]
	v_ffbh_u32_e32 v27, v26
	v_min_u32_e32 v27, 32, v27
	v_lshrrev_b32_e32 v32, 29, v1
	v_not_b32_e32 v29, v27
	v_alignbit_b32 v25, v26, v25, v29
	v_lshlrev_b32_e32 v26, 31, v32
	v_or_b32_e32 v29, 0x33000000, v26
	v_add_lshl_u32 v27, v27, v28, 23
	v_lshrrev_b32_e32 v25, 9, v25
	v_sub_u32_e32 v27, v29, v27
	v_or_b32_e32 v26, 0.5, v26
	v_lshlrev_b32_e32 v28, 23, v28
	v_or_b32_e32 v25, v27, v25
	v_lshrrev_b32_e32 v27, 9, v30
	v_sub_u32_e32 v26, v26, v28
	v_or_b32_e32 v26, v27, v26
	v_mul_f32_e32 v27, 0x3fc90fda, v26
	v_fma_f32 v28, v26, s42, -v27
	v_fmac_f32_e32 v28, 0x33a22168, v26
	v_fmac_f32_e32 v28, 0x3fc90fda, v25
	v_lshrrev_b32_e32 v1, 30, v1
	v_add_f32_e32 v25, v27, v28
	v_add_u32_e32 v26, v34, v1
.LBB223_18:                             ;   in Loop: Header=BB223_4 Depth=1
	s_andn2_saveexec_b64 s[8:9], s[28:29]
; %bb.19:                               ;   in Loop: Header=BB223_4 Depth=1
	v_mul_f32_e32 v1, 0x3f22f983, v25
	v_rndne_f32_e32 v1, v1
	v_cvt_i32_f32_e32 v26, v1
	v_fmac_f32_e32 v25, 0xbfc90fda, v1
	v_fmac_f32_e32 v25, 0xb3a22168, v1
	;; [unrolled: 1-line block ×3, first 2 shown]
; %bb.20:                               ;   in Loop: Header=BB223_4 Depth=1
	s_or_b64 exec, exec, s[8:9]
	v_cvt_f32_f16_e32 v27, v19
                                        ; implicit-def: $vgpr28
	v_cmp_ngt_f32_e64 s[8:9], s34, v27
	s_and_saveexec_b64 s[10:11], s[8:9]
	s_xor_b64 s[28:29], exec, s[10:11]
	s_cbranch_execz .LBB223_22
; %bb.21:                               ;   in Loop: Header=BB223_4 Depth=1
	v_and_b32_e32 v1, 0x7fffff, v27
	v_or_b32_e32 v35, 0x800000, v1
	v_mad_u64_u32 v[28:29], s[8:9], v35, s35, 0
	v_mov_b32_e32 v1, v29
	v_mad_u64_u32 v[29:30], s[8:9], v35, s36, v[1:2]
	v_mov_b32_e32 v1, v30
	;; [unrolled: 2-line block ×3, first 2 shown]
	v_mad_u64_u32 v[31:32], s[8:9], v35, s38, v[1:2]
	v_lshrrev_b32_e32 v1, 23, v27
	v_add_u32_e32 v27, 0xffffff88, v1
	v_mov_b32_e32 v1, v32
	v_mad_u64_u32 v[32:33], s[8:9], v35, s39, v[1:2]
	v_cmp_lt_u32_e64 s[8:9], 63, v27
	v_cndmask_b32_e64 v1, 0, v16, s[8:9]
	v_add_u32_e32 v27, v1, v27
	v_mov_b32_e32 v1, v33
	v_mad_u64_u32 v[33:34], s[10:11], v35, s40, v[1:2]
	v_cmp_lt_u32_e64 s[10:11], 31, v27
	v_cndmask_b32_e64 v1, 0, v17, s[10:11]
	;; [unrolled: 5-line block ×3, first 2 shown]
	v_add_u32_e32 v1, v1, v27
	v_cndmask_b32_e64 v27, v33, v31, s[8:9]
	v_cndmask_b32_e64 v34, v34, v32, s[8:9]
	;; [unrolled: 1-line block ×10, first 2 shown]
	v_sub_u32_e32 v35, 32, v1
	v_cndmask_b32_e64 v31, v32, v29, s[10:11]
	v_alignbit_b32 v36, v33, v34, v35
	v_cmp_eq_u32_e64 s[14:15], 0, v1
	v_cndmask_b32_e64 v27, v27, v31, s[12:13]
	v_cndmask_b32_e64 v1, v36, v33, s[14:15]
	v_alignbit_b32 v32, v34, v27, v35
	v_cndmask_b32_e64 v28, v30, v28, s[8:9]
	v_cndmask_b32_e64 v32, v32, v34, s[14:15]
	v_bfe_u32 v36, v1, 29, 1
	v_cndmask_b32_e64 v28, v29, v28, s[10:11]
	v_alignbit_b32 v33, v1, v32, 30
	v_sub_u32_e32 v37, 0, v36
	v_cndmask_b32_e64 v28, v31, v28, s[12:13]
	v_xor_b32_e32 v33, v33, v37
	v_alignbit_b32 v29, v27, v28, v35
	v_cndmask_b32_e64 v27, v29, v27, s[14:15]
	v_ffbh_u32_e32 v30, v33
	v_alignbit_b32 v29, v32, v27, 30
	v_min_u32_e32 v30, 32, v30
	v_alignbit_b32 v27, v27, v28, 30
	v_xor_b32_e32 v29, v29, v37
	v_sub_u32_e32 v31, 31, v30
	v_xor_b32_e32 v27, v27, v37
	v_alignbit_b32 v32, v33, v29, v31
	v_alignbit_b32 v27, v29, v27, v31
	;; [unrolled: 1-line block ×3, first 2 shown]
	v_ffbh_u32_e32 v29, v28
	v_min_u32_e32 v29, 32, v29
	v_lshrrev_b32_e32 v34, 29, v1
	v_not_b32_e32 v31, v29
	v_alignbit_b32 v27, v28, v27, v31
	v_lshlrev_b32_e32 v28, 31, v34
	v_or_b32_e32 v31, 0x33000000, v28
	v_add_lshl_u32 v29, v29, v30, 23
	v_lshrrev_b32_e32 v27, 9, v27
	v_sub_u32_e32 v29, v31, v29
	v_or_b32_e32 v28, 0.5, v28
	v_lshlrev_b32_e32 v30, 23, v30
	v_or_b32_e32 v27, v29, v27
	v_lshrrev_b32_e32 v29, 9, v32
	v_sub_u32_e32 v28, v28, v30
	v_or_b32_e32 v28, v29, v28
	v_mul_f32_e32 v29, 0x3fc90fda, v28
	v_fma_f32 v30, v28, s42, -v29
	v_fmac_f32_e32 v30, 0x33a22168, v28
	v_fmac_f32_e32 v30, 0x3fc90fda, v27
	v_lshrrev_b32_e32 v1, 30, v1
	v_add_f32_e32 v27, v29, v30
	v_add_u32_e32 v28, v36, v1
.LBB223_22:                             ;   in Loop: Header=BB223_4 Depth=1
	s_andn2_saveexec_b64 s[8:9], s[28:29]
; %bb.23:                               ;   in Loop: Header=BB223_4 Depth=1
	v_mul_f32_e32 v1, 0x3f22f983, v27
	v_rndne_f32_e32 v1, v1
	v_cvt_i32_f32_e32 v28, v1
	v_fmac_f32_e32 v27, 0xbfc90fda, v1
	v_fmac_f32_e32 v27, 0xb3a22168, v1
	v_fmac_f32_e32 v27, 0xa7c234c4, v1
; %bb.24:                               ;   in Loop: Header=BB223_4 Depth=1
	s_or_b64 exec, exec, s[8:9]
	v_cvt_f32_f16_e32 v29, v20
                                        ; implicit-def: $vgpr1
	v_cmp_ngt_f32_e64 s[8:9], s34, v29
	s_and_saveexec_b64 s[10:11], s[8:9]
	s_xor_b64 s[28:29], exec, s[10:11]
	s_cbranch_execnz .LBB223_30
; %bb.25:                               ;   in Loop: Header=BB223_4 Depth=1
	s_andn2_saveexec_b64 s[8:9], s[28:29]
	s_cbranch_execnz .LBB223_31
.LBB223_26:                             ;   in Loop: Header=BB223_4 Depth=1
	s_or_b64 exec, exec, s[8:9]
	s_and_saveexec_b64 s[8:9], s[6:7]
	s_xor_b64 s[8:9], exec, s[8:9]
	s_cbranch_execnz .LBB223_32
.LBB223_27:                             ;   in Loop: Header=BB223_4 Depth=1
	s_or_b64 exec, exec, s[8:9]
	s_and_saveexec_b64 s[6:7], s[2:3]
	s_cbranch_execnz .LBB223_33
.LBB223_28:                             ;   in Loop: Header=BB223_4 Depth=1
	s_or_b64 exec, exec, s[6:7]
	s_and_saveexec_b64 s[2:3], s[0:1]
	s_cbranch_execnz .LBB223_34
.LBB223_29:                             ;   in Loop: Header=BB223_4 Depth=1
	s_or_b64 exec, exec, s[2:3]
	s_and_saveexec_b64 s[0:1], vcc
	s_cbranch_execz .LBB223_3
	s_branch .LBB223_35
.LBB223_30:                             ;   in Loop: Header=BB223_4 Depth=1
	v_and_b32_e32 v1, 0x7fffff, v29
	v_or_b32_e32 v37, 0x800000, v1
	v_mad_u64_u32 v[30:31], s[8:9], v37, s35, 0
	v_mov_b32_e32 v1, v31
	v_mad_u64_u32 v[31:32], s[8:9], v37, s36, v[1:2]
	v_mov_b32_e32 v1, v32
	;; [unrolled: 2-line block ×3, first 2 shown]
	v_mad_u64_u32 v[33:34], s[8:9], v37, s38, v[1:2]
	v_lshrrev_b32_e32 v1, 23, v29
	v_add_u32_e32 v29, 0xffffff88, v1
	v_mov_b32_e32 v1, v34
	v_mad_u64_u32 v[34:35], s[10:11], v37, s39, v[1:2]
	v_cmp_lt_u32_e64 s[8:9], 63, v29
	v_cndmask_b32_e64 v1, 0, v16, s[8:9]
	v_add_u32_e32 v29, v1, v29
	v_mov_b32_e32 v1, v35
	v_mad_u64_u32 v[35:36], s[12:13], v37, s40, v[1:2]
	v_cmp_lt_u32_e64 s[10:11], 31, v29
	v_cndmask_b32_e64 v1, 0, v17, s[10:11]
	;; [unrolled: 5-line block ×3, first 2 shown]
	v_add_u32_e32 v1, v1, v29
	v_cndmask_b32_e64 v29, v35, v33, s[8:9]
	v_cndmask_b32_e64 v36, v36, v34, s[8:9]
	;; [unrolled: 1-line block ×10, first 2 shown]
	v_sub_u32_e32 v37, 32, v1
	v_cndmask_b32_e64 v33, v34, v31, s[10:11]
	v_alignbit_b32 v38, v35, v36, v37
	v_cmp_eq_u32_e64 s[14:15], 0, v1
	v_cndmask_b32_e64 v29, v29, v33, s[12:13]
	v_cndmask_b32_e64 v1, v38, v35, s[14:15]
	v_alignbit_b32 v34, v36, v29, v37
	v_cndmask_b32_e64 v30, v32, v30, s[8:9]
	v_cndmask_b32_e64 v34, v34, v36, s[14:15]
	v_bfe_u32 v38, v1, 29, 1
	v_cndmask_b32_e64 v30, v31, v30, s[10:11]
	v_alignbit_b32 v35, v1, v34, 30
	v_sub_u32_e32 v39, 0, v38
	v_cndmask_b32_e64 v30, v33, v30, s[12:13]
	v_xor_b32_e32 v35, v35, v39
	v_alignbit_b32 v31, v29, v30, v37
	v_cndmask_b32_e64 v29, v31, v29, s[14:15]
	v_ffbh_u32_e32 v32, v35
	v_alignbit_b32 v31, v34, v29, 30
	v_min_u32_e32 v32, 32, v32
	v_alignbit_b32 v29, v29, v30, 30
	v_xor_b32_e32 v31, v31, v39
	v_sub_u32_e32 v33, 31, v32
	v_xor_b32_e32 v29, v29, v39
	v_alignbit_b32 v34, v35, v31, v33
	v_alignbit_b32 v29, v31, v29, v33
	;; [unrolled: 1-line block ×3, first 2 shown]
	v_ffbh_u32_e32 v31, v30
	v_min_u32_e32 v31, 32, v31
	v_lshrrev_b32_e32 v36, 29, v1
	v_not_b32_e32 v33, v31
	v_alignbit_b32 v29, v30, v29, v33
	v_lshlrev_b32_e32 v30, 31, v36
	v_or_b32_e32 v33, 0x33000000, v30
	v_add_lshl_u32 v31, v31, v32, 23
	v_lshrrev_b32_e32 v29, 9, v29
	v_sub_u32_e32 v31, v33, v31
	v_or_b32_e32 v30, 0.5, v30
	v_lshlrev_b32_e32 v32, 23, v32
	v_or_b32_e32 v29, v31, v29
	v_lshrrev_b32_e32 v31, 9, v34
	v_sub_u32_e32 v30, v30, v32
	v_or_b32_e32 v30, v31, v30
	v_mul_f32_e32 v31, 0x3fc90fda, v30
	v_fma_f32 v32, v30, s42, -v31
	v_fmac_f32_e32 v32, 0x33a22168, v30
	v_fmac_f32_e32 v32, 0x3fc90fda, v29
	v_lshrrev_b32_e32 v1, 30, v1
	v_add_f32_e32 v29, v31, v32
	v_add_u32_e32 v1, v38, v1
	s_andn2_saveexec_b64 s[8:9], s[28:29]
	s_cbranch_execz .LBB223_26
.LBB223_31:                             ;   in Loop: Header=BB223_4 Depth=1
	v_mul_f32_e32 v1, 0x3f22f983, v29
	v_rndne_f32_e32 v30, v1
	v_cvt_i32_f32_e32 v1, v30
	v_fmac_f32_e32 v29, 0xbfc90fda, v30
	v_fmac_f32_e32 v29, 0xb3a22168, v30
	v_fmac_f32_e32 v29, 0xa7c234c4, v30
	s_or_b64 exec, exec, s[8:9]
	s_and_saveexec_b64 s[8:9], s[6:7]
	s_xor_b64 s[8:9], exec, s[8:9]
	s_cbranch_execz .LBB223_27
.LBB223_32:                             ;   in Loop: Header=BB223_4 Depth=1
	v_mul_f32_e32 v30, v23, v23
	v_mov_b32_e32 v31, 0x3c0881c4
	v_fmac_f32_e32 v31, 0xb94c1982, v30
	v_fma_f32 v31, v30, v31, v13
	v_mul_f32_e32 v31, v30, v31
	v_fmac_f32_e32 v23, v23, v31
	v_mov_b32_e32 v31, 0xbab64f3b
	v_fmac_f32_e32 v31, 0x37d75334, v30
	v_fma_f32 v31, v30, v31, v14
	v_fma_f32 v31, v30, v31, v15
	v_fma_f32 v30, v30, v31, 1.0
	v_and_b32_e32 v31, 1, v24
	v_cmp_eq_u32_e64 s[6:7], 0, v31
	v_lshlrev_b32_e32 v24, 30, v24
	v_cndmask_b32_e64 v23, -v23, v30, s[6:7]
	v_and_b32_e32 v24, 0x80000000, v24
	v_xor_b32_e32 v23, v24, v23
	v_cvt_f16_f32_e32 v23, v23
	v_cmp_lg_f16_e64 s[6:7], s43, v22
	v_cndmask_b32_e64 v22, v18, v23, s[6:7]
	global_store_short v[3:4], v22, off
	s_or_b64 exec, exec, s[8:9]
	s_and_saveexec_b64 s[6:7], s[2:3]
	s_cbranch_execz .LBB223_28
.LBB223_33:                             ;   in Loop: Header=BB223_4 Depth=1
	v_mul_f32_e32 v22, v25, v25
	v_mov_b32_e32 v23, 0x3c0881c4
	v_fmac_f32_e32 v23, 0xb94c1982, v22
	v_fma_f32 v23, v22, v23, v13
	v_mul_f32_e32 v23, v22, v23
	v_fmac_f32_e32 v25, v25, v23
	v_mov_b32_e32 v23, 0xbab64f3b
	v_fmac_f32_e32 v23, 0x37d75334, v22
	v_fma_f32 v23, v22, v23, v14
	v_fma_f32 v23, v22, v23, v15
	v_fma_f32 v22, v22, v23, 1.0
	v_and_b32_e32 v23, 1, v26
	v_cmp_eq_u32_e64 s[2:3], 0, v23
	v_lshlrev_b32_e32 v23, 30, v26
	v_cndmask_b32_e64 v22, -v25, v22, s[2:3]
	v_and_b32_e32 v23, 0x80000000, v23
	v_xor_b32_e32 v22, v23, v22
	v_cvt_f16_f32_e32 v22, v22
	v_cmp_lg_f16_e64 s[2:3], s43, v21
	v_cndmask_b32_e64 v21, v18, v22, s[2:3]
	global_store_short v[5:6], v21, off
	s_or_b64 exec, exec, s[6:7]
	s_and_saveexec_b64 s[2:3], s[0:1]
	s_cbranch_execz .LBB223_29
.LBB223_34:                             ;   in Loop: Header=BB223_4 Depth=1
	v_mul_f32_e32 v21, v27, v27
	v_mov_b32_e32 v22, 0x3c0881c4
	v_fmac_f32_e32 v22, 0xb94c1982, v21
	v_fma_f32 v22, v21, v22, v13
	v_mul_f32_e32 v22, v21, v22
	v_fmac_f32_e32 v27, v27, v22
	v_mov_b32_e32 v22, 0xbab64f3b
	v_fmac_f32_e32 v22, 0x37d75334, v21
	v_fma_f32 v22, v21, v22, v14
	v_fma_f32 v22, v21, v22, v15
	v_fma_f32 v21, v21, v22, 1.0
	v_and_b32_e32 v22, 1, v28
	v_cmp_eq_u32_e64 s[0:1], 0, v22
	v_lshlrev_b32_e32 v22, 30, v28
	v_cndmask_b32_e64 v21, -v27, v21, s[0:1]
	v_and_b32_e32 v22, 0x80000000, v22
	v_xor_b32_e32 v21, v22, v21
	v_cvt_f16_f32_e32 v21, v21
	v_cmp_lg_f16_e64 s[0:1], s43, v19
	v_cndmask_b32_e64 v19, v18, v21, s[0:1]
	v_add_co_u32_e64 v21, s[0:1], s30, v3
	v_addc_co_u32_e64 v22, s[0:1], 0, v4, s[0:1]
	global_store_short v[21:22], v19, off
	s_or_b64 exec, exec, s[2:3]
	s_and_saveexec_b64 s[0:1], vcc
	s_cbranch_execz .LBB223_3
.LBB223_35:                             ;   in Loop: Header=BB223_4 Depth=1
	v_mul_f32_e32 v19, v29, v29
	v_mov_b32_e32 v21, 0x3c0881c4
	v_fmac_f32_e32 v21, 0xb94c1982, v19
	v_fma_f32 v21, v19, v21, v13
	v_mul_f32_e32 v21, v19, v21
	v_fmac_f32_e32 v29, v29, v21
	v_mov_b32_e32 v21, 0xbab64f3b
	v_fmac_f32_e32 v21, 0x37d75334, v19
	v_fma_f32 v21, v19, v21, v14
	v_fma_f32 v21, v19, v21, v15
	v_fma_f32 v19, v19, v21, 1.0
	v_and_b32_e32 v21, 1, v1
	v_cmp_eq_u32_e32 vcc, 0, v21
	v_lshlrev_b32_e32 v1, 30, v1
	v_cndmask_b32_e64 v19, -v29, v19, vcc
	v_and_b32_e32 v1, 0x80000000, v1
	v_xor_b32_e32 v1, v1, v19
	v_cvt_f16_f32_e32 v1, v1
	v_cmp_lg_f16_e32 vcc, s43, v20
	v_cndmask_b32_e32 v1, v18, v1, vcc
	v_add_co_u32_e32 v19, vcc, s33, v3
	v_addc_co_u32_e32 v20, vcc, 0, v4, vcc
	global_store_short v[19:20], v1, off
	s_branch .LBB223_3
.LBB223_36:
	s_cbranch_execz .LBB223_38
	s_branch .LBB223_57
.LBB223_37:
.LBB223_38:
	v_mov_b32_e32 v1, 0x10000
	v_mov_b32_e32 v2, 0
	v_cmp_lt_i64_e32 vcc, s[20:21], v[1:2]
	v_mov_b32_e32 v3, 0
	s_and_b64 s[0:1], vcc, exec
	s_cselect_b32 s7, s21, 0
	s_cselect_b32 s6, s20, 0x10000
	v_lshlrev_b32_e32 v2, 2, v0
	v_cmp_gt_i64_e32 vcc, s[6:7], v[2:3]
	s_and_saveexec_b64 s[0:1], vcc
	s_cbranch_execz .LBB223_57
; %bb.39:
	s_load_dword s0, s[4:5], 0xd3c
	v_lshlrev_b32_e32 v2, 3, v0
	v_mov_b32_e32 v1, v3
	s_mov_b64 s[8:9], 0
	s_brev_b32 s14, 18
	s_waitcnt lgkmcnt(0)
	s_and_b32 s12, s0, 0xffff
	s_add_u32 s0, s16, s18
	s_addc_u32 s1, s17, s19
	v_mov_b32_e32 v4, s1
	v_add_co_u32_e32 v2, vcc, s0, v2
	v_addc_co_u32_e32 v5, vcc, 0, v4, vcc
	v_add_co_u32_e32 v4, vcc, 4, v2
	v_addc_co_u32_e32 v5, vcc, 0, v5, vcc
	s_lshl_b32 s13, s12, 3
	s_mov_b32 s15, 0xfe5163ab
	s_mov_b32 s16, 0x3c439041
	s_mov_b32 s17, 0xdb629599
	s_mov_b32 s18, 0xf534ddc0
	s_mov_b32 s19, 0xfc2757d1
	s_mov_b32 s20, 0x4e441529
	s_mov_b32 s21, 0xa2f9836e
	s_mov_b32 s22, 0x3fc90fda
	v_mov_b32_e32 v8, 0xbe2aaa9d
	v_mov_b32_e32 v9, 0x3d2aabf7
	;; [unrolled: 1-line block ×3, first 2 shown]
	s_movk_i32 s23, 0x1f8
	v_not_b32_e32 v11, 63
	v_not_b32_e32 v12, 31
	v_mov_b32_e32 v13, 0x7e00
	s_branch .LBB223_41
.LBB223_40:                             ;   in Loop: Header=BB223_41 Depth=1
	s_or_b64 exec, exec, s[0:1]
	v_mul_f32_e32 v21, v18, v18
	v_mov_b32_e32 v22, 0x3c0881c4
	v_fmac_f32_e32 v22, 0xb94c1982, v21
	v_fma_f32 v22, v21, v22, v8
	v_mul_f32_e32 v22, v21, v22
	v_fmac_f32_e32 v18, v18, v22
	v_mov_b32_e32 v22, 0xbab64f3b
	v_fmac_f32_e32 v22, 0x37d75334, v21
	v_fma_f32 v22, v21, v22, v9
	v_fma_f32 v22, v21, v22, v10
	v_fma_f32 v21, v21, v22, 1.0
	v_and_b32_e32 v22, 1, v19
	v_cmp_eq_u32_e32 vcc, 0, v22
	v_lshlrev_b32_e32 v19, 30, v19
	v_cndmask_b32_e64 v18, -v18, v21, vcc
	v_and_b32_e32 v19, 0x80000000, v19
	v_xor_b32_e32 v18, v19, v18
	v_mul_f32_e32 v19, v16, v16
	v_mov_b32_e32 v21, 0x3c0881c4
	v_fmac_f32_e32 v21, 0xb94c1982, v19
	v_fma_f32 v21, v19, v21, v8
	v_mul_f32_e32 v21, v19, v21
	v_fmac_f32_e32 v16, v16, v21
	v_mov_b32_e32 v21, 0xbab64f3b
	v_fmac_f32_e32 v21, 0x37d75334, v19
	v_fma_f32 v21, v19, v21, v9
	v_cvt_f16_f32_e32 v18, v18
	v_fma_f32 v21, v19, v21, v10
	v_fma_f32 v19, v19, v21, 1.0
	v_and_b32_e32 v21, 1, v17
	v_cmp_eq_u32_e32 vcc, 0, v21
	v_lshlrev_b32_e32 v17, 30, v17
	v_cndmask_b32_e64 v16, -v16, v19, vcc
	v_and_b32_e32 v17, 0x80000000, v17
	v_cmp_class_f16_e64 vcc, v7, s23
	v_xor_b32_e32 v16, v17, v16
	v_cndmask_b32_e32 v17, v13, v18, vcc
	v_mul_f32_e32 v18, v14, v14
	v_mov_b32_e32 v19, 0x3c0881c4
	v_fmac_f32_e32 v19, 0xb94c1982, v18
	v_fma_f32 v19, v18, v19, v8
	v_mul_f32_e32 v19, v18, v19
	v_fmac_f32_e32 v14, v14, v19
	v_mov_b32_e32 v19, 0xbab64f3b
	v_fmac_f32_e32 v19, 0x37d75334, v18
	v_fma_f32 v19, v18, v19, v9
	v_fma_f32 v19, v18, v19, v10
	v_cmp_class_f16_sdwa s[0:1], v6, s23 src0_sel:WORD_1 src1_sel:DWORD
	v_fma_f32 v18, v18, v19, 1.0
	v_and_b32_e32 v19, 1, v15
	v_cmp_eq_u32_e32 vcc, 0, v19
	v_lshlrev_b32_e32 v15, 30, v15
	v_cndmask_b32_e64 v14, -v14, v18, vcc
	v_and_b32_e32 v15, 0x80000000, v15
	v_xor_b32_e32 v14, v15, v14
	v_mul_f32_e32 v15, v20, v20
	v_mov_b32_e32 v18, 0x3c0881c4
	v_fmac_f32_e32 v18, 0xb94c1982, v15
	v_fma_f32 v18, v15, v18, v8
	v_mul_f32_e32 v18, v15, v18
	v_fmac_f32_e32 v20, v20, v18
	v_mov_b32_e32 v18, 0xbab64f3b
	v_fmac_f32_e32 v18, 0x37d75334, v15
	v_fma_f32 v18, v15, v18, v9
	v_cvt_f16_f32_e32 v16, v16
	v_cvt_f16_f32_e32 v14, v14
	v_fma_f32 v18, v15, v18, v10
	v_fma_f32 v15, v15, v18, 1.0
	v_and_b32_e32 v18, 1, v2
	v_cmp_eq_u32_e32 vcc, 0, v18
	v_lshlrev_b32_e32 v2, 30, v2
	v_cndmask_b32_e64 v15, -v20, v15, vcc
	v_and_b32_e32 v2, 0x80000000, v2
	v_cmp_class_f16_e64 vcc, v6, s23
	v_cndmask_b32_e64 v16, v13, v16, s[0:1]
	v_xor_b32_e32 v2, v2, v15
	v_cndmask_b32_e32 v6, v13, v14, vcc
	v_cmp_class_f16_sdwa s[0:1], v7, s23 src0_sel:WORD_1 src1_sel:DWORD
	v_cvt_f16_f32_e32 v2, v2
	v_add_co_u32_e32 v0, vcc, s12, v0
	v_addc_co_u32_e32 v1, vcc, 0, v1, vcc
	v_lshlrev_b64 v[14:15], 2, v[0:1]
	v_cndmask_b32_e64 v2, v13, v2, s[0:1]
	v_cmp_le_i64_e32 vcc, s[6:7], v[14:15]
	v_pack_b32_f16 v7, v17, v2
	v_pack_b32_f16 v6, v6, v16
	global_store_dwordx2 v[4:5], v[6:7], off offset:-4
	s_or_b64 s[8:9], vcc, s[8:9]
	v_add_co_u32_e32 v4, vcc, s13, v4
	v_addc_co_u32_e32 v5, vcc, 0, v5, vcc
	s_andn2_b64 exec, exec, s[8:9]
	s_cbranch_execz .LBB223_57
.LBB223_41:                             ; =>This Inner Loop Header: Depth=1
	global_load_dwordx2 v[6:7], v[4:5], off offset:-4
                                        ; implicit-def: $vgpr15
	s_waitcnt vmcnt(0)
	v_cvt_f32_f16_e64 v14, |v6|
	v_cmp_ngt_f32_e32 vcc, s14, v14
	s_and_saveexec_b64 s[0:1], vcc
	s_xor_b64 s[10:11], exec, s[0:1]
	s_cbranch_execz .LBB223_43
; %bb.42:                               ;   in Loop: Header=BB223_41 Depth=1
	v_and_b32_e32 v2, 0x7fffff, v14
	v_or_b32_e32 v22, 0x800000, v2
	v_mad_u64_u32 v[15:16], s[0:1], v22, s15, 0
	v_mov_b32_e32 v2, v16
	v_mad_u64_u32 v[16:17], s[0:1], v22, s16, v[2:3]
	v_mov_b32_e32 v2, v17
	v_mad_u64_u32 v[17:18], s[0:1], v22, s17, v[2:3]
	v_mov_b32_e32 v2, v18
	v_mad_u64_u32 v[18:19], s[0:1], v22, s18, v[2:3]
	v_lshrrev_b32_e32 v2, 23, v14
	v_add_u32_e32 v14, 0xffffff88, v2
	v_mov_b32_e32 v2, v19
	v_mad_u64_u32 v[19:20], s[0:1], v22, s19, v[2:3]
	v_cmp_lt_u32_e32 vcc, 63, v14
	v_cndmask_b32_e32 v2, 0, v11, vcc
	v_add_u32_e32 v14, v2, v14
	v_mov_b32_e32 v2, v20
	v_mad_u64_u32 v[20:21], s[0:1], v22, s20, v[2:3]
	v_cmp_lt_u32_e64 s[0:1], 31, v14
	v_cndmask_b32_e64 v2, 0, v12, s[0:1]
	v_add_u32_e32 v14, v2, v14
	v_mov_b32_e32 v2, v21
	v_mad_u64_u32 v[21:22], s[2:3], v22, s21, v[2:3]
	v_cmp_lt_u32_e64 s[2:3], 31, v14
	v_cndmask_b32_e64 v2, 0, v12, s[2:3]
	v_add_u32_e32 v2, v2, v14
	v_cndmask_b32_e32 v14, v20, v18, vcc
	v_cndmask_b32_e32 v20, v22, v20, vcc
	;; [unrolled: 1-line block ×4, first 2 shown]
	v_cndmask_b32_e64 v22, v21, v14, s[0:1]
	v_cndmask_b32_e64 v20, v20, v21, s[0:1]
	;; [unrolled: 1-line block ×3, first 2 shown]
	v_cndmask_b32_e32 v16, v18, v16, vcc
	v_cndmask_b32_e64 v20, v20, v22, s[2:3]
	v_cndmask_b32_e64 v21, v22, v14, s[2:3]
	v_sub_u32_e32 v22, 32, v2
	v_cndmask_b32_e64 v18, v19, v16, s[0:1]
	v_alignbit_b32 v23, v20, v21, v22
	v_cmp_eq_u32_e64 s[4:5], 0, v2
	v_cndmask_b32_e64 v14, v14, v18, s[2:3]
	v_cndmask_b32_e64 v2, v23, v20, s[4:5]
	v_alignbit_b32 v19, v21, v14, v22
	v_cndmask_b32_e32 v15, v17, v15, vcc
	v_cndmask_b32_e64 v19, v19, v21, s[4:5]
	v_bfe_u32 v23, v2, 29, 1
	v_cndmask_b32_e64 v15, v16, v15, s[0:1]
	v_alignbit_b32 v20, v2, v19, 30
	v_sub_u32_e32 v24, 0, v23
	v_cndmask_b32_e64 v15, v18, v15, s[2:3]
	v_xor_b32_e32 v20, v20, v24
	v_alignbit_b32 v16, v14, v15, v22
	v_cndmask_b32_e64 v14, v16, v14, s[4:5]
	v_ffbh_u32_e32 v17, v20
	v_alignbit_b32 v16, v19, v14, 30
	v_min_u32_e32 v17, 32, v17
	v_alignbit_b32 v14, v14, v15, 30
	v_xor_b32_e32 v16, v16, v24
	v_sub_u32_e32 v18, 31, v17
	v_xor_b32_e32 v14, v14, v24
	v_alignbit_b32 v19, v20, v16, v18
	v_alignbit_b32 v14, v16, v14, v18
	;; [unrolled: 1-line block ×3, first 2 shown]
	v_ffbh_u32_e32 v16, v15
	v_min_u32_e32 v16, 32, v16
	v_lshrrev_b32_e32 v21, 29, v2
	v_not_b32_e32 v18, v16
	v_alignbit_b32 v14, v15, v14, v18
	v_lshlrev_b32_e32 v15, 31, v21
	v_or_b32_e32 v18, 0x33000000, v15
	v_add_lshl_u32 v16, v16, v17, 23
	v_lshrrev_b32_e32 v14, 9, v14
	v_sub_u32_e32 v16, v18, v16
	v_or_b32_e32 v15, 0.5, v15
	v_lshlrev_b32_e32 v17, 23, v17
	v_or_b32_e32 v14, v16, v14
	v_lshrrev_b32_e32 v16, 9, v19
	v_sub_u32_e32 v15, v15, v17
	v_or_b32_e32 v15, v16, v15
	v_mul_f32_e32 v16, 0x3fc90fda, v15
	v_fma_f32 v17, v15, s22, -v16
	v_fmac_f32_e32 v17, 0x33a22168, v15
	v_fmac_f32_e32 v17, 0x3fc90fda, v14
	v_lshrrev_b32_e32 v2, 30, v2
	v_add_f32_e32 v14, v16, v17
	v_add_u32_e32 v15, v23, v2
.LBB223_43:                             ;   in Loop: Header=BB223_41 Depth=1
	s_andn2_saveexec_b64 s[0:1], s[10:11]
; %bb.44:                               ;   in Loop: Header=BB223_41 Depth=1
	v_mul_f32_e32 v2, 0x3f22f983, v14
	v_rndne_f32_e32 v2, v2
	v_cvt_i32_f32_e32 v15, v2
	v_fmac_f32_e32 v14, 0xbfc90fda, v2
	v_fmac_f32_e32 v14, 0xb3a22168, v2
	;; [unrolled: 1-line block ×3, first 2 shown]
; %bb.45:                               ;   in Loop: Header=BB223_41 Depth=1
	s_or_b64 exec, exec, s[0:1]
	v_cvt_f32_f16_sdwa v16, |v6| dst_sel:DWORD dst_unused:UNUSED_PAD src0_sel:WORD_1
                                        ; implicit-def: $vgpr17
	v_cmp_ngt_f32_e32 vcc, s14, v16
	s_and_saveexec_b64 s[0:1], vcc
	s_xor_b64 s[10:11], exec, s[0:1]
	s_cbranch_execz .LBB223_47
; %bb.46:                               ;   in Loop: Header=BB223_41 Depth=1
	v_and_b32_e32 v2, 0x7fffff, v16
	v_or_b32_e32 v24, 0x800000, v2
	v_mad_u64_u32 v[17:18], s[0:1], v24, s15, 0
	v_mov_b32_e32 v2, v18
	v_mad_u64_u32 v[18:19], s[0:1], v24, s16, v[2:3]
	v_mov_b32_e32 v2, v19
	;; [unrolled: 2-line block ×3, first 2 shown]
	v_mad_u64_u32 v[20:21], s[0:1], v24, s18, v[2:3]
	v_lshrrev_b32_e32 v2, 23, v16
	v_add_u32_e32 v16, 0xffffff88, v2
	v_mov_b32_e32 v2, v21
	v_mad_u64_u32 v[21:22], s[0:1], v24, s19, v[2:3]
	v_cmp_lt_u32_e32 vcc, 63, v16
	v_cndmask_b32_e32 v2, 0, v11, vcc
	v_add_u32_e32 v16, v2, v16
	v_mov_b32_e32 v2, v22
	v_mad_u64_u32 v[22:23], s[0:1], v24, s20, v[2:3]
	v_cmp_lt_u32_e64 s[0:1], 31, v16
	v_cndmask_b32_e64 v2, 0, v12, s[0:1]
	v_add_u32_e32 v16, v2, v16
	v_mov_b32_e32 v2, v23
	v_mad_u64_u32 v[23:24], s[2:3], v24, s21, v[2:3]
	v_cmp_lt_u32_e64 s[2:3], 31, v16
	v_cndmask_b32_e64 v2, 0, v12, s[2:3]
	v_add_u32_e32 v2, v2, v16
	v_cndmask_b32_e32 v16, v22, v20, vcc
	v_cndmask_b32_e32 v23, v23, v21, vcc
	;; [unrolled: 1-line block ×4, first 2 shown]
	v_cndmask_b32_e64 v24, v23, v16, s[0:1]
	v_cndmask_b32_e64 v22, v22, v23, s[0:1]
	;; [unrolled: 1-line block ×3, first 2 shown]
	v_cndmask_b32_e32 v18, v20, v18, vcc
	v_cndmask_b32_e64 v22, v22, v24, s[2:3]
	v_cndmask_b32_e64 v23, v24, v16, s[2:3]
	v_sub_u32_e32 v24, 32, v2
	v_cndmask_b32_e64 v20, v21, v18, s[0:1]
	v_alignbit_b32 v25, v22, v23, v24
	v_cmp_eq_u32_e64 s[4:5], 0, v2
	v_cndmask_b32_e64 v16, v16, v20, s[2:3]
	v_cndmask_b32_e64 v2, v25, v22, s[4:5]
	v_alignbit_b32 v21, v23, v16, v24
	v_cndmask_b32_e32 v17, v19, v17, vcc
	v_cndmask_b32_e64 v21, v21, v23, s[4:5]
	v_bfe_u32 v25, v2, 29, 1
	v_cndmask_b32_e64 v17, v18, v17, s[0:1]
	v_alignbit_b32 v22, v2, v21, 30
	v_sub_u32_e32 v26, 0, v25
	v_cndmask_b32_e64 v17, v20, v17, s[2:3]
	v_xor_b32_e32 v22, v22, v26
	v_alignbit_b32 v18, v16, v17, v24
	v_cndmask_b32_e64 v16, v18, v16, s[4:5]
	v_ffbh_u32_e32 v19, v22
	v_alignbit_b32 v18, v21, v16, 30
	v_min_u32_e32 v19, 32, v19
	v_alignbit_b32 v16, v16, v17, 30
	v_xor_b32_e32 v18, v18, v26
	v_sub_u32_e32 v20, 31, v19
	v_xor_b32_e32 v16, v16, v26
	v_alignbit_b32 v21, v22, v18, v20
	v_alignbit_b32 v16, v18, v16, v20
	;; [unrolled: 1-line block ×3, first 2 shown]
	v_ffbh_u32_e32 v18, v17
	v_min_u32_e32 v18, 32, v18
	v_lshrrev_b32_e32 v23, 29, v2
	v_not_b32_e32 v20, v18
	v_alignbit_b32 v16, v17, v16, v20
	v_lshlrev_b32_e32 v17, 31, v23
	v_or_b32_e32 v20, 0x33000000, v17
	v_add_lshl_u32 v18, v18, v19, 23
	v_lshrrev_b32_e32 v16, 9, v16
	v_sub_u32_e32 v18, v20, v18
	v_or_b32_e32 v17, 0.5, v17
	v_lshlrev_b32_e32 v19, 23, v19
	v_or_b32_e32 v16, v18, v16
	v_lshrrev_b32_e32 v18, 9, v21
	v_sub_u32_e32 v17, v17, v19
	v_or_b32_e32 v17, v18, v17
	v_mul_f32_e32 v18, 0x3fc90fda, v17
	v_fma_f32 v19, v17, s22, -v18
	v_fmac_f32_e32 v19, 0x33a22168, v17
	v_fmac_f32_e32 v19, 0x3fc90fda, v16
	v_lshrrev_b32_e32 v2, 30, v2
	v_add_f32_e32 v16, v18, v19
	v_add_u32_e32 v17, v25, v2
.LBB223_47:                             ;   in Loop: Header=BB223_41 Depth=1
	s_andn2_saveexec_b64 s[0:1], s[10:11]
; %bb.48:                               ;   in Loop: Header=BB223_41 Depth=1
	v_mul_f32_e32 v2, 0x3f22f983, v16
	v_rndne_f32_e32 v2, v2
	v_cvt_i32_f32_e32 v17, v2
	v_fmac_f32_e32 v16, 0xbfc90fda, v2
	v_fmac_f32_e32 v16, 0xb3a22168, v2
	;; [unrolled: 1-line block ×3, first 2 shown]
; %bb.49:                               ;   in Loop: Header=BB223_41 Depth=1
	s_or_b64 exec, exec, s[0:1]
	v_cvt_f32_f16_e64 v18, |v7|
                                        ; implicit-def: $vgpr19
	v_cmp_ngt_f32_e32 vcc, s14, v18
	s_and_saveexec_b64 s[0:1], vcc
	s_xor_b64 s[10:11], exec, s[0:1]
	s_cbranch_execz .LBB223_51
; %bb.50:                               ;   in Loop: Header=BB223_41 Depth=1
	v_and_b32_e32 v2, 0x7fffff, v18
	v_or_b32_e32 v26, 0x800000, v2
	v_mad_u64_u32 v[19:20], s[0:1], v26, s15, 0
	v_mov_b32_e32 v2, v20
	v_mad_u64_u32 v[20:21], s[0:1], v26, s16, v[2:3]
	v_mov_b32_e32 v2, v21
	;; [unrolled: 2-line block ×3, first 2 shown]
	v_mad_u64_u32 v[22:23], s[0:1], v26, s18, v[2:3]
	v_lshrrev_b32_e32 v2, 23, v18
	v_add_u32_e32 v18, 0xffffff88, v2
	v_mov_b32_e32 v2, v23
	v_mad_u64_u32 v[23:24], s[0:1], v26, s19, v[2:3]
	v_cmp_lt_u32_e32 vcc, 63, v18
	v_cndmask_b32_e32 v2, 0, v11, vcc
	v_add_u32_e32 v18, v2, v18
	v_mov_b32_e32 v2, v24
	v_mad_u64_u32 v[24:25], s[0:1], v26, s20, v[2:3]
	v_cmp_lt_u32_e64 s[0:1], 31, v18
	v_cndmask_b32_e64 v2, 0, v12, s[0:1]
	v_add_u32_e32 v18, v2, v18
	v_mov_b32_e32 v2, v25
	v_mad_u64_u32 v[25:26], s[2:3], v26, s21, v[2:3]
	v_cmp_lt_u32_e64 s[2:3], 31, v18
	v_cndmask_b32_e64 v2, 0, v12, s[2:3]
	v_add_u32_e32 v2, v2, v18
	v_cndmask_b32_e32 v18, v24, v22, vcc
	v_cndmask_b32_e32 v25, v25, v23, vcc
	;; [unrolled: 1-line block ×4, first 2 shown]
	v_cndmask_b32_e64 v26, v25, v18, s[0:1]
	v_cndmask_b32_e64 v24, v24, v25, s[0:1]
	;; [unrolled: 1-line block ×3, first 2 shown]
	v_cndmask_b32_e32 v20, v22, v20, vcc
	v_cndmask_b32_e64 v24, v24, v26, s[2:3]
	v_cndmask_b32_e64 v25, v26, v18, s[2:3]
	v_sub_u32_e32 v26, 32, v2
	v_cndmask_b32_e64 v22, v23, v20, s[0:1]
	v_alignbit_b32 v27, v24, v25, v26
	v_cmp_eq_u32_e64 s[4:5], 0, v2
	v_cndmask_b32_e64 v18, v18, v22, s[2:3]
	v_cndmask_b32_e64 v2, v27, v24, s[4:5]
	v_alignbit_b32 v23, v25, v18, v26
	v_cndmask_b32_e32 v19, v21, v19, vcc
	v_cndmask_b32_e64 v23, v23, v25, s[4:5]
	v_bfe_u32 v27, v2, 29, 1
	v_cndmask_b32_e64 v19, v20, v19, s[0:1]
	v_alignbit_b32 v24, v2, v23, 30
	v_sub_u32_e32 v28, 0, v27
	v_cndmask_b32_e64 v19, v22, v19, s[2:3]
	v_xor_b32_e32 v24, v24, v28
	v_alignbit_b32 v20, v18, v19, v26
	v_cndmask_b32_e64 v18, v20, v18, s[4:5]
	v_ffbh_u32_e32 v21, v24
	v_alignbit_b32 v20, v23, v18, 30
	v_min_u32_e32 v21, 32, v21
	v_alignbit_b32 v18, v18, v19, 30
	v_xor_b32_e32 v20, v20, v28
	v_sub_u32_e32 v22, 31, v21
	v_xor_b32_e32 v18, v18, v28
	v_alignbit_b32 v23, v24, v20, v22
	v_alignbit_b32 v18, v20, v18, v22
	;; [unrolled: 1-line block ×3, first 2 shown]
	v_ffbh_u32_e32 v20, v19
	v_min_u32_e32 v20, 32, v20
	v_lshrrev_b32_e32 v25, 29, v2
	v_not_b32_e32 v22, v20
	v_alignbit_b32 v18, v19, v18, v22
	v_lshlrev_b32_e32 v19, 31, v25
	v_or_b32_e32 v22, 0x33000000, v19
	v_add_lshl_u32 v20, v20, v21, 23
	v_lshrrev_b32_e32 v18, 9, v18
	v_sub_u32_e32 v20, v22, v20
	v_or_b32_e32 v19, 0.5, v19
	v_lshlrev_b32_e32 v21, 23, v21
	v_or_b32_e32 v18, v20, v18
	v_lshrrev_b32_e32 v20, 9, v23
	v_sub_u32_e32 v19, v19, v21
	v_or_b32_e32 v19, v20, v19
	v_mul_f32_e32 v20, 0x3fc90fda, v19
	v_fma_f32 v21, v19, s22, -v20
	v_fmac_f32_e32 v21, 0x33a22168, v19
	v_fmac_f32_e32 v21, 0x3fc90fda, v18
	v_lshrrev_b32_e32 v2, 30, v2
	v_add_f32_e32 v18, v20, v21
	v_add_u32_e32 v19, v27, v2
.LBB223_51:                             ;   in Loop: Header=BB223_41 Depth=1
	s_andn2_saveexec_b64 s[0:1], s[10:11]
; %bb.52:                               ;   in Loop: Header=BB223_41 Depth=1
	v_mul_f32_e32 v2, 0x3f22f983, v18
	v_rndne_f32_e32 v2, v2
	v_cvt_i32_f32_e32 v19, v2
	v_fmac_f32_e32 v18, 0xbfc90fda, v2
	v_fmac_f32_e32 v18, 0xb3a22168, v2
	;; [unrolled: 1-line block ×3, first 2 shown]
; %bb.53:                               ;   in Loop: Header=BB223_41 Depth=1
	s_or_b64 exec, exec, s[0:1]
	v_cvt_f32_f16_sdwa v20, |v7| dst_sel:DWORD dst_unused:UNUSED_PAD src0_sel:WORD_1
                                        ; implicit-def: $vgpr2
	v_cmp_ngt_f32_e32 vcc, s14, v20
	s_and_saveexec_b64 s[0:1], vcc
	s_xor_b64 s[10:11], exec, s[0:1]
	s_cbranch_execz .LBB223_55
; %bb.54:                               ;   in Loop: Header=BB223_41 Depth=1
	v_and_b32_e32 v2, 0x7fffff, v20
	v_or_b32_e32 v28, 0x800000, v2
	v_mad_u64_u32 v[21:22], s[0:1], v28, s15, 0
	v_mov_b32_e32 v2, v22
	v_mad_u64_u32 v[22:23], s[0:1], v28, s16, v[2:3]
	v_mov_b32_e32 v2, v23
	;; [unrolled: 2-line block ×3, first 2 shown]
	v_mad_u64_u32 v[24:25], s[0:1], v28, s18, v[2:3]
	v_lshrrev_b32_e32 v2, 23, v20
	v_add_u32_e32 v20, 0xffffff88, v2
	v_mov_b32_e32 v2, v25
	v_mad_u64_u32 v[25:26], s[0:1], v28, s19, v[2:3]
	v_cmp_lt_u32_e32 vcc, 63, v20
	v_cndmask_b32_e32 v2, 0, v11, vcc
	v_add_u32_e32 v20, v2, v20
	v_mov_b32_e32 v2, v26
	v_mad_u64_u32 v[26:27], s[0:1], v28, s20, v[2:3]
	v_cmp_lt_u32_e64 s[0:1], 31, v20
	v_cndmask_b32_e64 v2, 0, v12, s[0:1]
	v_add_u32_e32 v20, v2, v20
	v_mov_b32_e32 v2, v27
	v_mad_u64_u32 v[27:28], s[2:3], v28, s21, v[2:3]
	v_cmp_lt_u32_e64 s[2:3], 31, v20
	v_cndmask_b32_e64 v2, 0, v12, s[2:3]
	v_add_u32_e32 v2, v2, v20
	v_cndmask_b32_e32 v20, v26, v24, vcc
	v_cndmask_b32_e32 v27, v27, v25, vcc
	;; [unrolled: 1-line block ×4, first 2 shown]
	v_cndmask_b32_e64 v28, v27, v20, s[0:1]
	v_cndmask_b32_e64 v26, v26, v27, s[0:1]
	;; [unrolled: 1-line block ×3, first 2 shown]
	v_cndmask_b32_e32 v22, v24, v22, vcc
	v_cndmask_b32_e64 v26, v26, v28, s[2:3]
	v_cndmask_b32_e64 v27, v28, v20, s[2:3]
	v_sub_u32_e32 v28, 32, v2
	v_cndmask_b32_e64 v24, v25, v22, s[0:1]
	v_alignbit_b32 v29, v26, v27, v28
	v_cmp_eq_u32_e64 s[4:5], 0, v2
	v_cndmask_b32_e64 v20, v20, v24, s[2:3]
	v_cndmask_b32_e64 v2, v29, v26, s[4:5]
	v_alignbit_b32 v25, v27, v20, v28
	v_cndmask_b32_e32 v21, v23, v21, vcc
	v_cndmask_b32_e64 v25, v25, v27, s[4:5]
	v_bfe_u32 v29, v2, 29, 1
	v_cndmask_b32_e64 v21, v22, v21, s[0:1]
	v_alignbit_b32 v26, v2, v25, 30
	v_sub_u32_e32 v30, 0, v29
	v_cndmask_b32_e64 v21, v24, v21, s[2:3]
	v_xor_b32_e32 v26, v26, v30
	v_alignbit_b32 v22, v20, v21, v28
	v_cndmask_b32_e64 v20, v22, v20, s[4:5]
	v_ffbh_u32_e32 v23, v26
	v_alignbit_b32 v22, v25, v20, 30
	v_min_u32_e32 v23, 32, v23
	v_alignbit_b32 v20, v20, v21, 30
	v_xor_b32_e32 v22, v22, v30
	v_sub_u32_e32 v24, 31, v23
	v_xor_b32_e32 v20, v20, v30
	v_alignbit_b32 v25, v26, v22, v24
	v_alignbit_b32 v20, v22, v20, v24
	;; [unrolled: 1-line block ×3, first 2 shown]
	v_ffbh_u32_e32 v22, v21
	v_min_u32_e32 v22, 32, v22
	v_lshrrev_b32_e32 v27, 29, v2
	v_not_b32_e32 v24, v22
	v_alignbit_b32 v20, v21, v20, v24
	v_lshlrev_b32_e32 v21, 31, v27
	v_or_b32_e32 v24, 0x33000000, v21
	v_add_lshl_u32 v22, v22, v23, 23
	v_lshrrev_b32_e32 v20, 9, v20
	v_sub_u32_e32 v22, v24, v22
	v_or_b32_e32 v21, 0.5, v21
	v_lshlrev_b32_e32 v23, 23, v23
	v_or_b32_e32 v20, v22, v20
	v_lshrrev_b32_e32 v22, 9, v25
	v_sub_u32_e32 v21, v21, v23
	v_or_b32_e32 v21, v22, v21
	v_mul_f32_e32 v22, 0x3fc90fda, v21
	v_fma_f32 v23, v21, s22, -v22
	v_fmac_f32_e32 v23, 0x33a22168, v21
	v_fmac_f32_e32 v23, 0x3fc90fda, v20
	v_lshrrev_b32_e32 v2, 30, v2
	v_add_f32_e32 v20, v22, v23
	v_add_u32_e32 v2, v29, v2
.LBB223_55:                             ;   in Loop: Header=BB223_41 Depth=1
	s_andn2_saveexec_b64 s[0:1], s[10:11]
	s_cbranch_execz .LBB223_40
; %bb.56:                               ;   in Loop: Header=BB223_41 Depth=1
	v_mul_f32_e32 v2, 0x3f22f983, v20
	v_rndne_f32_e32 v21, v2
	v_cvt_i32_f32_e32 v2, v21
	v_fmac_f32_e32 v20, 0xbfc90fda, v21
	v_fmac_f32_e32 v20, 0xb3a22168, v21
	;; [unrolled: 1-line block ×3, first 2 shown]
	s_branch .LBB223_40
.LBB223_57:
	s_endpgm
	.section	.rodata,"a",@progbits
	.p2align	6, 0x0
	.amdhsa_kernel _ZN2at6native12_GLOBAL__N_125multi_tensor_apply_kernelINS1_18TensorListMetadataILi1EEENS1_14UnaryOpFunctorIN3c104HalfELi1ELi1ELi0EEEJNS0_3CosIfEEEEEvT_T0_DpT1_
		.amdhsa_group_segment_fixed_size 0
		.amdhsa_private_segment_fixed_size 0
		.amdhsa_kernarg_size 3632
		.amdhsa_user_sgpr_count 6
		.amdhsa_user_sgpr_private_segment_buffer 1
		.amdhsa_user_sgpr_dispatch_ptr 0
		.amdhsa_user_sgpr_queue_ptr 0
		.amdhsa_user_sgpr_kernarg_segment_ptr 1
		.amdhsa_user_sgpr_dispatch_id 0
		.amdhsa_user_sgpr_flat_scratch_init 0
		.amdhsa_user_sgpr_private_segment_size 0
		.amdhsa_uses_dynamic_stack 0
		.amdhsa_system_sgpr_private_segment_wavefront_offset 0
		.amdhsa_system_sgpr_workgroup_id_x 1
		.amdhsa_system_sgpr_workgroup_id_y 0
		.amdhsa_system_sgpr_workgroup_id_z 0
		.amdhsa_system_sgpr_workgroup_info 0
		.amdhsa_system_vgpr_workitem_id 0
		.amdhsa_next_free_vgpr 40
		.amdhsa_next_free_sgpr 44
		.amdhsa_reserve_vcc 1
		.amdhsa_reserve_flat_scratch 0
		.amdhsa_float_round_mode_32 0
		.amdhsa_float_round_mode_16_64 0
		.amdhsa_float_denorm_mode_32 3
		.amdhsa_float_denorm_mode_16_64 3
		.amdhsa_dx10_clamp 1
		.amdhsa_ieee_mode 1
		.amdhsa_fp16_overflow 0
		.amdhsa_exception_fp_ieee_invalid_op 0
		.amdhsa_exception_fp_denorm_src 0
		.amdhsa_exception_fp_ieee_div_zero 0
		.amdhsa_exception_fp_ieee_overflow 0
		.amdhsa_exception_fp_ieee_underflow 0
		.amdhsa_exception_fp_ieee_inexact 0
		.amdhsa_exception_int_div_zero 0
	.end_amdhsa_kernel
	.section	.text._ZN2at6native12_GLOBAL__N_125multi_tensor_apply_kernelINS1_18TensorListMetadataILi1EEENS1_14UnaryOpFunctorIN3c104HalfELi1ELi1ELi0EEEJNS0_3CosIfEEEEEvT_T0_DpT1_,"axG",@progbits,_ZN2at6native12_GLOBAL__N_125multi_tensor_apply_kernelINS1_18TensorListMetadataILi1EEENS1_14UnaryOpFunctorIN3c104HalfELi1ELi1ELi0EEEJNS0_3CosIfEEEEEvT_T0_DpT1_,comdat
.Lfunc_end223:
	.size	_ZN2at6native12_GLOBAL__N_125multi_tensor_apply_kernelINS1_18TensorListMetadataILi1EEENS1_14UnaryOpFunctorIN3c104HalfELi1ELi1ELi0EEEJNS0_3CosIfEEEEEvT_T0_DpT1_, .Lfunc_end223-_ZN2at6native12_GLOBAL__N_125multi_tensor_apply_kernelINS1_18TensorListMetadataILi1EEENS1_14UnaryOpFunctorIN3c104HalfELi1ELi1ELi0EEEJNS0_3CosIfEEEEEvT_T0_DpT1_
                                        ; -- End function
	.set _ZN2at6native12_GLOBAL__N_125multi_tensor_apply_kernelINS1_18TensorListMetadataILi1EEENS1_14UnaryOpFunctorIN3c104HalfELi1ELi1ELi0EEEJNS0_3CosIfEEEEEvT_T0_DpT1_.num_vgpr, 40
	.set _ZN2at6native12_GLOBAL__N_125multi_tensor_apply_kernelINS1_18TensorListMetadataILi1EEENS1_14UnaryOpFunctorIN3c104HalfELi1ELi1ELi0EEEJNS0_3CosIfEEEEEvT_T0_DpT1_.num_agpr, 0
	.set _ZN2at6native12_GLOBAL__N_125multi_tensor_apply_kernelINS1_18TensorListMetadataILi1EEENS1_14UnaryOpFunctorIN3c104HalfELi1ELi1ELi0EEEJNS0_3CosIfEEEEEvT_T0_DpT1_.numbered_sgpr, 44
	.set _ZN2at6native12_GLOBAL__N_125multi_tensor_apply_kernelINS1_18TensorListMetadataILi1EEENS1_14UnaryOpFunctorIN3c104HalfELi1ELi1ELi0EEEJNS0_3CosIfEEEEEvT_T0_DpT1_.num_named_barrier, 0
	.set _ZN2at6native12_GLOBAL__N_125multi_tensor_apply_kernelINS1_18TensorListMetadataILi1EEENS1_14UnaryOpFunctorIN3c104HalfELi1ELi1ELi0EEEJNS0_3CosIfEEEEEvT_T0_DpT1_.private_seg_size, 0
	.set _ZN2at6native12_GLOBAL__N_125multi_tensor_apply_kernelINS1_18TensorListMetadataILi1EEENS1_14UnaryOpFunctorIN3c104HalfELi1ELi1ELi0EEEJNS0_3CosIfEEEEEvT_T0_DpT1_.uses_vcc, 1
	.set _ZN2at6native12_GLOBAL__N_125multi_tensor_apply_kernelINS1_18TensorListMetadataILi1EEENS1_14UnaryOpFunctorIN3c104HalfELi1ELi1ELi0EEEJNS0_3CosIfEEEEEvT_T0_DpT1_.uses_flat_scratch, 0
	.set _ZN2at6native12_GLOBAL__N_125multi_tensor_apply_kernelINS1_18TensorListMetadataILi1EEENS1_14UnaryOpFunctorIN3c104HalfELi1ELi1ELi0EEEJNS0_3CosIfEEEEEvT_T0_DpT1_.has_dyn_sized_stack, 0
	.set _ZN2at6native12_GLOBAL__N_125multi_tensor_apply_kernelINS1_18TensorListMetadataILi1EEENS1_14UnaryOpFunctorIN3c104HalfELi1ELi1ELi0EEEJNS0_3CosIfEEEEEvT_T0_DpT1_.has_recursion, 0
	.set _ZN2at6native12_GLOBAL__N_125multi_tensor_apply_kernelINS1_18TensorListMetadataILi1EEENS1_14UnaryOpFunctorIN3c104HalfELi1ELi1ELi0EEEJNS0_3CosIfEEEEEvT_T0_DpT1_.has_indirect_call, 0
	.section	.AMDGPU.csdata,"",@progbits
; Kernel info:
; codeLenInByte = 7116
; TotalNumSgprs: 48
; NumVgprs: 40
; ScratchSize: 0
; MemoryBound: 0
; FloatMode: 240
; IeeeMode: 1
; LDSByteSize: 0 bytes/workgroup (compile time only)
; SGPRBlocks: 5
; VGPRBlocks: 9
; NumSGPRsForWavesPerEU: 48
; NumVGPRsForWavesPerEU: 40
; Occupancy: 6
; WaveLimiterHint : 0
; COMPUTE_PGM_RSRC2:SCRATCH_EN: 0
; COMPUTE_PGM_RSRC2:USER_SGPR: 6
; COMPUTE_PGM_RSRC2:TRAP_HANDLER: 0
; COMPUTE_PGM_RSRC2:TGID_X_EN: 1
; COMPUTE_PGM_RSRC2:TGID_Y_EN: 0
; COMPUTE_PGM_RSRC2:TGID_Z_EN: 0
; COMPUTE_PGM_RSRC2:TIDIG_COMP_CNT: 0
	.section	.text._ZN2at6native12_GLOBAL__N_125multi_tensor_apply_kernelINS1_18TensorListMetadataILi1EEENS1_14UnaryOpFunctorIN3c108BFloat16ELi1ELi1ELi0EEEJNS0_3CosIfEEEEEvT_T0_DpT1_,"axG",@progbits,_ZN2at6native12_GLOBAL__N_125multi_tensor_apply_kernelINS1_18TensorListMetadataILi1EEENS1_14UnaryOpFunctorIN3c108BFloat16ELi1ELi1ELi0EEEJNS0_3CosIfEEEEEvT_T0_DpT1_,comdat
	.globl	_ZN2at6native12_GLOBAL__N_125multi_tensor_apply_kernelINS1_18TensorListMetadataILi1EEENS1_14UnaryOpFunctorIN3c108BFloat16ELi1ELi1ELi0EEEJNS0_3CosIfEEEEEvT_T0_DpT1_ ; -- Begin function _ZN2at6native12_GLOBAL__N_125multi_tensor_apply_kernelINS1_18TensorListMetadataILi1EEENS1_14UnaryOpFunctorIN3c108BFloat16ELi1ELi1ELi0EEEJNS0_3CosIfEEEEEvT_T0_DpT1_
	.p2align	8
	.type	_ZN2at6native12_GLOBAL__N_125multi_tensor_apply_kernelINS1_18TensorListMetadataILi1EEENS1_14UnaryOpFunctorIN3c108BFloat16ELi1ELi1ELi0EEEJNS0_3CosIfEEEEEvT_T0_DpT1_,@function
_ZN2at6native12_GLOBAL__N_125multi_tensor_apply_kernelINS1_18TensorListMetadataILi1EEENS1_14UnaryOpFunctorIN3c108BFloat16ELi1ELi1ELi0EEEJNS0_3CosIfEEEEEvT_T0_DpT1_: ; @_ZN2at6native12_GLOBAL__N_125multi_tensor_apply_kernelINS1_18TensorListMetadataILi1EEENS1_14UnaryOpFunctorIN3c108BFloat16ELi1ELi1ELi0EEEJNS0_3CosIfEEEEEvT_T0_DpT1_
; %bb.0:
	v_mov_b32_e32 v1, s6
	global_load_ubyte v1, v1, s[4:5] offset:1760
	s_add_u32 s0, s4, s6
	s_mul_hi_u32 s1, s6, 3
	s_mul_i32 s6, s6, 3
	s_addc_u32 s2, s5, 0
	s_add_u32 s0, s0, s6
	s_addc_u32 s1, s2, s1
	s_load_dword s0, s[0:1], 0x820
	s_mov_b32 s7, 0
	s_waitcnt vmcnt(0)
	v_readfirstlane_b32 s1, v1
	s_lshl_b32 s1, s1, 3
	s_load_dwordx2 s[2:3], s[4:5], s1 offset:0x370
	s_load_dwordx2 s[16:17], s[4:5], s1 offset:0x0
	s_waitcnt lgkmcnt(0)
	s_ashr_i32 s1, s0, 31
	s_lshl_b64 s[18:19], s[0:1], 17
	s_lshl_b64 s[0:1], s[0:1], 16
	s_and_b32 s6, s16, 7
	s_sub_u32 s20, s2, s0
	s_subb_u32 s21, s3, s1
	s_and_b32 s0, s2, 3
	s_mov_b32 s1, s7
	s_or_b64 s[0:1], s[6:7], s[0:1]
	s_cmp_eq_u64 s[0:1], 0
	s_cbranch_scc1 .LBB224_37
; %bb.1:
	v_cmp_lt_i64_e64 s[0:1], s[20:21], 1
	s_and_b64 vcc, exec, s[0:1]
	s_cbranch_vccnz .LBB224_36
; %bb.2:
	v_mov_b32_e32 v3, 0x10000
	s_load_dword s2, s[4:5], 0xd3c
	v_mov_b32_e32 v4, 0
	v_cmp_lt_i64_e32 vcc, s[20:21], v[3:4]
	v_lshlrev_b32_e32 v1, 1, v0
	s_and_b64 s[0:1], vcc, exec
	v_cmp_lt_u64_e32 vcc, s[20:21], v[3:4]
	s_cselect_b32 s23, s21, 0
	s_cselect_b32 s22, s20, 0x10000
	s_waitcnt lgkmcnt(0)
	s_and_b32 s2, s2, 0xffff
	s_and_b64 s[0:1], vcc, exec
	s_cselect_b32 s25, s21, 0
	s_cselect_b32 s24, s20, 0x10000
	s_lshl_b32 s3, s2, 1
	s_lshl_b32 s30, s2, 2
	s_add_u32 s6, s16, s18
	s_addc_u32 s7, s17, s19
	v_mov_b32_e32 v4, s7
	v_add_co_u32_e32 v3, vcc, s6, v1
	s_mul_i32 s0, s2, 3
	v_addc_co_u32_e32 v4, vcc, 0, v4, vcc
	v_add_co_u32_e32 v7, vcc, s0, v0
	v_addc_co_u32_e64 v8, s[0:1], 0, 0, vcc
	v_add_co_u32_e32 v9, vcc, s3, v0
	v_addc_co_u32_e64 v10, s[0:1], 0, 0, vcc
	v_add_co_u32_e32 v11, vcc, s2, v0
	v_lshlrev_b32_e32 v1, 1, v11
	v_addc_co_u32_e64 v12, s[0:1], 0, 0, vcc
	v_mov_b32_e32 v6, s7
	v_add_co_u32_e32 v5, vcc, s6, v1
	v_mov_b32_e32 v2, 0
	s_lshl_b32 s31, s2, 3
	s_mul_i32 s33, s2, 6
	v_addc_co_u32_e32 v6, vcc, 0, v6, vcc
	s_mov_b64 s[26:27], 0
	s_brev_b32 s34, 18
	s_mov_b32 s35, 0xfe5163ab
	s_mov_b32 s36, 0x3c439041
	;; [unrolled: 1-line block ×8, first 2 shown]
	v_mov_b32_e32 v13, 0xbe2aaa9d
	v_mov_b32_e32 v14, 0x3d2aabf7
	;; [unrolled: 1-line block ×3, first 2 shown]
	s_mov_b32 s43, 0x7f800000
	s_movk_i32 s44, 0x7fff
	v_not_b32_e32 v16, 63
	v_not_b32_e32 v17, 31
	v_mov_b32_e32 v18, 0x7fc00000
	v_mov_b32_e32 v19, 0x7fc0
	s_branch .LBB224_4
.LBB224_3:                              ;   in Loop: Header=BB224_4 Depth=1
	s_or_b64 exec, exec, s[2:3]
	s_add_u32 s26, s26, s30
	v_add_co_u32_e32 v3, vcc, s31, v3
	v_mov_b32_e32 v20, s22
	s_addc_u32 s27, s27, 0
	v_addc_co_u32_e32 v4, vcc, 0, v4, vcc
	v_mov_b32_e32 v21, s23
	v_cmp_ge_i64_e32 vcc, s[26:27], v[20:21]
	v_add_co_u32_e64 v5, s[0:1], s31, v5
	v_addc_co_u32_e64 v6, s[0:1], 0, v6, s[0:1]
	s_cbranch_vccnz .LBB224_36
.LBB224_4:                              ; =>This Inner Loop Header: Depth=1
	v_mov_b32_e32 v1, s27
	v_add_co_u32_e32 v20, vcc, s26, v0
	v_addc_co_u32_e32 v21, vcc, 0, v1, vcc
	v_cmp_gt_u64_e32 vcc, s[24:25], v[20:21]
	v_mov_b32_e32 v23, 0
	s_and_saveexec_b64 s[0:1], vcc
	s_cbranch_execz .LBB224_6
; %bb.5:                                ;   in Loop: Header=BB224_4 Depth=1
	global_load_ushort v1, v[3:4], off
	s_waitcnt vmcnt(0)
	v_lshlrev_b32_e32 v1, 16, v1
	v_and_b32_e32 v23, 0x7fffffff, v1
.LBB224_6:                              ;   in Loop: Header=BB224_4 Depth=1
	s_or_b64 exec, exec, s[0:1]
	v_mov_b32_e32 v1, s27
	v_add_co_u32_e64 v20, s[0:1], s26, v11
	v_addc_co_u32_e64 v21, s[0:1], v12, v1, s[0:1]
	v_cmp_gt_u64_e64 s[6:7], s[24:25], v[20:21]
	v_mov_b32_e32 v20, 0
	v_mov_b32_e32 v22, 0
	s_and_saveexec_b64 s[0:1], s[6:7]
	s_cbranch_execz .LBB224_8
; %bb.7:                                ;   in Loop: Header=BB224_4 Depth=1
	global_load_ushort v1, v[5:6], off
	s_waitcnt vmcnt(0)
	v_lshlrev_b32_e32 v1, 16, v1
	v_and_b32_e32 v22, 0x7fffffff, v1
.LBB224_8:                              ;   in Loop: Header=BB224_4 Depth=1
	s_or_b64 exec, exec, s[0:1]
	v_mov_b32_e32 v1, s27
	v_add_co_u32_e64 v24, s[0:1], s26, v9
	v_addc_co_u32_e64 v25, s[0:1], v10, v1, s[0:1]
	v_cmp_gt_u64_e64 s[2:3], s[24:25], v[24:25]
	s_and_saveexec_b64 s[8:9], s[2:3]
	s_cbranch_execz .LBB224_10
; %bb.9:                                ;   in Loop: Header=BB224_4 Depth=1
	v_add_co_u32_e64 v20, s[0:1], s30, v3
	v_addc_co_u32_e64 v21, s[0:1], 0, v4, s[0:1]
	global_load_ushort v1, v[20:21], off
	s_waitcnt vmcnt(0)
	v_lshlrev_b32_e32 v1, 16, v1
	v_and_b32_e32 v20, 0x7fffffff, v1
.LBB224_10:                             ;   in Loop: Header=BB224_4 Depth=1
	s_or_b64 exec, exec, s[8:9]
	v_mov_b32_e32 v1, s27
	v_add_co_u32_e64 v24, s[0:1], s26, v7
	v_addc_co_u32_e64 v25, s[0:1], v8, v1, s[0:1]
	v_cmp_gt_u64_e64 s[0:1], s[24:25], v[24:25]
	v_mov_b32_e32 v21, 0
	s_and_saveexec_b64 s[10:11], s[0:1]
	s_cbranch_execz .LBB224_12
; %bb.11:                               ;   in Loop: Header=BB224_4 Depth=1
	v_add_co_u32_e64 v24, s[8:9], s33, v3
	v_addc_co_u32_e64 v25, s[8:9], 0, v4, s[8:9]
	global_load_ushort v1, v[24:25], off
	s_waitcnt vmcnt(0)
	v_lshlrev_b32_e32 v1, 16, v1
	v_and_b32_e32 v21, 0x7fffffff, v1
.LBB224_12:                             ;   in Loop: Header=BB224_4 Depth=1
	s_or_b64 exec, exec, s[10:11]
	v_cmp_ngt_f32_e64 s[8:9], s34, v23
                                        ; implicit-def: $vgpr25
                                        ; implicit-def: $vgpr24
	s_and_saveexec_b64 s[10:11], s[8:9]
	s_xor_b64 s[28:29], exec, s[10:11]
	s_cbranch_execz .LBB224_14
; %bb.13:                               ;   in Loop: Header=BB224_4 Depth=1
	v_and_b32_e32 v1, 0x7fffff, v23
	v_or_b32_e32 v31, 0x800000, v1
	v_mad_u64_u32 v[24:25], s[8:9], v31, s35, 0
	v_mov_b32_e32 v1, v25
	v_mad_u64_u32 v[25:26], s[8:9], v31, s36, v[1:2]
	v_mov_b32_e32 v1, v26
	;; [unrolled: 2-line block ×3, first 2 shown]
	v_mad_u64_u32 v[27:28], s[8:9], v31, s38, v[1:2]
	v_lshrrev_b32_e32 v1, 23, v23
	v_add_u32_e32 v30, 0xffffff88, v1
	v_mov_b32_e32 v1, v28
	v_mad_u64_u32 v[28:29], s[8:9], v31, s39, v[1:2]
	v_cmp_lt_u32_e64 s[8:9], 63, v30
	v_cndmask_b32_e64 v1, 0, v16, s[8:9]
	v_add_u32_e32 v32, v1, v30
	v_mov_b32_e32 v1, v29
	v_mad_u64_u32 v[29:30], s[10:11], v31, s40, v[1:2]
	v_cmp_lt_u32_e64 s[10:11], 31, v32
	v_cndmask_b32_e64 v1, 0, v17, s[10:11]
	;; [unrolled: 5-line block ×3, first 2 shown]
	v_add_u32_e32 v1, v1, v32
	v_cndmask_b32_e64 v32, v29, v27, s[8:9]
	v_cndmask_b32_e64 v30, v30, v28, s[8:9]
	;; [unrolled: 1-line block ×10, first 2 shown]
	v_sub_u32_e32 v32, 32, v1
	v_cndmask_b32_e64 v27, v28, v25, s[10:11]
	v_alignbit_b32 v33, v29, v31, v32
	v_cmp_eq_u32_e64 s[14:15], 0, v1
	v_cndmask_b32_e64 v28, v30, v27, s[12:13]
	v_cndmask_b32_e64 v1, v33, v29, s[14:15]
	v_alignbit_b32 v29, v31, v28, v32
	v_cndmask_b32_e64 v24, v26, v24, s[8:9]
	v_cndmask_b32_e64 v29, v29, v31, s[14:15]
	v_bfe_u32 v33, v1, 29, 1
	v_cndmask_b32_e64 v24, v25, v24, s[10:11]
	v_alignbit_b32 v30, v1, v29, 30
	v_sub_u32_e32 v34, 0, v33
	v_cndmask_b32_e64 v24, v27, v24, s[12:13]
	v_xor_b32_e32 v30, v30, v34
	v_alignbit_b32 v25, v28, v24, v32
	v_cndmask_b32_e64 v25, v25, v28, s[14:15]
	v_ffbh_u32_e32 v27, v30
	v_alignbit_b32 v26, v29, v25, 30
	v_min_u32_e32 v27, 32, v27
	v_alignbit_b32 v24, v25, v24, 30
	v_xor_b32_e32 v26, v26, v34
	v_sub_u32_e32 v28, 31, v27
	v_xor_b32_e32 v24, v24, v34
	v_alignbit_b32 v29, v30, v26, v28
	v_alignbit_b32 v24, v26, v24, v28
	;; [unrolled: 1-line block ×3, first 2 shown]
	v_ffbh_u32_e32 v26, v25
	v_min_u32_e32 v26, 32, v26
	v_lshrrev_b32_e32 v31, 29, v1
	v_not_b32_e32 v28, v26
	v_alignbit_b32 v24, v25, v24, v28
	v_lshlrev_b32_e32 v25, 31, v31
	v_or_b32_e32 v28, 0x33000000, v25
	v_add_lshl_u32 v26, v26, v27, 23
	v_lshrrev_b32_e32 v24, 9, v24
	v_sub_u32_e32 v26, v28, v26
	v_or_b32_e32 v25, 0.5, v25
	v_lshlrev_b32_e32 v27, 23, v27
	v_or_b32_e32 v24, v26, v24
	v_lshrrev_b32_e32 v26, 9, v29
	v_sub_u32_e32 v25, v25, v27
	v_or_b32_e32 v25, v26, v25
	v_mul_f32_e32 v26, 0x3fc90fda, v25
	v_fma_f32 v27, v25, s42, -v26
	v_fmac_f32_e32 v27, 0x33a22168, v25
	v_fmac_f32_e32 v27, 0x3fc90fda, v24
	v_lshrrev_b32_e32 v1, 30, v1
	v_add_f32_e32 v24, v26, v27
	v_add_u32_e32 v25, v33, v1
.LBB224_14:                             ;   in Loop: Header=BB224_4 Depth=1
	s_andn2_saveexec_b64 s[8:9], s[28:29]
	s_cbranch_execz .LBB224_16
; %bb.15:                               ;   in Loop: Header=BB224_4 Depth=1
	v_mul_f32_e32 v1, 0x3f22f983, v23
	v_rndne_f32_e32 v1, v1
	v_mov_b32_e32 v24, v23
	v_cvt_i32_f32_e32 v25, v1
	v_fmac_f32_e32 v24, 0xbfc90fda, v1
	v_fmac_f32_e32 v24, 0xb3a22168, v1
	;; [unrolled: 1-line block ×3, first 2 shown]
.LBB224_16:                             ;   in Loop: Header=BB224_4 Depth=1
	s_or_b64 exec, exec, s[8:9]
	v_cmp_ngt_f32_e64 s[8:9], s34, v22
                                        ; implicit-def: $vgpr27
                                        ; implicit-def: $vgpr26
	s_and_saveexec_b64 s[10:11], s[8:9]
	s_xor_b64 s[28:29], exec, s[10:11]
	s_cbranch_execz .LBB224_18
; %bb.17:                               ;   in Loop: Header=BB224_4 Depth=1
	v_and_b32_e32 v1, 0x7fffff, v22
	v_or_b32_e32 v33, 0x800000, v1
	v_mad_u64_u32 v[26:27], s[8:9], v33, s35, 0
	v_mov_b32_e32 v1, v27
	v_mad_u64_u32 v[27:28], s[8:9], v33, s36, v[1:2]
	v_mov_b32_e32 v1, v28
	;; [unrolled: 2-line block ×3, first 2 shown]
	v_mad_u64_u32 v[29:30], s[8:9], v33, s38, v[1:2]
	v_lshrrev_b32_e32 v1, 23, v22
	v_add_u32_e32 v32, 0xffffff88, v1
	v_mov_b32_e32 v1, v30
	v_mad_u64_u32 v[30:31], s[8:9], v33, s39, v[1:2]
	v_cmp_lt_u32_e64 s[8:9], 63, v32
	v_cndmask_b32_e64 v1, 0, v16, s[8:9]
	v_add_u32_e32 v34, v1, v32
	v_mov_b32_e32 v1, v31
	v_mad_u64_u32 v[31:32], s[10:11], v33, s40, v[1:2]
	v_cmp_lt_u32_e64 s[10:11], 31, v34
	v_cndmask_b32_e64 v1, 0, v17, s[10:11]
	;; [unrolled: 5-line block ×3, first 2 shown]
	v_add_u32_e32 v1, v1, v34
	v_cndmask_b32_e64 v34, v31, v29, s[8:9]
	v_cndmask_b32_e64 v32, v32, v30, s[8:9]
	;; [unrolled: 1-line block ×10, first 2 shown]
	v_sub_u32_e32 v34, 32, v1
	v_cndmask_b32_e64 v29, v30, v27, s[10:11]
	v_alignbit_b32 v35, v31, v33, v34
	v_cmp_eq_u32_e64 s[14:15], 0, v1
	v_cndmask_b32_e64 v30, v32, v29, s[12:13]
	v_cndmask_b32_e64 v1, v35, v31, s[14:15]
	v_alignbit_b32 v31, v33, v30, v34
	v_cndmask_b32_e64 v26, v28, v26, s[8:9]
	v_cndmask_b32_e64 v31, v31, v33, s[14:15]
	v_bfe_u32 v35, v1, 29, 1
	v_cndmask_b32_e64 v26, v27, v26, s[10:11]
	v_alignbit_b32 v32, v1, v31, 30
	v_sub_u32_e32 v36, 0, v35
	v_cndmask_b32_e64 v26, v29, v26, s[12:13]
	v_xor_b32_e32 v32, v32, v36
	v_alignbit_b32 v27, v30, v26, v34
	v_cndmask_b32_e64 v27, v27, v30, s[14:15]
	v_ffbh_u32_e32 v29, v32
	v_alignbit_b32 v28, v31, v27, 30
	v_min_u32_e32 v29, 32, v29
	v_alignbit_b32 v26, v27, v26, 30
	v_xor_b32_e32 v28, v28, v36
	v_sub_u32_e32 v30, 31, v29
	v_xor_b32_e32 v26, v26, v36
	v_alignbit_b32 v31, v32, v28, v30
	v_alignbit_b32 v26, v28, v26, v30
	;; [unrolled: 1-line block ×3, first 2 shown]
	v_ffbh_u32_e32 v28, v27
	v_min_u32_e32 v28, 32, v28
	v_lshrrev_b32_e32 v33, 29, v1
	v_not_b32_e32 v30, v28
	v_alignbit_b32 v26, v27, v26, v30
	v_lshlrev_b32_e32 v27, 31, v33
	v_or_b32_e32 v30, 0x33000000, v27
	v_add_lshl_u32 v28, v28, v29, 23
	v_lshrrev_b32_e32 v26, 9, v26
	v_sub_u32_e32 v28, v30, v28
	v_or_b32_e32 v27, 0.5, v27
	v_lshlrev_b32_e32 v29, 23, v29
	v_or_b32_e32 v26, v28, v26
	v_lshrrev_b32_e32 v28, 9, v31
	v_sub_u32_e32 v27, v27, v29
	v_or_b32_e32 v27, v28, v27
	v_mul_f32_e32 v28, 0x3fc90fda, v27
	v_fma_f32 v29, v27, s42, -v28
	v_fmac_f32_e32 v29, 0x33a22168, v27
	v_fmac_f32_e32 v29, 0x3fc90fda, v26
	v_lshrrev_b32_e32 v1, 30, v1
	v_add_f32_e32 v26, v28, v29
	v_add_u32_e32 v27, v35, v1
.LBB224_18:                             ;   in Loop: Header=BB224_4 Depth=1
	s_andn2_saveexec_b64 s[8:9], s[28:29]
	s_cbranch_execz .LBB224_20
; %bb.19:                               ;   in Loop: Header=BB224_4 Depth=1
	v_mul_f32_e32 v1, 0x3f22f983, v22
	v_rndne_f32_e32 v1, v1
	v_mov_b32_e32 v26, v22
	v_cvt_i32_f32_e32 v27, v1
	v_fmac_f32_e32 v26, 0xbfc90fda, v1
	v_fmac_f32_e32 v26, 0xb3a22168, v1
	v_fmac_f32_e32 v26, 0xa7c234c4, v1
.LBB224_20:                             ;   in Loop: Header=BB224_4 Depth=1
	s_or_b64 exec, exec, s[8:9]
	v_cmp_ngt_f32_e64 s[8:9], s34, v20
                                        ; implicit-def: $vgpr29
                                        ; implicit-def: $vgpr28
	s_and_saveexec_b64 s[10:11], s[8:9]
	s_xor_b64 s[28:29], exec, s[10:11]
	s_cbranch_execz .LBB224_22
; %bb.21:                               ;   in Loop: Header=BB224_4 Depth=1
	v_and_b32_e32 v1, 0x7fffff, v20
	v_or_b32_e32 v35, 0x800000, v1
	v_mad_u64_u32 v[28:29], s[8:9], v35, s35, 0
	v_mov_b32_e32 v1, v29
	v_mad_u64_u32 v[29:30], s[8:9], v35, s36, v[1:2]
	v_mov_b32_e32 v1, v30
	;; [unrolled: 2-line block ×3, first 2 shown]
	v_mad_u64_u32 v[31:32], s[8:9], v35, s38, v[1:2]
	v_lshrrev_b32_e32 v1, 23, v20
	v_add_u32_e32 v34, 0xffffff88, v1
	v_mov_b32_e32 v1, v32
	v_mad_u64_u32 v[32:33], s[8:9], v35, s39, v[1:2]
	v_cmp_lt_u32_e64 s[8:9], 63, v34
	v_cndmask_b32_e64 v1, 0, v16, s[8:9]
	v_add_u32_e32 v36, v1, v34
	v_mov_b32_e32 v1, v33
	v_mad_u64_u32 v[33:34], s[10:11], v35, s40, v[1:2]
	v_cmp_lt_u32_e64 s[10:11], 31, v36
	v_cndmask_b32_e64 v1, 0, v17, s[10:11]
	;; [unrolled: 5-line block ×3, first 2 shown]
	v_add_u32_e32 v1, v1, v36
	v_cndmask_b32_e64 v36, v33, v31, s[8:9]
	v_cndmask_b32_e64 v34, v34, v32, s[8:9]
	;; [unrolled: 1-line block ×10, first 2 shown]
	v_sub_u32_e32 v36, 32, v1
	v_cndmask_b32_e64 v31, v32, v29, s[10:11]
	v_alignbit_b32 v37, v33, v35, v36
	v_cmp_eq_u32_e64 s[14:15], 0, v1
	v_cndmask_b32_e64 v32, v34, v31, s[12:13]
	v_cndmask_b32_e64 v1, v37, v33, s[14:15]
	v_alignbit_b32 v33, v35, v32, v36
	v_cndmask_b32_e64 v28, v30, v28, s[8:9]
	v_cndmask_b32_e64 v33, v33, v35, s[14:15]
	v_bfe_u32 v37, v1, 29, 1
	v_cndmask_b32_e64 v28, v29, v28, s[10:11]
	v_alignbit_b32 v34, v1, v33, 30
	v_sub_u32_e32 v38, 0, v37
	v_cndmask_b32_e64 v28, v31, v28, s[12:13]
	v_xor_b32_e32 v34, v34, v38
	v_alignbit_b32 v29, v32, v28, v36
	v_cndmask_b32_e64 v29, v29, v32, s[14:15]
	v_ffbh_u32_e32 v31, v34
	v_alignbit_b32 v30, v33, v29, 30
	v_min_u32_e32 v31, 32, v31
	v_alignbit_b32 v28, v29, v28, 30
	v_xor_b32_e32 v30, v30, v38
	v_sub_u32_e32 v32, 31, v31
	v_xor_b32_e32 v28, v28, v38
	v_alignbit_b32 v33, v34, v30, v32
	v_alignbit_b32 v28, v30, v28, v32
	;; [unrolled: 1-line block ×3, first 2 shown]
	v_ffbh_u32_e32 v30, v29
	v_min_u32_e32 v30, 32, v30
	v_lshrrev_b32_e32 v35, 29, v1
	v_not_b32_e32 v32, v30
	v_alignbit_b32 v28, v29, v28, v32
	v_lshlrev_b32_e32 v29, 31, v35
	v_or_b32_e32 v32, 0x33000000, v29
	v_add_lshl_u32 v30, v30, v31, 23
	v_lshrrev_b32_e32 v28, 9, v28
	v_sub_u32_e32 v30, v32, v30
	v_or_b32_e32 v29, 0.5, v29
	v_lshlrev_b32_e32 v31, 23, v31
	v_or_b32_e32 v28, v30, v28
	v_lshrrev_b32_e32 v30, 9, v33
	v_sub_u32_e32 v29, v29, v31
	v_or_b32_e32 v29, v30, v29
	v_mul_f32_e32 v30, 0x3fc90fda, v29
	v_fma_f32 v31, v29, s42, -v30
	v_fmac_f32_e32 v31, 0x33a22168, v29
	v_fmac_f32_e32 v31, 0x3fc90fda, v28
	v_lshrrev_b32_e32 v1, 30, v1
	v_add_f32_e32 v28, v30, v31
	v_add_u32_e32 v29, v37, v1
.LBB224_22:                             ;   in Loop: Header=BB224_4 Depth=1
	s_andn2_saveexec_b64 s[8:9], s[28:29]
	s_cbranch_execz .LBB224_24
; %bb.23:                               ;   in Loop: Header=BB224_4 Depth=1
	v_mul_f32_e32 v1, 0x3f22f983, v20
	v_rndne_f32_e32 v1, v1
	v_mov_b32_e32 v28, v20
	v_cvt_i32_f32_e32 v29, v1
	v_fmac_f32_e32 v28, 0xbfc90fda, v1
	v_fmac_f32_e32 v28, 0xb3a22168, v1
	;; [unrolled: 1-line block ×3, first 2 shown]
.LBB224_24:                             ;   in Loop: Header=BB224_4 Depth=1
	s_or_b64 exec, exec, s[8:9]
	v_cmp_ngt_f32_e64 s[8:9], s34, v21
                                        ; implicit-def: $vgpr30
                                        ; implicit-def: $vgpr1
	s_and_saveexec_b64 s[10:11], s[8:9]
	s_xor_b64 s[28:29], exec, s[10:11]
	s_cbranch_execnz .LBB224_30
; %bb.25:                               ;   in Loop: Header=BB224_4 Depth=1
	s_andn2_saveexec_b64 s[8:9], s[28:29]
	s_cbranch_execnz .LBB224_31
.LBB224_26:                             ;   in Loop: Header=BB224_4 Depth=1
	s_or_b64 exec, exec, s[8:9]
	s_and_saveexec_b64 s[8:9], vcc
	s_xor_b64 s[8:9], exec, s[8:9]
	s_cbranch_execnz .LBB224_32
.LBB224_27:                             ;   in Loop: Header=BB224_4 Depth=1
	s_or_b64 exec, exec, s[8:9]
	s_and_saveexec_b64 s[8:9], s[6:7]
	s_cbranch_execnz .LBB224_33
.LBB224_28:                             ;   in Loop: Header=BB224_4 Depth=1
	s_or_b64 exec, exec, s[8:9]
	s_and_saveexec_b64 s[6:7], s[2:3]
	s_cbranch_execnz .LBB224_34
.LBB224_29:                             ;   in Loop: Header=BB224_4 Depth=1
	s_or_b64 exec, exec, s[6:7]
	s_and_saveexec_b64 s[2:3], s[0:1]
	s_cbranch_execz .LBB224_3
	s_branch .LBB224_35
.LBB224_30:                             ;   in Loop: Header=BB224_4 Depth=1
	v_and_b32_e32 v1, 0x7fffff, v21
	v_or_b32_e32 v37, 0x800000, v1
	v_mad_u64_u32 v[30:31], s[8:9], v37, s35, 0
	v_mov_b32_e32 v1, v31
	v_mad_u64_u32 v[31:32], s[8:9], v37, s36, v[1:2]
	v_mov_b32_e32 v1, v32
	;; [unrolled: 2-line block ×3, first 2 shown]
	v_mad_u64_u32 v[33:34], s[8:9], v37, s38, v[1:2]
	v_lshrrev_b32_e32 v1, 23, v21
	v_add_u32_e32 v36, 0xffffff88, v1
	v_mov_b32_e32 v1, v34
	v_mad_u64_u32 v[34:35], s[10:11], v37, s39, v[1:2]
	v_cmp_lt_u32_e64 s[8:9], 63, v36
	v_cndmask_b32_e64 v1, 0, v16, s[8:9]
	v_add_u32_e32 v38, v1, v36
	v_mov_b32_e32 v1, v35
	v_mad_u64_u32 v[35:36], s[12:13], v37, s40, v[1:2]
	v_cmp_lt_u32_e64 s[10:11], 31, v38
	v_cndmask_b32_e64 v1, 0, v17, s[10:11]
	v_add_u32_e32 v38, v1, v38
	v_mov_b32_e32 v1, v36
	v_mad_u64_u32 v[36:37], s[14:15], v37, s41, v[1:2]
	v_cmp_lt_u32_e64 s[12:13], 31, v38
	v_cndmask_b32_e64 v1, 0, v17, s[12:13]
	v_add_u32_e32 v1, v1, v38
	v_cndmask_b32_e64 v38, v35, v33, s[8:9]
	v_cndmask_b32_e64 v36, v36, v34, s[8:9]
	;; [unrolled: 1-line block ×7, first 2 shown]
	v_sub_u32_e32 v38, 32, v1
	v_cmp_eq_u32_e64 s[14:15], 0, v1
	v_cndmask_b32_e64 v1, v33, v31, s[8:9]
	v_cndmask_b32_e64 v35, v35, v37, s[12:13]
	v_cndmask_b32_e64 v37, v37, v36, s[12:13]
	v_cndmask_b32_e64 v31, v34, v1, s[10:11]
	v_alignbit_b32 v39, v35, v37, v38
	v_cndmask_b32_e64 v33, v36, v31, s[12:13]
	v_cndmask_b32_e64 v35, v39, v35, s[14:15]
	v_alignbit_b32 v34, v37, v33, v38
	v_cndmask_b32_e64 v30, v32, v30, s[8:9]
	v_cndmask_b32_e64 v34, v34, v37, s[14:15]
	v_bfe_u32 v39, v35, 29, 1
	v_cndmask_b32_e64 v1, v1, v30, s[10:11]
	v_alignbit_b32 v36, v35, v34, 30
	v_sub_u32_e32 v40, 0, v39
	v_cndmask_b32_e64 v1, v31, v1, s[12:13]
	v_xor_b32_e32 v36, v36, v40
	v_alignbit_b32 v30, v33, v1, v38
	v_cndmask_b32_e64 v30, v30, v33, s[14:15]
	v_ffbh_u32_e32 v32, v36
	v_alignbit_b32 v31, v34, v30, 30
	v_min_u32_e32 v32, 32, v32
	v_alignbit_b32 v1, v30, v1, 30
	v_xor_b32_e32 v31, v31, v40
	v_sub_u32_e32 v33, 31, v32
	v_xor_b32_e32 v1, v1, v40
	v_alignbit_b32 v34, v36, v31, v33
	v_alignbit_b32 v1, v31, v1, v33
	;; [unrolled: 1-line block ×3, first 2 shown]
	v_ffbh_u32_e32 v31, v30
	v_min_u32_e32 v31, 32, v31
	v_lshrrev_b32_e32 v37, 29, v35
	v_not_b32_e32 v33, v31
	v_alignbit_b32 v1, v30, v1, v33
	v_lshlrev_b32_e32 v30, 31, v37
	v_or_b32_e32 v33, 0x33000000, v30
	v_add_lshl_u32 v31, v31, v32, 23
	v_lshrrev_b32_e32 v1, 9, v1
	v_sub_u32_e32 v31, v33, v31
	v_or_b32_e32 v30, 0.5, v30
	v_lshlrev_b32_e32 v32, 23, v32
	v_or_b32_e32 v1, v31, v1
	v_lshrrev_b32_e32 v31, 9, v34
	v_sub_u32_e32 v30, v30, v32
	v_or_b32_e32 v30, v31, v30
	v_mul_f32_e32 v31, 0x3fc90fda, v30
	v_fma_f32 v32, v30, s42, -v31
	v_fmac_f32_e32 v32, 0x33a22168, v30
	v_fmac_f32_e32 v32, 0x3fc90fda, v1
	v_lshrrev_b32_e32 v30, 30, v35
	v_add_f32_e32 v1, v31, v32
	v_add_u32_e32 v30, v39, v30
	s_andn2_saveexec_b64 s[8:9], s[28:29]
	s_cbranch_execz .LBB224_26
.LBB224_31:                             ;   in Loop: Header=BB224_4 Depth=1
	v_mul_f32_e32 v1, 0x3f22f983, v21
	v_rndne_f32_e32 v31, v1
	v_mov_b32_e32 v1, v21
	v_cvt_i32_f32_e32 v30, v31
	v_fmac_f32_e32 v1, 0xbfc90fda, v31
	v_fmac_f32_e32 v1, 0xb3a22168, v31
	;; [unrolled: 1-line block ×3, first 2 shown]
	s_or_b64 exec, exec, s[8:9]
	s_and_saveexec_b64 s[8:9], vcc
	s_xor_b64 s[8:9], exec, s[8:9]
	s_cbranch_execz .LBB224_27
.LBB224_32:                             ;   in Loop: Header=BB224_4 Depth=1
	v_mul_f32_e32 v31, v24, v24
	v_mov_b32_e32 v32, 0x3c0881c4
	v_fmac_f32_e32 v32, 0xb94c1982, v31
	v_fma_f32 v32, v31, v32, v13
	v_mul_f32_e32 v32, v31, v32
	v_fmac_f32_e32 v24, v24, v32
	v_mov_b32_e32 v32, 0xbab64f3b
	v_fmac_f32_e32 v32, 0x37d75334, v31
	v_fma_f32 v32, v31, v32, v14
	v_fma_f32 v32, v31, v32, v15
	v_fma_f32 v31, v31, v32, 1.0
	v_and_b32_e32 v32, 1, v25
	v_cmp_eq_u32_e32 vcc, 0, v32
	v_lshlrev_b32_e32 v25, 30, v25
	v_cndmask_b32_e64 v24, -v24, v31, vcc
	v_and_b32_e32 v25, 0x80000000, v25
	v_xor_b32_e32 v24, v25, v24
	v_cmp_lg_f32_e32 vcc, s43, v23
	v_cndmask_b32_e32 v23, v18, v24, vcc
	v_bfe_u32 v24, v23, 16, 1
	v_add3_u32 v24, v23, v24, s44
	v_cmp_o_f32_e32 vcc, v23, v23
	v_cndmask_b32_sdwa v23, v19, v24, vcc dst_sel:DWORD dst_unused:UNUSED_PAD src0_sel:DWORD src1_sel:WORD_1
	global_store_short v[3:4], v23, off
	s_or_b64 exec, exec, s[8:9]
	s_and_saveexec_b64 s[8:9], s[6:7]
	s_cbranch_execz .LBB224_28
.LBB224_33:                             ;   in Loop: Header=BB224_4 Depth=1
	v_mul_f32_e32 v23, v26, v26
	v_mov_b32_e32 v24, 0x3c0881c4
	v_fmac_f32_e32 v24, 0xb94c1982, v23
	v_fma_f32 v24, v23, v24, v13
	v_mul_f32_e32 v24, v23, v24
	v_fmac_f32_e32 v26, v26, v24
	v_mov_b32_e32 v24, 0xbab64f3b
	v_fmac_f32_e32 v24, 0x37d75334, v23
	v_fma_f32 v24, v23, v24, v14
	v_fma_f32 v24, v23, v24, v15
	v_fma_f32 v23, v23, v24, 1.0
	v_and_b32_e32 v24, 1, v27
	v_cmp_eq_u32_e32 vcc, 0, v24
	v_lshlrev_b32_e32 v24, 30, v27
	v_cndmask_b32_e64 v23, -v26, v23, vcc
	v_and_b32_e32 v24, 0x80000000, v24
	v_xor_b32_e32 v23, v24, v23
	v_cmp_lg_f32_e32 vcc, s43, v22
	v_cndmask_b32_e32 v22, v18, v23, vcc
	v_bfe_u32 v23, v22, 16, 1
	v_add3_u32 v23, v22, v23, s44
	v_cmp_o_f32_e32 vcc, v22, v22
	v_cndmask_b32_sdwa v22, v19, v23, vcc dst_sel:DWORD dst_unused:UNUSED_PAD src0_sel:DWORD src1_sel:WORD_1
	global_store_short v[5:6], v22, off
	s_or_b64 exec, exec, s[8:9]
	s_and_saveexec_b64 s[6:7], s[2:3]
	s_cbranch_execz .LBB224_29
.LBB224_34:                             ;   in Loop: Header=BB224_4 Depth=1
	v_mul_f32_e32 v22, v28, v28
	v_mov_b32_e32 v23, 0x3c0881c4
	v_fmac_f32_e32 v23, 0xb94c1982, v22
	v_fma_f32 v23, v22, v23, v13
	v_mul_f32_e32 v23, v22, v23
	v_fmac_f32_e32 v28, v28, v23
	v_mov_b32_e32 v23, 0xbab64f3b
	v_fmac_f32_e32 v23, 0x37d75334, v22
	v_fma_f32 v23, v22, v23, v14
	v_fma_f32 v23, v22, v23, v15
	v_fma_f32 v22, v22, v23, 1.0
	v_and_b32_e32 v23, 1, v29
	v_cmp_eq_u32_e32 vcc, 0, v23
	v_lshlrev_b32_e32 v23, 30, v29
	v_cndmask_b32_e64 v22, -v28, v22, vcc
	v_and_b32_e32 v23, 0x80000000, v23
	v_xor_b32_e32 v22, v23, v22
	v_cmp_lg_f32_e32 vcc, s43, v20
	v_cndmask_b32_e32 v20, v18, v22, vcc
	v_bfe_u32 v22, v20, 16, 1
	v_add3_u32 v22, v20, v22, s44
	v_cmp_o_f32_e32 vcc, v20, v20
	v_cndmask_b32_sdwa v20, v19, v22, vcc dst_sel:DWORD dst_unused:UNUSED_PAD src0_sel:DWORD src1_sel:WORD_1
	v_add_co_u32_e32 v22, vcc, s30, v3
	v_addc_co_u32_e32 v23, vcc, 0, v4, vcc
	global_store_short v[22:23], v20, off
	s_or_b64 exec, exec, s[6:7]
	s_and_saveexec_b64 s[2:3], s[0:1]
	s_cbranch_execz .LBB224_3
.LBB224_35:                             ;   in Loop: Header=BB224_4 Depth=1
	v_mul_f32_e32 v20, v1, v1
	v_mov_b32_e32 v22, 0x3c0881c4
	v_fmac_f32_e32 v22, 0xb94c1982, v20
	v_fma_f32 v22, v20, v22, v13
	v_mul_f32_e32 v22, v20, v22
	v_fmac_f32_e32 v1, v1, v22
	v_mov_b32_e32 v22, 0xbab64f3b
	v_fmac_f32_e32 v22, 0x37d75334, v20
	v_fma_f32 v22, v20, v22, v14
	v_fma_f32 v22, v20, v22, v15
	v_fma_f32 v20, v20, v22, 1.0
	v_and_b32_e32 v22, 1, v30
	v_cmp_eq_u32_e32 vcc, 0, v22
	v_cndmask_b32_e64 v1, -v1, v20, vcc
	v_lshlrev_b32_e32 v20, 30, v30
	v_and_b32_e32 v20, 0x80000000, v20
	v_xor_b32_e32 v1, v20, v1
	v_cmp_lg_f32_e32 vcc, s43, v21
	v_cndmask_b32_e32 v1, v18, v1, vcc
	v_bfe_u32 v20, v1, 16, 1
	v_add3_u32 v20, v1, v20, s44
	v_cmp_o_f32_e32 vcc, v1, v1
	v_cndmask_b32_sdwa v1, v19, v20, vcc dst_sel:DWORD dst_unused:UNUSED_PAD src0_sel:DWORD src1_sel:WORD_1
	v_add_co_u32_e32 v20, vcc, s33, v3
	v_addc_co_u32_e32 v21, vcc, 0, v4, vcc
	global_store_short v[20:21], v1, off
	s_branch .LBB224_3
.LBB224_36:
	s_cbranch_execz .LBB224_38
	s_branch .LBB224_57
.LBB224_37:
.LBB224_38:
	v_mov_b32_e32 v1, 0x10000
	v_mov_b32_e32 v2, 0
	v_cmp_lt_i64_e32 vcc, s[20:21], v[1:2]
	v_mov_b32_e32 v3, 0
	s_and_b64 s[0:1], vcc, exec
	s_cselect_b32 s7, s21, 0
	s_cselect_b32 s6, s20, 0x10000
	v_lshlrev_b32_e32 v2, 2, v0
	v_cmp_gt_i64_e32 vcc, s[6:7], v[2:3]
	s_and_saveexec_b64 s[0:1], vcc
	s_cbranch_execz .LBB224_57
; %bb.39:
	s_load_dword s0, s[4:5], 0xd3c
	v_lshlrev_b32_e32 v2, 3, v0
	v_mov_b32_e32 v1, v3
	s_mov_b64 s[8:9], 0
	s_brev_b32 s14, 18
	s_waitcnt lgkmcnt(0)
	s_and_b32 s12, s0, 0xffff
	s_add_u32 s0, s16, s18
	s_addc_u32 s1, s17, s19
	v_mov_b32_e32 v5, s1
	v_add_co_u32_e32 v4, vcc, s0, v2
	v_addc_co_u32_e32 v5, vcc, 0, v5, vcc
	s_lshl_b32 s13, s12, 3
	s_mov_b32 s15, 0xfe5163ab
	s_mov_b32 s16, 0x3c439041
	;; [unrolled: 1-line block ×10, first 2 shown]
	v_mov_b32_e32 v8, 0xbe2aaa9d
	v_mov_b32_e32 v9, 0x3d2aabf7
	;; [unrolled: 1-line block ×3, first 2 shown]
	s_movk_i32 s25, 0x1f8
	s_movk_i32 s26, 0x7fff
	v_not_b32_e32 v11, 63
	v_not_b32_e32 v12, 31
	v_mov_b32_e32 v13, 0x7fc00000
	v_mov_b32_e32 v14, 0x7fc0
	s_branch .LBB224_41
.LBB224_40:                             ;   in Loop: Header=BB224_41 Depth=1
	s_or_b64 exec, exec, s[0:1]
	v_mul_f32_e32 v24, v22, v22
	v_mov_b32_e32 v25, 0x3c0881c4
	v_fmac_f32_e32 v25, 0xb94c1982, v24
	v_fma_f32 v25, v24, v25, v8
	v_mul_f32_e32 v25, v24, v25
	v_fmac_f32_e32 v22, v22, v25
	v_mov_b32_e32 v25, 0xbab64f3b
	v_fmac_f32_e32 v25, 0x37d75334, v24
	v_fma_f32 v25, v24, v25, v9
	v_fma_f32 v25, v24, v25, v10
	v_fma_f32 v24, v24, v25, 1.0
	v_and_b32_e32 v25, 1, v21
	v_cmp_eq_u32_e32 vcc, 0, v25
	v_lshlrev_b32_e32 v21, 30, v21
	v_cndmask_b32_e64 v22, -v22, v24, vcc
	v_and_b32_e32 v21, 0x80000000, v21
	v_xor_b32_e32 v21, v21, v22
	v_mul_f32_e32 v22, v20, v20
	v_mov_b32_e32 v24, 0x3c0881c4
	v_fmac_f32_e32 v24, 0xb94c1982, v22
	v_fma_f32 v24, v22, v24, v8
	v_mul_f32_e32 v24, v22, v24
	v_fmac_f32_e32 v20, v20, v24
	v_mov_b32_e32 v24, 0xbab64f3b
	v_fmac_f32_e32 v24, 0x37d75334, v22
	v_fma_f32 v24, v22, v24, v9
	v_fma_f32 v24, v22, v24, v10
	v_cmp_class_f32_e64 vcc, v6, s25
	v_fma_f32 v22, v22, v24, 1.0
	v_and_b32_e32 v24, 1, v19
	v_cndmask_b32_e32 v6, v13, v21, vcc
	v_cmp_eq_u32_e32 vcc, 0, v24
	v_lshlrev_b32_e32 v19, 30, v19
	v_cndmask_b32_e64 v20, -v20, v22, vcc
	v_and_b32_e32 v19, 0x80000000, v19
	v_xor_b32_e32 v19, v19, v20
	v_mul_f32_e32 v20, v17, v17
	v_mov_b32_e32 v22, 0x3c0881c4
	v_fmac_f32_e32 v22, 0xb94c1982, v20
	v_fma_f32 v22, v20, v22, v8
	v_mul_f32_e32 v22, v20, v22
	v_fmac_f32_e32 v17, v17, v22
	v_mov_b32_e32 v22, 0xbab64f3b
	v_fmac_f32_e32 v22, 0x37d75334, v20
	v_fma_f32 v22, v20, v22, v9
	v_fma_f32 v22, v20, v22, v10
	v_cmp_class_f32_e64 vcc, v18, s25
	v_fma_f32 v20, v20, v22, 1.0
	v_and_b32_e32 v22, 1, v16
	v_cndmask_b32_e32 v18, v13, v19, vcc
	;; [unrolled: 19-line block ×3, first 2 shown]
	v_cmp_eq_u32_e32 vcc, 0, v20
	v_lshlrev_b32_e32 v2, 30, v2
	v_cndmask_b32_e64 v17, -v23, v17, vcc
	v_and_b32_e32 v2, 0x80000000, v2
	v_xor_b32_e32 v2, v2, v17
	v_cmp_class_f32_e64 vcc, v7, s25
	v_cndmask_b32_e32 v2, v13, v2, vcc
	v_bfe_u32 v7, v2, 16, 1
	v_bfe_u32 v21, v6, 16, 1
	v_add3_u32 v7, v2, v7, s26
	v_add3_u32 v21, v6, v21, s26
	v_bfe_u32 v19, v18, 16, 1
	v_and_b32_e32 v7, 0xffff0000, v7
	v_cmp_o_f32_e32 vcc, v2, v2
	v_lshrrev_b32_e32 v21, 16, v21
	v_add3_u32 v19, v18, v19, s26
	v_bfe_u32 v16, v15, 16, 1
	v_cndmask_b32_e32 v2, v13, v7, vcc
	v_cmp_o_f32_e32 vcc, v6, v6
	v_and_b32_e32 v19, 0xffff0000, v19
	v_add3_u32 v16, v15, v16, s26
	v_cndmask_b32_e32 v6, v14, v21, vcc
	v_cmp_o_f32_e32 vcc, v18, v18
	v_lshrrev_b32_e32 v16, 16, v16
	v_cndmask_b32_e32 v7, v13, v19, vcc
	v_cmp_o_f32_e32 vcc, v15, v15
	v_cndmask_b32_e32 v15, v14, v16, vcc
	v_add_co_u32_e32 v0, vcc, s12, v0
	v_addc_co_u32_e32 v1, vcc, 0, v1, vcc
	v_or_b32_e32 v17, v7, v15
	v_lshlrev_b64 v[15:16], 2, v[0:1]
	v_or3_b32 v7, 0, v6, v2
	v_cmp_le_i64_e32 vcc, s[6:7], v[15:16]
	v_or3_b32 v6, v17, 0, 0
	global_store_dwordx2 v[4:5], v[6:7], off
	s_or_b64 s[8:9], vcc, s[8:9]
	v_add_co_u32_e32 v4, vcc, s13, v4
	v_addc_co_u32_e32 v5, vcc, 0, v5, vcc
	s_andn2_b64 exec, exec, s[8:9]
	s_cbranch_execz .LBB224_57
.LBB224_41:                             ; =>This Inner Loop Header: Depth=1
	global_load_dwordx2 v[6:7], v[4:5], off
                                        ; implicit-def: $vgpr16
                                        ; implicit-def: $vgpr17
	s_waitcnt vmcnt(0)
	v_lshlrev_b32_e32 v15, 16, v6
	v_cmp_nlt_f32_e64 s[0:1], |v15|, s14
	s_and_saveexec_b64 s[2:3], s[0:1]
	s_xor_b64 s[10:11], exec, s[2:3]
	s_cbranch_execz .LBB224_43
; %bb.42:                               ;   in Loop: Header=BB224_41 Depth=1
	v_and_b32_e32 v21, 0x7fffffff, v15
	v_and_b32_e32 v2, 0x7fffff, v21
	v_or_b32_e32 v23, 0x800000, v2
	v_mad_u64_u32 v[16:17], s[0:1], v23, s15, 0
	v_mov_b32_e32 v2, v17
	v_mad_u64_u32 v[17:18], s[0:1], v23, s16, v[2:3]
	v_mov_b32_e32 v2, v18
	;; [unrolled: 2-line block ×3, first 2 shown]
	v_mad_u64_u32 v[19:20], s[0:1], v23, s18, v[2:3]
	v_lshrrev_b32_e32 v2, 23, v21
	v_add_u32_e32 v22, 0xffffff88, v2
	v_mov_b32_e32 v2, v20
	v_mad_u64_u32 v[20:21], s[0:1], v23, s19, v[2:3]
	v_cmp_lt_u32_e32 vcc, 63, v22
	v_cndmask_b32_e32 v2, 0, v11, vcc
	v_add_u32_e32 v24, v2, v22
	v_mov_b32_e32 v2, v21
	v_mad_u64_u32 v[21:22], s[0:1], v23, s20, v[2:3]
	v_cmp_lt_u32_e64 s[0:1], 31, v24
	v_cndmask_b32_e64 v2, 0, v12, s[0:1]
	v_add_u32_e32 v24, v2, v24
	v_mov_b32_e32 v2, v22
	v_mad_u64_u32 v[22:23], s[2:3], v23, s21, v[2:3]
	v_cmp_lt_u32_e64 s[2:3], 31, v24
	v_cndmask_b32_e64 v2, 0, v12, s[2:3]
	v_add_u32_e32 v2, v2, v24
	v_cndmask_b32_e32 v24, v21, v19, vcc
	v_cndmask_b32_e32 v21, v23, v21, vcc
	v_cndmask_b32_e32 v22, v22, v20, vcc
	v_cndmask_b32_e32 v20, v20, v18, vcc
	v_cndmask_b32_e64 v23, v22, v24, s[0:1]
	v_cndmask_b32_e64 v21, v21, v22, s[0:1]
	;; [unrolled: 1-line block ×3, first 2 shown]
	v_cndmask_b32_e32 v17, v19, v17, vcc
	v_cndmask_b32_e64 v21, v21, v23, s[2:3]
	v_cndmask_b32_e64 v23, v23, v22, s[2:3]
	v_sub_u32_e32 v24, 32, v2
	v_cndmask_b32_e64 v19, v20, v17, s[0:1]
	v_alignbit_b32 v25, v21, v23, v24
	v_cmp_eq_u32_e64 s[4:5], 0, v2
	v_cndmask_b32_e64 v20, v22, v19, s[2:3]
	v_cndmask_b32_e64 v2, v25, v21, s[4:5]
	v_alignbit_b32 v21, v23, v20, v24
	v_cndmask_b32_e32 v16, v18, v16, vcc
	v_cndmask_b32_e64 v21, v21, v23, s[4:5]
	v_bfe_u32 v25, v2, 29, 1
	v_cndmask_b32_e64 v16, v17, v16, s[0:1]
	v_alignbit_b32 v22, v2, v21, 30
	v_sub_u32_e32 v26, 0, v25
	v_cndmask_b32_e64 v16, v19, v16, s[2:3]
	v_xor_b32_e32 v22, v22, v26
	v_alignbit_b32 v17, v20, v16, v24
	v_cndmask_b32_e64 v17, v17, v20, s[4:5]
	v_ffbh_u32_e32 v19, v22
	v_alignbit_b32 v18, v21, v17, 30
	v_min_u32_e32 v19, 32, v19
	v_alignbit_b32 v16, v17, v16, 30
	v_xor_b32_e32 v18, v18, v26
	v_sub_u32_e32 v20, 31, v19
	v_xor_b32_e32 v16, v16, v26
	v_alignbit_b32 v21, v22, v18, v20
	v_alignbit_b32 v16, v18, v16, v20
	v_alignbit_b32 v17, v21, v16, 9
	v_ffbh_u32_e32 v18, v17
	v_min_u32_e32 v18, 32, v18
	v_lshrrev_b32_e32 v23, 29, v2
	v_not_b32_e32 v20, v18
	v_alignbit_b32 v16, v17, v16, v20
	v_lshlrev_b32_e32 v17, 31, v23
	v_or_b32_e32 v20, 0x33000000, v17
	v_add_lshl_u32 v18, v18, v19, 23
	v_lshrrev_b32_e32 v16, 9, v16
	v_sub_u32_e32 v18, v20, v18
	v_or_b32_e32 v17, 0.5, v17
	v_lshlrev_b32_e32 v19, 23, v19
	v_or_b32_e32 v16, v18, v16
	v_lshrrev_b32_e32 v18, 9, v21
	v_sub_u32_e32 v17, v17, v19
	v_or_b32_e32 v17, v18, v17
	v_mul_f32_e32 v18, 0x3fc90fda, v17
	v_fma_f32 v19, v17, s22, -v18
	v_fmac_f32_e32 v19, 0x33a22168, v17
	v_fmac_f32_e32 v19, 0x3fc90fda, v16
	v_lshrrev_b32_e32 v2, 30, v2
	v_add_f32_e32 v17, v18, v19
	v_add_u32_e32 v16, v25, v2
.LBB224_43:                             ;   in Loop: Header=BB224_41 Depth=1
	s_andn2_saveexec_b64 s[0:1], s[10:11]
; %bb.44:                               ;   in Loop: Header=BB224_41 Depth=1
	v_mul_f32_e64 v2, |v15|, s23
	v_rndne_f32_e32 v2, v2
	v_cvt_i32_f32_e32 v16, v2
	v_fma_f32 v17, v2, s24, |v15|
	v_fmac_f32_e32 v17, 0xb3a22168, v2
	v_fmac_f32_e32 v17, 0xa7c234c4, v2
; %bb.45:                               ;   in Loop: Header=BB224_41 Depth=1
	s_or_b64 exec, exec, s[0:1]
	v_and_b32_e32 v18, 0xffff0000, v6
	v_cmp_nlt_f32_e64 s[0:1], |v18|, s14
                                        ; implicit-def: $vgpr19
                                        ; implicit-def: $vgpr20
	s_and_saveexec_b64 s[2:3], s[0:1]
	s_xor_b64 s[10:11], exec, s[2:3]
	s_cbranch_execz .LBB224_47
; %bb.46:                               ;   in Loop: Header=BB224_41 Depth=1
	v_and_b32_e32 v24, 0x7fffffff, v18
	v_and_b32_e32 v2, 0x7fffff, v24
	v_or_b32_e32 v26, 0x800000, v2
	v_mad_u64_u32 v[19:20], s[0:1], v26, s15, 0
	v_mov_b32_e32 v2, v20
	v_mad_u64_u32 v[20:21], s[0:1], v26, s16, v[2:3]
	v_mov_b32_e32 v2, v21
	;; [unrolled: 2-line block ×3, first 2 shown]
	v_mad_u64_u32 v[22:23], s[0:1], v26, s18, v[2:3]
	v_lshrrev_b32_e32 v2, 23, v24
	v_add_u32_e32 v25, 0xffffff88, v2
	v_mov_b32_e32 v2, v23
	v_mad_u64_u32 v[23:24], s[0:1], v26, s19, v[2:3]
	v_cmp_lt_u32_e32 vcc, 63, v25
	v_cndmask_b32_e32 v2, 0, v11, vcc
	v_add_u32_e32 v27, v2, v25
	v_mov_b32_e32 v2, v24
	v_mad_u64_u32 v[24:25], s[0:1], v26, s20, v[2:3]
	v_cmp_lt_u32_e64 s[0:1], 31, v27
	v_cndmask_b32_e64 v2, 0, v12, s[0:1]
	v_add_u32_e32 v27, v2, v27
	v_mov_b32_e32 v2, v25
	v_mad_u64_u32 v[25:26], s[2:3], v26, s21, v[2:3]
	v_cmp_lt_u32_e64 s[2:3], 31, v27
	v_cndmask_b32_e64 v2, 0, v12, s[2:3]
	v_add_u32_e32 v2, v2, v27
	v_cndmask_b32_e32 v27, v24, v22, vcc
	v_cndmask_b32_e32 v25, v25, v23, vcc
	;; [unrolled: 1-line block ×4, first 2 shown]
	v_cndmask_b32_e64 v26, v25, v27, s[0:1]
	v_cndmask_b32_e64 v24, v24, v25, s[0:1]
	;; [unrolled: 1-line block ×3, first 2 shown]
	v_cndmask_b32_e32 v20, v22, v20, vcc
	v_cndmask_b32_e64 v24, v24, v26, s[2:3]
	v_cndmask_b32_e64 v26, v26, v25, s[2:3]
	v_sub_u32_e32 v27, 32, v2
	v_cndmask_b32_e64 v22, v23, v20, s[0:1]
	v_alignbit_b32 v28, v24, v26, v27
	v_cmp_eq_u32_e64 s[4:5], 0, v2
	v_cndmask_b32_e64 v23, v25, v22, s[2:3]
	v_cndmask_b32_e64 v2, v28, v24, s[4:5]
	v_alignbit_b32 v24, v26, v23, v27
	v_cndmask_b32_e32 v19, v21, v19, vcc
	v_cndmask_b32_e64 v24, v24, v26, s[4:5]
	v_bfe_u32 v28, v2, 29, 1
	v_cndmask_b32_e64 v19, v20, v19, s[0:1]
	v_alignbit_b32 v25, v2, v24, 30
	v_sub_u32_e32 v29, 0, v28
	v_cndmask_b32_e64 v19, v22, v19, s[2:3]
	v_xor_b32_e32 v25, v25, v29
	v_alignbit_b32 v20, v23, v19, v27
	v_cndmask_b32_e64 v20, v20, v23, s[4:5]
	v_ffbh_u32_e32 v22, v25
	v_alignbit_b32 v21, v24, v20, 30
	v_min_u32_e32 v22, 32, v22
	v_alignbit_b32 v19, v20, v19, 30
	v_xor_b32_e32 v21, v21, v29
	v_sub_u32_e32 v23, 31, v22
	v_xor_b32_e32 v19, v19, v29
	v_alignbit_b32 v24, v25, v21, v23
	v_alignbit_b32 v19, v21, v19, v23
	;; [unrolled: 1-line block ×3, first 2 shown]
	v_ffbh_u32_e32 v21, v20
	v_min_u32_e32 v21, 32, v21
	v_lshrrev_b32_e32 v26, 29, v2
	v_not_b32_e32 v23, v21
	v_alignbit_b32 v19, v20, v19, v23
	v_lshlrev_b32_e32 v20, 31, v26
	v_or_b32_e32 v23, 0x33000000, v20
	v_add_lshl_u32 v21, v21, v22, 23
	v_lshrrev_b32_e32 v19, 9, v19
	v_sub_u32_e32 v21, v23, v21
	v_or_b32_e32 v20, 0.5, v20
	v_lshlrev_b32_e32 v22, 23, v22
	v_or_b32_e32 v19, v21, v19
	v_lshrrev_b32_e32 v21, 9, v24
	v_sub_u32_e32 v20, v20, v22
	v_or_b32_e32 v20, v21, v20
	v_mul_f32_e32 v21, 0x3fc90fda, v20
	v_fma_f32 v22, v20, s22, -v21
	v_fmac_f32_e32 v22, 0x33a22168, v20
	v_fmac_f32_e32 v22, 0x3fc90fda, v19
	v_lshrrev_b32_e32 v2, 30, v2
	v_add_f32_e32 v20, v21, v22
	v_add_u32_e32 v19, v28, v2
.LBB224_47:                             ;   in Loop: Header=BB224_41 Depth=1
	s_andn2_saveexec_b64 s[0:1], s[10:11]
; %bb.48:                               ;   in Loop: Header=BB224_41 Depth=1
	v_mul_f32_e64 v2, |v18|, s23
	v_rndne_f32_e32 v2, v2
	v_cvt_i32_f32_e32 v19, v2
	v_fma_f32 v20, v2, s24, |v18|
	v_fmac_f32_e32 v20, 0xb3a22168, v2
	v_fmac_f32_e32 v20, 0xa7c234c4, v2
; %bb.49:                               ;   in Loop: Header=BB224_41 Depth=1
	s_or_b64 exec, exec, s[0:1]
	v_alignbit_b32 v2, v7, v6, 16
	v_and_b32_e32 v6, 0xffff0000, v2
	v_cmp_nlt_f32_e64 s[0:1], |v6|, s14
                                        ; implicit-def: $vgpr21
                                        ; implicit-def: $vgpr22
	s_and_saveexec_b64 s[2:3], s[0:1]
	s_xor_b64 s[10:11], exec, s[2:3]
	s_cbranch_execz .LBB224_51
; %bb.50:                               ;   in Loop: Header=BB224_41 Depth=1
	v_and_b32_e32 v26, 0x7fffffff, v6
	v_and_b32_e32 v2, 0x7fffff, v26
	v_or_b32_e32 v28, 0x800000, v2
	v_mad_u64_u32 v[21:22], s[0:1], v28, s15, 0
	v_mov_b32_e32 v2, v22
	v_mad_u64_u32 v[22:23], s[0:1], v28, s16, v[2:3]
	v_mov_b32_e32 v2, v23
	v_mad_u64_u32 v[23:24], s[0:1], v28, s17, v[2:3]
	v_mov_b32_e32 v2, v24
	v_mad_u64_u32 v[24:25], s[0:1], v28, s18, v[2:3]
	v_lshrrev_b32_e32 v2, 23, v26
	v_add_u32_e32 v27, 0xffffff88, v2
	v_mov_b32_e32 v2, v25
	v_mad_u64_u32 v[25:26], s[0:1], v28, s19, v[2:3]
	v_cmp_lt_u32_e32 vcc, 63, v27
	v_cndmask_b32_e32 v2, 0, v11, vcc
	v_add_u32_e32 v29, v2, v27
	v_mov_b32_e32 v2, v26
	v_mad_u64_u32 v[26:27], s[0:1], v28, s20, v[2:3]
	v_cmp_lt_u32_e64 s[0:1], 31, v29
	v_cndmask_b32_e64 v2, 0, v12, s[0:1]
	v_add_u32_e32 v29, v2, v29
	v_mov_b32_e32 v2, v27
	v_mad_u64_u32 v[27:28], s[2:3], v28, s21, v[2:3]
	v_cmp_lt_u32_e64 s[2:3], 31, v29
	v_cndmask_b32_e64 v2, 0, v12, s[2:3]
	v_add_u32_e32 v2, v2, v29
	v_cndmask_b32_e32 v29, v26, v24, vcc
	v_cndmask_b32_e32 v27, v27, v25, vcc
	;; [unrolled: 1-line block ×4, first 2 shown]
	v_cndmask_b32_e64 v28, v27, v29, s[0:1]
	v_cndmask_b32_e64 v26, v26, v27, s[0:1]
	;; [unrolled: 1-line block ×3, first 2 shown]
	v_cndmask_b32_e32 v22, v24, v22, vcc
	v_cndmask_b32_e64 v26, v26, v28, s[2:3]
	v_cndmask_b32_e64 v28, v28, v27, s[2:3]
	v_sub_u32_e32 v29, 32, v2
	v_cndmask_b32_e64 v24, v25, v22, s[0:1]
	v_alignbit_b32 v30, v26, v28, v29
	v_cmp_eq_u32_e64 s[4:5], 0, v2
	v_cndmask_b32_e64 v25, v27, v24, s[2:3]
	v_cndmask_b32_e64 v2, v30, v26, s[4:5]
	v_alignbit_b32 v26, v28, v25, v29
	v_cndmask_b32_e32 v21, v23, v21, vcc
	v_cndmask_b32_e64 v26, v26, v28, s[4:5]
	v_bfe_u32 v30, v2, 29, 1
	v_cndmask_b32_e64 v21, v22, v21, s[0:1]
	v_alignbit_b32 v27, v2, v26, 30
	v_sub_u32_e32 v31, 0, v30
	v_cndmask_b32_e64 v21, v24, v21, s[2:3]
	v_xor_b32_e32 v27, v27, v31
	v_alignbit_b32 v22, v25, v21, v29
	v_cndmask_b32_e64 v22, v22, v25, s[4:5]
	v_ffbh_u32_e32 v24, v27
	v_alignbit_b32 v23, v26, v22, 30
	v_min_u32_e32 v24, 32, v24
	v_alignbit_b32 v21, v22, v21, 30
	v_xor_b32_e32 v23, v23, v31
	v_sub_u32_e32 v25, 31, v24
	v_xor_b32_e32 v21, v21, v31
	v_alignbit_b32 v26, v27, v23, v25
	v_alignbit_b32 v21, v23, v21, v25
	;; [unrolled: 1-line block ×3, first 2 shown]
	v_ffbh_u32_e32 v23, v22
	v_min_u32_e32 v23, 32, v23
	v_lshrrev_b32_e32 v28, 29, v2
	v_not_b32_e32 v25, v23
	v_alignbit_b32 v21, v22, v21, v25
	v_lshlrev_b32_e32 v22, 31, v28
	v_or_b32_e32 v25, 0x33000000, v22
	v_add_lshl_u32 v23, v23, v24, 23
	v_lshrrev_b32_e32 v21, 9, v21
	v_sub_u32_e32 v23, v25, v23
	v_or_b32_e32 v22, 0.5, v22
	v_lshlrev_b32_e32 v24, 23, v24
	v_or_b32_e32 v21, v23, v21
	v_lshrrev_b32_e32 v23, 9, v26
	v_sub_u32_e32 v22, v22, v24
	v_or_b32_e32 v22, v23, v22
	v_mul_f32_e32 v23, 0x3fc90fda, v22
	v_fma_f32 v24, v22, s22, -v23
	v_fmac_f32_e32 v24, 0x33a22168, v22
	v_fmac_f32_e32 v24, 0x3fc90fda, v21
	v_lshrrev_b32_e32 v2, 30, v2
	v_add_f32_e32 v22, v23, v24
	v_add_u32_e32 v21, v30, v2
.LBB224_51:                             ;   in Loop: Header=BB224_41 Depth=1
	s_andn2_saveexec_b64 s[0:1], s[10:11]
; %bb.52:                               ;   in Loop: Header=BB224_41 Depth=1
	v_mul_f32_e64 v2, |v6|, s23
	v_rndne_f32_e32 v2, v2
	v_cvt_i32_f32_e32 v21, v2
	v_fma_f32 v22, v2, s24, |v6|
	v_fmac_f32_e32 v22, 0xb3a22168, v2
	v_fmac_f32_e32 v22, 0xa7c234c4, v2
; %bb.53:                               ;   in Loop: Header=BB224_41 Depth=1
	s_or_b64 exec, exec, s[0:1]
	v_and_b32_e32 v7, 0xffff0000, v7
	v_cmp_nlt_f32_e64 s[0:1], |v7|, s14
                                        ; implicit-def: $vgpr2
                                        ; implicit-def: $vgpr23
	s_and_saveexec_b64 s[2:3], s[0:1]
	s_xor_b64 s[10:11], exec, s[2:3]
	s_cbranch_execz .LBB224_55
; %bb.54:                               ;   in Loop: Header=BB224_41 Depth=1
	v_and_b32_e32 v28, 0x7fffffff, v7
	v_and_b32_e32 v2, 0x7fffff, v28
	v_or_b32_e32 v30, 0x800000, v2
	v_mad_u64_u32 v[23:24], s[0:1], v30, s15, 0
	v_mov_b32_e32 v2, v24
	v_mad_u64_u32 v[24:25], s[0:1], v30, s16, v[2:3]
	v_mov_b32_e32 v2, v25
	;; [unrolled: 2-line block ×3, first 2 shown]
	v_mad_u64_u32 v[26:27], s[0:1], v30, s18, v[2:3]
	v_lshrrev_b32_e32 v2, 23, v28
	v_add_u32_e32 v29, 0xffffff88, v2
	v_mov_b32_e32 v2, v27
	v_mad_u64_u32 v[27:28], s[0:1], v30, s19, v[2:3]
	v_cmp_lt_u32_e32 vcc, 63, v29
	v_cndmask_b32_e32 v2, 0, v11, vcc
	v_add_u32_e32 v31, v2, v29
	v_mov_b32_e32 v2, v28
	v_mad_u64_u32 v[28:29], s[0:1], v30, s20, v[2:3]
	v_cmp_lt_u32_e64 s[0:1], 31, v31
	v_cndmask_b32_e64 v2, 0, v12, s[0:1]
	v_add_u32_e32 v31, v2, v31
	v_mov_b32_e32 v2, v29
	v_mad_u64_u32 v[29:30], s[2:3], v30, s21, v[2:3]
	v_cmp_lt_u32_e64 s[2:3], 31, v31
	v_cndmask_b32_e64 v2, 0, v12, s[2:3]
	v_add_u32_e32 v2, v2, v31
	v_cndmask_b32_e32 v31, v28, v26, vcc
	v_cndmask_b32_e32 v29, v29, v27, vcc
	;; [unrolled: 1-line block ×4, first 2 shown]
	v_cndmask_b32_e64 v30, v29, v31, s[0:1]
	v_cndmask_b32_e64 v28, v28, v29, s[0:1]
	;; [unrolled: 1-line block ×3, first 2 shown]
	v_cndmask_b32_e32 v24, v26, v24, vcc
	v_cndmask_b32_e64 v28, v28, v30, s[2:3]
	v_cndmask_b32_e64 v30, v30, v29, s[2:3]
	v_sub_u32_e32 v31, 32, v2
	v_cndmask_b32_e64 v26, v27, v24, s[0:1]
	v_alignbit_b32 v32, v28, v30, v31
	v_cmp_eq_u32_e64 s[4:5], 0, v2
	v_cndmask_b32_e64 v27, v29, v26, s[2:3]
	v_cndmask_b32_e64 v2, v32, v28, s[4:5]
	v_alignbit_b32 v28, v30, v27, v31
	v_cndmask_b32_e32 v23, v25, v23, vcc
	v_cndmask_b32_e64 v28, v28, v30, s[4:5]
	v_bfe_u32 v32, v2, 29, 1
	v_cndmask_b32_e64 v23, v24, v23, s[0:1]
	v_alignbit_b32 v29, v2, v28, 30
	v_sub_u32_e32 v33, 0, v32
	v_cndmask_b32_e64 v23, v26, v23, s[2:3]
	v_xor_b32_e32 v29, v29, v33
	v_alignbit_b32 v24, v27, v23, v31
	v_cndmask_b32_e64 v24, v24, v27, s[4:5]
	v_ffbh_u32_e32 v26, v29
	v_alignbit_b32 v25, v28, v24, 30
	v_min_u32_e32 v26, 32, v26
	v_alignbit_b32 v23, v24, v23, 30
	v_xor_b32_e32 v25, v25, v33
	v_sub_u32_e32 v27, 31, v26
	v_xor_b32_e32 v23, v23, v33
	v_alignbit_b32 v28, v29, v25, v27
	v_alignbit_b32 v23, v25, v23, v27
	;; [unrolled: 1-line block ×3, first 2 shown]
	v_ffbh_u32_e32 v25, v24
	v_min_u32_e32 v25, 32, v25
	v_lshrrev_b32_e32 v30, 29, v2
	v_not_b32_e32 v27, v25
	v_alignbit_b32 v23, v24, v23, v27
	v_lshlrev_b32_e32 v24, 31, v30
	v_or_b32_e32 v27, 0x33000000, v24
	v_add_lshl_u32 v25, v25, v26, 23
	v_lshrrev_b32_e32 v23, 9, v23
	v_sub_u32_e32 v25, v27, v25
	v_or_b32_e32 v24, 0.5, v24
	v_lshlrev_b32_e32 v26, 23, v26
	v_or_b32_e32 v23, v25, v23
	v_lshrrev_b32_e32 v25, 9, v28
	v_sub_u32_e32 v24, v24, v26
	v_or_b32_e32 v24, v25, v24
	v_mul_f32_e32 v25, 0x3fc90fda, v24
	v_fma_f32 v26, v24, s22, -v25
	v_fmac_f32_e32 v26, 0x33a22168, v24
	v_fmac_f32_e32 v26, 0x3fc90fda, v23
	v_lshrrev_b32_e32 v2, 30, v2
	v_add_f32_e32 v23, v25, v26
	v_add_u32_e32 v2, v32, v2
.LBB224_55:                             ;   in Loop: Header=BB224_41 Depth=1
	s_andn2_saveexec_b64 s[0:1], s[10:11]
	s_cbranch_execz .LBB224_40
; %bb.56:                               ;   in Loop: Header=BB224_41 Depth=1
	v_mul_f32_e64 v2, |v7|, s23
	v_rndne_f32_e32 v24, v2
	v_cvt_i32_f32_e32 v2, v24
	v_fma_f32 v23, v24, s24, |v7|
	v_fmac_f32_e32 v23, 0xb3a22168, v24
	v_fmac_f32_e32 v23, 0xa7c234c4, v24
	s_branch .LBB224_40
.LBB224_57:
	s_endpgm
	.section	.rodata,"a",@progbits
	.p2align	6, 0x0
	.amdhsa_kernel _ZN2at6native12_GLOBAL__N_125multi_tensor_apply_kernelINS1_18TensorListMetadataILi1EEENS1_14UnaryOpFunctorIN3c108BFloat16ELi1ELi1ELi0EEEJNS0_3CosIfEEEEEvT_T0_DpT1_
		.amdhsa_group_segment_fixed_size 0
		.amdhsa_private_segment_fixed_size 0
		.amdhsa_kernarg_size 3632
		.amdhsa_user_sgpr_count 6
		.amdhsa_user_sgpr_private_segment_buffer 1
		.amdhsa_user_sgpr_dispatch_ptr 0
		.amdhsa_user_sgpr_queue_ptr 0
		.amdhsa_user_sgpr_kernarg_segment_ptr 1
		.amdhsa_user_sgpr_dispatch_id 0
		.amdhsa_user_sgpr_flat_scratch_init 0
		.amdhsa_user_sgpr_private_segment_size 0
		.amdhsa_uses_dynamic_stack 0
		.amdhsa_system_sgpr_private_segment_wavefront_offset 0
		.amdhsa_system_sgpr_workgroup_id_x 1
		.amdhsa_system_sgpr_workgroup_id_y 0
		.amdhsa_system_sgpr_workgroup_id_z 0
		.amdhsa_system_sgpr_workgroup_info 0
		.amdhsa_system_vgpr_workitem_id 0
		.amdhsa_next_free_vgpr 41
		.amdhsa_next_free_sgpr 45
		.amdhsa_reserve_vcc 1
		.amdhsa_reserve_flat_scratch 0
		.amdhsa_float_round_mode_32 0
		.amdhsa_float_round_mode_16_64 0
		.amdhsa_float_denorm_mode_32 3
		.amdhsa_float_denorm_mode_16_64 3
		.amdhsa_dx10_clamp 1
		.amdhsa_ieee_mode 1
		.amdhsa_fp16_overflow 0
		.amdhsa_exception_fp_ieee_invalid_op 0
		.amdhsa_exception_fp_denorm_src 0
		.amdhsa_exception_fp_ieee_div_zero 0
		.amdhsa_exception_fp_ieee_overflow 0
		.amdhsa_exception_fp_ieee_underflow 0
		.amdhsa_exception_fp_ieee_inexact 0
		.amdhsa_exception_int_div_zero 0
	.end_amdhsa_kernel
	.section	.text._ZN2at6native12_GLOBAL__N_125multi_tensor_apply_kernelINS1_18TensorListMetadataILi1EEENS1_14UnaryOpFunctorIN3c108BFloat16ELi1ELi1ELi0EEEJNS0_3CosIfEEEEEvT_T0_DpT1_,"axG",@progbits,_ZN2at6native12_GLOBAL__N_125multi_tensor_apply_kernelINS1_18TensorListMetadataILi1EEENS1_14UnaryOpFunctorIN3c108BFloat16ELi1ELi1ELi0EEEJNS0_3CosIfEEEEEvT_T0_DpT1_,comdat
.Lfunc_end224:
	.size	_ZN2at6native12_GLOBAL__N_125multi_tensor_apply_kernelINS1_18TensorListMetadataILi1EEENS1_14UnaryOpFunctorIN3c108BFloat16ELi1ELi1ELi0EEEJNS0_3CosIfEEEEEvT_T0_DpT1_, .Lfunc_end224-_ZN2at6native12_GLOBAL__N_125multi_tensor_apply_kernelINS1_18TensorListMetadataILi1EEENS1_14UnaryOpFunctorIN3c108BFloat16ELi1ELi1ELi0EEEJNS0_3CosIfEEEEEvT_T0_DpT1_
                                        ; -- End function
	.set _ZN2at6native12_GLOBAL__N_125multi_tensor_apply_kernelINS1_18TensorListMetadataILi1EEENS1_14UnaryOpFunctorIN3c108BFloat16ELi1ELi1ELi0EEEJNS0_3CosIfEEEEEvT_T0_DpT1_.num_vgpr, 41
	.set _ZN2at6native12_GLOBAL__N_125multi_tensor_apply_kernelINS1_18TensorListMetadataILi1EEENS1_14UnaryOpFunctorIN3c108BFloat16ELi1ELi1ELi0EEEJNS0_3CosIfEEEEEvT_T0_DpT1_.num_agpr, 0
	.set _ZN2at6native12_GLOBAL__N_125multi_tensor_apply_kernelINS1_18TensorListMetadataILi1EEENS1_14UnaryOpFunctorIN3c108BFloat16ELi1ELi1ELi0EEEJNS0_3CosIfEEEEEvT_T0_DpT1_.numbered_sgpr, 45
	.set _ZN2at6native12_GLOBAL__N_125multi_tensor_apply_kernelINS1_18TensorListMetadataILi1EEENS1_14UnaryOpFunctorIN3c108BFloat16ELi1ELi1ELi0EEEJNS0_3CosIfEEEEEvT_T0_DpT1_.num_named_barrier, 0
	.set _ZN2at6native12_GLOBAL__N_125multi_tensor_apply_kernelINS1_18TensorListMetadataILi1EEENS1_14UnaryOpFunctorIN3c108BFloat16ELi1ELi1ELi0EEEJNS0_3CosIfEEEEEvT_T0_DpT1_.private_seg_size, 0
	.set _ZN2at6native12_GLOBAL__N_125multi_tensor_apply_kernelINS1_18TensorListMetadataILi1EEENS1_14UnaryOpFunctorIN3c108BFloat16ELi1ELi1ELi0EEEJNS0_3CosIfEEEEEvT_T0_DpT1_.uses_vcc, 1
	.set _ZN2at6native12_GLOBAL__N_125multi_tensor_apply_kernelINS1_18TensorListMetadataILi1EEENS1_14UnaryOpFunctorIN3c108BFloat16ELi1ELi1ELi0EEEJNS0_3CosIfEEEEEvT_T0_DpT1_.uses_flat_scratch, 0
	.set _ZN2at6native12_GLOBAL__N_125multi_tensor_apply_kernelINS1_18TensorListMetadataILi1EEENS1_14UnaryOpFunctorIN3c108BFloat16ELi1ELi1ELi0EEEJNS0_3CosIfEEEEEvT_T0_DpT1_.has_dyn_sized_stack, 0
	.set _ZN2at6native12_GLOBAL__N_125multi_tensor_apply_kernelINS1_18TensorListMetadataILi1EEENS1_14UnaryOpFunctorIN3c108BFloat16ELi1ELi1ELi0EEEJNS0_3CosIfEEEEEvT_T0_DpT1_.has_recursion, 0
	.set _ZN2at6native12_GLOBAL__N_125multi_tensor_apply_kernelINS1_18TensorListMetadataILi1EEENS1_14UnaryOpFunctorIN3c108BFloat16ELi1ELi1ELi0EEEJNS0_3CosIfEEEEEvT_T0_DpT1_.has_indirect_call, 0
	.section	.AMDGPU.csdata,"",@progbits
; Kernel info:
; codeLenInByte = 7416
; TotalNumSgprs: 49
; NumVgprs: 41
; ScratchSize: 0
; MemoryBound: 0
; FloatMode: 240
; IeeeMode: 1
; LDSByteSize: 0 bytes/workgroup (compile time only)
; SGPRBlocks: 6
; VGPRBlocks: 10
; NumSGPRsForWavesPerEU: 49
; NumVGPRsForWavesPerEU: 41
; Occupancy: 5
; WaveLimiterHint : 0
; COMPUTE_PGM_RSRC2:SCRATCH_EN: 0
; COMPUTE_PGM_RSRC2:USER_SGPR: 6
; COMPUTE_PGM_RSRC2:TRAP_HANDLER: 0
; COMPUTE_PGM_RSRC2:TGID_X_EN: 1
; COMPUTE_PGM_RSRC2:TGID_Y_EN: 0
; COMPUTE_PGM_RSRC2:TGID_Z_EN: 0
; COMPUTE_PGM_RSRC2:TIDIG_COMP_CNT: 0
	.section	.text._ZN2at6native12_GLOBAL__N_125multi_tensor_apply_kernelINS1_18TensorListMetadataILi2EEENS1_14UnaryOpFunctorIdLi2ELi1ELi1EEEJNS0_4SqrtIdEEEEEvT_T0_DpT1_,"axG",@progbits,_ZN2at6native12_GLOBAL__N_125multi_tensor_apply_kernelINS1_18TensorListMetadataILi2EEENS1_14UnaryOpFunctorIdLi2ELi1ELi1EEEJNS0_4SqrtIdEEEEEvT_T0_DpT1_,comdat
	.globl	_ZN2at6native12_GLOBAL__N_125multi_tensor_apply_kernelINS1_18TensorListMetadataILi2EEENS1_14UnaryOpFunctorIdLi2ELi1ELi1EEEJNS0_4SqrtIdEEEEEvT_T0_DpT1_ ; -- Begin function _ZN2at6native12_GLOBAL__N_125multi_tensor_apply_kernelINS1_18TensorListMetadataILi2EEENS1_14UnaryOpFunctorIdLi2ELi1ELi1EEEJNS0_4SqrtIdEEEEEvT_T0_DpT1_
	.p2align	8
	.type	_ZN2at6native12_GLOBAL__N_125multi_tensor_apply_kernelINS1_18TensorListMetadataILi2EEENS1_14UnaryOpFunctorIdLi2ELi1ELi1EEEJNS0_4SqrtIdEEEEEvT_T0_DpT1_,@function
_ZN2at6native12_GLOBAL__N_125multi_tensor_apply_kernelINS1_18TensorListMetadataILi2EEENS1_14UnaryOpFunctorIdLi2ELi1ELi1EEEJNS0_4SqrtIdEEEEEvT_T0_DpT1_: ; @_ZN2at6native12_GLOBAL__N_125multi_tensor_apply_kernelINS1_18TensorListMetadataILi2EEENS1_14UnaryOpFunctorIdLi2ELi1ELi1EEEJNS0_4SqrtIdEEEEEvT_T0_DpT1_
; %bb.0:
	v_mov_b32_e32 v1, s6
	global_load_ubyte v1, v1, s[4:5] offset:1536
	s_add_u32 s0, s4, s6
	s_mul_hi_u32 s2, s6, 3
	s_mul_i32 s6, s6, 3
	s_addc_u32 s7, s5, 0
	s_add_u32 s6, s0, s6
	s_addc_u32 s7, s7, s2
	s_load_dword s6, s[6:7], 0x740
	s_mov_b32 s1, 0
	s_mov_b32 s3, s1
	s_waitcnt lgkmcnt(0)
	s_ashr_i32 s7, s6, 31
	s_lshl_b64 s[8:9], s[6:7], 19
	s_lshl_b64 s[6:7], s[6:7], 16
	s_waitcnt vmcnt(0)
	v_readfirstlane_b32 s0, v1
	s_lshl_b32 s0, s0, 3
	s_load_dwordx2 s[14:15], s[4:5], s0 offset:0x400
	s_load_dwordx2 s[12:13], s[4:5], s0 offset:0x0
	;; [unrolled: 1-line block ×3, first 2 shown]
	s_waitcnt lgkmcnt(0)
	s_add_u32 s0, s12, s8
	s_and_b32 s2, s10, 31
	s_and_b32 s0, s0, 31
	s_sub_u32 s16, s14, s6
	s_subb_u32 s17, s15, s7
	s_and_b32 s6, s14, 3
	s_mov_b32 s7, s1
	s_or_b64 s[2:3], s[2:3], s[6:7]
	s_or_b64 s[0:1], s[2:3], s[0:1]
	s_cmp_eq_u64 s[0:1], 0
	s_mov_b64 s[0:1], -1
	s_cbranch_scc0 .LBB225_5
; %bb.1:
	v_mov_b32_e32 v1, 0x10000
	v_mov_b32_e32 v2, 0
	v_cmp_lt_i64_e32 vcc, s[16:17], v[1:2]
	v_mov_b32_e32 v2, 0
	s_and_b64 s[0:1], vcc, exec
	s_cselect_b32 s15, s17, 0
	s_cselect_b32 s14, s16, 0x10000
	v_lshlrev_b32_e32 v1, 2, v0
	v_cmp_gt_i64_e32 vcc, s[14:15], v[1:2]
	s_and_saveexec_b64 s[18:19], vcc
	s_cbranch_execz .LBB225_4
; %bb.2:
	s_load_dword s0, s[4:5], 0xc5c
	v_mov_b32_e32 v1, v2
	v_lshlrev_b32_e32 v2, 5, v0
	v_mov_b32_e32 v4, s9
	v_add_co_u32_e32 v3, vcc, s8, v2
	s_waitcnt lgkmcnt(0)
	s_and_b32 s24, s0, 0xffff
	s_mov_b32 s22, 0
	v_mov_b32_e32 v2, v1
	v_addc_co_u32_e32 v4, vcc, 0, v4, vcc
	s_lshl_b32 s25, s24, 5
	s_mov_b64 s[20:21], 0
	v_mov_b32_e32 v5, s13
	s_brev_b32 s23, 8
	v_mov_b32_e32 v6, 0x100
	v_mov_b32_e32 v7, 0xffffff80
	;; [unrolled: 1-line block ×5, first 2 shown]
.LBB225_3:                              ; =>This Inner Loop Header: Depth=1
	v_add_co_u32_e32 v18, vcc, s12, v3
	v_addc_co_u32_e32 v19, vcc, v5, v4, vcc
	global_load_dwordx4 v[10:13], v[18:19], off
	global_load_dwordx4 v[14:17], v[18:19], off offset:16
	v_add_co_u32_e32 v18, vcc, s10, v3
	v_addc_co_u32_e32 v19, vcc, v9, v4, vcc
	v_add_co_u32_e32 v1, vcc, s24, v1
	v_addc_co_u32_e32 v2, vcc, 0, v2, vcc
	v_add_co_u32_e32 v3, vcc, s25, v3
	v_lshlrev_b64 v[20:21], 2, v[1:2]
	v_addc_co_u32_e32 v4, vcc, 0, v4, vcc
	v_cmp_le_i64_e32 vcc, s[14:15], v[20:21]
	s_or_b64 s[20:21], vcc, s[20:21]
	s_waitcnt vmcnt(1)
	v_cmp_gt_f64_e32 vcc, s[22:23], v[10:11]
	v_cmp_gt_f64_e64 s[0:1], s[22:23], v[12:13]
	s_waitcnt vmcnt(0)
	v_cmp_gt_f64_e64 s[2:3], s[22:23], v[14:15]
	v_cmp_gt_f64_e64 s[6:7], s[22:23], v[16:17]
	v_cndmask_b32_e32 v20, 0, v6, vcc
	v_ldexp_f64 v[10:11], v[10:11], v20
	v_cndmask_b32_e64 v21, 0, v6, s[0:1]
	v_cndmask_b32_e64 v22, 0, v6, s[2:3]
	;; [unrolled: 1-line block ×3, first 2 shown]
	v_ldexp_f64 v[12:13], v[12:13], v21
	v_ldexp_f64 v[14:15], v[14:15], v22
	;; [unrolled: 1-line block ×3, first 2 shown]
	v_cndmask_b32_e32 v42, 0, v7, vcc
	v_rsq_f64_e32 v[20:21], v[10:11]
	v_cndmask_b32_e64 v43, 0, v7, s[0:1]
	v_cndmask_b32_e64 v44, 0, v7, s[2:3]
	v_cmp_class_f64_e32 vcc, v[10:11], v8
	v_rsq_f64_e32 v[22:23], v[12:13]
	v_rsq_f64_e32 v[24:25], v[14:15]
	;; [unrolled: 1-line block ×3, first 2 shown]
	v_cmp_class_f64_e64 s[0:1], v[12:13], v8
	v_cmp_class_f64_e64 s[2:3], v[14:15], v8
	v_mul_f64 v[28:29], v[10:11], v[20:21]
	v_mul_f64 v[20:21], v[20:21], 0.5
	v_mul_f64 v[30:31], v[12:13], v[22:23]
	v_mul_f64 v[22:23], v[22:23], 0.5
	;; [unrolled: 2-line block ×4, first 2 shown]
	v_fma_f64 v[36:37], -v[20:21], v[28:29], 0.5
	v_fma_f64 v[38:39], -v[22:23], v[30:31], 0.5
	;; [unrolled: 1-line block ×3, first 2 shown]
	v_fma_f64 v[28:29], v[28:29], v[36:37], v[28:29]
	v_fma_f64 v[20:21], v[20:21], v[36:37], v[20:21]
	v_fma_f64 v[36:37], -v[26:27], v[34:35], 0.5
	v_fma_f64 v[30:31], v[30:31], v[38:39], v[30:31]
	v_fma_f64 v[22:23], v[22:23], v[38:39], v[22:23]
	;; [unrolled: 1-line block ×6, first 2 shown]
	v_fma_f64 v[36:37], -v[28:29], v[28:29], v[10:11]
	v_fma_f64 v[38:39], -v[30:31], v[30:31], v[12:13]
	;; [unrolled: 1-line block ×3, first 2 shown]
	v_fma_f64 v[28:29], v[36:37], v[20:21], v[28:29]
	v_fma_f64 v[36:37], -v[34:35], v[34:35], v[16:17]
	v_fma_f64 v[30:31], v[38:39], v[22:23], v[30:31]
	v_fma_f64 v[32:33], v[40:41], v[24:25], v[32:33]
	;; [unrolled: 1-line block ×3, first 2 shown]
	v_fma_f64 v[36:37], -v[28:29], v[28:29], v[10:11]
	v_fma_f64 v[38:39], -v[30:31], v[30:31], v[12:13]
	;; [unrolled: 1-line block ×3, first 2 shown]
	v_fma_f64 v[20:21], v[36:37], v[20:21], v[28:29]
	v_fma_f64 v[28:29], -v[34:35], v[34:35], v[16:17]
	v_fma_f64 v[22:23], v[38:39], v[22:23], v[30:31]
	v_fma_f64 v[24:25], v[40:41], v[24:25], v[32:33]
	v_cndmask_b32_e64 v36, 0, v7, s[6:7]
	v_cmp_class_f64_e64 s[6:7], v[16:17], v8
	v_ldexp_f64 v[20:21], v[20:21], v42
	v_fma_f64 v[26:27], v[28:29], v[26:27], v[34:35]
	v_ldexp_f64 v[22:23], v[22:23], v43
	v_ldexp_f64 v[24:25], v[24:25], v44
	v_cndmask_b32_e32 v11, v21, v11, vcc
	v_ldexp_f64 v[26:27], v[26:27], v36
	v_cndmask_b32_e32 v10, v20, v10, vcc
	v_cndmask_b32_e64 v13, v23, v13, s[0:1]
	v_cndmask_b32_e64 v12, v22, v12, s[0:1]
	;; [unrolled: 1-line block ×6, first 2 shown]
	global_store_dwordx4 v[18:19], v[10:13], off
	global_store_dwordx4 v[18:19], v[14:17], off offset:16
	s_andn2_b64 exec, exec, s[20:21]
	s_cbranch_execnz .LBB225_3
.LBB225_4:
	s_or_b64 exec, exec, s[18:19]
	s_mov_b64 s[0:1], 0
.LBB225_5:
	s_andn2_b64 vcc, exec, s[0:1]
	s_cbranch_vccnz .LBB225_25
; %bb.6:
	v_cmp_lt_i64_e64 s[0:1], s[16:17], 1
	s_and_b64 vcc, exec, s[0:1]
	s_cbranch_vccnz .LBB225_25
; %bb.7:
	v_mov_b32_e32 v1, 0x10000
	s_load_dword s2, s[4:5], 0xc5c
	v_mov_b32_e32 v2, 0
	v_cmp_lt_i64_e32 vcc, s[16:17], v[1:2]
	v_mov_b32_e32 v3, 0
	s_and_b64 s[0:1], vcc, exec
	v_cmp_lt_u64_e32 vcc, s[16:17], v[1:2]
	s_cselect_b32 s15, s17, 0
	s_cselect_b32 s14, s16, 0x10000
	s_waitcnt lgkmcnt(0)
	s_and_b32 s2, s2, 0xffff
	v_lshlrev_b32_e32 v2, 3, v0
	s_and_b64 s[0:1], vcc, exec
	v_mov_b32_e32 v1, s13
	v_add_co_u32_e32 v9, vcc, s12, v2
	v_mad_u64_u32 v[3:4], s[0:1], s2, 24, v[2:3]
	v_addc_co_u32_e32 v10, vcc, 0, v1, vcc
	v_mov_b32_e32 v1, s11
	v_add_co_u32_e32 v11, vcc, s10, v2
	v_addc_co_u32_e32 v12, vcc, 0, v1, vcc
	v_mov_b32_e32 v1, s13
	v_add_co_u32_e32 v13, vcc, s12, v3
	;; [unrolled: 3-line block ×3, first 2 shown]
	s_cselect_b32 s17, s17, 0
	s_cselect_b32 s16, s16, 0x10000
	v_addc_co_u32_e32 v16, vcc, v1, v4, vcc
	s_lshl_b32 s0, s2, 4
	v_add_co_u32_e32 v1, vcc, s0, v2
	v_addc_co_u32_e64 v2, s[0:1], 0, 0, vcc
	v_mov_b32_e32 v3, s13
	v_add_co_u32_e32 v17, vcc, s12, v1
	v_addc_co_u32_e32 v18, vcc, v3, v2, vcc
	v_mov_b32_e32 v3, s11
	v_add_co_u32_e32 v19, vcc, s10, v1
	v_addc_co_u32_e32 v20, vcc, v3, v2, vcc
	v_add_co_u32_e32 v21, vcc, s2, v0
	v_lshlrev_b32_e32 v1, 3, v21
	v_addc_co_u32_e64 v22, s[0:1], 0, 0, vcc
	v_mov_b32_e32 v2, s13
	v_add_co_u32_e32 v23, vcc, s12, v1
	v_addc_co_u32_e32 v24, vcc, 0, v2, vcc
	v_mov_b32_e32 v2, s11
	v_add_co_u32_e32 v25, vcc, s10, v1
	s_mul_i32 s4, s2, 3
	v_addc_co_u32_e32 v26, vcc, 0, v2, vcc
	s_lshl_b32 s3, s2, 1
	v_add_co_u32_e32 v27, vcc, s4, v0
	s_mov_b32 s12, 0
	v_addc_co_u32_e64 v28, s[0:1], 0, 0, vcc
	v_add_co_u32_e32 v29, vcc, s3, v0
	s_lshl_b32 s20, s2, 2
	s_lshl_b32 s21, s2, 5
	s_mov_b64 s[10:11], 0
	s_brev_b32 s13, 8
	v_addc_co_u32_e64 v30, s[0:1], 0, 0, vcc
	v_mov_b32_e32 v31, 0x260
	v_mov_b32_e32 v32, 0x100
	;; [unrolled: 1-line block ×3, first 2 shown]
	s_branch .LBB225_9
.LBB225_8:                              ;   in Loop: Header=BB225_9 Depth=1
	s_or_b64 exec, exec, s[0:1]
	v_add_co_u32_e32 v9, vcc, s21, v9
	v_addc_co_u32_e32 v10, vcc, 0, v10, vcc
	v_add_co_u32_e32 v11, vcc, s21, v11
	v_addc_co_u32_e32 v12, vcc, 0, v12, vcc
	;; [unrolled: 2-line block ×6, first 2 shown]
	s_add_u32 s10, s10, s20
	v_add_co_u32_e32 v23, vcc, s21, v23
	v_mov_b32_e32 v1, s14
	s_addc_u32 s11, s11, 0
	v_addc_co_u32_e32 v24, vcc, 0, v24, vcc
	v_mov_b32_e32 v2, s15
	v_cmp_ge_i64_e32 vcc, s[10:11], v[1:2]
	v_add_co_u32_e64 v25, s[0:1], s21, v25
	v_addc_co_u32_e64 v26, s[0:1], 0, v26, s[0:1]
	s_cbranch_vccnz .LBB225_25
.LBB225_9:                              ; =>This Inner Loop Header: Depth=1
	v_mov_b32_e32 v2, s11
	v_add_co_u32_e32 v1, vcc, s10, v0
	v_addc_co_u32_e32 v2, vcc, 0, v2, vcc
	v_cmp_gt_u64_e32 vcc, s[16:17], v[1:2]
	v_mov_b32_e32 v1, 0
	v_mov_b32_e32 v3, 0
	;; [unrolled: 1-line block ×4, first 2 shown]
	s_and_saveexec_b64 s[2:3], vcc
	s_cbranch_execz .LBB225_11
; %bb.10:                               ;   in Loop: Header=BB225_9 Depth=1
	v_mov_b32_e32 v4, s9
	v_add_co_u32_e64 v3, s[0:1], s8, v9
	v_addc_co_u32_e64 v4, s[0:1], v10, v4, s[0:1]
	global_load_dwordx2 v[3:4], v[3:4], off
	s_waitcnt vmcnt(0)
	v_cmp_gt_f64_e64 s[0:1], s[12:13], v[3:4]
	v_cndmask_b32_e64 v5, 0, v32, s[0:1]
	v_ldexp_f64 v[3:4], v[3:4], v5
	v_rsq_f64_e32 v[5:6], v[3:4]
	v_mul_f64 v[7:8], v[3:4], v[5:6]
	v_mul_f64 v[5:6], v[5:6], 0.5
	v_fma_f64 v[34:35], -v[5:6], v[7:8], 0.5
	v_fma_f64 v[7:8], v[7:8], v[34:35], v[7:8]
	v_fma_f64 v[5:6], v[5:6], v[34:35], v[5:6]
	v_fma_f64 v[34:35], -v[7:8], v[7:8], v[3:4]
	v_fma_f64 v[7:8], v[34:35], v[5:6], v[7:8]
	v_fma_f64 v[34:35], -v[7:8], v[7:8], v[3:4]
	v_fma_f64 v[5:6], v[34:35], v[5:6], v[7:8]
	v_cndmask_b32_e64 v7, 0, v33, s[0:1]
	v_cmp_class_f64_e64 s[0:1], v[3:4], v31
	v_ldexp_f64 v[5:6], v[5:6], v7
	v_cndmask_b32_e64 v4, v6, v4, s[0:1]
	v_cndmask_b32_e64 v3, v5, v3, s[0:1]
.LBB225_11:                             ;   in Loop: Header=BB225_9 Depth=1
	s_or_b64 exec, exec, s[2:3]
	v_mov_b32_e32 v6, s11
	v_add_co_u32_e64 v5, s[0:1], s10, v21
	v_addc_co_u32_e64 v6, s[0:1], v22, v6, s[0:1]
	v_cmp_gt_u64_e64 s[0:1], s[16:17], v[5:6]
	s_and_saveexec_b64 s[4:5], s[0:1]
	s_cbranch_execz .LBB225_13
; %bb.12:                               ;   in Loop: Header=BB225_9 Depth=1
	v_mov_b32_e32 v2, s9
	v_add_co_u32_e64 v1, s[2:3], s8, v23
	v_addc_co_u32_e64 v2, s[2:3], v24, v2, s[2:3]
	global_load_dwordx2 v[1:2], v[1:2], off
	s_waitcnt vmcnt(0)
	v_cmp_gt_f64_e64 s[2:3], s[12:13], v[1:2]
	v_cndmask_b32_e64 v5, 0, v32, s[2:3]
	v_ldexp_f64 v[1:2], v[1:2], v5
	v_rsq_f64_e32 v[5:6], v[1:2]
	v_mul_f64 v[7:8], v[1:2], v[5:6]
	v_mul_f64 v[5:6], v[5:6], 0.5
	v_fma_f64 v[34:35], -v[5:6], v[7:8], 0.5
	v_fma_f64 v[7:8], v[7:8], v[34:35], v[7:8]
	v_fma_f64 v[5:6], v[5:6], v[34:35], v[5:6]
	v_fma_f64 v[34:35], -v[7:8], v[7:8], v[1:2]
	v_fma_f64 v[7:8], v[34:35], v[5:6], v[7:8]
	v_fma_f64 v[34:35], -v[7:8], v[7:8], v[1:2]
	v_fma_f64 v[5:6], v[34:35], v[5:6], v[7:8]
	v_cndmask_b32_e64 v7, 0, v33, s[2:3]
	v_cmp_class_f64_e64 s[2:3], v[1:2], v31
	v_ldexp_f64 v[5:6], v[5:6], v7
	v_cndmask_b32_e64 v2, v6, v2, s[2:3]
	v_cndmask_b32_e64 v1, v5, v1, s[2:3]
.LBB225_13:                             ;   in Loop: Header=BB225_9 Depth=1
	s_or_b64 exec, exec, s[4:5]
	v_mov_b32_e32 v6, s11
	v_add_co_u32_e64 v5, s[2:3], s10, v29
	v_addc_co_u32_e64 v6, s[2:3], v30, v6, s[2:3]
	v_cmp_gt_u64_e64 s[2:3], s[16:17], v[5:6]
	v_mov_b32_e32 v5, 0
	v_mov_b32_e32 v7, 0
	;; [unrolled: 1-line block ×4, first 2 shown]
	s_and_saveexec_b64 s[6:7], s[2:3]
	s_cbranch_execz .LBB225_15
; %bb.14:                               ;   in Loop: Header=BB225_9 Depth=1
	v_mov_b32_e32 v8, s9
	v_add_co_u32_e64 v7, s[4:5], s8, v17
	v_addc_co_u32_e64 v8, s[4:5], v18, v8, s[4:5]
	global_load_dwordx2 v[7:8], v[7:8], off
	s_waitcnt vmcnt(0)
	v_cmp_gt_f64_e64 s[4:5], s[12:13], v[7:8]
	v_cndmask_b32_e64 v34, 0, v32, s[4:5]
	v_ldexp_f64 v[7:8], v[7:8], v34
	v_rsq_f64_e32 v[34:35], v[7:8]
	v_mul_f64 v[36:37], v[7:8], v[34:35]
	v_mul_f64 v[34:35], v[34:35], 0.5
	v_fma_f64 v[38:39], -v[34:35], v[36:37], 0.5
	v_fma_f64 v[36:37], v[36:37], v[38:39], v[36:37]
	v_fma_f64 v[34:35], v[34:35], v[38:39], v[34:35]
	v_fma_f64 v[38:39], -v[36:37], v[36:37], v[7:8]
	v_fma_f64 v[36:37], v[38:39], v[34:35], v[36:37]
	v_fma_f64 v[38:39], -v[36:37], v[36:37], v[7:8]
	v_fma_f64 v[34:35], v[38:39], v[34:35], v[36:37]
	v_cndmask_b32_e64 v36, 0, v33, s[4:5]
	v_cmp_class_f64_e64 s[4:5], v[7:8], v31
	v_ldexp_f64 v[34:35], v[34:35], v36
	v_cndmask_b32_e64 v8, v35, v8, s[4:5]
	v_cndmask_b32_e64 v7, v34, v7, s[4:5]
.LBB225_15:                             ;   in Loop: Header=BB225_9 Depth=1
	s_or_b64 exec, exec, s[6:7]
	v_mov_b32_e32 v35, s11
	v_add_co_u32_e64 v34, s[4:5], s10, v27
	v_addc_co_u32_e64 v35, s[4:5], v28, v35, s[4:5]
	v_cmp_gt_u64_e64 s[4:5], s[16:17], v[34:35]
	s_and_saveexec_b64 s[18:19], s[4:5]
	s_cbranch_execnz .LBB225_20
; %bb.16:                               ;   in Loop: Header=BB225_9 Depth=1
	s_or_b64 exec, exec, s[18:19]
	s_and_saveexec_b64 s[6:7], vcc
	s_cbranch_execnz .LBB225_21
.LBB225_17:                             ;   in Loop: Header=BB225_9 Depth=1
	s_or_b64 exec, exec, s[6:7]
	s_and_saveexec_b64 s[6:7], s[0:1]
	s_cbranch_execnz .LBB225_22
.LBB225_18:                             ;   in Loop: Header=BB225_9 Depth=1
	s_or_b64 exec, exec, s[6:7]
	s_and_saveexec_b64 s[0:1], s[2:3]
	s_cbranch_execnz .LBB225_23
.LBB225_19:                             ;   in Loop: Header=BB225_9 Depth=1
	s_or_b64 exec, exec, s[0:1]
	s_and_saveexec_b64 s[0:1], s[4:5]
	s_cbranch_execz .LBB225_8
	s_branch .LBB225_24
.LBB225_20:                             ;   in Loop: Header=BB225_9 Depth=1
	v_mov_b32_e32 v6, s9
	v_add_co_u32_e64 v5, s[6:7], s8, v13
	v_addc_co_u32_e64 v6, s[6:7], v14, v6, s[6:7]
	global_load_dwordx2 v[5:6], v[5:6], off
	s_waitcnt vmcnt(0)
	v_cmp_gt_f64_e64 s[6:7], s[12:13], v[5:6]
	v_cndmask_b32_e64 v34, 0, v32, s[6:7]
	v_ldexp_f64 v[5:6], v[5:6], v34
	v_rsq_f64_e32 v[34:35], v[5:6]
	v_mul_f64 v[36:37], v[5:6], v[34:35]
	v_mul_f64 v[34:35], v[34:35], 0.5
	v_fma_f64 v[38:39], -v[34:35], v[36:37], 0.5
	v_fma_f64 v[36:37], v[36:37], v[38:39], v[36:37]
	v_fma_f64 v[34:35], v[34:35], v[38:39], v[34:35]
	v_fma_f64 v[38:39], -v[36:37], v[36:37], v[5:6]
	v_fma_f64 v[36:37], v[38:39], v[34:35], v[36:37]
	v_fma_f64 v[38:39], -v[36:37], v[36:37], v[5:6]
	v_fma_f64 v[34:35], v[38:39], v[34:35], v[36:37]
	v_cndmask_b32_e64 v36, 0, v33, s[6:7]
	v_cmp_class_f64_e64 s[6:7], v[5:6], v31
	v_ldexp_f64 v[34:35], v[34:35], v36
	v_cndmask_b32_e64 v6, v35, v6, s[6:7]
	v_cndmask_b32_e64 v5, v34, v5, s[6:7]
	s_or_b64 exec, exec, s[18:19]
	s_and_saveexec_b64 s[6:7], vcc
	s_cbranch_execz .LBB225_17
.LBB225_21:                             ;   in Loop: Header=BB225_9 Depth=1
	v_mov_b32_e32 v35, s9
	v_add_co_u32_e32 v34, vcc, s8, v11
	v_addc_co_u32_e32 v35, vcc, v12, v35, vcc
	global_store_dwordx2 v[34:35], v[3:4], off
	s_or_b64 exec, exec, s[6:7]
	s_and_saveexec_b64 s[6:7], s[0:1]
	s_cbranch_execz .LBB225_18
.LBB225_22:                             ;   in Loop: Header=BB225_9 Depth=1
	v_mov_b32_e32 v4, s9
	v_add_co_u32_e32 v3, vcc, s8, v25
	v_addc_co_u32_e32 v4, vcc, v26, v4, vcc
	global_store_dwordx2 v[3:4], v[1:2], off
	s_or_b64 exec, exec, s[6:7]
	s_and_saveexec_b64 s[0:1], s[2:3]
	s_cbranch_execz .LBB225_19
.LBB225_23:                             ;   in Loop: Header=BB225_9 Depth=1
	v_mov_b32_e32 v2, s9
	v_add_co_u32_e32 v1, vcc, s8, v19
	v_addc_co_u32_e32 v2, vcc, v20, v2, vcc
	global_store_dwordx2 v[1:2], v[7:8], off
	s_or_b64 exec, exec, s[0:1]
	s_and_saveexec_b64 s[0:1], s[4:5]
	s_cbranch_execz .LBB225_8
.LBB225_24:                             ;   in Loop: Header=BB225_9 Depth=1
	v_mov_b32_e32 v2, s9
	v_add_co_u32_e32 v1, vcc, s8, v15
	v_addc_co_u32_e32 v2, vcc, v16, v2, vcc
	global_store_dwordx2 v[1:2], v[5:6], off
	s_branch .LBB225_8
.LBB225_25:
	s_endpgm
	.section	.rodata,"a",@progbits
	.p2align	6, 0x0
	.amdhsa_kernel _ZN2at6native12_GLOBAL__N_125multi_tensor_apply_kernelINS1_18TensorListMetadataILi2EEENS1_14UnaryOpFunctorIdLi2ELi1ELi1EEEJNS0_4SqrtIdEEEEEvT_T0_DpT1_
		.amdhsa_group_segment_fixed_size 0
		.amdhsa_private_segment_fixed_size 0
		.amdhsa_kernarg_size 3408
		.amdhsa_user_sgpr_count 6
		.amdhsa_user_sgpr_private_segment_buffer 1
		.amdhsa_user_sgpr_dispatch_ptr 0
		.amdhsa_user_sgpr_queue_ptr 0
		.amdhsa_user_sgpr_kernarg_segment_ptr 1
		.amdhsa_user_sgpr_dispatch_id 0
		.amdhsa_user_sgpr_flat_scratch_init 0
		.amdhsa_user_sgpr_private_segment_size 0
		.amdhsa_uses_dynamic_stack 0
		.amdhsa_system_sgpr_private_segment_wavefront_offset 0
		.amdhsa_system_sgpr_workgroup_id_x 1
		.amdhsa_system_sgpr_workgroup_id_y 0
		.amdhsa_system_sgpr_workgroup_id_z 0
		.amdhsa_system_sgpr_workgroup_info 0
		.amdhsa_system_vgpr_workitem_id 0
		.amdhsa_next_free_vgpr 45
		.amdhsa_next_free_sgpr 26
		.amdhsa_reserve_vcc 1
		.amdhsa_reserve_flat_scratch 0
		.amdhsa_float_round_mode_32 0
		.amdhsa_float_round_mode_16_64 0
		.amdhsa_float_denorm_mode_32 3
		.amdhsa_float_denorm_mode_16_64 3
		.amdhsa_dx10_clamp 1
		.amdhsa_ieee_mode 1
		.amdhsa_fp16_overflow 0
		.amdhsa_exception_fp_ieee_invalid_op 0
		.amdhsa_exception_fp_denorm_src 0
		.amdhsa_exception_fp_ieee_div_zero 0
		.amdhsa_exception_fp_ieee_overflow 0
		.amdhsa_exception_fp_ieee_underflow 0
		.amdhsa_exception_fp_ieee_inexact 0
		.amdhsa_exception_int_div_zero 0
	.end_amdhsa_kernel
	.section	.text._ZN2at6native12_GLOBAL__N_125multi_tensor_apply_kernelINS1_18TensorListMetadataILi2EEENS1_14UnaryOpFunctorIdLi2ELi1ELi1EEEJNS0_4SqrtIdEEEEEvT_T0_DpT1_,"axG",@progbits,_ZN2at6native12_GLOBAL__N_125multi_tensor_apply_kernelINS1_18TensorListMetadataILi2EEENS1_14UnaryOpFunctorIdLi2ELi1ELi1EEEJNS0_4SqrtIdEEEEEvT_T0_DpT1_,comdat
.Lfunc_end225:
	.size	_ZN2at6native12_GLOBAL__N_125multi_tensor_apply_kernelINS1_18TensorListMetadataILi2EEENS1_14UnaryOpFunctorIdLi2ELi1ELi1EEEJNS0_4SqrtIdEEEEEvT_T0_DpT1_, .Lfunc_end225-_ZN2at6native12_GLOBAL__N_125multi_tensor_apply_kernelINS1_18TensorListMetadataILi2EEENS1_14UnaryOpFunctorIdLi2ELi1ELi1EEEJNS0_4SqrtIdEEEEEvT_T0_DpT1_
                                        ; -- End function
	.set _ZN2at6native12_GLOBAL__N_125multi_tensor_apply_kernelINS1_18TensorListMetadataILi2EEENS1_14UnaryOpFunctorIdLi2ELi1ELi1EEEJNS0_4SqrtIdEEEEEvT_T0_DpT1_.num_vgpr, 45
	.set _ZN2at6native12_GLOBAL__N_125multi_tensor_apply_kernelINS1_18TensorListMetadataILi2EEENS1_14UnaryOpFunctorIdLi2ELi1ELi1EEEJNS0_4SqrtIdEEEEEvT_T0_DpT1_.num_agpr, 0
	.set _ZN2at6native12_GLOBAL__N_125multi_tensor_apply_kernelINS1_18TensorListMetadataILi2EEENS1_14UnaryOpFunctorIdLi2ELi1ELi1EEEJNS0_4SqrtIdEEEEEvT_T0_DpT1_.numbered_sgpr, 26
	.set _ZN2at6native12_GLOBAL__N_125multi_tensor_apply_kernelINS1_18TensorListMetadataILi2EEENS1_14UnaryOpFunctorIdLi2ELi1ELi1EEEJNS0_4SqrtIdEEEEEvT_T0_DpT1_.num_named_barrier, 0
	.set _ZN2at6native12_GLOBAL__N_125multi_tensor_apply_kernelINS1_18TensorListMetadataILi2EEENS1_14UnaryOpFunctorIdLi2ELi1ELi1EEEJNS0_4SqrtIdEEEEEvT_T0_DpT1_.private_seg_size, 0
	.set _ZN2at6native12_GLOBAL__N_125multi_tensor_apply_kernelINS1_18TensorListMetadataILi2EEENS1_14UnaryOpFunctorIdLi2ELi1ELi1EEEJNS0_4SqrtIdEEEEEvT_T0_DpT1_.uses_vcc, 1
	.set _ZN2at6native12_GLOBAL__N_125multi_tensor_apply_kernelINS1_18TensorListMetadataILi2EEENS1_14UnaryOpFunctorIdLi2ELi1ELi1EEEJNS0_4SqrtIdEEEEEvT_T0_DpT1_.uses_flat_scratch, 0
	.set _ZN2at6native12_GLOBAL__N_125multi_tensor_apply_kernelINS1_18TensorListMetadataILi2EEENS1_14UnaryOpFunctorIdLi2ELi1ELi1EEEJNS0_4SqrtIdEEEEEvT_T0_DpT1_.has_dyn_sized_stack, 0
	.set _ZN2at6native12_GLOBAL__N_125multi_tensor_apply_kernelINS1_18TensorListMetadataILi2EEENS1_14UnaryOpFunctorIdLi2ELi1ELi1EEEJNS0_4SqrtIdEEEEEvT_T0_DpT1_.has_recursion, 0
	.set _ZN2at6native12_GLOBAL__N_125multi_tensor_apply_kernelINS1_18TensorListMetadataILi2EEENS1_14UnaryOpFunctorIdLi2ELi1ELi1EEEJNS0_4SqrtIdEEEEEvT_T0_DpT1_.has_indirect_call, 0
	.section	.AMDGPU.csdata,"",@progbits
; Kernel info:
; codeLenInByte = 2416
; TotalNumSgprs: 30
; NumVgprs: 45
; ScratchSize: 0
; MemoryBound: 0
; FloatMode: 240
; IeeeMode: 1
; LDSByteSize: 0 bytes/workgroup (compile time only)
; SGPRBlocks: 3
; VGPRBlocks: 11
; NumSGPRsForWavesPerEU: 30
; NumVGPRsForWavesPerEU: 45
; Occupancy: 5
; WaveLimiterHint : 0
; COMPUTE_PGM_RSRC2:SCRATCH_EN: 0
; COMPUTE_PGM_RSRC2:USER_SGPR: 6
; COMPUTE_PGM_RSRC2:TRAP_HANDLER: 0
; COMPUTE_PGM_RSRC2:TGID_X_EN: 1
; COMPUTE_PGM_RSRC2:TGID_Y_EN: 0
; COMPUTE_PGM_RSRC2:TGID_Z_EN: 0
; COMPUTE_PGM_RSRC2:TIDIG_COMP_CNT: 0
	.section	.text._ZN2at6native12_GLOBAL__N_125multi_tensor_apply_kernelINS1_18TensorListMetadataILi2EEENS1_14UnaryOpFunctorIfLi2ELi1ELi1EEEJNS0_4SqrtIfEEEEEvT_T0_DpT1_,"axG",@progbits,_ZN2at6native12_GLOBAL__N_125multi_tensor_apply_kernelINS1_18TensorListMetadataILi2EEENS1_14UnaryOpFunctorIfLi2ELi1ELi1EEEJNS0_4SqrtIfEEEEEvT_T0_DpT1_,comdat
	.globl	_ZN2at6native12_GLOBAL__N_125multi_tensor_apply_kernelINS1_18TensorListMetadataILi2EEENS1_14UnaryOpFunctorIfLi2ELi1ELi1EEEJNS0_4SqrtIfEEEEEvT_T0_DpT1_ ; -- Begin function _ZN2at6native12_GLOBAL__N_125multi_tensor_apply_kernelINS1_18TensorListMetadataILi2EEENS1_14UnaryOpFunctorIfLi2ELi1ELi1EEEJNS0_4SqrtIfEEEEEvT_T0_DpT1_
	.p2align	8
	.type	_ZN2at6native12_GLOBAL__N_125multi_tensor_apply_kernelINS1_18TensorListMetadataILi2EEENS1_14UnaryOpFunctorIfLi2ELi1ELi1EEEJNS0_4SqrtIfEEEEEvT_T0_DpT1_,@function
_ZN2at6native12_GLOBAL__N_125multi_tensor_apply_kernelINS1_18TensorListMetadataILi2EEENS1_14UnaryOpFunctorIfLi2ELi1ELi1EEEJNS0_4SqrtIfEEEEEvT_T0_DpT1_: ; @_ZN2at6native12_GLOBAL__N_125multi_tensor_apply_kernelINS1_18TensorListMetadataILi2EEENS1_14UnaryOpFunctorIfLi2ELi1ELi1EEEJNS0_4SqrtIfEEEEEvT_T0_DpT1_
; %bb.0:
	v_mov_b32_e32 v1, s6
	global_load_ubyte v1, v1, s[4:5] offset:1536
	s_add_u32 s0, s4, s6
	s_mul_hi_u32 s2, s6, 3
	s_mul_i32 s6, s6, 3
	s_addc_u32 s7, s5, 0
	s_add_u32 s6, s0, s6
	s_addc_u32 s7, s7, s2
	s_load_dword s6, s[6:7], 0x740
	s_mov_b32 s1, 0
	s_mov_b32 s3, s1
	s_waitcnt lgkmcnt(0)
	s_ashr_i32 s7, s6, 31
	s_lshl_b64 s[16:17], s[6:7], 18
	s_lshl_b64 s[6:7], s[6:7], 16
	s_waitcnt vmcnt(0)
	v_readfirstlane_b32 s0, v1
	s_lshl_b32 s0, s0, 3
	s_load_dwordx2 s[8:9], s[4:5], s0 offset:0x400
	s_load_dwordx2 s[20:21], s[4:5], s0 offset:0x0
	;; [unrolled: 1-line block ×3, first 2 shown]
	s_waitcnt lgkmcnt(0)
	s_add_u32 s0, s20, s16
	s_and_b32 s2, s18, 15
	s_and_b32 s0, s0, 15
	s_sub_u32 s22, s8, s6
	s_subb_u32 s23, s9, s7
	s_and_b32 s6, s8, 3
	s_mov_b32 s7, s1
	s_or_b64 s[2:3], s[2:3], s[6:7]
	s_or_b64 s[0:1], s[2:3], s[0:1]
	s_cmp_eq_u64 s[0:1], 0
	s_mov_b64 s[0:1], -1
	s_cbranch_scc0 .LBB226_5
; %bb.1:
	v_mov_b32_e32 v1, 0x10000
	v_mov_b32_e32 v2, 0
	v_cmp_lt_i64_e32 vcc, s[22:23], v[1:2]
	v_mov_b32_e32 v2, 0
	s_and_b64 s[0:1], vcc, exec
	s_cselect_b32 s25, s23, 0
	s_cselect_b32 s24, s22, 0x10000
	v_lshlrev_b32_e32 v1, 2, v0
	v_cmp_gt_i64_e32 vcc, s[24:25], v[1:2]
	s_and_saveexec_b64 s[26:27], vcc
	s_cbranch_execz .LBB226_4
; %bb.2:
	s_load_dword s0, s[4:5], 0xc5c
	v_mov_b32_e32 v1, v2
	v_lshlrev_b32_e32 v2, 4, v0
	v_mov_b32_e32 v4, s17
	v_add_co_u32_e32 v3, vcc, s16, v2
	s_waitcnt lgkmcnt(0)
	s_and_b32 s30, s0, 0xffff
	v_mov_b32_e32 v2, v1
	v_addc_co_u32_e32 v4, vcc, 0, v4, vcc
	s_lshl_b32 s31, s30, 4
	s_mov_b64 s[28:29], 0
	v_mov_b32_e32 v5, s21
	s_mov_b32 s33, 0xf800000
	v_mov_b32_e32 v6, 0x260
	v_mov_b32_e32 v7, s19
	;; [unrolled: 1-line block ×3, first 2 shown]
.LBB226_3:                              ; =>This Inner Loop Header: Depth=1
	v_add_co_u32_e32 v8, vcc, s20, v3
	v_addc_co_u32_e32 v9, vcc, v5, v4, vcc
	global_load_dwordx4 v[8:11], v[8:9], off
	v_add_co_u32_e32 v1, vcc, s30, v1
	v_addc_co_u32_e32 v2, vcc, 0, v2, vcc
	v_add_co_u32_e32 v12, vcc, s18, v3
	v_addc_co_u32_e32 v13, vcc, v7, v4, vcc
	v_add_co_u32_e32 v3, vcc, s31, v3
	v_lshlrev_b64 v[14:15], 2, v[1:2]
	v_addc_co_u32_e32 v4, vcc, 0, v4, vcc
	v_cmp_le_i64_e32 vcc, s[24:25], v[14:15]
	s_or_b64 s[28:29], vcc, s[28:29]
	s_waitcnt vmcnt(0)
	v_mul_f32_e32 v15, 0x4f800000, v9
	v_cmp_gt_f32_e32 vcc, s33, v9
	v_mul_f32_e32 v16, 0x4f800000, v10
	v_cmp_gt_f32_e64 s[0:1], s33, v10
	v_cndmask_b32_e32 v9, v9, v15, vcc
	v_mul_f32_e32 v14, 0x4f800000, v8
	v_mul_f32_e32 v17, 0x4f800000, v11
	v_cmp_gt_f32_e64 s[2:3], s33, v11
	v_cmp_gt_f32_e64 s[6:7], s33, v8
	v_cndmask_b32_e64 v10, v10, v16, s[0:1]
	v_sqrt_f32_e32 v15, v9
	v_cndmask_b32_e64 v8, v8, v14, s[6:7]
	v_cndmask_b32_e64 v11, v11, v17, s[2:3]
	v_sqrt_f32_e32 v16, v10
	v_sqrt_f32_e32 v14, v8
	v_sqrt_f32_e32 v17, v11
	v_add_u32_e32 v19, -1, v15
	v_add_u32_e32 v20, 1, v15
	v_add_u32_e32 v21, -1, v16
	v_fma_f32 v27, -v19, v15, v9
	v_add_u32_e32 v18, -1, v14
	v_add_u32_e32 v23, -1, v17
	v_fma_f32 v28, -v20, v15, v9
	v_cmp_ge_f32_e64 s[8:9], 0, v27
	v_fma_f32 v27, -v21, v16, v10
	v_add_u32_e32 v22, 1, v16
	v_add_u32_e32 v24, 1, v17
	v_add_u32_e32 v25, 1, v14
	v_fma_f32 v26, -v18, v14, v8
	v_cndmask_b32_e64 v15, v15, v19, s[8:9]
	v_cmp_lt_f32_e64 s[8:9], 0, v28
	v_fma_f32 v28, -v23, v17, v11
	v_cmp_ge_f32_e64 s[10:11], 0, v27
	v_fma_f32 v19, -v22, v16, v10
	v_fma_f32 v27, -v24, v17, v11
	v_cndmask_b32_e64 v16, v16, v21, s[10:11]
	v_fma_f32 v21, -v25, v14, v8
	v_cmp_ge_f32_e64 s[12:13], 0, v28
	v_cmp_ge_f32_e64 s[14:15], 0, v26
	v_cmp_lt_f32_e64 s[10:11], 0, v19
	v_cndmask_b32_e64 v17, v17, v23, s[12:13]
	v_cmp_lt_f32_e64 s[12:13], 0, v27
	v_cndmask_b32_e64 v14, v14, v18, s[14:15]
	;; [unrolled: 2-line block ×3, first 2 shown]
	v_cndmask_b32_e64 v15, v15, v20, s[8:9]
	v_cndmask_b32_e64 v16, v16, v22, s[10:11]
	;; [unrolled: 1-line block ×3, first 2 shown]
	v_mul_f32_e32 v18, 0x37800000, v14
	v_mul_f32_e32 v19, 0x37800000, v15
	v_mul_f32_e32 v20, 0x37800000, v16
	v_mul_f32_e32 v21, 0x37800000, v17
	v_cndmask_b32_e64 v14, v14, v18, s[6:7]
	v_cndmask_b32_e32 v15, v15, v19, vcc
	v_cmp_class_f32_e32 vcc, v9, v6
	v_cndmask_b32_e64 v16, v16, v20, s[0:1]
	v_cmp_class_f32_e64 s[0:1], v10, v6
	v_cndmask_b32_e64 v17, v17, v21, s[2:3]
	v_cmp_class_f32_e64 s[2:3], v11, v6
	v_cmp_class_f32_e64 s[6:7], v8, v6
	v_cndmask_b32_e64 v8, v14, v8, s[6:7]
	v_cndmask_b32_e32 v9, v15, v9, vcc
	v_cndmask_b32_e64 v10, v16, v10, s[0:1]
	v_cndmask_b32_e64 v11, v17, v11, s[2:3]
	global_store_dwordx4 v[12:13], v[8:11], off
	s_andn2_b64 exec, exec, s[28:29]
	s_cbranch_execnz .LBB226_3
.LBB226_4:
	s_or_b64 exec, exec, s[26:27]
	s_mov_b64 s[0:1], 0
.LBB226_5:
	s_andn2_b64 vcc, exec, s[0:1]
	s_cbranch_vccnz .LBB226_25
; %bb.6:
	v_cmp_lt_i64_e64 s[0:1], s[22:23], 1
	s_and_b64 vcc, exec, s[0:1]
	s_cbranch_vccnz .LBB226_25
; %bb.7:
	v_mov_b32_e32 v1, 0x10000
	s_load_dword s2, s[4:5], 0xc5c
	v_mov_b32_e32 v2, 0
	v_cmp_lt_i64_e32 vcc, s[22:23], v[1:2]
	v_mov_b32_e32 v10, 0
	s_and_b64 s[0:1], vcc, exec
	v_cmp_lt_u64_e32 vcc, s[22:23], v[1:2]
	s_cselect_b32 s11, s23, 0
	s_cselect_b32 s10, s22, 0x10000
	s_waitcnt lgkmcnt(0)
	s_and_b32 s2, s2, 0xffff
	v_lshlrev_b32_e32 v9, 2, v0
	s_and_b64 s[0:1], vcc, exec
	v_mov_b32_e32 v2, s21
	v_add_co_u32_e32 v1, vcc, s20, v9
	v_mad_u64_u32 v[7:8], s[0:1], s2, 12, v[9:10]
	v_addc_co_u32_e32 v2, vcc, 0, v2, vcc
	v_mov_b32_e32 v4, s19
	v_add_co_u32_e32 v3, vcc, s18, v9
	v_addc_co_u32_e32 v4, vcc, 0, v4, vcc
	v_mov_b32_e32 v6, s21
	v_add_co_u32_e32 v5, vcc, s20, v7
	;; [unrolled: 3-line block ×3, first 2 shown]
	s_cselect_b32 s13, s23, 0
	s_cselect_b32 s12, s22, 0x10000
	v_addc_co_u32_e32 v8, vcc, v10, v8, vcc
	s_lshl_b32 s0, s2, 3
	v_add_co_u32_e32 v11, vcc, s0, v9
	v_addc_co_u32_e64 v12, s[0:1], 0, 0, vcc
	v_mov_b32_e32 v10, s21
	v_add_co_u32_e32 v9, vcc, s20, v11
	v_addc_co_u32_e32 v10, vcc, v10, v12, vcc
	v_mov_b32_e32 v13, s19
	v_add_co_u32_e32 v11, vcc, s18, v11
	v_addc_co_u32_e32 v12, vcc, v13, v12, vcc
	v_add_co_u32_e32 v13, vcc, s2, v0
	v_lshlrev_b32_e32 v17, 2, v13
	v_addc_co_u32_e64 v14, s[0:1], 0, 0, vcc
	v_mov_b32_e32 v16, s21
	v_add_co_u32_e32 v15, vcc, s20, v17
	v_addc_co_u32_e32 v16, vcc, 0, v16, vcc
	v_mov_b32_e32 v18, s19
	v_add_co_u32_e32 v17, vcc, s18, v17
	s_mul_i32 s4, s2, 3
	v_addc_co_u32_e32 v18, vcc, 0, v18, vcc
	s_lshl_b32 s3, s2, 1
	v_add_co_u32_e32 v19, vcc, s4, v0
	v_addc_co_u32_e64 v20, s[0:1], 0, 0, vcc
	v_add_co_u32_e32 v21, vcc, s3, v0
	s_lshl_b32 s22, s2, 2
	s_lshl_b32 s23, s2, 4
	s_mov_b64 s[14:15], 0
	s_mov_b32 s20, 0xf800000
	v_addc_co_u32_e64 v22, s[0:1], 0, 0, vcc
	v_mov_b32_e32 v23, 0x260
	s_branch .LBB226_9
.LBB226_8:                              ;   in Loop: Header=BB226_9 Depth=1
	s_or_b64 exec, exec, s[0:1]
	v_add_co_u32_e32 v1, vcc, s23, v1
	v_addc_co_u32_e32 v2, vcc, 0, v2, vcc
	v_add_co_u32_e32 v3, vcc, s23, v3
	v_addc_co_u32_e32 v4, vcc, 0, v4, vcc
	;; [unrolled: 2-line block ×6, first 2 shown]
	s_add_u32 s14, s14, s22
	v_add_co_u32_e32 v15, vcc, s23, v15
	v_mov_b32_e32 v25, s11
	s_addc_u32 s15, s15, 0
	v_addc_co_u32_e32 v16, vcc, 0, v16, vcc
	v_mov_b32_e32 v24, s10
	v_cmp_ge_i64_e32 vcc, s[14:15], v[24:25]
	v_add_co_u32_e64 v17, s[0:1], s23, v17
	v_addc_co_u32_e64 v18, s[0:1], 0, v18, s[0:1]
	s_cbranch_vccnz .LBB226_25
.LBB226_9:                              ; =>This Inner Loop Header: Depth=1
	v_mov_b32_e32 v25, s15
	v_add_co_u32_e32 v24, vcc, s14, v0
	v_addc_co_u32_e32 v25, vcc, 0, v25, vcc
	v_cmp_gt_u64_e32 vcc, s[12:13], v[24:25]
	v_mov_b32_e32 v24, 0
	s_and_saveexec_b64 s[6:7], vcc
	s_cbranch_execz .LBB226_11
; %bb.10:                               ;   in Loop: Header=BB226_9 Depth=1
	v_mov_b32_e32 v25, s17
	v_add_co_u32_e64 v24, s[0:1], s16, v1
	v_addc_co_u32_e64 v25, s[0:1], v2, v25, s[0:1]
	global_load_dword v24, v[24:25], off
	s_waitcnt vmcnt(0)
	v_mul_f32_e32 v25, 0x4f800000, v24
	v_cmp_gt_f32_e64 s[0:1], s20, v24
	v_cndmask_b32_e64 v24, v24, v25, s[0:1]
	v_sqrt_f32_e32 v25, v24
	v_add_u32_e32 v26, -1, v25
	v_add_u32_e32 v27, 1, v25
	v_fma_f32 v28, -v26, v25, v24
	v_fma_f32 v29, -v27, v25, v24
	v_cmp_ge_f32_e64 s[2:3], 0, v28
	v_cmp_lt_f32_e64 s[4:5], 0, v29
	v_cndmask_b32_e64 v25, v25, v26, s[2:3]
	v_cndmask_b32_e64 v25, v25, v27, s[4:5]
	v_mul_f32_e32 v26, 0x37800000, v25
	v_cndmask_b32_e64 v25, v25, v26, s[0:1]
	v_cmp_class_f32_e64 s[0:1], v24, v23
	v_cndmask_b32_e64 v24, v25, v24, s[0:1]
.LBB226_11:                             ;   in Loop: Header=BB226_9 Depth=1
	s_or_b64 exec, exec, s[6:7]
	v_mov_b32_e32 v26, s15
	v_add_co_u32_e64 v25, s[0:1], s14, v13
	v_addc_co_u32_e64 v26, s[0:1], v14, v26, s[0:1]
	v_cmp_gt_u64_e64 s[0:1], s[12:13], v[25:26]
	v_mov_b32_e32 v25, 0
	v_mov_b32_e32 v26, 0
	s_and_saveexec_b64 s[6:7], s[0:1]
	s_cbranch_execz .LBB226_13
; %bb.12:                               ;   in Loop: Header=BB226_9 Depth=1
	v_mov_b32_e32 v27, s17
	v_add_co_u32_e64 v26, s[2:3], s16, v15
	v_addc_co_u32_e64 v27, s[2:3], v16, v27, s[2:3]
	global_load_dword v26, v[26:27], off
	s_waitcnt vmcnt(0)
	v_mul_f32_e32 v27, 0x4f800000, v26
	v_cmp_gt_f32_e64 s[2:3], s20, v26
	v_cndmask_b32_e64 v26, v26, v27, s[2:3]
	v_sqrt_f32_e32 v27, v26
	v_add_u32_e32 v28, -1, v27
	v_add_u32_e32 v29, 1, v27
	v_fma_f32 v30, -v28, v27, v26
	v_fma_f32 v31, -v29, v27, v26
	v_cmp_ge_f32_e64 s[4:5], 0, v30
	v_cndmask_b32_e64 v27, v27, v28, s[4:5]
	v_cmp_lt_f32_e64 s[4:5], 0, v31
	v_cndmask_b32_e64 v27, v27, v29, s[4:5]
	v_mul_f32_e32 v28, 0x37800000, v27
	v_cndmask_b32_e64 v27, v27, v28, s[2:3]
	v_cmp_class_f32_e64 s[2:3], v26, v23
	v_cndmask_b32_e64 v26, v27, v26, s[2:3]
.LBB226_13:                             ;   in Loop: Header=BB226_9 Depth=1
	s_or_b64 exec, exec, s[6:7]
	v_mov_b32_e32 v28, s15
	v_add_co_u32_e64 v27, s[2:3], s14, v21
	v_addc_co_u32_e64 v28, s[2:3], v22, v28, s[2:3]
	v_cmp_gt_u64_e64 s[2:3], s[12:13], v[27:28]
	s_and_saveexec_b64 s[8:9], s[2:3]
	s_cbranch_execz .LBB226_15
; %bb.14:                               ;   in Loop: Header=BB226_9 Depth=1
	v_mov_b32_e32 v25, s17
	v_add_co_u32_e64 v27, s[4:5], s16, v9
	v_addc_co_u32_e64 v28, s[4:5], v10, v25, s[4:5]
	global_load_dword v25, v[27:28], off
	s_waitcnt vmcnt(0)
	v_mul_f32_e32 v27, 0x4f800000, v25
	v_cmp_gt_f32_e64 s[4:5], s20, v25
	v_cndmask_b32_e64 v25, v25, v27, s[4:5]
	v_sqrt_f32_e32 v27, v25
	v_add_u32_e32 v28, -1, v27
	v_add_u32_e32 v29, 1, v27
	v_fma_f32 v30, -v28, v27, v25
	v_fma_f32 v31, -v29, v27, v25
	v_cmp_ge_f32_e64 s[6:7], 0, v30
	v_cndmask_b32_e64 v27, v27, v28, s[6:7]
	v_cmp_lt_f32_e64 s[6:7], 0, v31
	v_cndmask_b32_e64 v27, v27, v29, s[6:7]
	v_mul_f32_e32 v28, 0x37800000, v27
	v_cndmask_b32_e64 v27, v27, v28, s[4:5]
	v_cmp_class_f32_e64 s[4:5], v25, v23
	v_cndmask_b32_e64 v25, v27, v25, s[4:5]
.LBB226_15:                             ;   in Loop: Header=BB226_9 Depth=1
	s_or_b64 exec, exec, s[8:9]
	v_mov_b32_e32 v28, s15
	v_add_co_u32_e64 v27, s[4:5], s14, v19
	v_addc_co_u32_e64 v28, s[4:5], v20, v28, s[4:5]
	v_cmp_gt_u64_e64 s[4:5], s[12:13], v[27:28]
	v_mov_b32_e32 v27, 0
	s_and_saveexec_b64 s[18:19], s[4:5]
	s_cbranch_execnz .LBB226_20
; %bb.16:                               ;   in Loop: Header=BB226_9 Depth=1
	s_or_b64 exec, exec, s[18:19]
	s_and_saveexec_b64 s[6:7], vcc
	s_cbranch_execnz .LBB226_21
.LBB226_17:                             ;   in Loop: Header=BB226_9 Depth=1
	s_or_b64 exec, exec, s[6:7]
	s_and_saveexec_b64 s[6:7], s[0:1]
	s_cbranch_execnz .LBB226_22
.LBB226_18:                             ;   in Loop: Header=BB226_9 Depth=1
	s_or_b64 exec, exec, s[6:7]
	s_and_saveexec_b64 s[0:1], s[2:3]
	s_cbranch_execnz .LBB226_23
.LBB226_19:                             ;   in Loop: Header=BB226_9 Depth=1
	s_or_b64 exec, exec, s[0:1]
	s_and_saveexec_b64 s[0:1], s[4:5]
	s_cbranch_execz .LBB226_8
	s_branch .LBB226_24
.LBB226_20:                             ;   in Loop: Header=BB226_9 Depth=1
	v_add_co_u32_e64 v27, s[6:7], s16, v5
	v_mov_b32_e32 v28, s17
	v_addc_co_u32_e64 v28, s[6:7], v6, v28, s[6:7]
	global_load_dword v27, v[27:28], off
	s_waitcnt vmcnt(0)
	v_cmp_gt_f32_e64 s[6:7], s20, v27
	v_mul_f32_e32 v28, 0x4f800000, v27
	v_cndmask_b32_e64 v27, v27, v28, s[6:7]
	v_sqrt_f32_e32 v28, v27
	v_add_u32_e32 v29, -1, v28
	v_fma_f32 v30, -v29, v28, v27
	v_cmp_ge_f32_e64 s[8:9], 0, v30
	v_add_u32_e32 v30, 1, v28
	v_cndmask_b32_e64 v29, v28, v29, s[8:9]
	v_fma_f32 v28, -v30, v28, v27
	v_cmp_lt_f32_e64 s[8:9], 0, v28
	v_cndmask_b32_e64 v28, v29, v30, s[8:9]
	v_mul_f32_e32 v29, 0x37800000, v28
	v_cndmask_b32_e64 v28, v28, v29, s[6:7]
	v_cmp_class_f32_e64 s[6:7], v27, v23
	v_cndmask_b32_e64 v27, v28, v27, s[6:7]
	s_or_b64 exec, exec, s[18:19]
	s_and_saveexec_b64 s[6:7], vcc
	s_cbranch_execz .LBB226_17
.LBB226_21:                             ;   in Loop: Header=BB226_9 Depth=1
	v_mov_b32_e32 v29, s17
	v_add_co_u32_e32 v28, vcc, s16, v3
	v_addc_co_u32_e32 v29, vcc, v4, v29, vcc
	global_store_dword v[28:29], v24, off
	s_or_b64 exec, exec, s[6:7]
	s_and_saveexec_b64 s[6:7], s[0:1]
	s_cbranch_execz .LBB226_18
.LBB226_22:                             ;   in Loop: Header=BB226_9 Depth=1
	v_mov_b32_e32 v24, s17
	v_add_co_u32_e32 v28, vcc, s16, v17
	v_addc_co_u32_e32 v29, vcc, v18, v24, vcc
	global_store_dword v[28:29], v26, off
	s_or_b64 exec, exec, s[6:7]
	s_and_saveexec_b64 s[0:1], s[2:3]
	s_cbranch_execz .LBB226_19
.LBB226_23:                             ;   in Loop: Header=BB226_9 Depth=1
	v_mov_b32_e32 v24, s17
	v_add_co_u32_e32 v28, vcc, s16, v11
	v_addc_co_u32_e32 v29, vcc, v12, v24, vcc
	global_store_dword v[28:29], v25, off
	s_or_b64 exec, exec, s[0:1]
	s_and_saveexec_b64 s[0:1], s[4:5]
	s_cbranch_execz .LBB226_8
.LBB226_24:                             ;   in Loop: Header=BB226_9 Depth=1
	v_mov_b32_e32 v25, s17
	v_add_co_u32_e32 v24, vcc, s16, v7
	v_addc_co_u32_e32 v25, vcc, v8, v25, vcc
	global_store_dword v[24:25], v27, off
	s_branch .LBB226_8
.LBB226_25:
	s_endpgm
	.section	.rodata,"a",@progbits
	.p2align	6, 0x0
	.amdhsa_kernel _ZN2at6native12_GLOBAL__N_125multi_tensor_apply_kernelINS1_18TensorListMetadataILi2EEENS1_14UnaryOpFunctorIfLi2ELi1ELi1EEEJNS0_4SqrtIfEEEEEvT_T0_DpT1_
		.amdhsa_group_segment_fixed_size 0
		.amdhsa_private_segment_fixed_size 0
		.amdhsa_kernarg_size 3408
		.amdhsa_user_sgpr_count 6
		.amdhsa_user_sgpr_private_segment_buffer 1
		.amdhsa_user_sgpr_dispatch_ptr 0
		.amdhsa_user_sgpr_queue_ptr 0
		.amdhsa_user_sgpr_kernarg_segment_ptr 1
		.amdhsa_user_sgpr_dispatch_id 0
		.amdhsa_user_sgpr_flat_scratch_init 0
		.amdhsa_user_sgpr_private_segment_size 0
		.amdhsa_uses_dynamic_stack 0
		.amdhsa_system_sgpr_private_segment_wavefront_offset 0
		.amdhsa_system_sgpr_workgroup_id_x 1
		.amdhsa_system_sgpr_workgroup_id_y 0
		.amdhsa_system_sgpr_workgroup_id_z 0
		.amdhsa_system_sgpr_workgroup_info 0
		.amdhsa_system_vgpr_workitem_id 0
		.amdhsa_next_free_vgpr 32
		.amdhsa_next_free_sgpr 34
		.amdhsa_reserve_vcc 1
		.amdhsa_reserve_flat_scratch 0
		.amdhsa_float_round_mode_32 0
		.amdhsa_float_round_mode_16_64 0
		.amdhsa_float_denorm_mode_32 3
		.amdhsa_float_denorm_mode_16_64 3
		.amdhsa_dx10_clamp 1
		.amdhsa_ieee_mode 1
		.amdhsa_fp16_overflow 0
		.amdhsa_exception_fp_ieee_invalid_op 0
		.amdhsa_exception_fp_denorm_src 0
		.amdhsa_exception_fp_ieee_div_zero 0
		.amdhsa_exception_fp_ieee_overflow 0
		.amdhsa_exception_fp_ieee_underflow 0
		.amdhsa_exception_fp_ieee_inexact 0
		.amdhsa_exception_int_div_zero 0
	.end_amdhsa_kernel
	.section	.text._ZN2at6native12_GLOBAL__N_125multi_tensor_apply_kernelINS1_18TensorListMetadataILi2EEENS1_14UnaryOpFunctorIfLi2ELi1ELi1EEEJNS0_4SqrtIfEEEEEvT_T0_DpT1_,"axG",@progbits,_ZN2at6native12_GLOBAL__N_125multi_tensor_apply_kernelINS1_18TensorListMetadataILi2EEENS1_14UnaryOpFunctorIfLi2ELi1ELi1EEEJNS0_4SqrtIfEEEEEvT_T0_DpT1_,comdat
.Lfunc_end226:
	.size	_ZN2at6native12_GLOBAL__N_125multi_tensor_apply_kernelINS1_18TensorListMetadataILi2EEENS1_14UnaryOpFunctorIfLi2ELi1ELi1EEEJNS0_4SqrtIfEEEEEvT_T0_DpT1_, .Lfunc_end226-_ZN2at6native12_GLOBAL__N_125multi_tensor_apply_kernelINS1_18TensorListMetadataILi2EEENS1_14UnaryOpFunctorIfLi2ELi1ELi1EEEJNS0_4SqrtIfEEEEEvT_T0_DpT1_
                                        ; -- End function
	.set _ZN2at6native12_GLOBAL__N_125multi_tensor_apply_kernelINS1_18TensorListMetadataILi2EEENS1_14UnaryOpFunctorIfLi2ELi1ELi1EEEJNS0_4SqrtIfEEEEEvT_T0_DpT1_.num_vgpr, 32
	.set _ZN2at6native12_GLOBAL__N_125multi_tensor_apply_kernelINS1_18TensorListMetadataILi2EEENS1_14UnaryOpFunctorIfLi2ELi1ELi1EEEJNS0_4SqrtIfEEEEEvT_T0_DpT1_.num_agpr, 0
	.set _ZN2at6native12_GLOBAL__N_125multi_tensor_apply_kernelINS1_18TensorListMetadataILi2EEENS1_14UnaryOpFunctorIfLi2ELi1ELi1EEEJNS0_4SqrtIfEEEEEvT_T0_DpT1_.numbered_sgpr, 34
	.set _ZN2at6native12_GLOBAL__N_125multi_tensor_apply_kernelINS1_18TensorListMetadataILi2EEENS1_14UnaryOpFunctorIfLi2ELi1ELi1EEEJNS0_4SqrtIfEEEEEvT_T0_DpT1_.num_named_barrier, 0
	.set _ZN2at6native12_GLOBAL__N_125multi_tensor_apply_kernelINS1_18TensorListMetadataILi2EEENS1_14UnaryOpFunctorIfLi2ELi1ELi1EEEJNS0_4SqrtIfEEEEEvT_T0_DpT1_.private_seg_size, 0
	.set _ZN2at6native12_GLOBAL__N_125multi_tensor_apply_kernelINS1_18TensorListMetadataILi2EEENS1_14UnaryOpFunctorIfLi2ELi1ELi1EEEJNS0_4SqrtIfEEEEEvT_T0_DpT1_.uses_vcc, 1
	.set _ZN2at6native12_GLOBAL__N_125multi_tensor_apply_kernelINS1_18TensorListMetadataILi2EEENS1_14UnaryOpFunctorIfLi2ELi1ELi1EEEJNS0_4SqrtIfEEEEEvT_T0_DpT1_.uses_flat_scratch, 0
	.set _ZN2at6native12_GLOBAL__N_125multi_tensor_apply_kernelINS1_18TensorListMetadataILi2EEENS1_14UnaryOpFunctorIfLi2ELi1ELi1EEEJNS0_4SqrtIfEEEEEvT_T0_DpT1_.has_dyn_sized_stack, 0
	.set _ZN2at6native12_GLOBAL__N_125multi_tensor_apply_kernelINS1_18TensorListMetadataILi2EEENS1_14UnaryOpFunctorIfLi2ELi1ELi1EEEJNS0_4SqrtIfEEEEEvT_T0_DpT1_.has_recursion, 0
	.set _ZN2at6native12_GLOBAL__N_125multi_tensor_apply_kernelINS1_18TensorListMetadataILi2EEENS1_14UnaryOpFunctorIfLi2ELi1ELi1EEEJNS0_4SqrtIfEEEEEvT_T0_DpT1_.has_indirect_call, 0
	.section	.AMDGPU.csdata,"",@progbits
; Kernel info:
; codeLenInByte = 2160
; TotalNumSgprs: 38
; NumVgprs: 32
; ScratchSize: 0
; MemoryBound: 0
; FloatMode: 240
; IeeeMode: 1
; LDSByteSize: 0 bytes/workgroup (compile time only)
; SGPRBlocks: 4
; VGPRBlocks: 7
; NumSGPRsForWavesPerEU: 38
; NumVGPRsForWavesPerEU: 32
; Occupancy: 8
; WaveLimiterHint : 0
; COMPUTE_PGM_RSRC2:SCRATCH_EN: 0
; COMPUTE_PGM_RSRC2:USER_SGPR: 6
; COMPUTE_PGM_RSRC2:TRAP_HANDLER: 0
; COMPUTE_PGM_RSRC2:TGID_X_EN: 1
; COMPUTE_PGM_RSRC2:TGID_Y_EN: 0
; COMPUTE_PGM_RSRC2:TGID_Z_EN: 0
; COMPUTE_PGM_RSRC2:TIDIG_COMP_CNT: 0
	.section	.text._ZN2at6native12_GLOBAL__N_125multi_tensor_apply_kernelINS1_18TensorListMetadataILi2EEENS1_14UnaryOpFunctorIN3c107complexIdEELi2ELi1ELi1EEEJNS0_4SqrtIS8_EEEEEvT_T0_DpT1_,"axG",@progbits,_ZN2at6native12_GLOBAL__N_125multi_tensor_apply_kernelINS1_18TensorListMetadataILi2EEENS1_14UnaryOpFunctorIN3c107complexIdEELi2ELi1ELi1EEEJNS0_4SqrtIS8_EEEEEvT_T0_DpT1_,comdat
	.globl	_ZN2at6native12_GLOBAL__N_125multi_tensor_apply_kernelINS1_18TensorListMetadataILi2EEENS1_14UnaryOpFunctorIN3c107complexIdEELi2ELi1ELi1EEEJNS0_4SqrtIS8_EEEEEvT_T0_DpT1_ ; -- Begin function _ZN2at6native12_GLOBAL__N_125multi_tensor_apply_kernelINS1_18TensorListMetadataILi2EEENS1_14UnaryOpFunctorIN3c107complexIdEELi2ELi1ELi1EEEJNS0_4SqrtIS8_EEEEEvT_T0_DpT1_
	.p2align	8
	.type	_ZN2at6native12_GLOBAL__N_125multi_tensor_apply_kernelINS1_18TensorListMetadataILi2EEENS1_14UnaryOpFunctorIN3c107complexIdEELi2ELi1ELi1EEEJNS0_4SqrtIS8_EEEEEvT_T0_DpT1_,@function
_ZN2at6native12_GLOBAL__N_125multi_tensor_apply_kernelINS1_18TensorListMetadataILi2EEENS1_14UnaryOpFunctorIN3c107complexIdEELi2ELi1ELi1EEEJNS0_4SqrtIS8_EEEEEvT_T0_DpT1_: ; @_ZN2at6native12_GLOBAL__N_125multi_tensor_apply_kernelINS1_18TensorListMetadataILi2EEENS1_14UnaryOpFunctorIN3c107complexIdEELi2ELi1ELi1EEEJNS0_4SqrtIS8_EEEEEvT_T0_DpT1_
; %bb.0:
	v_mov_b32_e32 v1, s6
	global_load_ubyte v1, v1, s[4:5] offset:1536
	s_add_u32 s0, s4, s6
	s_mul_hi_u32 s2, s6, 3
	s_mul_i32 s6, s6, 3
	s_addc_u32 s7, s5, 0
	s_add_u32 s6, s0, s6
	s_addc_u32 s7, s7, s2
	s_load_dword s6, s[6:7], 0x740
	s_mov_b32 s1, 0
	s_mov_b32 s3, s1
	s_waitcnt lgkmcnt(0)
	s_ashr_i32 s7, s6, 31
	s_lshl_b64 s[16:17], s[6:7], 20
	s_waitcnt vmcnt(0)
	v_readfirstlane_b32 s0, v1
	s_lshl_b32 s0, s0, 3
	s_load_dwordx2 s[8:9], s[4:5], s0 offset:0x0
	s_load_dwordx2 s[10:11], s[4:5], s0 offset:0x400
	;; [unrolled: 1-line block ×3, first 2 shown]
	s_waitcnt lgkmcnt(0)
	s_add_u32 s14, s8, s16
	s_addc_u32 s15, s9, s17
	s_and_b32 s0, s14, 63
	s_add_u32 s16, s12, s16
	s_addc_u32 s17, s13, s17
	s_lshl_b64 s[6:7], s[6:7], 16
	s_and_b32 s2, s16, 63
	s_sub_u32 s6, s10, s6
	s_subb_u32 s7, s11, s7
	s_and_b32 s8, s10, 3
	s_mov_b32 s9, s1
	s_or_b64 s[2:3], s[2:3], s[8:9]
	s_or_b64 s[0:1], s[2:3], s[0:1]
	s_cmp_eq_u64 s[0:1], 0
	s_mov_b64 s[0:1], -1
	s_cbranch_scc0 .LBB227_125
; %bb.1:
	v_mov_b32_e32 v1, 0x10000
	v_mov_b32_e32 v2, 0
	v_cmp_lt_i64_e32 vcc, s[6:7], v[1:2]
	v_mov_b32_e32 v2, 0
	s_and_b64 s[0:1], vcc, exec
	s_cselect_b32 s9, s7, 0
	s_cselect_b32 s8, s6, 0x10000
	v_lshlrev_b32_e32 v1, 2, v0
	v_cmp_gt_i64_e32 vcc, s[8:9], v[1:2]
	s_and_saveexec_b64 s[10:11], vcc
	s_cbranch_execz .LBB227_124
; %bb.2:
	s_load_dword s0, s[4:5], 0xc5c
	v_mov_b32_e32 v1, v2
	s_mov_b32 s18, 0
	s_mov_b32 s20, 0x99fcef32
	;; [unrolled: 1-line block ×3, first 2 shown]
	s_waitcnt lgkmcnt(0)
	s_and_b32 s33, s0, 0xffff
	s_mov_b32 s24, 0
	v_mov_b32_e32 v24, v1
	v_lshlrev_b32_e32 v27, 6, v0
	s_mov_b64 s[12:13], 0
	s_lshl_b32 s44, s33, 6
	s_mov_b32 s19, 0x7ff00000
	s_mov_b32 s21, 0x7fda8279
	;; [unrolled: 1-line block ×3, first 2 shown]
	s_movk_i32 s45, 0x204
	s_brev_b32 s25, 8
	v_mov_b32_e32 v28, 0x260
	s_brev_b32 s46, -2
	v_mov_b32_e32 v29, 0x7ff80000
	v_mov_b32_e32 v30, 0x7ff00000
	;; [unrolled: 1-line block ×4, first 2 shown]
	s_mov_b64 s[26:27], s[14:15]
	s_mov_b64 s[28:29], s[16:17]
	v_mov_b32_e32 v23, v0
	s_branch .LBB227_6
.LBB227_3:                              ;   in Loop: Header=BB227_6 Depth=1
	s_or_b64 exec, exec, s[0:1]
.LBB227_4:                              ;   in Loop: Header=BB227_6 Depth=1
	s_or_b64 exec, exec, s[34:35]
.LBB227_5:                              ;   in Loop: Header=BB227_6 Depth=1
	s_or_b64 exec, exec, s[30:31]
	v_mov_b32_e32 v2, s29
	v_add_co_u32_e32 v1, vcc, s28, v27
	v_addc_co_u32_e32 v2, vcc, 0, v2, vcc
	v_add_co_u32_e32 v23, vcc, s33, v23
	v_mov_b32_e32 v21, v15
	v_mov_b32_e32 v22, v16
	v_addc_co_u32_e32 v24, vcc, 0, v24, vcc
	global_store_dwordx4 v[1:2], v[19:22], off
	s_add_u32 s28, s28, s44
	v_mov_b32_e32 v19, v11
	v_mov_b32_e32 v20, v12
	;; [unrolled: 1-line block ×4, first 2 shown]
	v_lshlrev_b64 v[3:4], 2, v[23:24]
	s_addc_u32 s29, s29, 0
	s_add_u32 s26, s26, s44
	v_cmp_le_i64_e32 vcc, s[8:9], v[3:4]
	s_addc_u32 s27, s27, 0
	v_mov_b32_e32 v15, v7
	v_mov_b32_e32 v16, v8
	s_or_b64 s[12:13], vcc, s[12:13]
	global_store_dwordx4 v[1:2], v[17:20], off offset:16
	global_store_dwordx4 v[1:2], v[13:16], off offset:32
	;; [unrolled: 1-line block ×3, first 2 shown]
	s_andn2_b64 exec, exec, s[12:13]
	s_cbranch_execz .LBB227_124
.LBB227_6:                              ; =>This Inner Loop Header: Depth=1
	v_mov_b32_e32 v1, s27
	v_add_co_u32_e32 v17, vcc, s26, v27
	v_addc_co_u32_e32 v18, vcc, 0, v1, vcc
	global_load_dwordx4 v[13:16], v[17:18], off
	global_load_dwordx4 v[9:12], v[17:18], off offset:16
	global_load_dwordx4 v[1:4], v[17:18], off offset:48
	;; [unrolled: 1-line block ×3, first 2 shown]
	v_mov_b32_e32 v17, 0
	v_mov_b32_e32 v19, 0
	;; [unrolled: 1-line block ×4, first 2 shown]
	s_waitcnt vmcnt(3)
	v_cmp_neq_f64_e32 vcc, 0, v[13:14]
	v_cmp_neq_f64_e64 s[0:1], 0, v[15:16]
	s_or_b64 s[0:1], vcc, s[0:1]
	s_and_saveexec_b64 s[30:31], s[0:1]
	s_cbranch_execz .LBB227_35
; %bb.7:                                ;   in Loop: Header=BB227_6 Depth=1
	v_mov_b32_e32 v19, 0
	v_mov_b32_e32 v20, 0x7ff00000
	v_cmp_neq_f64_e64 s[0:1], |v[15:16]|, v[19:20]
	s_and_saveexec_b64 s[34:35], s[0:1]
	s_cbranch_execz .LBB227_34
; %bb.8:                                ;   in Loop: Header=BB227_6 Depth=1
	v_cmp_o_f64_e32 vcc, v[13:14], v[13:14]
                                        ; implicit-def: $vgpr19_vgpr20
	s_and_saveexec_b64 s[0:1], vcc
	s_xor_b64 s[36:37], exec, s[0:1]
	s_cbranch_execz .LBB227_31
; %bb.9:                                ;   in Loop: Header=BB227_6 Depth=1
	v_cmp_neq_f64_e64 s[0:1], |v[13:14]|, s[18:19]
                                        ; implicit-def: $vgpr19_vgpr20
	s_and_saveexec_b64 s[2:3], s[0:1]
	s_xor_b64 s[38:39], exec, s[2:3]
	s_cbranch_execz .LBB227_25
; %bb.10:                               ;   in Loop: Header=BB227_6 Depth=1
	v_max_f64 v[19:20], |v[15:16]|, |v[15:16]|
	v_max_f64 v[21:22], |v[13:14]|, |v[13:14]|
                                        ; implicit-def: $sgpr40_sgpr41
	v_max_f64 v[19:20], v[21:22], v[19:20]
	v_cmp_nle_f64_e64 s[0:1], s[20:21], v[19:20]
	s_and_saveexec_b64 s[2:3], s[0:1]
	s_xor_b64 s[2:3], exec, s[2:3]
	s_cbranch_execz .LBB227_14
; %bb.11:                               ;   in Loop: Header=BB227_6 Depth=1
	v_cmp_le_f64_e64 s[40:41], |v[13:14]|, s[22:23]
	v_cmp_le_f64_e64 s[42:43], |v[15:16]|, s[22:23]
	s_and_b64 s[48:49], s[40:41], s[42:43]
	s_mov_b64 s[40:41], 0
	s_and_saveexec_b64 s[42:43], s[48:49]
	s_cbranch_execz .LBB227_13
; %bb.12:                               ;   in Loop: Header=BB227_6 Depth=1
	v_mul_f64 v[13:14], v[13:14], 4.0
	v_mul_f64 v[15:16], v[15:16], 4.0
	s_mov_b64 s[40:41], exec
.LBB227_13:                             ;   in Loop: Header=BB227_6 Depth=1
	s_or_b64 exec, exec, s[42:43]
.LBB227_14:                             ;   in Loop: Header=BB227_6 Depth=1
	s_andn2_saveexec_b64 s[2:3], s[2:3]
	s_cbranch_execz .LBB227_16
; %bb.15:                               ;   in Loop: Header=BB227_6 Depth=1
	v_ldexp_f64 v[13:14], v[13:14], -2
	v_ldexp_f64 v[15:16], v[15:16], -2
	s_andn2_b64 s[40:41], s[40:41], exec
.LBB227_16:                             ;   in Loop: Header=BB227_6 Depth=1
	s_or_b64 exec, exec, s[2:3]
	v_max_f64 v[19:20], |v[15:16]|, |v[15:16]|
	v_max_f64 v[21:22], |v[13:14]|, |v[13:14]|
	v_cmp_class_f64_e64 s[42:43], v[13:14], s45
	v_cmp_class_f64_e64 s[48:49], v[15:16], s45
	v_cmp_le_f64_e64 s[2:3], 0, v[13:14]
	v_max_f64 v[19:20], v[21:22], v[19:20]
	v_frexp_exp_i32_f64_e32 v35, v[19:20]
	v_sub_u32_e32 v21, 0, v35
	v_ldexp_f64 v[19:20], |v[15:16]|, v21
	v_ldexp_f64 v[21:22], |v[13:14]|, v21
	v_mul_f64 v[19:20], v[19:20], v[19:20]
	v_fma_f64 v[19:20], v[21:22], v[21:22], v[19:20]
	v_rsq_f64_e32 v[21:22], v[19:20]
	v_cmp_eq_f64_e32 vcc, 0, v[19:20]
	v_mul_f64 v[25:26], v[19:20], v[21:22]
	v_mul_f64 v[21:22], v[21:22], 0.5
	v_fma_f64 v[33:34], -v[21:22], v[25:26], 0.5
	v_fma_f64 v[25:26], v[25:26], v[33:34], v[25:26]
	v_fma_f64 v[21:22], v[21:22], v[33:34], v[21:22]
	v_fma_f64 v[33:34], -v[25:26], v[25:26], v[19:20]
	v_fma_f64 v[21:22], v[33:34], v[21:22], v[25:26]
                                        ; implicit-def: $vgpr25_vgpr26
	v_cndmask_b32_e32 v20, v22, v20, vcc
	v_cndmask_b32_e32 v19, v21, v19, vcc
	v_ldexp_f64 v[19:20], v[19:20], v35
	v_cmp_o_f64_e32 vcc, v[15:16], v[15:16]
                                        ; implicit-def: $vgpr21_vgpr22
	v_cndmask_b32_e32 v19, 0, v19, vcc
	v_cndmask_b32_e32 v20, v29, v20, vcc
	s_or_b64 vcc, s[48:49], s[42:43]
	v_cndmask_b32_e32 v20, v20, v30, vcc
	v_cndmask_b32_e64 v19, v19, 0, vcc
	s_and_saveexec_b64 s[42:43], s[2:3]
	s_xor_b64 s[2:3], exec, s[42:43]
	s_cbranch_execz .LBB227_18
; %bb.17:                               ;   in Loop: Header=BB227_6 Depth=1
	v_add_f64 v[13:14], v[13:14], v[19:20]
	v_mul_f64 v[13:14], v[13:14], 0.5
	v_cmp_gt_f64_e32 vcc, s[24:25], v[13:14]
	v_cndmask_b32_e32 v19, 0, v31, vcc
	v_ldexp_f64 v[13:14], v[13:14], v19
	v_rsq_f64_e32 v[19:20], v[13:14]
	v_mul_f64 v[21:22], v[13:14], v[19:20]
	v_mul_f64 v[19:20], v[19:20], 0.5
	v_fma_f64 v[25:26], -v[19:20], v[21:22], 0.5
	v_fma_f64 v[21:22], v[21:22], v[25:26], v[21:22]
	v_fma_f64 v[19:20], v[19:20], v[25:26], v[19:20]
	v_fma_f64 v[25:26], -v[21:22], v[21:22], v[13:14]
	v_fma_f64 v[21:22], v[25:26], v[19:20], v[21:22]
	v_fma_f64 v[25:26], -v[21:22], v[21:22], v[13:14]
	v_fma_f64 v[19:20], v[25:26], v[19:20], v[21:22]
	v_cndmask_b32_e32 v21, 0, v32, vcc
	v_cmp_class_f64_e32 vcc, v[13:14], v28
	v_ldexp_f64 v[19:20], v[19:20], v21
	v_cndmask_b32_e32 v26, v20, v14, vcc
	v_cndmask_b32_e32 v25, v19, v13, vcc
	v_add_f64 v[13:14], v[25:26], v[25:26]
	v_div_scale_f64 v[19:20], s[42:43], v[13:14], v[13:14], v[15:16]
	v_div_scale_f64 v[35:36], vcc, v[15:16], v[13:14], v[15:16]
	v_rcp_f64_e32 v[21:22], v[19:20]
	v_fma_f64 v[33:34], -v[19:20], v[21:22], 1.0
	v_fma_f64 v[21:22], v[21:22], v[33:34], v[21:22]
	v_fma_f64 v[33:34], -v[19:20], v[21:22], 1.0
	v_fma_f64 v[21:22], v[21:22], v[33:34], v[21:22]
	v_mul_f64 v[33:34], v[35:36], v[21:22]
	v_fma_f64 v[19:20], -v[19:20], v[33:34], v[35:36]
	v_div_fmas_f64 v[19:20], v[19:20], v[21:22], v[33:34]
	v_div_fixup_f64 v[21:22], v[19:20], v[13:14], v[15:16]
                                        ; implicit-def: $vgpr19_vgpr20
                                        ; implicit-def: $vgpr13_vgpr14
	s_andn2_saveexec_b64 s[2:3], s[2:3]
	s_cbranch_execz .LBB227_20
	s_branch .LBB227_19
.LBB227_18:                             ;   in Loop: Header=BB227_6 Depth=1
	s_andn2_saveexec_b64 s[2:3], s[2:3]
	s_cbranch_execz .LBB227_20
.LBB227_19:                             ;   in Loop: Header=BB227_6 Depth=1
	v_add_f64 v[13:14], v[19:20], -v[13:14]
	v_mul_f64 v[13:14], v[13:14], 0.5
	v_cmp_gt_f64_e32 vcc, s[24:25], v[13:14]
	v_cndmask_b32_e32 v19, 0, v31, vcc
	v_ldexp_f64 v[13:14], v[13:14], v19
	v_rsq_f64_e32 v[19:20], v[13:14]
	v_mul_f64 v[21:22], v[13:14], v[19:20]
	v_mul_f64 v[19:20], v[19:20], 0.5
	v_fma_f64 v[25:26], -v[19:20], v[21:22], 0.5
	v_fma_f64 v[21:22], v[21:22], v[25:26], v[21:22]
	v_fma_f64 v[19:20], v[19:20], v[25:26], v[19:20]
	v_fma_f64 v[25:26], -v[21:22], v[21:22], v[13:14]
	v_fma_f64 v[21:22], v[25:26], v[19:20], v[21:22]
	v_fma_f64 v[25:26], -v[21:22], v[21:22], v[13:14]
	v_fma_f64 v[19:20], v[25:26], v[19:20], v[21:22]
	v_cndmask_b32_e32 v21, 0, v32, vcc
	v_cmp_class_f64_e32 vcc, v[13:14], v28
	v_ldexp_f64 v[19:20], v[19:20], v21
	v_cndmask_b32_e32 v22, v20, v14, vcc
	v_cndmask_b32_e32 v21, v19, v13, vcc
	v_add_f64 v[13:14], v[21:22], v[21:22]
	v_and_b32_e32 v20, 0x7fffffff, v16
	v_mov_b32_e32 v19, v15
	v_bfi_b32 v22, s46, v22, v16
	v_div_scale_f64 v[25:26], s[42:43], v[13:14], v[13:14], v[19:20]
	v_div_scale_f64 v[19:20], vcc, v[19:20], v[13:14], v[19:20]
	v_rcp_f64_e32 v[33:34], v[25:26]
	v_fma_f64 v[35:36], -v[25:26], v[33:34], 1.0
	v_fma_f64 v[33:34], v[33:34], v[35:36], v[33:34]
	v_fma_f64 v[35:36], -v[25:26], v[33:34], 1.0
	v_fma_f64 v[33:34], v[33:34], v[35:36], v[33:34]
	v_mul_f64 v[35:36], v[19:20], v[33:34]
	v_fma_f64 v[19:20], -v[25:26], v[35:36], v[19:20]
	v_div_fmas_f64 v[19:20], v[19:20], v[33:34], v[35:36]
	v_div_fixup_f64 v[25:26], v[19:20], v[13:14], |v[15:16]|
.LBB227_20:                             ;   in Loop: Header=BB227_6 Depth=1
	s_or_b64 exec, exec, s[2:3]
                                        ; implicit-def: $vgpr15_vgpr16
                                        ; implicit-def: $vgpr19_vgpr20
	s_and_saveexec_b64 s[2:3], s[0:1]
	s_xor_b64 s[0:1], exec, s[2:3]
	s_cbranch_execz .LBB227_22
; %bb.21:                               ;   in Loop: Header=BB227_6 Depth=1
	v_mul_f64 v[13:14], v[25:26], 0.5
	v_mul_f64 v[15:16], v[21:22], 0.5
	v_cndmask_b32_e64 v20, v26, v14, s[40:41]
	v_cndmask_b32_e64 v19, v25, v13, s[40:41]
	;; [unrolled: 1-line block ×4, first 2 shown]
                                        ; implicit-def: $vgpr25_vgpr26
                                        ; implicit-def: $vgpr21_vgpr22
	s_andn2_saveexec_b64 s[0:1], s[0:1]
	s_cbranch_execnz .LBB227_23
	s_branch .LBB227_24
.LBB227_22:                             ;   in Loop: Header=BB227_6 Depth=1
	s_andn2_saveexec_b64 s[0:1], s[0:1]
	s_cbranch_execz .LBB227_24
.LBB227_23:                             ;   in Loop: Header=BB227_6 Depth=1
	v_add_f64 v[19:20], v[25:26], v[25:26]
	v_add_f64 v[15:16], v[21:22], v[21:22]
.LBB227_24:                             ;   in Loop: Header=BB227_6 Depth=1
	s_or_b64 exec, exec, s[0:1]
.LBB227_25:                             ;   in Loop: Header=BB227_6 Depth=1
	s_andn2_saveexec_b64 s[0:1], s[38:39]
	s_cbranch_execz .LBB227_47
; %bb.26:                               ;   in Loop: Header=BB227_6 Depth=1
	v_add_f64 v[21:22], v[15:16], -v[15:16]
	v_cmp_lt_i64_e32 vcc, -1, v[13:14]
	v_and_b32_e32 v20, 0x7fffffff, v22
	v_mov_b32_e32 v19, v21
	s_and_saveexec_b64 s[2:3], vcc
	s_xor_b64 s[2:3], exec, s[2:3]
; %bb.27:                               ;   in Loop: Header=BB227_6 Depth=1
	v_bfi_b32 v22, s46, v22, v16
	v_mov_b32_e32 v15, v21
	v_mov_b32_e32 v20, v14
	;; [unrolled: 1-line block ×4, first 2 shown]
; %bb.28:                               ;   in Loop: Header=BB227_6 Depth=1
	s_andn2_saveexec_b64 s[2:3], s[2:3]
; %bb.29:                               ;   in Loop: Header=BB227_6 Depth=1
	v_bfi_b32 v14, s46, v14, v16
	v_mov_b32_e32 v16, v14
	v_mov_b32_e32 v15, v13
; %bb.30:                               ;   in Loop: Header=BB227_6 Depth=1
	s_or_b64 exec, exec, s[2:3]
	s_or_b64 exec, exec, s[0:1]
.LBB227_31:                             ;   in Loop: Header=BB227_6 Depth=1
	s_andn2_saveexec_b64 s[0:1], s[36:37]
	s_cbranch_execz .LBB227_33
.LBB227_32:                             ;   in Loop: Header=BB227_6 Depth=1
	v_add_f64 v[15:16], v[15:16], -v[15:16]
	v_div_scale_f64 v[19:20], vcc, v[15:16], v[15:16], v[15:16]
	v_rcp_f64_e32 v[21:22], v[19:20]
	v_fma_f64 v[25:26], -v[19:20], v[21:22], 1.0
	v_fma_f64 v[21:22], v[21:22], v[25:26], v[21:22]
	v_fma_f64 v[25:26], -v[19:20], v[21:22], 1.0
	v_fma_f64 v[21:22], v[21:22], v[25:26], v[21:22]
	v_mul_f64 v[25:26], v[19:20], v[21:22]
	v_fma_f64 v[19:20], -v[19:20], v[25:26], v[19:20]
	v_div_fmas_f64 v[19:20], v[19:20], v[21:22], v[25:26]
	v_div_fixup_f64 v[15:16], v[19:20], v[15:16], v[15:16]
	v_mov_b32_e32 v20, v14
	v_mov_b32_e32 v19, v13
.LBB227_33:                             ;   in Loop: Header=BB227_6 Depth=1
	s_or_b64 exec, exec, s[0:1]
.LBB227_34:                             ;   in Loop: Header=BB227_6 Depth=1
	s_or_b64 exec, exec, s[34:35]
.LBB227_35:                             ;   in Loop: Header=BB227_6 Depth=1
	s_or_b64 exec, exec, s[30:31]
	s_waitcnt vmcnt(2)
	v_cmp_neq_f64_e32 vcc, 0, v[9:10]
	v_cmp_neq_f64_e64 s[0:1], 0, v[11:12]
	s_or_b64 s[0:1], vcc, s[0:1]
	s_and_saveexec_b64 s[30:31], s[0:1]
	s_cbranch_execz .LBB227_66
; %bb.36:                               ;   in Loop: Header=BB227_6 Depth=1
	v_mov_b32_e32 v17, 0
	v_mov_b32_e32 v18, 0x7ff00000
	v_cmp_neq_f64_e64 s[0:1], |v[11:12]|, v[17:18]
	s_and_saveexec_b64 s[34:35], s[0:1]
	s_cbranch_execz .LBB227_65
; %bb.37:                               ;   in Loop: Header=BB227_6 Depth=1
	v_cmp_o_f64_e32 vcc, v[9:10], v[9:10]
                                        ; implicit-def: $vgpr17_vgpr18
	s_and_saveexec_b64 s[0:1], vcc
	s_xor_b64 s[36:37], exec, s[0:1]
	s_cbranch_execz .LBB227_62
; %bb.38:                               ;   in Loop: Header=BB227_6 Depth=1
	v_cmp_neq_f64_e64 s[0:1], |v[9:10]|, s[18:19]
                                        ; implicit-def: $vgpr17_vgpr18
	s_and_saveexec_b64 s[2:3], s[0:1]
	s_xor_b64 s[38:39], exec, s[2:3]
	s_cbranch_execz .LBB227_55
; %bb.39:                               ;   in Loop: Header=BB227_6 Depth=1
	v_max_f64 v[13:14], |v[11:12]|, |v[11:12]|
	v_max_f64 v[17:18], |v[9:10]|, |v[9:10]|
                                        ; implicit-def: $sgpr40_sgpr41
	v_max_f64 v[13:14], v[17:18], v[13:14]
	v_cmp_nle_f64_e64 s[0:1], s[20:21], v[13:14]
	s_and_saveexec_b64 s[2:3], s[0:1]
	s_xor_b64 s[2:3], exec, s[2:3]
	s_cbranch_execz .LBB227_43
; %bb.40:                               ;   in Loop: Header=BB227_6 Depth=1
	v_cmp_le_f64_e64 s[40:41], |v[9:10]|, s[22:23]
	v_cmp_le_f64_e64 s[42:43], |v[11:12]|, s[22:23]
	s_and_b64 s[48:49], s[40:41], s[42:43]
	s_mov_b64 s[40:41], 0
	s_and_saveexec_b64 s[42:43], s[48:49]
	s_cbranch_execz .LBB227_42
; %bb.41:                               ;   in Loop: Header=BB227_6 Depth=1
	v_mul_f64 v[9:10], v[9:10], 4.0
	v_mul_f64 v[11:12], v[11:12], 4.0
	s_mov_b64 s[40:41], exec
.LBB227_42:                             ;   in Loop: Header=BB227_6 Depth=1
	s_or_b64 exec, exec, s[42:43]
.LBB227_43:                             ;   in Loop: Header=BB227_6 Depth=1
	s_andn2_saveexec_b64 s[2:3], s[2:3]
	s_cbranch_execz .LBB227_45
; %bb.44:                               ;   in Loop: Header=BB227_6 Depth=1
	v_ldexp_f64 v[9:10], v[9:10], -2
	v_ldexp_f64 v[11:12], v[11:12], -2
	s_andn2_b64 s[40:41], s[40:41], exec
.LBB227_45:                             ;   in Loop: Header=BB227_6 Depth=1
	s_or_b64 exec, exec, s[2:3]
	v_max_f64 v[13:14], |v[11:12]|, |v[11:12]|
	v_max_f64 v[17:18], |v[9:10]|, |v[9:10]|
	v_cmp_class_f64_e64 s[42:43], v[9:10], s45
	v_cmp_class_f64_e64 s[48:49], v[11:12], s45
	v_cmp_le_f64_e64 s[2:3], 0, v[9:10]
	v_max_f64 v[13:14], v[17:18], v[13:14]
	v_frexp_exp_i32_f64_e32 v33, v[13:14]
	v_sub_u32_e32 v17, 0, v33
	v_ldexp_f64 v[13:14], |v[11:12]|, v17
	v_ldexp_f64 v[17:18], |v[9:10]|, v17
	v_mul_f64 v[13:14], v[13:14], v[13:14]
	v_fma_f64 v[13:14], v[17:18], v[17:18], v[13:14]
	v_rsq_f64_e32 v[17:18], v[13:14]
	v_cmp_eq_f64_e32 vcc, 0, v[13:14]
	v_mul_f64 v[21:22], v[13:14], v[17:18]
	v_mul_f64 v[17:18], v[17:18], 0.5
	v_fma_f64 v[25:26], -v[17:18], v[21:22], 0.5
	v_fma_f64 v[21:22], v[21:22], v[25:26], v[21:22]
	v_fma_f64 v[17:18], v[17:18], v[25:26], v[17:18]
	v_fma_f64 v[25:26], -v[21:22], v[21:22], v[13:14]
	v_fma_f64 v[17:18], v[25:26], v[17:18], v[21:22]
                                        ; implicit-def: $vgpr21_vgpr22
	v_cndmask_b32_e32 v14, v18, v14, vcc
	v_cndmask_b32_e32 v13, v17, v13, vcc
	v_ldexp_f64 v[13:14], v[13:14], v33
	v_cmp_o_f64_e32 vcc, v[11:12], v[11:12]
	v_cndmask_b32_e32 v13, 0, v13, vcc
	v_cndmask_b32_e32 v14, v29, v14, vcc
	s_or_b64 vcc, s[48:49], s[42:43]
	v_cndmask_b32_e32 v18, v14, v30, vcc
	v_cndmask_b32_e64 v17, v13, 0, vcc
                                        ; implicit-def: $vgpr13_vgpr14
	s_and_saveexec_b64 s[42:43], s[2:3]
	s_xor_b64 s[2:3], exec, s[42:43]
	s_cbranch_execz .LBB227_48
; %bb.46:                               ;   in Loop: Header=BB227_6 Depth=1
	v_add_f64 v[9:10], v[9:10], v[17:18]
	v_mul_f64 v[9:10], v[9:10], 0.5
	v_cmp_gt_f64_e32 vcc, s[24:25], v[9:10]
	v_cndmask_b32_e32 v13, 0, v31, vcc
	v_ldexp_f64 v[9:10], v[9:10], v13
	v_rsq_f64_e32 v[13:14], v[9:10]
	v_mul_f64 v[17:18], v[9:10], v[13:14]
	v_mul_f64 v[13:14], v[13:14], 0.5
	v_fma_f64 v[21:22], -v[13:14], v[17:18], 0.5
	v_fma_f64 v[17:18], v[17:18], v[21:22], v[17:18]
	v_fma_f64 v[13:14], v[13:14], v[21:22], v[13:14]
	v_fma_f64 v[21:22], -v[17:18], v[17:18], v[9:10]
	v_fma_f64 v[17:18], v[21:22], v[13:14], v[17:18]
	v_fma_f64 v[21:22], -v[17:18], v[17:18], v[9:10]
	v_fma_f64 v[13:14], v[21:22], v[13:14], v[17:18]
	v_cndmask_b32_e32 v17, 0, v32, vcc
	v_cmp_class_f64_e32 vcc, v[9:10], v28
	v_ldexp_f64 v[13:14], v[13:14], v17
	v_cndmask_b32_e32 v22, v14, v10, vcc
	v_cndmask_b32_e32 v21, v13, v9, vcc
	v_add_f64 v[9:10], v[21:22], v[21:22]
	v_div_scale_f64 v[13:14], s[42:43], v[9:10], v[9:10], v[11:12]
	v_div_scale_f64 v[33:34], vcc, v[11:12], v[9:10], v[11:12]
	v_rcp_f64_e32 v[17:18], v[13:14]
	v_fma_f64 v[25:26], -v[13:14], v[17:18], 1.0
	v_fma_f64 v[17:18], v[17:18], v[25:26], v[17:18]
	v_fma_f64 v[25:26], -v[13:14], v[17:18], 1.0
	v_fma_f64 v[17:18], v[17:18], v[25:26], v[17:18]
	v_mul_f64 v[25:26], v[33:34], v[17:18]
	v_fma_f64 v[13:14], -v[13:14], v[25:26], v[33:34]
	v_div_fmas_f64 v[13:14], v[13:14], v[17:18], v[25:26]
                                        ; implicit-def: $vgpr17_vgpr18
	v_div_fixup_f64 v[13:14], v[13:14], v[9:10], v[11:12]
                                        ; implicit-def: $vgpr9_vgpr10
	s_andn2_saveexec_b64 s[2:3], s[2:3]
	s_cbranch_execz .LBB227_50
	s_branch .LBB227_49
.LBB227_47:                             ;   in Loop: Header=BB227_6 Depth=1
	s_or_b64 exec, exec, s[0:1]
	s_andn2_saveexec_b64 s[0:1], s[36:37]
	s_cbranch_execnz .LBB227_32
	s_branch .LBB227_33
.LBB227_48:                             ;   in Loop: Header=BB227_6 Depth=1
	s_andn2_saveexec_b64 s[2:3], s[2:3]
	s_cbranch_execz .LBB227_50
.LBB227_49:                             ;   in Loop: Header=BB227_6 Depth=1
	v_add_f64 v[9:10], v[17:18], -v[9:10]
	v_mul_f64 v[9:10], v[9:10], 0.5
	v_cmp_gt_f64_e32 vcc, s[24:25], v[9:10]
	v_cndmask_b32_e32 v13, 0, v31, vcc
	v_ldexp_f64 v[9:10], v[9:10], v13
	v_rsq_f64_e32 v[13:14], v[9:10]
	v_mul_f64 v[17:18], v[9:10], v[13:14]
	v_mul_f64 v[13:14], v[13:14], 0.5
	v_fma_f64 v[21:22], -v[13:14], v[17:18], 0.5
	v_fma_f64 v[17:18], v[17:18], v[21:22], v[17:18]
	v_fma_f64 v[13:14], v[13:14], v[21:22], v[13:14]
	v_fma_f64 v[21:22], -v[17:18], v[17:18], v[9:10]
	v_fma_f64 v[17:18], v[21:22], v[13:14], v[17:18]
	v_fma_f64 v[21:22], -v[17:18], v[17:18], v[9:10]
	v_fma_f64 v[13:14], v[21:22], v[13:14], v[17:18]
	v_cndmask_b32_e32 v17, 0, v32, vcc
	v_cmp_class_f64_e32 vcc, v[9:10], v28
	v_and_b32_e32 v18, 0x7fffffff, v12
	v_ldexp_f64 v[13:14], v[13:14], v17
	v_mov_b32_e32 v17, v11
	v_cndmask_b32_e32 v14, v14, v10, vcc
	v_cndmask_b32_e32 v13, v13, v9, vcc
	v_add_f64 v[9:10], v[13:14], v[13:14]
	v_bfi_b32 v14, s46, v14, v12
	v_div_scale_f64 v[21:22], s[42:43], v[9:10], v[9:10], v[17:18]
	v_div_scale_f64 v[17:18], vcc, v[17:18], v[9:10], v[17:18]
	v_rcp_f64_e32 v[25:26], v[21:22]
	v_fma_f64 v[33:34], -v[21:22], v[25:26], 1.0
	v_fma_f64 v[25:26], v[25:26], v[33:34], v[25:26]
	v_fma_f64 v[33:34], -v[21:22], v[25:26], 1.0
	v_fma_f64 v[25:26], v[25:26], v[33:34], v[25:26]
	v_mul_f64 v[33:34], v[17:18], v[25:26]
	v_fma_f64 v[17:18], -v[21:22], v[33:34], v[17:18]
	v_div_fmas_f64 v[17:18], v[17:18], v[25:26], v[33:34]
	v_div_fixup_f64 v[21:22], v[17:18], v[9:10], |v[11:12]|
.LBB227_50:                             ;   in Loop: Header=BB227_6 Depth=1
	s_or_b64 exec, exec, s[2:3]
                                        ; implicit-def: $vgpr11_vgpr12
                                        ; implicit-def: $vgpr17_vgpr18
	s_and_saveexec_b64 s[2:3], s[0:1]
	s_xor_b64 s[0:1], exec, s[2:3]
	s_cbranch_execz .LBB227_52
; %bb.51:                               ;   in Loop: Header=BB227_6 Depth=1
	v_mul_f64 v[9:10], v[21:22], 0.5
	v_mul_f64 v[11:12], v[13:14], 0.5
	v_cndmask_b32_e64 v18, v22, v10, s[40:41]
	v_cndmask_b32_e64 v17, v21, v9, s[40:41]
	v_cndmask_b32_e64 v12, v14, v12, s[40:41]
	v_cndmask_b32_e64 v11, v13, v11, s[40:41]
                                        ; implicit-def: $vgpr21_vgpr22
                                        ; implicit-def: $vgpr13_vgpr14
	s_andn2_saveexec_b64 s[0:1], s[0:1]
	s_cbranch_execnz .LBB227_53
	s_branch .LBB227_54
.LBB227_52:                             ;   in Loop: Header=BB227_6 Depth=1
	s_andn2_saveexec_b64 s[0:1], s[0:1]
	s_cbranch_execz .LBB227_54
.LBB227_53:                             ;   in Loop: Header=BB227_6 Depth=1
	v_add_f64 v[17:18], v[21:22], v[21:22]
	v_add_f64 v[11:12], v[13:14], v[13:14]
.LBB227_54:                             ;   in Loop: Header=BB227_6 Depth=1
	s_or_b64 exec, exec, s[0:1]
.LBB227_55:                             ;   in Loop: Header=BB227_6 Depth=1
	s_andn2_saveexec_b64 s[0:1], s[38:39]
	s_cbranch_execz .LBB227_61
; %bb.56:                               ;   in Loop: Header=BB227_6 Depth=1
	v_add_f64 v[13:14], v[11:12], -v[11:12]
	v_cmp_lt_i64_e32 vcc, -1, v[9:10]
	v_and_b32_e32 v18, 0x7fffffff, v14
	v_mov_b32_e32 v17, v13
	s_and_saveexec_b64 s[2:3], vcc
	s_xor_b64 s[2:3], exec, s[2:3]
; %bb.57:                               ;   in Loop: Header=BB227_6 Depth=1
	v_bfi_b32 v14, s46, v14, v12
	v_mov_b32_e32 v11, v13
	v_mov_b32_e32 v18, v10
	;; [unrolled: 1-line block ×4, first 2 shown]
; %bb.58:                               ;   in Loop: Header=BB227_6 Depth=1
	s_andn2_saveexec_b64 s[2:3], s[2:3]
; %bb.59:                               ;   in Loop: Header=BB227_6 Depth=1
	v_bfi_b32 v10, s46, v10, v12
	v_mov_b32_e32 v12, v10
	v_mov_b32_e32 v11, v9
; %bb.60:                               ;   in Loop: Header=BB227_6 Depth=1
	s_or_b64 exec, exec, s[2:3]
.LBB227_61:                             ;   in Loop: Header=BB227_6 Depth=1
	s_or_b64 exec, exec, s[0:1]
.LBB227_62:                             ;   in Loop: Header=BB227_6 Depth=1
	s_andn2_saveexec_b64 s[0:1], s[36:37]
	s_cbranch_execz .LBB227_64
; %bb.63:                               ;   in Loop: Header=BB227_6 Depth=1
	v_add_f64 v[11:12], v[11:12], -v[11:12]
	v_div_scale_f64 v[13:14], vcc, v[11:12], v[11:12], v[11:12]
	v_rcp_f64_e32 v[17:18], v[13:14]
	v_fma_f64 v[21:22], -v[13:14], v[17:18], 1.0
	v_fma_f64 v[17:18], v[17:18], v[21:22], v[17:18]
	v_fma_f64 v[21:22], -v[13:14], v[17:18], 1.0
	v_fma_f64 v[17:18], v[17:18], v[21:22], v[17:18]
	v_mul_f64 v[21:22], v[13:14], v[17:18]
	v_fma_f64 v[13:14], -v[13:14], v[21:22], v[13:14]
	v_div_fmas_f64 v[13:14], v[13:14], v[17:18], v[21:22]
	v_mov_b32_e32 v18, v10
	v_mov_b32_e32 v17, v9
	v_div_fixup_f64 v[11:12], v[13:14], v[11:12], v[11:12]
.LBB227_64:                             ;   in Loop: Header=BB227_6 Depth=1
	s_or_b64 exec, exec, s[0:1]
.LBB227_65:                             ;   in Loop: Header=BB227_6 Depth=1
	s_or_b64 exec, exec, s[34:35]
.LBB227_66:                             ;   in Loop: Header=BB227_6 Depth=1
	s_or_b64 exec, exec, s[30:31]
	s_waitcnt vmcnt(0)
	v_cmp_neq_f64_e32 vcc, 0, v[5:6]
	v_cmp_neq_f64_e64 s[0:1], 0, v[7:8]
	v_mov_b32_e32 v9, 0
	v_mov_b32_e32 v13, 0
	;; [unrolled: 1-line block ×4, first 2 shown]
	s_or_b64 s[0:1], vcc, s[0:1]
	s_and_saveexec_b64 s[30:31], s[0:1]
	s_cbranch_execz .LBB227_96
; %bb.67:                               ;   in Loop: Header=BB227_6 Depth=1
	v_mov_b32_e32 v13, 0
	v_mov_b32_e32 v14, 0x7ff00000
	v_cmp_neq_f64_e64 s[0:1], |v[7:8]|, v[13:14]
	s_and_saveexec_b64 s[34:35], s[0:1]
	s_cbranch_execz .LBB227_95
; %bb.68:                               ;   in Loop: Header=BB227_6 Depth=1
	v_cmp_o_f64_e32 vcc, v[5:6], v[5:6]
                                        ; implicit-def: $vgpr13_vgpr14
	s_and_saveexec_b64 s[0:1], vcc
	s_xor_b64 s[36:37], exec, s[0:1]
	s_cbranch_execz .LBB227_92
; %bb.69:                               ;   in Loop: Header=BB227_6 Depth=1
	v_cmp_neq_f64_e64 s[0:1], |v[5:6]|, s[18:19]
                                        ; implicit-def: $vgpr13_vgpr14
	s_and_saveexec_b64 s[2:3], s[0:1]
	s_xor_b64 s[38:39], exec, s[2:3]
	s_cbranch_execz .LBB227_85
; %bb.70:                               ;   in Loop: Header=BB227_6 Depth=1
	v_max_f64 v[13:14], |v[7:8]|, |v[7:8]|
	v_max_f64 v[21:22], |v[5:6]|, |v[5:6]|
                                        ; implicit-def: $sgpr40_sgpr41
	v_max_f64 v[13:14], v[21:22], v[13:14]
	v_cmp_nle_f64_e64 s[0:1], s[20:21], v[13:14]
	s_and_saveexec_b64 s[2:3], s[0:1]
	s_xor_b64 s[2:3], exec, s[2:3]
	s_cbranch_execz .LBB227_74
; %bb.71:                               ;   in Loop: Header=BB227_6 Depth=1
	v_cmp_le_f64_e64 s[40:41], |v[5:6]|, s[22:23]
	v_cmp_le_f64_e64 s[42:43], |v[7:8]|, s[22:23]
	s_and_b64 s[48:49], s[40:41], s[42:43]
	s_mov_b64 s[40:41], 0
	s_and_saveexec_b64 s[42:43], s[48:49]
	s_cbranch_execz .LBB227_73
; %bb.72:                               ;   in Loop: Header=BB227_6 Depth=1
	v_mul_f64 v[5:6], v[5:6], 4.0
	v_mul_f64 v[7:8], v[7:8], 4.0
	s_mov_b64 s[40:41], exec
.LBB227_73:                             ;   in Loop: Header=BB227_6 Depth=1
	s_or_b64 exec, exec, s[42:43]
.LBB227_74:                             ;   in Loop: Header=BB227_6 Depth=1
	s_andn2_saveexec_b64 s[2:3], s[2:3]
	s_cbranch_execz .LBB227_76
; %bb.75:                               ;   in Loop: Header=BB227_6 Depth=1
	v_ldexp_f64 v[5:6], v[5:6], -2
	v_ldexp_f64 v[7:8], v[7:8], -2
	s_andn2_b64 s[40:41], s[40:41], exec
.LBB227_76:                             ;   in Loop: Header=BB227_6 Depth=1
	s_or_b64 exec, exec, s[2:3]
	v_max_f64 v[13:14], |v[7:8]|, |v[7:8]|
	v_max_f64 v[21:22], |v[5:6]|, |v[5:6]|
	v_cmp_class_f64_e64 s[42:43], v[5:6], s45
	v_cmp_class_f64_e64 s[48:49], v[7:8], s45
	v_cmp_le_f64_e64 s[2:3], 0, v[5:6]
	v_max_f64 v[13:14], v[21:22], v[13:14]
	v_frexp_exp_i32_f64_e32 v35, v[13:14]
	v_sub_u32_e32 v21, 0, v35
	v_ldexp_f64 v[13:14], |v[7:8]|, v21
	v_ldexp_f64 v[21:22], |v[5:6]|, v21
	v_mul_f64 v[13:14], v[13:14], v[13:14]
	v_fma_f64 v[13:14], v[21:22], v[21:22], v[13:14]
	v_rsq_f64_e32 v[21:22], v[13:14]
	v_cmp_eq_f64_e32 vcc, 0, v[13:14]
	v_mul_f64 v[25:26], v[13:14], v[21:22]
	v_mul_f64 v[21:22], v[21:22], 0.5
	v_fma_f64 v[33:34], -v[21:22], v[25:26], 0.5
	v_fma_f64 v[25:26], v[25:26], v[33:34], v[25:26]
	v_fma_f64 v[21:22], v[21:22], v[33:34], v[21:22]
	v_fma_f64 v[33:34], -v[25:26], v[25:26], v[13:14]
	v_fma_f64 v[21:22], v[33:34], v[21:22], v[25:26]
                                        ; implicit-def: $vgpr25_vgpr26
	v_cndmask_b32_e32 v14, v22, v14, vcc
	v_cndmask_b32_e32 v13, v21, v13, vcc
	v_ldexp_f64 v[13:14], v[13:14], v35
	v_cmp_o_f64_e32 vcc, v[7:8], v[7:8]
                                        ; implicit-def: $vgpr21_vgpr22
	v_cndmask_b32_e32 v13, 0, v13, vcc
	v_cndmask_b32_e32 v14, v29, v14, vcc
	s_or_b64 vcc, s[48:49], s[42:43]
	v_cndmask_b32_e32 v14, v14, v30, vcc
	v_cndmask_b32_e64 v13, v13, 0, vcc
	s_and_saveexec_b64 s[42:43], s[2:3]
	s_xor_b64 s[2:3], exec, s[42:43]
	s_cbranch_execz .LBB227_78
; %bb.77:                               ;   in Loop: Header=BB227_6 Depth=1
	v_add_f64 v[5:6], v[5:6], v[13:14]
	v_mul_f64 v[5:6], v[5:6], 0.5
	v_cmp_gt_f64_e32 vcc, s[24:25], v[5:6]
	v_cndmask_b32_e32 v13, 0, v31, vcc
	v_ldexp_f64 v[5:6], v[5:6], v13
	v_rsq_f64_e32 v[13:14], v[5:6]
	v_mul_f64 v[21:22], v[5:6], v[13:14]
	v_mul_f64 v[13:14], v[13:14], 0.5
	v_fma_f64 v[25:26], -v[13:14], v[21:22], 0.5
	v_fma_f64 v[21:22], v[21:22], v[25:26], v[21:22]
	v_fma_f64 v[13:14], v[13:14], v[25:26], v[13:14]
	v_fma_f64 v[25:26], -v[21:22], v[21:22], v[5:6]
	v_fma_f64 v[21:22], v[25:26], v[13:14], v[21:22]
	v_fma_f64 v[25:26], -v[21:22], v[21:22], v[5:6]
	v_fma_f64 v[13:14], v[25:26], v[13:14], v[21:22]
	v_cndmask_b32_e32 v21, 0, v32, vcc
	v_cmp_class_f64_e32 vcc, v[5:6], v28
	v_ldexp_f64 v[13:14], v[13:14], v21
	v_cndmask_b32_e32 v26, v14, v6, vcc
	v_cndmask_b32_e32 v25, v13, v5, vcc
	v_add_f64 v[5:6], v[25:26], v[25:26]
	v_div_scale_f64 v[13:14], s[42:43], v[5:6], v[5:6], v[7:8]
	v_div_scale_f64 v[35:36], vcc, v[7:8], v[5:6], v[7:8]
	v_rcp_f64_e32 v[21:22], v[13:14]
	v_fma_f64 v[33:34], -v[13:14], v[21:22], 1.0
	v_fma_f64 v[21:22], v[21:22], v[33:34], v[21:22]
	v_fma_f64 v[33:34], -v[13:14], v[21:22], 1.0
	v_fma_f64 v[21:22], v[21:22], v[33:34], v[21:22]
	v_mul_f64 v[33:34], v[35:36], v[21:22]
	v_fma_f64 v[13:14], -v[13:14], v[33:34], v[35:36]
	v_div_fmas_f64 v[13:14], v[13:14], v[21:22], v[33:34]
	v_div_fixup_f64 v[21:22], v[13:14], v[5:6], v[7:8]
                                        ; implicit-def: $vgpr13_vgpr14
                                        ; implicit-def: $vgpr5_vgpr6
	s_andn2_saveexec_b64 s[2:3], s[2:3]
	s_cbranch_execz .LBB227_80
	s_branch .LBB227_79
.LBB227_78:                             ;   in Loop: Header=BB227_6 Depth=1
	s_andn2_saveexec_b64 s[2:3], s[2:3]
	s_cbranch_execz .LBB227_80
.LBB227_79:                             ;   in Loop: Header=BB227_6 Depth=1
	v_add_f64 v[5:6], v[13:14], -v[5:6]
	v_mul_f64 v[5:6], v[5:6], 0.5
	v_cmp_gt_f64_e32 vcc, s[24:25], v[5:6]
	v_cndmask_b32_e32 v13, 0, v31, vcc
	v_ldexp_f64 v[5:6], v[5:6], v13
	v_rsq_f64_e32 v[13:14], v[5:6]
	v_mul_f64 v[21:22], v[5:6], v[13:14]
	v_mul_f64 v[13:14], v[13:14], 0.5
	v_fma_f64 v[25:26], -v[13:14], v[21:22], 0.5
	v_fma_f64 v[21:22], v[21:22], v[25:26], v[21:22]
	v_fma_f64 v[13:14], v[13:14], v[25:26], v[13:14]
	v_fma_f64 v[25:26], -v[21:22], v[21:22], v[5:6]
	v_fma_f64 v[21:22], v[25:26], v[13:14], v[21:22]
	v_fma_f64 v[25:26], -v[21:22], v[21:22], v[5:6]
	v_fma_f64 v[13:14], v[25:26], v[13:14], v[21:22]
	v_cndmask_b32_e32 v21, 0, v32, vcc
	v_cmp_class_f64_e32 vcc, v[5:6], v28
	v_ldexp_f64 v[13:14], v[13:14], v21
	v_cndmask_b32_e32 v22, v14, v6, vcc
	v_cndmask_b32_e32 v21, v13, v5, vcc
	v_add_f64 v[5:6], v[21:22], v[21:22]
	v_and_b32_e32 v14, 0x7fffffff, v8
	v_mov_b32_e32 v13, v7
	v_bfi_b32 v22, s46, v22, v8
	v_div_scale_f64 v[25:26], s[42:43], v[5:6], v[5:6], v[13:14]
	v_div_scale_f64 v[13:14], vcc, v[13:14], v[5:6], v[13:14]
	v_rcp_f64_e32 v[33:34], v[25:26]
	v_fma_f64 v[35:36], -v[25:26], v[33:34], 1.0
	v_fma_f64 v[33:34], v[33:34], v[35:36], v[33:34]
	v_fma_f64 v[35:36], -v[25:26], v[33:34], 1.0
	v_fma_f64 v[33:34], v[33:34], v[35:36], v[33:34]
	v_mul_f64 v[35:36], v[13:14], v[33:34]
	v_fma_f64 v[13:14], -v[25:26], v[35:36], v[13:14]
	v_div_fmas_f64 v[13:14], v[13:14], v[33:34], v[35:36]
	v_div_fixup_f64 v[25:26], v[13:14], v[5:6], |v[7:8]|
.LBB227_80:                             ;   in Loop: Header=BB227_6 Depth=1
	s_or_b64 exec, exec, s[2:3]
                                        ; implicit-def: $vgpr7_vgpr8
                                        ; implicit-def: $vgpr13_vgpr14
	s_and_saveexec_b64 s[2:3], s[0:1]
	s_xor_b64 s[0:1], exec, s[2:3]
	s_cbranch_execz .LBB227_82
; %bb.81:                               ;   in Loop: Header=BB227_6 Depth=1
	v_mul_f64 v[5:6], v[25:26], 0.5
	v_mul_f64 v[7:8], v[21:22], 0.5
	v_cndmask_b32_e64 v14, v26, v6, s[40:41]
	v_cndmask_b32_e64 v13, v25, v5, s[40:41]
	;; [unrolled: 1-line block ×4, first 2 shown]
                                        ; implicit-def: $vgpr25_vgpr26
                                        ; implicit-def: $vgpr21_vgpr22
	s_andn2_saveexec_b64 s[0:1], s[0:1]
	s_cbranch_execnz .LBB227_83
	s_branch .LBB227_84
.LBB227_82:                             ;   in Loop: Header=BB227_6 Depth=1
	s_andn2_saveexec_b64 s[0:1], s[0:1]
	s_cbranch_execz .LBB227_84
.LBB227_83:                             ;   in Loop: Header=BB227_6 Depth=1
	v_add_f64 v[13:14], v[25:26], v[25:26]
	v_add_f64 v[7:8], v[21:22], v[21:22]
.LBB227_84:                             ;   in Loop: Header=BB227_6 Depth=1
	s_or_b64 exec, exec, s[0:1]
.LBB227_85:                             ;   in Loop: Header=BB227_6 Depth=1
	s_andn2_saveexec_b64 s[0:1], s[38:39]
	s_cbranch_execz .LBB227_91
; %bb.86:                               ;   in Loop: Header=BB227_6 Depth=1
	v_add_f64 v[21:22], v[7:8], -v[7:8]
	v_cmp_lt_i64_e32 vcc, -1, v[5:6]
	v_and_b32_e32 v14, 0x7fffffff, v22
	v_mov_b32_e32 v13, v21
	s_and_saveexec_b64 s[2:3], vcc
	s_xor_b64 s[2:3], exec, s[2:3]
; %bb.87:                               ;   in Loop: Header=BB227_6 Depth=1
	v_bfi_b32 v22, s46, v22, v8
	v_mov_b32_e32 v7, v21
	v_mov_b32_e32 v14, v6
	;; [unrolled: 1-line block ×4, first 2 shown]
; %bb.88:                               ;   in Loop: Header=BB227_6 Depth=1
	s_andn2_saveexec_b64 s[2:3], s[2:3]
; %bb.89:                               ;   in Loop: Header=BB227_6 Depth=1
	v_bfi_b32 v6, s46, v6, v8
	v_mov_b32_e32 v8, v6
	v_mov_b32_e32 v7, v5
; %bb.90:                               ;   in Loop: Header=BB227_6 Depth=1
	s_or_b64 exec, exec, s[2:3]
.LBB227_91:                             ;   in Loop: Header=BB227_6 Depth=1
	s_or_b64 exec, exec, s[0:1]
.LBB227_92:                             ;   in Loop: Header=BB227_6 Depth=1
	s_andn2_saveexec_b64 s[0:1], s[36:37]
	s_cbranch_execz .LBB227_94
; %bb.93:                               ;   in Loop: Header=BB227_6 Depth=1
	v_add_f64 v[7:8], v[7:8], -v[7:8]
	v_div_scale_f64 v[13:14], vcc, v[7:8], v[7:8], v[7:8]
	v_rcp_f64_e32 v[21:22], v[13:14]
	v_fma_f64 v[25:26], -v[13:14], v[21:22], 1.0
	v_fma_f64 v[21:22], v[21:22], v[25:26], v[21:22]
	v_fma_f64 v[25:26], -v[13:14], v[21:22], 1.0
	v_fma_f64 v[21:22], v[21:22], v[25:26], v[21:22]
	v_mul_f64 v[25:26], v[13:14], v[21:22]
	v_fma_f64 v[13:14], -v[13:14], v[25:26], v[13:14]
	v_div_fmas_f64 v[13:14], v[13:14], v[21:22], v[25:26]
	v_div_fixup_f64 v[7:8], v[13:14], v[7:8], v[7:8]
	v_mov_b32_e32 v14, v6
	v_mov_b32_e32 v13, v5
.LBB227_94:                             ;   in Loop: Header=BB227_6 Depth=1
	s_or_b64 exec, exec, s[0:1]
.LBB227_95:                             ;   in Loop: Header=BB227_6 Depth=1
	s_or_b64 exec, exec, s[34:35]
.LBB227_96:                             ;   in Loop: Header=BB227_6 Depth=1
	s_or_b64 exec, exec, s[30:31]
	v_cmp_neq_f64_e32 vcc, 0, v[1:2]
	v_cmp_neq_f64_e64 s[0:1], 0, v[3:4]
	s_or_b64 s[0:1], vcc, s[0:1]
	s_and_saveexec_b64 s[30:31], s[0:1]
	s_cbranch_execz .LBB227_5
; %bb.97:                               ;   in Loop: Header=BB227_6 Depth=1
	v_mov_b32_e32 v9, 0
	v_mov_b32_e32 v10, 0x7ff00000
	v_cmp_neq_f64_e64 s[0:1], |v[3:4]|, v[9:10]
	s_and_saveexec_b64 s[34:35], s[0:1]
	s_cbranch_execz .LBB227_4
; %bb.98:                               ;   in Loop: Header=BB227_6 Depth=1
	v_cmp_o_f64_e32 vcc, v[1:2], v[1:2]
                                        ; implicit-def: $vgpr9_vgpr10
	s_and_saveexec_b64 s[0:1], vcc
	s_xor_b64 s[36:37], exec, s[0:1]
	s_cbranch_execz .LBB227_122
; %bb.99:                               ;   in Loop: Header=BB227_6 Depth=1
	v_cmp_neq_f64_e64 s[0:1], |v[1:2]|, s[18:19]
                                        ; implicit-def: $vgpr9_vgpr10
	s_and_saveexec_b64 s[2:3], s[0:1]
	s_xor_b64 s[38:39], exec, s[2:3]
	s_cbranch_execz .LBB227_115
; %bb.100:                              ;   in Loop: Header=BB227_6 Depth=1
	v_max_f64 v[5:6], |v[3:4]|, |v[3:4]|
	v_max_f64 v[9:10], |v[1:2]|, |v[1:2]|
                                        ; implicit-def: $sgpr40_sgpr41
	v_max_f64 v[5:6], v[9:10], v[5:6]
	v_cmp_nle_f64_e64 s[0:1], s[20:21], v[5:6]
	s_and_saveexec_b64 s[2:3], s[0:1]
	s_xor_b64 s[2:3], exec, s[2:3]
	s_cbranch_execz .LBB227_104
; %bb.101:                              ;   in Loop: Header=BB227_6 Depth=1
	v_cmp_le_f64_e64 s[40:41], |v[1:2]|, s[22:23]
	v_cmp_le_f64_e64 s[42:43], |v[3:4]|, s[22:23]
	s_and_b64 s[48:49], s[40:41], s[42:43]
	s_mov_b64 s[40:41], 0
	s_and_saveexec_b64 s[42:43], s[48:49]
	s_cbranch_execz .LBB227_103
; %bb.102:                              ;   in Loop: Header=BB227_6 Depth=1
	v_mul_f64 v[1:2], v[1:2], 4.0
	v_mul_f64 v[3:4], v[3:4], 4.0
	s_mov_b64 s[40:41], exec
.LBB227_103:                            ;   in Loop: Header=BB227_6 Depth=1
	s_or_b64 exec, exec, s[42:43]
.LBB227_104:                            ;   in Loop: Header=BB227_6 Depth=1
	s_andn2_saveexec_b64 s[2:3], s[2:3]
	s_cbranch_execz .LBB227_106
; %bb.105:                              ;   in Loop: Header=BB227_6 Depth=1
	v_ldexp_f64 v[1:2], v[1:2], -2
	v_ldexp_f64 v[3:4], v[3:4], -2
	s_andn2_b64 s[40:41], s[40:41], exec
.LBB227_106:                            ;   in Loop: Header=BB227_6 Depth=1
	s_or_b64 exec, exec, s[2:3]
	v_max_f64 v[5:6], |v[3:4]|, |v[3:4]|
	v_max_f64 v[9:10], |v[1:2]|, |v[1:2]|
	v_cmp_class_f64_e64 s[42:43], v[1:2], s45
	v_cmp_class_f64_e64 s[48:49], v[3:4], s45
	v_cmp_le_f64_e64 s[2:3], 0, v[1:2]
	v_max_f64 v[5:6], v[9:10], v[5:6]
	v_frexp_exp_i32_f64_e32 v33, v[5:6]
	v_sub_u32_e32 v9, 0, v33
	v_ldexp_f64 v[5:6], |v[3:4]|, v9
	v_ldexp_f64 v[9:10], |v[1:2]|, v9
	v_mul_f64 v[5:6], v[5:6], v[5:6]
	v_fma_f64 v[5:6], v[9:10], v[9:10], v[5:6]
	v_rsq_f64_e32 v[9:10], v[5:6]
	v_cmp_eq_f64_e32 vcc, 0, v[5:6]
	v_mul_f64 v[21:22], v[5:6], v[9:10]
	v_mul_f64 v[9:10], v[9:10], 0.5
	v_fma_f64 v[25:26], -v[9:10], v[21:22], 0.5
	v_fma_f64 v[21:22], v[21:22], v[25:26], v[21:22]
	v_fma_f64 v[9:10], v[9:10], v[25:26], v[9:10]
	v_fma_f64 v[25:26], -v[21:22], v[21:22], v[5:6]
	v_fma_f64 v[9:10], v[25:26], v[9:10], v[21:22]
                                        ; implicit-def: $vgpr21_vgpr22
	v_cndmask_b32_e32 v6, v10, v6, vcc
	v_cndmask_b32_e32 v5, v9, v5, vcc
	v_ldexp_f64 v[5:6], v[5:6], v33
	v_cmp_o_f64_e32 vcc, v[3:4], v[3:4]
	v_cndmask_b32_e32 v5, 0, v5, vcc
	v_cndmask_b32_e32 v6, v29, v6, vcc
	s_or_b64 vcc, s[48:49], s[42:43]
	v_cndmask_b32_e32 v10, v6, v30, vcc
	v_cndmask_b32_e64 v9, v5, 0, vcc
                                        ; implicit-def: $vgpr5_vgpr6
	s_and_saveexec_b64 s[42:43], s[2:3]
	s_xor_b64 s[2:3], exec, s[42:43]
	s_cbranch_execz .LBB227_108
; %bb.107:                              ;   in Loop: Header=BB227_6 Depth=1
	v_add_f64 v[1:2], v[1:2], v[9:10]
	v_mul_f64 v[1:2], v[1:2], 0.5
	v_cmp_gt_f64_e32 vcc, s[24:25], v[1:2]
	v_cndmask_b32_e32 v5, 0, v31, vcc
	v_ldexp_f64 v[1:2], v[1:2], v5
	v_rsq_f64_e32 v[5:6], v[1:2]
	v_mul_f64 v[9:10], v[1:2], v[5:6]
	v_mul_f64 v[5:6], v[5:6], 0.5
	v_fma_f64 v[21:22], -v[5:6], v[9:10], 0.5
	v_fma_f64 v[9:10], v[9:10], v[21:22], v[9:10]
	v_fma_f64 v[5:6], v[5:6], v[21:22], v[5:6]
	v_fma_f64 v[21:22], -v[9:10], v[9:10], v[1:2]
	v_fma_f64 v[9:10], v[21:22], v[5:6], v[9:10]
	v_fma_f64 v[21:22], -v[9:10], v[9:10], v[1:2]
	v_fma_f64 v[5:6], v[21:22], v[5:6], v[9:10]
	v_cndmask_b32_e32 v9, 0, v32, vcc
	v_cmp_class_f64_e32 vcc, v[1:2], v28
	v_ldexp_f64 v[5:6], v[5:6], v9
	v_cndmask_b32_e32 v22, v6, v2, vcc
	v_cndmask_b32_e32 v21, v5, v1, vcc
	v_add_f64 v[1:2], v[21:22], v[21:22]
	v_div_scale_f64 v[5:6], s[42:43], v[1:2], v[1:2], v[3:4]
	v_div_scale_f64 v[33:34], vcc, v[3:4], v[1:2], v[3:4]
	v_rcp_f64_e32 v[9:10], v[5:6]
	v_fma_f64 v[25:26], -v[5:6], v[9:10], 1.0
	v_fma_f64 v[9:10], v[9:10], v[25:26], v[9:10]
	v_fma_f64 v[25:26], -v[5:6], v[9:10], 1.0
	v_fma_f64 v[9:10], v[9:10], v[25:26], v[9:10]
	v_mul_f64 v[25:26], v[33:34], v[9:10]
	v_fma_f64 v[5:6], -v[5:6], v[25:26], v[33:34]
	v_div_fmas_f64 v[5:6], v[5:6], v[9:10], v[25:26]
                                        ; implicit-def: $vgpr9_vgpr10
	v_div_fixup_f64 v[5:6], v[5:6], v[1:2], v[3:4]
                                        ; implicit-def: $vgpr1_vgpr2
	s_andn2_saveexec_b64 s[2:3], s[2:3]
	s_cbranch_execz .LBB227_110
	s_branch .LBB227_109
.LBB227_108:                            ;   in Loop: Header=BB227_6 Depth=1
	s_andn2_saveexec_b64 s[2:3], s[2:3]
	s_cbranch_execz .LBB227_110
.LBB227_109:                            ;   in Loop: Header=BB227_6 Depth=1
	v_add_f64 v[1:2], v[9:10], -v[1:2]
	v_mul_f64 v[1:2], v[1:2], 0.5
	v_cmp_gt_f64_e32 vcc, s[24:25], v[1:2]
	v_cndmask_b32_e32 v5, 0, v31, vcc
	v_ldexp_f64 v[1:2], v[1:2], v5
	v_rsq_f64_e32 v[5:6], v[1:2]
	v_mul_f64 v[9:10], v[1:2], v[5:6]
	v_mul_f64 v[5:6], v[5:6], 0.5
	v_fma_f64 v[21:22], -v[5:6], v[9:10], 0.5
	v_fma_f64 v[9:10], v[9:10], v[21:22], v[9:10]
	v_fma_f64 v[5:6], v[5:6], v[21:22], v[5:6]
	v_fma_f64 v[21:22], -v[9:10], v[9:10], v[1:2]
	v_fma_f64 v[9:10], v[21:22], v[5:6], v[9:10]
	v_fma_f64 v[21:22], -v[9:10], v[9:10], v[1:2]
	v_fma_f64 v[5:6], v[21:22], v[5:6], v[9:10]
	v_cndmask_b32_e32 v9, 0, v32, vcc
	v_cmp_class_f64_e32 vcc, v[1:2], v28
	v_and_b32_e32 v10, 0x7fffffff, v4
	v_ldexp_f64 v[5:6], v[5:6], v9
	v_mov_b32_e32 v9, v3
	v_cndmask_b32_e32 v6, v6, v2, vcc
	v_cndmask_b32_e32 v5, v5, v1, vcc
	v_add_f64 v[1:2], v[5:6], v[5:6]
	v_bfi_b32 v6, s46, v6, v4
	v_div_scale_f64 v[21:22], s[42:43], v[1:2], v[1:2], v[9:10]
	v_div_scale_f64 v[9:10], vcc, v[9:10], v[1:2], v[9:10]
	v_rcp_f64_e32 v[25:26], v[21:22]
	v_fma_f64 v[33:34], -v[21:22], v[25:26], 1.0
	v_fma_f64 v[25:26], v[25:26], v[33:34], v[25:26]
	v_fma_f64 v[33:34], -v[21:22], v[25:26], 1.0
	v_fma_f64 v[25:26], v[25:26], v[33:34], v[25:26]
	v_mul_f64 v[33:34], v[9:10], v[25:26]
	v_fma_f64 v[9:10], -v[21:22], v[33:34], v[9:10]
	v_div_fmas_f64 v[9:10], v[9:10], v[25:26], v[33:34]
	v_div_fixup_f64 v[21:22], v[9:10], v[1:2], |v[3:4]|
.LBB227_110:                            ;   in Loop: Header=BB227_6 Depth=1
	s_or_b64 exec, exec, s[2:3]
                                        ; implicit-def: $vgpr3_vgpr4
                                        ; implicit-def: $vgpr9_vgpr10
	s_and_saveexec_b64 s[2:3], s[0:1]
	s_xor_b64 s[0:1], exec, s[2:3]
	s_cbranch_execz .LBB227_112
; %bb.111:                              ;   in Loop: Header=BB227_6 Depth=1
	v_mul_f64 v[1:2], v[21:22], 0.5
	v_mul_f64 v[3:4], v[5:6], 0.5
	v_cndmask_b32_e64 v10, v22, v2, s[40:41]
	v_cndmask_b32_e64 v9, v21, v1, s[40:41]
	v_cndmask_b32_e64 v4, v6, v4, s[40:41]
	v_cndmask_b32_e64 v3, v5, v3, s[40:41]
                                        ; implicit-def: $vgpr21_vgpr22
                                        ; implicit-def: $vgpr5_vgpr6
	s_andn2_saveexec_b64 s[0:1], s[0:1]
	s_cbranch_execnz .LBB227_113
	s_branch .LBB227_114
.LBB227_112:                            ;   in Loop: Header=BB227_6 Depth=1
	s_andn2_saveexec_b64 s[0:1], s[0:1]
	s_cbranch_execz .LBB227_114
.LBB227_113:                            ;   in Loop: Header=BB227_6 Depth=1
	v_add_f64 v[9:10], v[21:22], v[21:22]
	v_add_f64 v[3:4], v[5:6], v[5:6]
.LBB227_114:                            ;   in Loop: Header=BB227_6 Depth=1
	s_or_b64 exec, exec, s[0:1]
.LBB227_115:                            ;   in Loop: Header=BB227_6 Depth=1
	s_andn2_saveexec_b64 s[0:1], s[38:39]
	s_cbranch_execz .LBB227_121
; %bb.116:                              ;   in Loop: Header=BB227_6 Depth=1
	v_add_f64 v[5:6], v[3:4], -v[3:4]
	v_cmp_lt_i64_e32 vcc, -1, v[1:2]
	v_and_b32_e32 v10, 0x7fffffff, v6
	v_mov_b32_e32 v9, v5
	s_and_saveexec_b64 s[2:3], vcc
	s_xor_b64 s[2:3], exec, s[2:3]
; %bb.117:                              ;   in Loop: Header=BB227_6 Depth=1
	v_bfi_b32 v6, s46, v6, v4
	v_mov_b32_e32 v3, v5
	v_mov_b32_e32 v10, v2
	;; [unrolled: 1-line block ×4, first 2 shown]
; %bb.118:                              ;   in Loop: Header=BB227_6 Depth=1
	s_andn2_saveexec_b64 s[2:3], s[2:3]
; %bb.119:                              ;   in Loop: Header=BB227_6 Depth=1
	v_bfi_b32 v2, s46, v2, v4
	v_mov_b32_e32 v4, v2
	v_mov_b32_e32 v3, v1
; %bb.120:                              ;   in Loop: Header=BB227_6 Depth=1
	s_or_b64 exec, exec, s[2:3]
.LBB227_121:                            ;   in Loop: Header=BB227_6 Depth=1
	s_or_b64 exec, exec, s[0:1]
.LBB227_122:                            ;   in Loop: Header=BB227_6 Depth=1
	s_andn2_saveexec_b64 s[0:1], s[36:37]
	s_cbranch_execz .LBB227_3
; %bb.123:                              ;   in Loop: Header=BB227_6 Depth=1
	v_add_f64 v[3:4], v[3:4], -v[3:4]
	v_div_scale_f64 v[5:6], vcc, v[3:4], v[3:4], v[3:4]
	v_rcp_f64_e32 v[9:10], v[5:6]
	v_fma_f64 v[21:22], -v[5:6], v[9:10], 1.0
	v_fma_f64 v[9:10], v[9:10], v[21:22], v[9:10]
	v_fma_f64 v[21:22], -v[5:6], v[9:10], 1.0
	v_fma_f64 v[9:10], v[9:10], v[21:22], v[9:10]
	v_mul_f64 v[21:22], v[5:6], v[9:10]
	v_fma_f64 v[5:6], -v[5:6], v[21:22], v[5:6]
	v_div_fmas_f64 v[5:6], v[5:6], v[9:10], v[21:22]
	v_mov_b32_e32 v10, v2
	v_mov_b32_e32 v9, v1
	v_div_fixup_f64 v[3:4], v[5:6], v[3:4], v[3:4]
	s_branch .LBB227_3
.LBB227_124:
	s_or_b64 exec, exec, s[10:11]
	s_mov_b64 s[0:1], 0
.LBB227_125:
	s_andn2_b64 vcc, exec, s[0:1]
	s_cbranch_vccnz .LBB227_265
; %bb.126:
	v_cmp_lt_i64_e64 s[0:1], s[6:7], 1
	s_and_b64 vcc, exec, s[0:1]
	s_cbranch_vccnz .LBB227_265
; %bb.127:
	v_mov_b32_e32 v1, 0x10000
	s_load_dword s2, s[4:5], 0xc5c
	v_mov_b32_e32 v2, 0
	v_cmp_lt_i64_e32 vcc, s[6:7], v[1:2]
	s_mov_b32 s24, 0
	s_and_b64 s[0:1], vcc, exec
	v_cmp_lt_u64_e32 vcc, s[6:7], v[1:2]
	s_cselect_b32 s19, s7, 0
	s_cselect_b32 s18, s6, 0x10000
	s_waitcnt lgkmcnt(0)
	s_and_b32 s33, s2, 0xffff
	s_and_b64 s[0:1], vcc, exec
	s_mov_b32 s26, 0x99fcef32
	s_mov_b32 s28, 0
	;; [unrolled: 1-line block ×3, first 2 shown]
	s_cselect_b32 s21, s7, 0
	s_cselect_b32 s20, s6, 0x10000
	s_lshl_b32 s44, s33, 1
	s_mul_i32 s45, s33, 3
	s_lshl_b32 s46, s33, 2
	s_mov_b64 s[22:23], 0
	s_mov_b32 s25, 0x7ff00000
	s_mov_b32 s27, 0x7fda8279
	;; [unrolled: 1-line block ×3, first 2 shown]
	s_movk_i32 s47, 0x204
	s_brev_b32 s31, 8
	v_mov_b32_e32 v33, 0x260
	s_brev_b32 s48, -2
	v_mov_b32_e32 v34, 0x7ff80000
	v_mov_b32_e32 v35, 0x7ff00000
	;; [unrolled: 1-line block ×4, first 2 shown]
	s_branch .LBB227_129
.LBB227_128:                            ;   in Loop: Header=BB227_129 Depth=1
	s_or_b64 exec, exec, s[0:1]
	s_add_u32 s22, s22, s46
	v_mov_b32_e32 v1, s18
	s_addc_u32 s23, s23, 0
	v_mov_b32_e32 v2, s19
	v_cmp_ge_i64_e32 vcc, s[22:23], v[1:2]
	s_cbranch_vccnz .LBB227_265
.LBB227_129:                            ; =>This Inner Loop Header: Depth=1
	v_mov_b32_e32 v1, s23
	v_add_co_u32_e32 v21, vcc, s22, v0
	v_addc_co_u32_e32 v22, vcc, 0, v1, vcc
	v_cmp_gt_u64_e64 s[0:1], s[20:21], v[21:22]
	v_mov_b32_e32 v3, 0
	v_mov_b32_e32 v7, 0
	;; [unrolled: 1-line block ×6, first 2 shown]
	s_and_saveexec_b64 s[2:3], s[0:1]
	s_cbranch_execz .LBB227_131
; %bb.130:                              ;   in Loop: Header=BB227_129 Depth=1
	v_lshlrev_b64 v[1:2], 4, v[21:22]
	v_mov_b32_e32 v5, s15
	v_add_co_u32_e32 v1, vcc, s14, v1
	v_addc_co_u32_e32 v2, vcc, v5, v2, vcc
	global_load_dwordx4 v[5:8], v[1:2], off
.LBB227_131:                            ;   in Loop: Header=BB227_129 Depth=1
	s_or_b64 exec, exec, s[2:3]
	v_add_co_u32_e32 v23, vcc, s33, v21
	v_addc_co_u32_e32 v24, vcc, 0, v22, vcc
	v_cmp_gt_u64_e64 s[2:3], s[20:21], v[23:24]
	v_mov_b32_e32 v1, 0
	v_mov_b32_e32 v2, 0
	s_and_saveexec_b64 s[4:5], s[2:3]
	s_cbranch_execz .LBB227_133
; %bb.132:                              ;   in Loop: Header=BB227_129 Depth=1
	v_lshlrev_b64 v[1:2], 4, v[23:24]
	v_mov_b32_e32 v3, s15
	v_add_co_u32_e32 v1, vcc, s14, v1
	v_addc_co_u32_e32 v2, vcc, v3, v2, vcc
	global_load_dwordx4 v[1:4], v[1:2], off
.LBB227_133:                            ;   in Loop: Header=BB227_129 Depth=1
	s_or_b64 exec, exec, s[4:5]
	v_add_co_u32_e32 v25, vcc, s44, v21
	v_addc_co_u32_e32 v26, vcc, 0, v22, vcc
	v_cmp_gt_u64_e64 s[4:5], s[20:21], v[25:26]
	v_mov_b32_e32 v11, 0
	v_mov_b32_e32 v15, 0
	;; [unrolled: 1-line block ×6, first 2 shown]
	s_and_saveexec_b64 s[6:7], s[4:5]
	s_cbranch_execz .LBB227_135
; %bb.134:                              ;   in Loop: Header=BB227_129 Depth=1
	v_lshlrev_b64 v[9:10], 4, v[25:26]
	v_mov_b32_e32 v13, s15
	v_add_co_u32_e32 v9, vcc, s14, v9
	v_addc_co_u32_e32 v10, vcc, v13, v10, vcc
	global_load_dwordx4 v[13:16], v[9:10], off
.LBB227_135:                            ;   in Loop: Header=BB227_129 Depth=1
	s_or_b64 exec, exec, s[6:7]
	v_add_co_u32_e32 v27, vcc, s45, v21
	v_addc_co_u32_e32 v28, vcc, 0, v22, vcc
	v_cmp_gt_u64_e64 s[6:7], s[20:21], v[27:28]
	v_mov_b32_e32 v9, 0
	v_mov_b32_e32 v10, 0
	s_and_saveexec_b64 s[8:9], s[6:7]
	s_cbranch_execz .LBB227_137
; %bb.136:                              ;   in Loop: Header=BB227_129 Depth=1
	v_lshlrev_b64 v[9:10], 4, v[27:28]
	v_mov_b32_e32 v11, s15
	v_add_co_u32_e32 v9, vcc, s14, v9
	v_addc_co_u32_e32 v10, vcc, v11, v10, vcc
	global_load_dwordx4 v[9:12], v[9:10], off
.LBB227_137:                            ;   in Loop: Header=BB227_129 Depth=1
	s_or_b64 exec, exec, s[8:9]
	s_waitcnt vmcnt(0)
	v_cmp_neq_f64_e32 vcc, 0, v[5:6]
	v_cmp_neq_f64_e64 s[8:9], 0, v[7:8]
	v_mov_b32_e32 v17, 0
	v_mov_b32_e32 v19, 0
	;; [unrolled: 1-line block ×4, first 2 shown]
	s_or_b64 s[8:9], vcc, s[8:9]
	s_and_saveexec_b64 s[34:35], s[8:9]
	s_cbranch_execz .LBB227_166
; %bb.138:                              ;   in Loop: Header=BB227_129 Depth=1
	v_mov_b32_e32 v19, 0
	v_mov_b32_e32 v20, 0x7ff00000
	v_cmp_neq_f64_e64 s[8:9], |v[7:8]|, v[19:20]
	s_and_saveexec_b64 s[36:37], s[8:9]
	s_cbranch_execz .LBB227_165
; %bb.139:                              ;   in Loop: Header=BB227_129 Depth=1
	v_cmp_o_f64_e32 vcc, v[5:6], v[5:6]
                                        ; implicit-def: $vgpr19_vgpr20
	s_and_saveexec_b64 s[8:9], vcc
	s_xor_b64 s[38:39], exec, s[8:9]
	s_cbranch_execz .LBB227_162
; %bb.140:                              ;   in Loop: Header=BB227_129 Depth=1
	v_cmp_neq_f64_e64 s[8:9], |v[5:6]|, s[24:25]
                                        ; implicit-def: $vgpr19_vgpr20
	s_and_saveexec_b64 s[10:11], s[8:9]
	s_xor_b64 s[40:41], exec, s[10:11]
	s_cbranch_execz .LBB227_156
; %bb.141:                              ;   in Loop: Header=BB227_129 Depth=1
	v_max_f64 v[19:20], |v[5:6]|, |v[5:6]|
	v_max_f64 v[29:30], |v[7:8]|, |v[7:8]|
                                        ; implicit-def: $sgpr42_sgpr43
	v_max_f64 v[19:20], v[29:30], v[19:20]
	v_cmp_nle_f64_e64 s[8:9], s[26:27], v[19:20]
	s_and_saveexec_b64 s[10:11], s[8:9]
	s_xor_b64 s[10:11], exec, s[10:11]
	s_cbranch_execz .LBB227_145
; %bb.142:                              ;   in Loop: Header=BB227_129 Depth=1
	v_cmp_le_f64_e64 s[12:13], |v[5:6]|, s[28:29]
	v_cmp_le_f64_e64 s[42:43], |v[7:8]|, s[28:29]
	s_and_b64 s[50:51], s[42:43], s[12:13]
	s_mov_b64 s[42:43], 0
	s_and_saveexec_b64 s[12:13], s[50:51]
	s_cbranch_execz .LBB227_144
; %bb.143:                              ;   in Loop: Header=BB227_129 Depth=1
	v_mul_f64 v[5:6], v[5:6], 4.0
	v_mul_f64 v[7:8], v[7:8], 4.0
	s_mov_b64 s[42:43], exec
.LBB227_144:                            ;   in Loop: Header=BB227_129 Depth=1
	s_or_b64 exec, exec, s[12:13]
.LBB227_145:                            ;   in Loop: Header=BB227_129 Depth=1
	s_andn2_saveexec_b64 s[10:11], s[10:11]
	s_cbranch_execz .LBB227_147
; %bb.146:                              ;   in Loop: Header=BB227_129 Depth=1
	v_ldexp_f64 v[5:6], v[5:6], -2
	v_ldexp_f64 v[7:8], v[7:8], -2
	s_andn2_b64 s[42:43], s[42:43], exec
.LBB227_147:                            ;   in Loop: Header=BB227_129 Depth=1
	s_or_b64 exec, exec, s[10:11]
	v_max_f64 v[19:20], |v[7:8]|, |v[7:8]|
	v_max_f64 v[29:30], |v[5:6]|, |v[5:6]|
	v_cmp_class_f64_e64 s[12:13], v[5:6], s47
	v_cmp_o_f64_e64 s[10:11], v[7:8], v[7:8]
	v_cmp_class_f64_e64 s[50:51], v[7:8], s47
	v_max_f64 v[19:20], v[29:30], v[19:20]
	s_or_b64 s[12:13], s[50:51], s[12:13]
	v_frexp_exp_i32_f64_e32 v40, v[19:20]
	v_sub_u32_e32 v29, 0, v40
	v_ldexp_f64 v[19:20], |v[7:8]|, v29
	v_ldexp_f64 v[29:30], |v[5:6]|, v29
	v_mul_f64 v[19:20], v[19:20], v[19:20]
	v_fma_f64 v[19:20], v[29:30], v[29:30], v[19:20]
	v_rsq_f64_e32 v[29:30], v[19:20]
	v_cmp_eq_f64_e32 vcc, 0, v[19:20]
	v_mul_f64 v[31:32], v[19:20], v[29:30]
	v_mul_f64 v[29:30], v[29:30], 0.5
	v_fma_f64 v[38:39], -v[29:30], v[31:32], 0.5
	v_fma_f64 v[31:32], v[31:32], v[38:39], v[31:32]
	v_fma_f64 v[29:30], v[29:30], v[38:39], v[29:30]
	v_fma_f64 v[38:39], -v[31:32], v[31:32], v[19:20]
	v_fma_f64 v[29:30], v[38:39], v[29:30], v[31:32]
                                        ; implicit-def: $vgpr31_vgpr32
	v_cndmask_b32_e32 v20, v30, v20, vcc
	v_cndmask_b32_e32 v19, v29, v19, vcc
	v_ldexp_f64 v[19:20], v[19:20], v40
	v_cmp_le_f64_e32 vcc, 0, v[5:6]
                                        ; implicit-def: $vgpr29_vgpr30
	v_cndmask_b32_e64 v19, 0, v19, s[10:11]
	v_cndmask_b32_e64 v20, v34, v20, s[10:11]
	;; [unrolled: 1-line block ×4, first 2 shown]
	s_and_saveexec_b64 s[10:11], vcc
	s_xor_b64 s[10:11], exec, s[10:11]
	s_cbranch_execz .LBB227_149
; %bb.148:                              ;   in Loop: Header=BB227_129 Depth=1
	v_add_f64 v[5:6], v[5:6], v[19:20]
	v_mul_f64 v[5:6], v[5:6], 0.5
	v_cmp_gt_f64_e32 vcc, s[30:31], v[5:6]
	v_cndmask_b32_e32 v19, 0, v36, vcc
	v_ldexp_f64 v[5:6], v[5:6], v19
	v_rsq_f64_e32 v[19:20], v[5:6]
	v_mul_f64 v[29:30], v[5:6], v[19:20]
	v_mul_f64 v[19:20], v[19:20], 0.5
	v_fma_f64 v[31:32], -v[19:20], v[29:30], 0.5
	v_fma_f64 v[29:30], v[29:30], v[31:32], v[29:30]
	v_fma_f64 v[19:20], v[19:20], v[31:32], v[19:20]
	v_fma_f64 v[31:32], -v[29:30], v[29:30], v[5:6]
	v_fma_f64 v[29:30], v[31:32], v[19:20], v[29:30]
	v_fma_f64 v[31:32], -v[29:30], v[29:30], v[5:6]
	v_fma_f64 v[19:20], v[31:32], v[19:20], v[29:30]
	v_cndmask_b32_e32 v29, 0, v37, vcc
	v_cmp_class_f64_e32 vcc, v[5:6], v33
	v_ldexp_f64 v[19:20], v[19:20], v29
	v_cndmask_b32_e32 v32, v20, v6, vcc
	v_cndmask_b32_e32 v31, v19, v5, vcc
	v_add_f64 v[5:6], v[31:32], v[31:32]
	v_div_scale_f64 v[19:20], s[12:13], v[5:6], v[5:6], v[7:8]
	v_div_scale_f64 v[40:41], vcc, v[7:8], v[5:6], v[7:8]
	v_rcp_f64_e32 v[29:30], v[19:20]
	v_fma_f64 v[38:39], -v[19:20], v[29:30], 1.0
	v_fma_f64 v[29:30], v[29:30], v[38:39], v[29:30]
	v_fma_f64 v[38:39], -v[19:20], v[29:30], 1.0
	v_fma_f64 v[29:30], v[29:30], v[38:39], v[29:30]
	v_mul_f64 v[38:39], v[40:41], v[29:30]
	v_fma_f64 v[19:20], -v[19:20], v[38:39], v[40:41]
	v_div_fmas_f64 v[19:20], v[19:20], v[29:30], v[38:39]
	v_div_fixup_f64 v[29:30], v[19:20], v[5:6], v[7:8]
                                        ; implicit-def: $vgpr19_vgpr20
                                        ; implicit-def: $vgpr5_vgpr6
	s_andn2_saveexec_b64 s[10:11], s[10:11]
	s_cbranch_execz .LBB227_151
	s_branch .LBB227_150
.LBB227_149:                            ;   in Loop: Header=BB227_129 Depth=1
	s_andn2_saveexec_b64 s[10:11], s[10:11]
	s_cbranch_execz .LBB227_151
.LBB227_150:                            ;   in Loop: Header=BB227_129 Depth=1
	v_add_f64 v[5:6], v[19:20], -v[5:6]
	v_mul_f64 v[5:6], v[5:6], 0.5
	v_cmp_gt_f64_e32 vcc, s[30:31], v[5:6]
	v_cndmask_b32_e32 v19, 0, v36, vcc
	v_ldexp_f64 v[5:6], v[5:6], v19
	v_rsq_f64_e32 v[19:20], v[5:6]
	v_mul_f64 v[29:30], v[5:6], v[19:20]
	v_mul_f64 v[19:20], v[19:20], 0.5
	v_fma_f64 v[31:32], -v[19:20], v[29:30], 0.5
	v_fma_f64 v[29:30], v[29:30], v[31:32], v[29:30]
	v_fma_f64 v[19:20], v[19:20], v[31:32], v[19:20]
	v_fma_f64 v[31:32], -v[29:30], v[29:30], v[5:6]
	v_fma_f64 v[29:30], v[31:32], v[19:20], v[29:30]
	v_fma_f64 v[31:32], -v[29:30], v[29:30], v[5:6]
	v_fma_f64 v[19:20], v[31:32], v[19:20], v[29:30]
	v_cndmask_b32_e32 v29, 0, v37, vcc
	v_cmp_class_f64_e32 vcc, v[5:6], v33
	v_ldexp_f64 v[19:20], v[19:20], v29
	v_cndmask_b32_e32 v30, v20, v6, vcc
	v_cndmask_b32_e32 v29, v19, v5, vcc
	v_add_f64 v[5:6], v[29:30], v[29:30]
	v_and_b32_e32 v20, 0x7fffffff, v8
	v_mov_b32_e32 v19, v7
	v_bfi_b32 v30, s48, v30, v8
	v_div_scale_f64 v[31:32], s[12:13], v[5:6], v[5:6], v[19:20]
	v_div_scale_f64 v[19:20], vcc, v[19:20], v[5:6], v[19:20]
	v_rcp_f64_e32 v[38:39], v[31:32]
	v_fma_f64 v[40:41], -v[31:32], v[38:39], 1.0
	v_fma_f64 v[38:39], v[38:39], v[40:41], v[38:39]
	v_fma_f64 v[40:41], -v[31:32], v[38:39], 1.0
	v_fma_f64 v[38:39], v[38:39], v[40:41], v[38:39]
	v_mul_f64 v[40:41], v[19:20], v[38:39]
	v_fma_f64 v[19:20], -v[31:32], v[40:41], v[19:20]
	v_div_fmas_f64 v[19:20], v[19:20], v[38:39], v[40:41]
	v_div_fixup_f64 v[31:32], v[19:20], v[5:6], |v[7:8]|
.LBB227_151:                            ;   in Loop: Header=BB227_129 Depth=1
	s_or_b64 exec, exec, s[10:11]
                                        ; implicit-def: $vgpr7_vgpr8
                                        ; implicit-def: $vgpr19_vgpr20
	s_and_saveexec_b64 s[10:11], s[8:9]
	s_xor_b64 s[8:9], exec, s[10:11]
	s_cbranch_execz .LBB227_153
; %bb.152:                              ;   in Loop: Header=BB227_129 Depth=1
	v_mul_f64 v[5:6], v[31:32], 0.5
	v_mul_f64 v[7:8], v[29:30], 0.5
	v_cndmask_b32_e64 v20, v32, v6, s[42:43]
	v_cndmask_b32_e64 v19, v31, v5, s[42:43]
	v_cndmask_b32_e64 v8, v30, v8, s[42:43]
	v_cndmask_b32_e64 v7, v29, v7, s[42:43]
                                        ; implicit-def: $vgpr31_vgpr32
                                        ; implicit-def: $vgpr29_vgpr30
	s_andn2_saveexec_b64 s[8:9], s[8:9]
	s_cbranch_execnz .LBB227_154
	s_branch .LBB227_155
.LBB227_153:                            ;   in Loop: Header=BB227_129 Depth=1
	s_andn2_saveexec_b64 s[8:9], s[8:9]
	s_cbranch_execz .LBB227_155
.LBB227_154:                            ;   in Loop: Header=BB227_129 Depth=1
	v_add_f64 v[19:20], v[31:32], v[31:32]
	v_add_f64 v[7:8], v[29:30], v[29:30]
.LBB227_155:                            ;   in Loop: Header=BB227_129 Depth=1
	s_or_b64 exec, exec, s[8:9]
.LBB227_156:                            ;   in Loop: Header=BB227_129 Depth=1
	s_andn2_saveexec_b64 s[8:9], s[40:41]
	s_cbranch_execz .LBB227_178
; %bb.157:                              ;   in Loop: Header=BB227_129 Depth=1
	v_add_f64 v[29:30], v[7:8], -v[7:8]
	v_cmp_lt_i64_e32 vcc, -1, v[5:6]
	v_and_b32_e32 v20, 0x7fffffff, v30
	v_mov_b32_e32 v19, v29
	s_and_saveexec_b64 s[10:11], vcc
	s_xor_b64 s[10:11], exec, s[10:11]
; %bb.158:                              ;   in Loop: Header=BB227_129 Depth=1
	v_bfi_b32 v30, s48, v30, v8
	v_mov_b32_e32 v7, v29
	v_mov_b32_e32 v20, v6
	;; [unrolled: 1-line block ×4, first 2 shown]
; %bb.159:                              ;   in Loop: Header=BB227_129 Depth=1
	s_andn2_saveexec_b64 s[10:11], s[10:11]
; %bb.160:                              ;   in Loop: Header=BB227_129 Depth=1
	v_bfi_b32 v6, s48, v6, v8
	v_mov_b32_e32 v8, v6
	v_mov_b32_e32 v7, v5
; %bb.161:                              ;   in Loop: Header=BB227_129 Depth=1
	s_or_b64 exec, exec, s[10:11]
	s_or_b64 exec, exec, s[8:9]
.LBB227_162:                            ;   in Loop: Header=BB227_129 Depth=1
	s_andn2_saveexec_b64 s[8:9], s[38:39]
	s_cbranch_execz .LBB227_164
.LBB227_163:                            ;   in Loop: Header=BB227_129 Depth=1
	v_add_f64 v[7:8], v[7:8], -v[7:8]
	v_div_scale_f64 v[19:20], vcc, v[7:8], v[7:8], v[7:8]
	v_rcp_f64_e32 v[29:30], v[19:20]
	v_fma_f64 v[31:32], -v[19:20], v[29:30], 1.0
	v_fma_f64 v[29:30], v[29:30], v[31:32], v[29:30]
	v_fma_f64 v[31:32], -v[19:20], v[29:30], 1.0
	v_fma_f64 v[29:30], v[29:30], v[31:32], v[29:30]
	v_mul_f64 v[31:32], v[19:20], v[29:30]
	v_fma_f64 v[19:20], -v[19:20], v[31:32], v[19:20]
	v_div_fmas_f64 v[19:20], v[19:20], v[29:30], v[31:32]
	v_div_fixup_f64 v[7:8], v[19:20], v[7:8], v[7:8]
	v_mov_b32_e32 v20, v6
	v_mov_b32_e32 v19, v5
.LBB227_164:                            ;   in Loop: Header=BB227_129 Depth=1
	s_or_b64 exec, exec, s[8:9]
.LBB227_165:                            ;   in Loop: Header=BB227_129 Depth=1
	s_or_b64 exec, exec, s[36:37]
.LBB227_166:                            ;   in Loop: Header=BB227_129 Depth=1
	s_or_b64 exec, exec, s[34:35]
	v_cmp_neq_f64_e32 vcc, 0, v[1:2]
	v_cmp_neq_f64_e64 s[8:9], 0, v[3:4]
	s_or_b64 s[8:9], vcc, s[8:9]
	s_and_saveexec_b64 s[12:13], s[8:9]
	s_cbranch_execz .LBB227_197
; %bb.167:                              ;   in Loop: Header=BB227_129 Depth=1
	v_mov_b32_e32 v17, 0
	v_mov_b32_e32 v18, 0x7ff00000
	v_cmp_neq_f64_e64 s[8:9], |v[3:4]|, v[17:18]
	s_and_saveexec_b64 s[34:35], s[8:9]
	s_cbranch_execz .LBB227_196
; %bb.168:                              ;   in Loop: Header=BB227_129 Depth=1
	v_cmp_o_f64_e32 vcc, v[1:2], v[1:2]
                                        ; implicit-def: $vgpr17_vgpr18
	s_and_saveexec_b64 s[8:9], vcc
	s_xor_b64 s[36:37], exec, s[8:9]
	s_cbranch_execz .LBB227_193
; %bb.169:                              ;   in Loop: Header=BB227_129 Depth=1
	v_cmp_neq_f64_e64 s[8:9], |v[1:2]|, s[24:25]
                                        ; implicit-def: $vgpr17_vgpr18
	s_and_saveexec_b64 s[10:11], s[8:9]
	s_xor_b64 s[38:39], exec, s[10:11]
	s_cbranch_execz .LBB227_186
; %bb.170:                              ;   in Loop: Header=BB227_129 Depth=1
	v_max_f64 v[5:6], |v[1:2]|, |v[1:2]|
	v_max_f64 v[17:18], |v[3:4]|, |v[3:4]|
                                        ; implicit-def: $sgpr40_sgpr41
	v_max_f64 v[5:6], v[17:18], v[5:6]
	v_cmp_nle_f64_e64 s[8:9], s[26:27], v[5:6]
	s_and_saveexec_b64 s[10:11], s[8:9]
	s_xor_b64 s[10:11], exec, s[10:11]
	s_cbranch_execz .LBB227_174
; %bb.171:                              ;   in Loop: Header=BB227_129 Depth=1
	v_cmp_le_f64_e64 s[40:41], |v[1:2]|, s[28:29]
	v_cmp_le_f64_e64 s[42:43], |v[3:4]|, s[28:29]
	s_and_b64 s[50:51], s[42:43], s[40:41]
	s_mov_b64 s[40:41], 0
	s_and_saveexec_b64 s[42:43], s[50:51]
	s_cbranch_execz .LBB227_173
; %bb.172:                              ;   in Loop: Header=BB227_129 Depth=1
	v_mul_f64 v[1:2], v[1:2], 4.0
	v_mul_f64 v[3:4], v[3:4], 4.0
	s_mov_b64 s[40:41], exec
.LBB227_173:                            ;   in Loop: Header=BB227_129 Depth=1
	s_or_b64 exec, exec, s[42:43]
.LBB227_174:                            ;   in Loop: Header=BB227_129 Depth=1
	s_andn2_saveexec_b64 s[10:11], s[10:11]
	s_cbranch_execz .LBB227_176
; %bb.175:                              ;   in Loop: Header=BB227_129 Depth=1
	v_ldexp_f64 v[1:2], v[1:2], -2
	v_ldexp_f64 v[3:4], v[3:4], -2
	s_andn2_b64 s[40:41], s[40:41], exec
.LBB227_176:                            ;   in Loop: Header=BB227_129 Depth=1
	s_or_b64 exec, exec, s[10:11]
	v_max_f64 v[5:6], |v[3:4]|, |v[3:4]|
	v_max_f64 v[17:18], |v[1:2]|, |v[1:2]|
	v_cmp_class_f64_e64 s[42:43], v[1:2], s47
	v_cmp_class_f64_e64 s[50:51], v[3:4], s47
	v_cmp_le_f64_e64 s[10:11], 0, v[1:2]
	v_max_f64 v[5:6], v[17:18], v[5:6]
	v_frexp_exp_i32_f64_e32 v38, v[5:6]
	v_sub_u32_e32 v17, 0, v38
	v_ldexp_f64 v[5:6], |v[3:4]|, v17
	v_ldexp_f64 v[17:18], |v[1:2]|, v17
	v_mul_f64 v[5:6], v[5:6], v[5:6]
	v_fma_f64 v[5:6], v[17:18], v[17:18], v[5:6]
	v_rsq_f64_e32 v[17:18], v[5:6]
	v_cmp_eq_f64_e32 vcc, 0, v[5:6]
	v_mul_f64 v[29:30], v[5:6], v[17:18]
	v_mul_f64 v[17:18], v[17:18], 0.5
	v_fma_f64 v[31:32], -v[17:18], v[29:30], 0.5
	v_fma_f64 v[29:30], v[29:30], v[31:32], v[29:30]
	v_fma_f64 v[17:18], v[17:18], v[31:32], v[17:18]
	v_fma_f64 v[31:32], -v[29:30], v[29:30], v[5:6]
	v_fma_f64 v[17:18], v[31:32], v[17:18], v[29:30]
                                        ; implicit-def: $vgpr29_vgpr30
	v_cndmask_b32_e32 v6, v18, v6, vcc
	v_cndmask_b32_e32 v5, v17, v5, vcc
	v_ldexp_f64 v[5:6], v[5:6], v38
	v_cmp_o_f64_e32 vcc, v[3:4], v[3:4]
	v_cndmask_b32_e32 v5, 0, v5, vcc
	v_cndmask_b32_e32 v6, v34, v6, vcc
	s_or_b64 vcc, s[50:51], s[42:43]
	v_cndmask_b32_e32 v18, v6, v35, vcc
	v_cndmask_b32_e64 v17, v5, 0, vcc
                                        ; implicit-def: $vgpr5_vgpr6
	s_and_saveexec_b64 s[42:43], s[10:11]
	s_xor_b64 s[10:11], exec, s[42:43]
	s_cbranch_execz .LBB227_179
; %bb.177:                              ;   in Loop: Header=BB227_129 Depth=1
	v_add_f64 v[1:2], v[1:2], v[17:18]
	v_mul_f64 v[1:2], v[1:2], 0.5
	v_cmp_gt_f64_e32 vcc, s[30:31], v[1:2]
	v_cndmask_b32_e32 v5, 0, v36, vcc
	v_ldexp_f64 v[1:2], v[1:2], v5
	v_rsq_f64_e32 v[5:6], v[1:2]
	v_mul_f64 v[17:18], v[1:2], v[5:6]
	v_mul_f64 v[5:6], v[5:6], 0.5
	v_fma_f64 v[29:30], -v[5:6], v[17:18], 0.5
	v_fma_f64 v[17:18], v[17:18], v[29:30], v[17:18]
	v_fma_f64 v[5:6], v[5:6], v[29:30], v[5:6]
	v_fma_f64 v[29:30], -v[17:18], v[17:18], v[1:2]
	v_fma_f64 v[17:18], v[29:30], v[5:6], v[17:18]
	v_fma_f64 v[29:30], -v[17:18], v[17:18], v[1:2]
	v_fma_f64 v[5:6], v[29:30], v[5:6], v[17:18]
	v_cndmask_b32_e32 v17, 0, v37, vcc
	v_cmp_class_f64_e32 vcc, v[1:2], v33
	v_ldexp_f64 v[5:6], v[5:6], v17
	v_cndmask_b32_e32 v30, v6, v2, vcc
	v_cndmask_b32_e32 v29, v5, v1, vcc
	v_add_f64 v[1:2], v[29:30], v[29:30]
	v_div_scale_f64 v[5:6], s[42:43], v[1:2], v[1:2], v[3:4]
	v_div_scale_f64 v[38:39], vcc, v[3:4], v[1:2], v[3:4]
	v_rcp_f64_e32 v[17:18], v[5:6]
	v_fma_f64 v[31:32], -v[5:6], v[17:18], 1.0
	v_fma_f64 v[17:18], v[17:18], v[31:32], v[17:18]
	v_fma_f64 v[31:32], -v[5:6], v[17:18], 1.0
	v_fma_f64 v[17:18], v[17:18], v[31:32], v[17:18]
	v_mul_f64 v[31:32], v[38:39], v[17:18]
	v_fma_f64 v[5:6], -v[5:6], v[31:32], v[38:39]
	v_div_fmas_f64 v[5:6], v[5:6], v[17:18], v[31:32]
                                        ; implicit-def: $vgpr17_vgpr18
	v_div_fixup_f64 v[5:6], v[5:6], v[1:2], v[3:4]
                                        ; implicit-def: $vgpr1_vgpr2
	s_andn2_saveexec_b64 s[10:11], s[10:11]
	s_cbranch_execz .LBB227_181
	s_branch .LBB227_180
.LBB227_178:                            ;   in Loop: Header=BB227_129 Depth=1
	s_or_b64 exec, exec, s[8:9]
	s_andn2_saveexec_b64 s[8:9], s[38:39]
	s_cbranch_execnz .LBB227_163
	s_branch .LBB227_164
.LBB227_179:                            ;   in Loop: Header=BB227_129 Depth=1
	s_andn2_saveexec_b64 s[10:11], s[10:11]
	s_cbranch_execz .LBB227_181
.LBB227_180:                            ;   in Loop: Header=BB227_129 Depth=1
	v_add_f64 v[1:2], v[17:18], -v[1:2]
	v_mul_f64 v[1:2], v[1:2], 0.5
	v_cmp_gt_f64_e32 vcc, s[30:31], v[1:2]
	v_cndmask_b32_e32 v5, 0, v36, vcc
	v_ldexp_f64 v[1:2], v[1:2], v5
	v_rsq_f64_e32 v[5:6], v[1:2]
	v_mul_f64 v[17:18], v[1:2], v[5:6]
	v_mul_f64 v[5:6], v[5:6], 0.5
	v_fma_f64 v[29:30], -v[5:6], v[17:18], 0.5
	v_fma_f64 v[17:18], v[17:18], v[29:30], v[17:18]
	v_fma_f64 v[5:6], v[5:6], v[29:30], v[5:6]
	v_fma_f64 v[29:30], -v[17:18], v[17:18], v[1:2]
	v_fma_f64 v[17:18], v[29:30], v[5:6], v[17:18]
	v_fma_f64 v[29:30], -v[17:18], v[17:18], v[1:2]
	v_fma_f64 v[5:6], v[29:30], v[5:6], v[17:18]
	v_cndmask_b32_e32 v17, 0, v37, vcc
	v_cmp_class_f64_e32 vcc, v[1:2], v33
	v_and_b32_e32 v18, 0x7fffffff, v4
	v_ldexp_f64 v[5:6], v[5:6], v17
	v_mov_b32_e32 v17, v3
	v_cndmask_b32_e32 v6, v6, v2, vcc
	v_cndmask_b32_e32 v5, v5, v1, vcc
	v_add_f64 v[1:2], v[5:6], v[5:6]
	v_bfi_b32 v6, s48, v6, v4
	v_div_scale_f64 v[29:30], s[42:43], v[1:2], v[1:2], v[17:18]
	v_div_scale_f64 v[17:18], vcc, v[17:18], v[1:2], v[17:18]
	v_rcp_f64_e32 v[31:32], v[29:30]
	v_fma_f64 v[38:39], -v[29:30], v[31:32], 1.0
	v_fma_f64 v[31:32], v[31:32], v[38:39], v[31:32]
	v_fma_f64 v[38:39], -v[29:30], v[31:32], 1.0
	v_fma_f64 v[31:32], v[31:32], v[38:39], v[31:32]
	v_mul_f64 v[38:39], v[17:18], v[31:32]
	v_fma_f64 v[17:18], -v[29:30], v[38:39], v[17:18]
	v_div_fmas_f64 v[17:18], v[17:18], v[31:32], v[38:39]
	v_div_fixup_f64 v[29:30], v[17:18], v[1:2], |v[3:4]|
.LBB227_181:                            ;   in Loop: Header=BB227_129 Depth=1
	s_or_b64 exec, exec, s[10:11]
                                        ; implicit-def: $vgpr3_vgpr4
                                        ; implicit-def: $vgpr17_vgpr18
	s_and_saveexec_b64 s[10:11], s[8:9]
	s_xor_b64 s[8:9], exec, s[10:11]
	s_cbranch_execz .LBB227_183
; %bb.182:                              ;   in Loop: Header=BB227_129 Depth=1
	v_mul_f64 v[1:2], v[29:30], 0.5
	v_mul_f64 v[3:4], v[5:6], 0.5
	v_cndmask_b32_e64 v18, v30, v2, s[40:41]
	v_cndmask_b32_e64 v17, v29, v1, s[40:41]
	v_cndmask_b32_e64 v4, v6, v4, s[40:41]
	v_cndmask_b32_e64 v3, v5, v3, s[40:41]
                                        ; implicit-def: $vgpr29_vgpr30
                                        ; implicit-def: $vgpr5_vgpr6
	s_andn2_saveexec_b64 s[8:9], s[8:9]
	s_cbranch_execnz .LBB227_184
	s_branch .LBB227_185
.LBB227_183:                            ;   in Loop: Header=BB227_129 Depth=1
	s_andn2_saveexec_b64 s[8:9], s[8:9]
	s_cbranch_execz .LBB227_185
.LBB227_184:                            ;   in Loop: Header=BB227_129 Depth=1
	v_add_f64 v[17:18], v[29:30], v[29:30]
	v_add_f64 v[3:4], v[5:6], v[5:6]
.LBB227_185:                            ;   in Loop: Header=BB227_129 Depth=1
	s_or_b64 exec, exec, s[8:9]
.LBB227_186:                            ;   in Loop: Header=BB227_129 Depth=1
	s_andn2_saveexec_b64 s[8:9], s[38:39]
	s_cbranch_execz .LBB227_192
; %bb.187:                              ;   in Loop: Header=BB227_129 Depth=1
	v_add_f64 v[5:6], v[3:4], -v[3:4]
	v_cmp_lt_i64_e32 vcc, -1, v[1:2]
	v_and_b32_e32 v18, 0x7fffffff, v6
	v_mov_b32_e32 v17, v5
	s_and_saveexec_b64 s[10:11], vcc
	s_xor_b64 s[10:11], exec, s[10:11]
; %bb.188:                              ;   in Loop: Header=BB227_129 Depth=1
	v_bfi_b32 v6, s48, v6, v4
	v_mov_b32_e32 v3, v5
	v_mov_b32_e32 v18, v2
	;; [unrolled: 1-line block ×4, first 2 shown]
; %bb.189:                              ;   in Loop: Header=BB227_129 Depth=1
	s_andn2_saveexec_b64 s[10:11], s[10:11]
; %bb.190:                              ;   in Loop: Header=BB227_129 Depth=1
	v_bfi_b32 v2, s48, v2, v4
	v_mov_b32_e32 v4, v2
	v_mov_b32_e32 v3, v1
; %bb.191:                              ;   in Loop: Header=BB227_129 Depth=1
	s_or_b64 exec, exec, s[10:11]
.LBB227_192:                            ;   in Loop: Header=BB227_129 Depth=1
	s_or_b64 exec, exec, s[8:9]
.LBB227_193:                            ;   in Loop: Header=BB227_129 Depth=1
	s_andn2_saveexec_b64 s[8:9], s[36:37]
	s_cbranch_execz .LBB227_195
; %bb.194:                              ;   in Loop: Header=BB227_129 Depth=1
	v_add_f64 v[3:4], v[3:4], -v[3:4]
	v_div_scale_f64 v[5:6], vcc, v[3:4], v[3:4], v[3:4]
	v_rcp_f64_e32 v[17:18], v[5:6]
	v_fma_f64 v[29:30], -v[5:6], v[17:18], 1.0
	v_fma_f64 v[17:18], v[17:18], v[29:30], v[17:18]
	v_fma_f64 v[29:30], -v[5:6], v[17:18], 1.0
	v_fma_f64 v[17:18], v[17:18], v[29:30], v[17:18]
	v_mul_f64 v[29:30], v[5:6], v[17:18]
	v_fma_f64 v[5:6], -v[5:6], v[29:30], v[5:6]
	v_div_fmas_f64 v[5:6], v[5:6], v[17:18], v[29:30]
	v_mov_b32_e32 v18, v2
	v_mov_b32_e32 v17, v1
	v_div_fixup_f64 v[3:4], v[5:6], v[3:4], v[3:4]
.LBB227_195:                            ;   in Loop: Header=BB227_129 Depth=1
	s_or_b64 exec, exec, s[8:9]
.LBB227_196:                            ;   in Loop: Header=BB227_129 Depth=1
	s_or_b64 exec, exec, s[34:35]
.LBB227_197:                            ;   in Loop: Header=BB227_129 Depth=1
	s_or_b64 exec, exec, s[12:13]
	v_cmp_neq_f64_e32 vcc, 0, v[13:14]
	v_cmp_neq_f64_e64 s[8:9], 0, v[15:16]
	v_mov_b32_e32 v1, 0
	v_mov_b32_e32 v5, 0
	v_mov_b32_e32 v2, 0
	v_mov_b32_e32 v6, 0
	s_or_b64 s[8:9], vcc, s[8:9]
	s_and_saveexec_b64 s[12:13], s[8:9]
	s_cbranch_execz .LBB227_227
; %bb.198:                              ;   in Loop: Header=BB227_129 Depth=1
	v_mov_b32_e32 v5, 0
	v_mov_b32_e32 v6, 0x7ff00000
	v_cmp_neq_f64_e64 s[8:9], |v[15:16]|, v[5:6]
	s_and_saveexec_b64 s[34:35], s[8:9]
	s_cbranch_execz .LBB227_226
; %bb.199:                              ;   in Loop: Header=BB227_129 Depth=1
	v_cmp_o_f64_e32 vcc, v[13:14], v[13:14]
                                        ; implicit-def: $vgpr5_vgpr6
	s_and_saveexec_b64 s[8:9], vcc
	s_xor_b64 s[36:37], exec, s[8:9]
	s_cbranch_execz .LBB227_223
; %bb.200:                              ;   in Loop: Header=BB227_129 Depth=1
	v_cmp_neq_f64_e64 s[8:9], |v[13:14]|, s[24:25]
                                        ; implicit-def: $vgpr5_vgpr6
	s_and_saveexec_b64 s[10:11], s[8:9]
	s_xor_b64 s[38:39], exec, s[10:11]
	s_cbranch_execz .LBB227_216
; %bb.201:                              ;   in Loop: Header=BB227_129 Depth=1
	v_max_f64 v[5:6], |v[13:14]|, |v[13:14]|
	v_max_f64 v[29:30], |v[15:16]|, |v[15:16]|
                                        ; implicit-def: $sgpr40_sgpr41
	v_max_f64 v[5:6], v[29:30], v[5:6]
	v_cmp_nle_f64_e64 s[8:9], s[26:27], v[5:6]
	s_and_saveexec_b64 s[10:11], s[8:9]
	s_xor_b64 s[10:11], exec, s[10:11]
	s_cbranch_execz .LBB227_205
; %bb.202:                              ;   in Loop: Header=BB227_129 Depth=1
	v_cmp_le_f64_e64 s[40:41], |v[13:14]|, s[28:29]
	v_cmp_le_f64_e64 s[42:43], |v[15:16]|, s[28:29]
	s_and_b64 s[50:51], s[42:43], s[40:41]
	s_mov_b64 s[40:41], 0
	s_and_saveexec_b64 s[42:43], s[50:51]
	s_cbranch_execz .LBB227_204
; %bb.203:                              ;   in Loop: Header=BB227_129 Depth=1
	v_mul_f64 v[13:14], v[13:14], 4.0
	v_mul_f64 v[15:16], v[15:16], 4.0
	s_mov_b64 s[40:41], exec
.LBB227_204:                            ;   in Loop: Header=BB227_129 Depth=1
	s_or_b64 exec, exec, s[42:43]
.LBB227_205:                            ;   in Loop: Header=BB227_129 Depth=1
	s_andn2_saveexec_b64 s[10:11], s[10:11]
	s_cbranch_execz .LBB227_207
; %bb.206:                              ;   in Loop: Header=BB227_129 Depth=1
	v_ldexp_f64 v[13:14], v[13:14], -2
	v_ldexp_f64 v[15:16], v[15:16], -2
	s_andn2_b64 s[40:41], s[40:41], exec
.LBB227_207:                            ;   in Loop: Header=BB227_129 Depth=1
	s_or_b64 exec, exec, s[10:11]
	v_max_f64 v[5:6], |v[15:16]|, |v[15:16]|
	v_max_f64 v[29:30], |v[13:14]|, |v[13:14]|
	v_cmp_class_f64_e64 s[42:43], v[13:14], s47
	v_cmp_class_f64_e64 s[50:51], v[15:16], s47
	v_cmp_le_f64_e64 s[10:11], 0, v[13:14]
	v_max_f64 v[5:6], v[29:30], v[5:6]
	v_frexp_exp_i32_f64_e32 v40, v[5:6]
	v_sub_u32_e32 v29, 0, v40
	v_ldexp_f64 v[5:6], |v[15:16]|, v29
	v_ldexp_f64 v[29:30], |v[13:14]|, v29
	v_mul_f64 v[5:6], v[5:6], v[5:6]
	v_fma_f64 v[5:6], v[29:30], v[29:30], v[5:6]
	v_rsq_f64_e32 v[29:30], v[5:6]
	v_cmp_eq_f64_e32 vcc, 0, v[5:6]
	v_mul_f64 v[31:32], v[5:6], v[29:30]
	v_mul_f64 v[29:30], v[29:30], 0.5
	v_fma_f64 v[38:39], -v[29:30], v[31:32], 0.5
	v_fma_f64 v[31:32], v[31:32], v[38:39], v[31:32]
	v_fma_f64 v[29:30], v[29:30], v[38:39], v[29:30]
	v_fma_f64 v[38:39], -v[31:32], v[31:32], v[5:6]
	v_fma_f64 v[29:30], v[38:39], v[29:30], v[31:32]
                                        ; implicit-def: $vgpr31_vgpr32
	v_cndmask_b32_e32 v6, v30, v6, vcc
	v_cndmask_b32_e32 v5, v29, v5, vcc
	v_ldexp_f64 v[5:6], v[5:6], v40
	v_cmp_o_f64_e32 vcc, v[15:16], v[15:16]
                                        ; implicit-def: $vgpr29_vgpr30
	v_cndmask_b32_e32 v5, 0, v5, vcc
	v_cndmask_b32_e32 v6, v34, v6, vcc
	s_or_b64 vcc, s[50:51], s[42:43]
	v_cndmask_b32_e32 v6, v6, v35, vcc
	v_cndmask_b32_e64 v5, v5, 0, vcc
	s_and_saveexec_b64 s[42:43], s[10:11]
	s_xor_b64 s[10:11], exec, s[42:43]
	s_cbranch_execz .LBB227_209
; %bb.208:                              ;   in Loop: Header=BB227_129 Depth=1
	v_add_f64 v[5:6], v[13:14], v[5:6]
	v_mul_f64 v[5:6], v[5:6], 0.5
	v_cmp_gt_f64_e32 vcc, s[30:31], v[5:6]
	v_cndmask_b32_e32 v13, 0, v36, vcc
	v_ldexp_f64 v[5:6], v[5:6], v13
	v_rsq_f64_e32 v[13:14], v[5:6]
	v_mul_f64 v[29:30], v[5:6], v[13:14]
	v_mul_f64 v[13:14], v[13:14], 0.5
	v_fma_f64 v[31:32], -v[13:14], v[29:30], 0.5
	v_fma_f64 v[29:30], v[29:30], v[31:32], v[29:30]
	v_fma_f64 v[13:14], v[13:14], v[31:32], v[13:14]
	v_fma_f64 v[31:32], -v[29:30], v[29:30], v[5:6]
	v_fma_f64 v[29:30], v[31:32], v[13:14], v[29:30]
	v_fma_f64 v[31:32], -v[29:30], v[29:30], v[5:6]
	v_fma_f64 v[13:14], v[31:32], v[13:14], v[29:30]
	v_cndmask_b32_e32 v29, 0, v37, vcc
	v_cmp_class_f64_e32 vcc, v[5:6], v33
	v_ldexp_f64 v[13:14], v[13:14], v29
	v_cndmask_b32_e32 v32, v14, v6, vcc
	v_cndmask_b32_e32 v31, v13, v5, vcc
	v_add_f64 v[5:6], v[31:32], v[31:32]
	v_div_scale_f64 v[13:14], s[42:43], v[5:6], v[5:6], v[15:16]
	v_div_scale_f64 v[40:41], vcc, v[15:16], v[5:6], v[15:16]
	v_rcp_f64_e32 v[29:30], v[13:14]
	v_fma_f64 v[38:39], -v[13:14], v[29:30], 1.0
	v_fma_f64 v[29:30], v[29:30], v[38:39], v[29:30]
	v_fma_f64 v[38:39], -v[13:14], v[29:30], 1.0
	v_fma_f64 v[29:30], v[29:30], v[38:39], v[29:30]
	v_mul_f64 v[38:39], v[40:41], v[29:30]
	v_fma_f64 v[13:14], -v[13:14], v[38:39], v[40:41]
	v_div_fmas_f64 v[13:14], v[13:14], v[29:30], v[38:39]
	v_div_fixup_f64 v[29:30], v[13:14], v[5:6], v[15:16]
                                        ; implicit-def: $vgpr5_vgpr6
                                        ; implicit-def: $vgpr13_vgpr14
	s_andn2_saveexec_b64 s[10:11], s[10:11]
	s_cbranch_execz .LBB227_211
	s_branch .LBB227_210
.LBB227_209:                            ;   in Loop: Header=BB227_129 Depth=1
	s_andn2_saveexec_b64 s[10:11], s[10:11]
	s_cbranch_execz .LBB227_211
.LBB227_210:                            ;   in Loop: Header=BB227_129 Depth=1
	v_add_f64 v[5:6], v[5:6], -v[13:14]
	v_mul_f64 v[5:6], v[5:6], 0.5
	v_cmp_gt_f64_e32 vcc, s[30:31], v[5:6]
	v_cndmask_b32_e32 v13, 0, v36, vcc
	v_ldexp_f64 v[5:6], v[5:6], v13
	v_rsq_f64_e32 v[13:14], v[5:6]
	v_mul_f64 v[29:30], v[5:6], v[13:14]
	v_mul_f64 v[13:14], v[13:14], 0.5
	v_fma_f64 v[31:32], -v[13:14], v[29:30], 0.5
	v_fma_f64 v[29:30], v[29:30], v[31:32], v[29:30]
	v_fma_f64 v[13:14], v[13:14], v[31:32], v[13:14]
	v_fma_f64 v[31:32], -v[29:30], v[29:30], v[5:6]
	v_fma_f64 v[29:30], v[31:32], v[13:14], v[29:30]
	v_fma_f64 v[31:32], -v[29:30], v[29:30], v[5:6]
	v_fma_f64 v[13:14], v[31:32], v[13:14], v[29:30]
	v_cndmask_b32_e32 v29, 0, v37, vcc
	v_cmp_class_f64_e32 vcc, v[5:6], v33
	v_ldexp_f64 v[13:14], v[13:14], v29
	v_cndmask_b32_e32 v30, v14, v6, vcc
	v_cndmask_b32_e32 v29, v13, v5, vcc
	v_add_f64 v[5:6], v[29:30], v[29:30]
	v_and_b32_e32 v14, 0x7fffffff, v16
	v_mov_b32_e32 v13, v15
	v_bfi_b32 v30, s48, v30, v16
	v_div_scale_f64 v[31:32], s[42:43], v[5:6], v[5:6], v[13:14]
	v_div_scale_f64 v[13:14], vcc, v[13:14], v[5:6], v[13:14]
	v_rcp_f64_e32 v[38:39], v[31:32]
	v_fma_f64 v[40:41], -v[31:32], v[38:39], 1.0
	v_fma_f64 v[38:39], v[38:39], v[40:41], v[38:39]
	v_fma_f64 v[40:41], -v[31:32], v[38:39], 1.0
	v_fma_f64 v[38:39], v[38:39], v[40:41], v[38:39]
	v_mul_f64 v[40:41], v[13:14], v[38:39]
	v_fma_f64 v[13:14], -v[31:32], v[40:41], v[13:14]
	v_div_fmas_f64 v[13:14], v[13:14], v[38:39], v[40:41]
	v_div_fixup_f64 v[31:32], v[13:14], v[5:6], |v[15:16]|
.LBB227_211:                            ;   in Loop: Header=BB227_129 Depth=1
	s_or_b64 exec, exec, s[10:11]
                                        ; implicit-def: $vgpr15_vgpr16
                                        ; implicit-def: $vgpr5_vgpr6
	s_and_saveexec_b64 s[10:11], s[8:9]
	s_xor_b64 s[8:9], exec, s[10:11]
	s_cbranch_execz .LBB227_213
; %bb.212:                              ;   in Loop: Header=BB227_129 Depth=1
	v_mul_f64 v[5:6], v[31:32], 0.5
	v_mul_f64 v[13:14], v[29:30], 0.5
	v_cndmask_b32_e64 v6, v32, v6, s[40:41]
	v_cndmask_b32_e64 v5, v31, v5, s[40:41]
	;; [unrolled: 1-line block ×4, first 2 shown]
                                        ; implicit-def: $vgpr31_vgpr32
                                        ; implicit-def: $vgpr29_vgpr30
	s_andn2_saveexec_b64 s[8:9], s[8:9]
	s_cbranch_execnz .LBB227_214
	s_branch .LBB227_215
.LBB227_213:                            ;   in Loop: Header=BB227_129 Depth=1
	s_andn2_saveexec_b64 s[8:9], s[8:9]
	s_cbranch_execz .LBB227_215
.LBB227_214:                            ;   in Loop: Header=BB227_129 Depth=1
	v_add_f64 v[5:6], v[31:32], v[31:32]
	v_add_f64 v[15:16], v[29:30], v[29:30]
.LBB227_215:                            ;   in Loop: Header=BB227_129 Depth=1
	s_or_b64 exec, exec, s[8:9]
.LBB227_216:                            ;   in Loop: Header=BB227_129 Depth=1
	s_andn2_saveexec_b64 s[8:9], s[38:39]
	s_cbranch_execz .LBB227_222
; %bb.217:                              ;   in Loop: Header=BB227_129 Depth=1
	v_add_f64 v[29:30], v[15:16], -v[15:16]
	v_cmp_lt_i64_e32 vcc, -1, v[13:14]
	v_and_b32_e32 v6, 0x7fffffff, v30
	v_mov_b32_e32 v5, v29
	s_and_saveexec_b64 s[10:11], vcc
	s_xor_b64 s[10:11], exec, s[10:11]
; %bb.218:                              ;   in Loop: Header=BB227_129 Depth=1
	v_bfi_b32 v30, s48, v30, v16
	v_mov_b32_e32 v15, v29
	v_mov_b32_e32 v5, v13
	;; [unrolled: 1-line block ×4, first 2 shown]
; %bb.219:                              ;   in Loop: Header=BB227_129 Depth=1
	s_andn2_saveexec_b64 s[10:11], s[10:11]
; %bb.220:                              ;   in Loop: Header=BB227_129 Depth=1
	v_bfi_b32 v14, s48, v14, v16
	v_mov_b32_e32 v16, v14
	v_mov_b32_e32 v15, v13
; %bb.221:                              ;   in Loop: Header=BB227_129 Depth=1
	s_or_b64 exec, exec, s[10:11]
.LBB227_222:                            ;   in Loop: Header=BB227_129 Depth=1
	s_or_b64 exec, exec, s[8:9]
.LBB227_223:                            ;   in Loop: Header=BB227_129 Depth=1
	s_andn2_saveexec_b64 s[8:9], s[36:37]
	s_cbranch_execz .LBB227_225
; %bb.224:                              ;   in Loop: Header=BB227_129 Depth=1
	v_add_f64 v[5:6], v[15:16], -v[15:16]
	v_div_scale_f64 v[15:16], vcc, v[5:6], v[5:6], v[5:6]
	v_rcp_f64_e32 v[29:30], v[15:16]
	v_fma_f64 v[31:32], -v[15:16], v[29:30], 1.0
	v_fma_f64 v[29:30], v[29:30], v[31:32], v[29:30]
	v_fma_f64 v[31:32], -v[15:16], v[29:30], 1.0
	v_fma_f64 v[29:30], v[29:30], v[31:32], v[29:30]
	v_mul_f64 v[31:32], v[15:16], v[29:30]
	v_fma_f64 v[15:16], -v[15:16], v[31:32], v[15:16]
	v_div_fmas_f64 v[15:16], v[15:16], v[29:30], v[31:32]
	v_div_fixup_f64 v[15:16], v[15:16], v[5:6], v[5:6]
	v_mov_b32_e32 v5, v13
	v_mov_b32_e32 v6, v14
.LBB227_225:                            ;   in Loop: Header=BB227_129 Depth=1
	s_or_b64 exec, exec, s[8:9]
.LBB227_226:                            ;   in Loop: Header=BB227_129 Depth=1
	s_or_b64 exec, exec, s[34:35]
.LBB227_227:                            ;   in Loop: Header=BB227_129 Depth=1
	s_or_b64 exec, exec, s[12:13]
	v_cmp_neq_f64_e32 vcc, 0, v[9:10]
	v_cmp_neq_f64_e64 s[8:9], 0, v[11:12]
	s_or_b64 s[8:9], vcc, s[8:9]
	s_and_saveexec_b64 s[12:13], s[8:9]
	s_cbranch_execz .LBB227_239
; %bb.228:                              ;   in Loop: Header=BB227_129 Depth=1
	v_mov_b32_e32 v1, 0
	v_mov_b32_e32 v2, 0x7ff00000
	v_cmp_neq_f64_e64 s[8:9], |v[11:12]|, v[1:2]
	s_and_saveexec_b64 s[34:35], s[8:9]
	s_cbranch_execz .LBB227_260
; %bb.229:                              ;   in Loop: Header=BB227_129 Depth=1
	v_cmp_o_f64_e32 vcc, v[9:10], v[9:10]
                                        ; implicit-def: $vgpr1_vgpr2
	s_and_saveexec_b64 s[8:9], vcc
	s_xor_b64 s[36:37], exec, s[8:9]
	s_cbranch_execz .LBB227_257
; %bb.230:                              ;   in Loop: Header=BB227_129 Depth=1
	v_cmp_neq_f64_e64 s[8:9], |v[9:10]|, s[24:25]
                                        ; implicit-def: $vgpr1_vgpr2
	s_and_saveexec_b64 s[10:11], s[8:9]
	s_xor_b64 s[38:39], exec, s[10:11]
	s_cbranch_execz .LBB227_250
; %bb.231:                              ;   in Loop: Header=BB227_129 Depth=1
	v_max_f64 v[1:2], |v[9:10]|, |v[9:10]|
	v_max_f64 v[13:14], |v[11:12]|, |v[11:12]|
                                        ; implicit-def: $sgpr40_sgpr41
	v_max_f64 v[1:2], v[13:14], v[1:2]
	v_cmp_nle_f64_e64 s[8:9], s[26:27], v[1:2]
	s_and_saveexec_b64 s[10:11], s[8:9]
	s_xor_b64 s[10:11], exec, s[10:11]
	s_cbranch_execz .LBB227_235
; %bb.232:                              ;   in Loop: Header=BB227_129 Depth=1
	v_cmp_le_f64_e64 s[40:41], |v[9:10]|, s[28:29]
	v_cmp_le_f64_e64 s[42:43], |v[11:12]|, s[28:29]
	s_and_b64 s[50:51], s[42:43], s[40:41]
	s_mov_b64 s[40:41], 0
	s_and_saveexec_b64 s[42:43], s[50:51]
	s_cbranch_execz .LBB227_234
; %bb.233:                              ;   in Loop: Header=BB227_129 Depth=1
	v_mul_f64 v[9:10], v[9:10], 4.0
	v_mul_f64 v[11:12], v[11:12], 4.0
	s_mov_b64 s[40:41], exec
.LBB227_234:                            ;   in Loop: Header=BB227_129 Depth=1
	s_or_b64 exec, exec, s[42:43]
.LBB227_235:                            ;   in Loop: Header=BB227_129 Depth=1
	s_andn2_saveexec_b64 s[10:11], s[10:11]
	s_cbranch_execz .LBB227_237
; %bb.236:                              ;   in Loop: Header=BB227_129 Depth=1
	v_ldexp_f64 v[9:10], v[9:10], -2
	v_ldexp_f64 v[11:12], v[11:12], -2
	s_andn2_b64 s[40:41], s[40:41], exec
.LBB227_237:                            ;   in Loop: Header=BB227_129 Depth=1
	s_or_b64 exec, exec, s[10:11]
	v_max_f64 v[1:2], |v[11:12]|, |v[11:12]|
	v_max_f64 v[13:14], |v[9:10]|, |v[9:10]|
	v_cmp_class_f64_e64 s[42:43], v[9:10], s47
	v_cmp_class_f64_e64 s[50:51], v[11:12], s47
	v_cmp_le_f64_e64 s[10:11], 0, v[9:10]
	v_max_f64 v[1:2], v[13:14], v[1:2]
	v_frexp_exp_i32_f64_e32 v38, v[1:2]
	v_sub_u32_e32 v13, 0, v38
	v_ldexp_f64 v[1:2], |v[11:12]|, v13
	v_ldexp_f64 v[13:14], |v[9:10]|, v13
	v_mul_f64 v[1:2], v[1:2], v[1:2]
	v_fma_f64 v[1:2], v[13:14], v[13:14], v[1:2]
	v_rsq_f64_e32 v[13:14], v[1:2]
	v_cmp_eq_f64_e32 vcc, 0, v[1:2]
	v_mul_f64 v[29:30], v[1:2], v[13:14]
	v_mul_f64 v[13:14], v[13:14], 0.5
	v_fma_f64 v[31:32], -v[13:14], v[29:30], 0.5
	v_fma_f64 v[29:30], v[29:30], v[31:32], v[29:30]
	v_fma_f64 v[13:14], v[13:14], v[31:32], v[13:14]
	v_fma_f64 v[31:32], -v[29:30], v[29:30], v[1:2]
	v_fma_f64 v[13:14], v[31:32], v[13:14], v[29:30]
                                        ; implicit-def: $vgpr29_vgpr30
	v_cndmask_b32_e32 v2, v14, v2, vcc
	v_cndmask_b32_e32 v1, v13, v1, vcc
	v_ldexp_f64 v[1:2], v[1:2], v38
	v_cmp_o_f64_e32 vcc, v[11:12], v[11:12]
                                        ; implicit-def: $vgpr13_vgpr14
	v_cndmask_b32_e32 v1, 0, v1, vcc
	v_cndmask_b32_e32 v2, v34, v2, vcc
	s_or_b64 vcc, s[50:51], s[42:43]
	v_cndmask_b32_e32 v2, v2, v35, vcc
	v_cndmask_b32_e64 v1, v1, 0, vcc
	s_and_saveexec_b64 s[42:43], s[10:11]
	s_xor_b64 s[10:11], exec, s[42:43]
	s_cbranch_execz .LBB227_243
; %bb.238:                              ;   in Loop: Header=BB227_129 Depth=1
	v_add_f64 v[1:2], v[9:10], v[1:2]
	v_mul_f64 v[1:2], v[1:2], 0.5
	v_cmp_gt_f64_e32 vcc, s[30:31], v[1:2]
	v_cndmask_b32_e32 v9, 0, v36, vcc
	v_ldexp_f64 v[1:2], v[1:2], v9
	v_rsq_f64_e32 v[9:10], v[1:2]
	v_mul_f64 v[13:14], v[1:2], v[9:10]
	v_mul_f64 v[9:10], v[9:10], 0.5
	v_fma_f64 v[29:30], -v[9:10], v[13:14], 0.5
	v_fma_f64 v[13:14], v[13:14], v[29:30], v[13:14]
	v_fma_f64 v[9:10], v[9:10], v[29:30], v[9:10]
	v_fma_f64 v[29:30], -v[13:14], v[13:14], v[1:2]
	v_fma_f64 v[13:14], v[29:30], v[9:10], v[13:14]
	v_fma_f64 v[29:30], -v[13:14], v[13:14], v[1:2]
	v_fma_f64 v[9:10], v[29:30], v[9:10], v[13:14]
	v_cndmask_b32_e32 v13, 0, v37, vcc
	v_cmp_class_f64_e32 vcc, v[1:2], v33
	v_ldexp_f64 v[9:10], v[9:10], v13
	v_cndmask_b32_e32 v30, v10, v2, vcc
	v_cndmask_b32_e32 v29, v9, v1, vcc
	v_add_f64 v[1:2], v[29:30], v[29:30]
	v_div_scale_f64 v[9:10], s[42:43], v[1:2], v[1:2], v[11:12]
	v_div_scale_f64 v[38:39], vcc, v[11:12], v[1:2], v[11:12]
	v_rcp_f64_e32 v[13:14], v[9:10]
	v_fma_f64 v[31:32], -v[9:10], v[13:14], 1.0
	v_fma_f64 v[13:14], v[13:14], v[31:32], v[13:14]
	v_fma_f64 v[31:32], -v[9:10], v[13:14], 1.0
	v_fma_f64 v[13:14], v[13:14], v[31:32], v[13:14]
	v_mul_f64 v[31:32], v[38:39], v[13:14]
	v_fma_f64 v[9:10], -v[9:10], v[31:32], v[38:39]
	v_div_fmas_f64 v[9:10], v[9:10], v[13:14], v[31:32]
	v_div_fixup_f64 v[13:14], v[9:10], v[1:2], v[11:12]
                                        ; implicit-def: $vgpr1_vgpr2
                                        ; implicit-def: $vgpr9_vgpr10
	s_andn2_saveexec_b64 s[10:11], s[10:11]
	s_cbranch_execz .LBB227_245
	s_branch .LBB227_244
.LBB227_239:                            ;   in Loop: Header=BB227_129 Depth=1
	s_or_b64 exec, exec, s[12:13]
	s_and_saveexec_b64 s[8:9], s[0:1]
	s_xor_b64 s[0:1], exec, s[8:9]
	s_cbranch_execz .LBB227_261
.LBB227_240:                            ;   in Loop: Header=BB227_129 Depth=1
	v_lshlrev_b64 v[9:10], 4, v[21:22]
	v_mov_b32_e32 v13, s17
	v_add_co_u32_e32 v9, vcc, s16, v9
	v_addc_co_u32_e32 v10, vcc, v13, v10, vcc
	v_mov_b32_e32 v21, v7
	v_mov_b32_e32 v22, v8
	global_store_dwordx4 v[9:10], v[19:22], off
	s_or_b64 exec, exec, s[0:1]
	s_and_saveexec_b64 s[0:1], s[2:3]
	s_cbranch_execnz .LBB227_262
.LBB227_241:                            ;   in Loop: Header=BB227_129 Depth=1
	s_or_b64 exec, exec, s[0:1]
	s_and_saveexec_b64 s[0:1], s[4:5]
	s_cbranch_execz .LBB227_263
.LBB227_242:                            ;   in Loop: Header=BB227_129 Depth=1
	v_lshlrev_b64 v[3:4], 4, v[25:26]
	v_mov_b32_e32 v7, s17
	v_add_co_u32_e32 v3, vcc, s16, v3
	v_addc_co_u32_e32 v4, vcc, v7, v4, vcc
	v_mov_b32_e32 v7, v15
	v_mov_b32_e32 v8, v16
	global_store_dwordx4 v[3:4], v[5:8], off
	s_or_b64 exec, exec, s[0:1]
	s_and_saveexec_b64 s[0:1], s[6:7]
	s_cbranch_execz .LBB227_128
	s_branch .LBB227_264
.LBB227_243:                            ;   in Loop: Header=BB227_129 Depth=1
	s_andn2_saveexec_b64 s[10:11], s[10:11]
	s_cbranch_execz .LBB227_245
.LBB227_244:                            ;   in Loop: Header=BB227_129 Depth=1
	v_add_f64 v[1:2], v[1:2], -v[9:10]
	v_mul_f64 v[1:2], v[1:2], 0.5
	v_cmp_gt_f64_e32 vcc, s[30:31], v[1:2]
	v_cndmask_b32_e32 v9, 0, v36, vcc
	v_ldexp_f64 v[1:2], v[1:2], v9
	v_rsq_f64_e32 v[9:10], v[1:2]
	v_mul_f64 v[13:14], v[1:2], v[9:10]
	v_mul_f64 v[9:10], v[9:10], 0.5
	v_fma_f64 v[29:30], -v[9:10], v[13:14], 0.5
	v_fma_f64 v[13:14], v[13:14], v[29:30], v[13:14]
	v_fma_f64 v[9:10], v[9:10], v[29:30], v[9:10]
	v_fma_f64 v[29:30], -v[13:14], v[13:14], v[1:2]
	v_fma_f64 v[13:14], v[29:30], v[9:10], v[13:14]
	v_fma_f64 v[29:30], -v[13:14], v[13:14], v[1:2]
	v_fma_f64 v[9:10], v[29:30], v[9:10], v[13:14]
	v_cndmask_b32_e32 v13, 0, v37, vcc
	v_cmp_class_f64_e32 vcc, v[1:2], v33
	v_ldexp_f64 v[9:10], v[9:10], v13
	v_cndmask_b32_e32 v14, v10, v2, vcc
	v_cndmask_b32_e32 v13, v9, v1, vcc
	v_add_f64 v[1:2], v[13:14], v[13:14]
	v_and_b32_e32 v10, 0x7fffffff, v12
	v_mov_b32_e32 v9, v11
	v_bfi_b32 v14, s48, v14, v12
	v_div_scale_f64 v[29:30], s[42:43], v[1:2], v[1:2], v[9:10]
	v_div_scale_f64 v[9:10], vcc, v[9:10], v[1:2], v[9:10]
	v_rcp_f64_e32 v[31:32], v[29:30]
	v_fma_f64 v[38:39], -v[29:30], v[31:32], 1.0
	v_fma_f64 v[31:32], v[31:32], v[38:39], v[31:32]
	v_fma_f64 v[38:39], -v[29:30], v[31:32], 1.0
	v_fma_f64 v[31:32], v[31:32], v[38:39], v[31:32]
	v_mul_f64 v[38:39], v[9:10], v[31:32]
	v_fma_f64 v[9:10], -v[29:30], v[38:39], v[9:10]
	v_div_fmas_f64 v[9:10], v[9:10], v[31:32], v[38:39]
	v_div_fixup_f64 v[29:30], v[9:10], v[1:2], |v[11:12]|
.LBB227_245:                            ;   in Loop: Header=BB227_129 Depth=1
	s_or_b64 exec, exec, s[10:11]
                                        ; implicit-def: $vgpr11_vgpr12
                                        ; implicit-def: $vgpr1_vgpr2
	s_and_saveexec_b64 s[10:11], s[8:9]
	s_xor_b64 s[8:9], exec, s[10:11]
	s_cbranch_execz .LBB227_247
; %bb.246:                              ;   in Loop: Header=BB227_129 Depth=1
	v_mul_f64 v[1:2], v[29:30], 0.5
	v_mul_f64 v[9:10], v[13:14], 0.5
	v_cndmask_b32_e64 v2, v30, v2, s[40:41]
	v_cndmask_b32_e64 v1, v29, v1, s[40:41]
	;; [unrolled: 1-line block ×4, first 2 shown]
                                        ; implicit-def: $vgpr29_vgpr30
                                        ; implicit-def: $vgpr13_vgpr14
	s_andn2_saveexec_b64 s[8:9], s[8:9]
	s_cbranch_execnz .LBB227_248
	s_branch .LBB227_249
.LBB227_247:                            ;   in Loop: Header=BB227_129 Depth=1
	s_andn2_saveexec_b64 s[8:9], s[8:9]
	s_cbranch_execz .LBB227_249
.LBB227_248:                            ;   in Loop: Header=BB227_129 Depth=1
	v_add_f64 v[1:2], v[29:30], v[29:30]
	v_add_f64 v[11:12], v[13:14], v[13:14]
.LBB227_249:                            ;   in Loop: Header=BB227_129 Depth=1
	s_or_b64 exec, exec, s[8:9]
.LBB227_250:                            ;   in Loop: Header=BB227_129 Depth=1
	s_andn2_saveexec_b64 s[8:9], s[38:39]
	s_cbranch_execz .LBB227_256
; %bb.251:                              ;   in Loop: Header=BB227_129 Depth=1
	v_add_f64 v[13:14], v[11:12], -v[11:12]
	v_cmp_lt_i64_e32 vcc, -1, v[9:10]
	v_and_b32_e32 v2, 0x7fffffff, v14
	v_mov_b32_e32 v1, v13
	s_and_saveexec_b64 s[10:11], vcc
	s_xor_b64 s[10:11], exec, s[10:11]
; %bb.252:                              ;   in Loop: Header=BB227_129 Depth=1
	v_bfi_b32 v14, s48, v14, v12
	v_mov_b32_e32 v11, v13
	v_mov_b32_e32 v1, v9
	;; [unrolled: 1-line block ×4, first 2 shown]
; %bb.253:                              ;   in Loop: Header=BB227_129 Depth=1
	s_andn2_saveexec_b64 s[10:11], s[10:11]
; %bb.254:                              ;   in Loop: Header=BB227_129 Depth=1
	v_bfi_b32 v10, s48, v10, v12
	v_mov_b32_e32 v12, v10
	v_mov_b32_e32 v11, v9
; %bb.255:                              ;   in Loop: Header=BB227_129 Depth=1
	s_or_b64 exec, exec, s[10:11]
.LBB227_256:                            ;   in Loop: Header=BB227_129 Depth=1
	s_or_b64 exec, exec, s[8:9]
.LBB227_257:                            ;   in Loop: Header=BB227_129 Depth=1
	s_andn2_saveexec_b64 s[8:9], s[36:37]
	s_cbranch_execz .LBB227_259
; %bb.258:                              ;   in Loop: Header=BB227_129 Depth=1
	v_add_f64 v[1:2], v[11:12], -v[11:12]
	v_div_scale_f64 v[11:12], vcc, v[1:2], v[1:2], v[1:2]
	v_rcp_f64_e32 v[13:14], v[11:12]
	v_fma_f64 v[29:30], -v[11:12], v[13:14], 1.0
	v_fma_f64 v[13:14], v[13:14], v[29:30], v[13:14]
	v_fma_f64 v[29:30], -v[11:12], v[13:14], 1.0
	v_fma_f64 v[13:14], v[13:14], v[29:30], v[13:14]
	v_mul_f64 v[29:30], v[11:12], v[13:14]
	v_fma_f64 v[11:12], -v[11:12], v[29:30], v[11:12]
	v_div_fmas_f64 v[11:12], v[11:12], v[13:14], v[29:30]
	v_div_fixup_f64 v[11:12], v[11:12], v[1:2], v[1:2]
	v_mov_b32_e32 v1, v9
	v_mov_b32_e32 v2, v10
.LBB227_259:                            ;   in Loop: Header=BB227_129 Depth=1
	s_or_b64 exec, exec, s[8:9]
.LBB227_260:                            ;   in Loop: Header=BB227_129 Depth=1
	s_or_b64 exec, exec, s[34:35]
	s_or_b64 exec, exec, s[12:13]
	s_and_saveexec_b64 s[8:9], s[0:1]
	s_xor_b64 s[0:1], exec, s[8:9]
	s_cbranch_execnz .LBB227_240
.LBB227_261:                            ;   in Loop: Header=BB227_129 Depth=1
	s_or_b64 exec, exec, s[0:1]
	s_and_saveexec_b64 s[0:1], s[2:3]
	s_cbranch_execz .LBB227_241
.LBB227_262:                            ;   in Loop: Header=BB227_129 Depth=1
	v_lshlrev_b64 v[7:8], 4, v[23:24]
	v_mov_b32_e32 v9, s17
	v_add_co_u32_e32 v7, vcc, s16, v7
	v_addc_co_u32_e32 v8, vcc, v9, v8, vcc
	v_mov_b32_e32 v19, v3
	v_mov_b32_e32 v20, v4
	global_store_dwordx4 v[7:8], v[17:20], off
	s_or_b64 exec, exec, s[0:1]
	s_and_saveexec_b64 s[0:1], s[4:5]
	s_cbranch_execnz .LBB227_242
.LBB227_263:                            ;   in Loop: Header=BB227_129 Depth=1
	s_or_b64 exec, exec, s[0:1]
	s_and_saveexec_b64 s[0:1], s[6:7]
	s_cbranch_execz .LBB227_128
.LBB227_264:                            ;   in Loop: Header=BB227_129 Depth=1
	v_lshlrev_b64 v[3:4], 4, v[27:28]
	v_mov_b32_e32 v6, s17
	v_add_co_u32_e32 v5, vcc, s16, v3
	v_addc_co_u32_e32 v6, vcc, v6, v4, vcc
	v_mov_b32_e32 v3, v11
	v_mov_b32_e32 v4, v12
	global_store_dwordx4 v[5:6], v[1:4], off
	s_branch .LBB227_128
.LBB227_265:
	s_endpgm
	.section	.rodata,"a",@progbits
	.p2align	6, 0x0
	.amdhsa_kernel _ZN2at6native12_GLOBAL__N_125multi_tensor_apply_kernelINS1_18TensorListMetadataILi2EEENS1_14UnaryOpFunctorIN3c107complexIdEELi2ELi1ELi1EEEJNS0_4SqrtIS8_EEEEEvT_T0_DpT1_
		.amdhsa_group_segment_fixed_size 0
		.amdhsa_private_segment_fixed_size 0
		.amdhsa_kernarg_size 3408
		.amdhsa_user_sgpr_count 6
		.amdhsa_user_sgpr_private_segment_buffer 1
		.amdhsa_user_sgpr_dispatch_ptr 0
		.amdhsa_user_sgpr_queue_ptr 0
		.amdhsa_user_sgpr_kernarg_segment_ptr 1
		.amdhsa_user_sgpr_dispatch_id 0
		.amdhsa_user_sgpr_flat_scratch_init 0
		.amdhsa_user_sgpr_private_segment_size 0
		.amdhsa_uses_dynamic_stack 0
		.amdhsa_system_sgpr_private_segment_wavefront_offset 0
		.amdhsa_system_sgpr_workgroup_id_x 1
		.amdhsa_system_sgpr_workgroup_id_y 0
		.amdhsa_system_sgpr_workgroup_id_z 0
		.amdhsa_system_sgpr_workgroup_info 0
		.amdhsa_system_vgpr_workitem_id 0
		.amdhsa_next_free_vgpr 42
		.amdhsa_next_free_sgpr 52
		.amdhsa_reserve_vcc 1
		.amdhsa_reserve_flat_scratch 0
		.amdhsa_float_round_mode_32 0
		.amdhsa_float_round_mode_16_64 0
		.amdhsa_float_denorm_mode_32 3
		.amdhsa_float_denorm_mode_16_64 3
		.amdhsa_dx10_clamp 1
		.amdhsa_ieee_mode 1
		.amdhsa_fp16_overflow 0
		.amdhsa_exception_fp_ieee_invalid_op 0
		.amdhsa_exception_fp_denorm_src 0
		.amdhsa_exception_fp_ieee_div_zero 0
		.amdhsa_exception_fp_ieee_overflow 0
		.amdhsa_exception_fp_ieee_underflow 0
		.amdhsa_exception_fp_ieee_inexact 0
		.amdhsa_exception_int_div_zero 0
	.end_amdhsa_kernel
	.section	.text._ZN2at6native12_GLOBAL__N_125multi_tensor_apply_kernelINS1_18TensorListMetadataILi2EEENS1_14UnaryOpFunctorIN3c107complexIdEELi2ELi1ELi1EEEJNS0_4SqrtIS8_EEEEEvT_T0_DpT1_,"axG",@progbits,_ZN2at6native12_GLOBAL__N_125multi_tensor_apply_kernelINS1_18TensorListMetadataILi2EEENS1_14UnaryOpFunctorIN3c107complexIdEELi2ELi1ELi1EEEJNS0_4SqrtIS8_EEEEEvT_T0_DpT1_,comdat
.Lfunc_end227:
	.size	_ZN2at6native12_GLOBAL__N_125multi_tensor_apply_kernelINS1_18TensorListMetadataILi2EEENS1_14UnaryOpFunctorIN3c107complexIdEELi2ELi1ELi1EEEJNS0_4SqrtIS8_EEEEEvT_T0_DpT1_, .Lfunc_end227-_ZN2at6native12_GLOBAL__N_125multi_tensor_apply_kernelINS1_18TensorListMetadataILi2EEENS1_14UnaryOpFunctorIN3c107complexIdEELi2ELi1ELi1EEEJNS0_4SqrtIS8_EEEEEvT_T0_DpT1_
                                        ; -- End function
	.set _ZN2at6native12_GLOBAL__N_125multi_tensor_apply_kernelINS1_18TensorListMetadataILi2EEENS1_14UnaryOpFunctorIN3c107complexIdEELi2ELi1ELi1EEEJNS0_4SqrtIS8_EEEEEvT_T0_DpT1_.num_vgpr, 42
	.set _ZN2at6native12_GLOBAL__N_125multi_tensor_apply_kernelINS1_18TensorListMetadataILi2EEENS1_14UnaryOpFunctorIN3c107complexIdEELi2ELi1ELi1EEEJNS0_4SqrtIS8_EEEEEvT_T0_DpT1_.num_agpr, 0
	.set _ZN2at6native12_GLOBAL__N_125multi_tensor_apply_kernelINS1_18TensorListMetadataILi2EEENS1_14UnaryOpFunctorIN3c107complexIdEELi2ELi1ELi1EEEJNS0_4SqrtIS8_EEEEEvT_T0_DpT1_.numbered_sgpr, 52
	.set _ZN2at6native12_GLOBAL__N_125multi_tensor_apply_kernelINS1_18TensorListMetadataILi2EEENS1_14UnaryOpFunctorIN3c107complexIdEELi2ELi1ELi1EEEJNS0_4SqrtIS8_EEEEEvT_T0_DpT1_.num_named_barrier, 0
	.set _ZN2at6native12_GLOBAL__N_125multi_tensor_apply_kernelINS1_18TensorListMetadataILi2EEENS1_14UnaryOpFunctorIN3c107complexIdEELi2ELi1ELi1EEEJNS0_4SqrtIS8_EEEEEvT_T0_DpT1_.private_seg_size, 0
	.set _ZN2at6native12_GLOBAL__N_125multi_tensor_apply_kernelINS1_18TensorListMetadataILi2EEENS1_14UnaryOpFunctorIN3c107complexIdEELi2ELi1ELi1EEEJNS0_4SqrtIS8_EEEEEvT_T0_DpT1_.uses_vcc, 1
	.set _ZN2at6native12_GLOBAL__N_125multi_tensor_apply_kernelINS1_18TensorListMetadataILi2EEENS1_14UnaryOpFunctorIN3c107complexIdEELi2ELi1ELi1EEEJNS0_4SqrtIS8_EEEEEvT_T0_DpT1_.uses_flat_scratch, 0
	.set _ZN2at6native12_GLOBAL__N_125multi_tensor_apply_kernelINS1_18TensorListMetadataILi2EEENS1_14UnaryOpFunctorIN3c107complexIdEELi2ELi1ELi1EEEJNS0_4SqrtIS8_EEEEEvT_T0_DpT1_.has_dyn_sized_stack, 0
	.set _ZN2at6native12_GLOBAL__N_125multi_tensor_apply_kernelINS1_18TensorListMetadataILi2EEENS1_14UnaryOpFunctorIN3c107complexIdEELi2ELi1ELi1EEEJNS0_4SqrtIS8_EEEEEvT_T0_DpT1_.has_recursion, 0
	.set _ZN2at6native12_GLOBAL__N_125multi_tensor_apply_kernelINS1_18TensorListMetadataILi2EEENS1_14UnaryOpFunctorIN3c107complexIdEELi2ELi1ELi1EEEJNS0_4SqrtIS8_EEEEEvT_T0_DpT1_.has_indirect_call, 0
	.section	.AMDGPU.csdata,"",@progbits
; Kernel info:
; codeLenInByte = 11256
; TotalNumSgprs: 56
; NumVgprs: 42
; ScratchSize: 0
; MemoryBound: 1
; FloatMode: 240
; IeeeMode: 1
; LDSByteSize: 0 bytes/workgroup (compile time only)
; SGPRBlocks: 6
; VGPRBlocks: 10
; NumSGPRsForWavesPerEU: 56
; NumVGPRsForWavesPerEU: 42
; Occupancy: 5
; WaveLimiterHint : 0
; COMPUTE_PGM_RSRC2:SCRATCH_EN: 0
; COMPUTE_PGM_RSRC2:USER_SGPR: 6
; COMPUTE_PGM_RSRC2:TRAP_HANDLER: 0
; COMPUTE_PGM_RSRC2:TGID_X_EN: 1
; COMPUTE_PGM_RSRC2:TGID_Y_EN: 0
; COMPUTE_PGM_RSRC2:TGID_Z_EN: 0
; COMPUTE_PGM_RSRC2:TIDIG_COMP_CNT: 0
	.section	.text._ZN2at6native12_GLOBAL__N_125multi_tensor_apply_kernelINS1_18TensorListMetadataILi2EEENS1_14UnaryOpFunctorIN3c107complexIfEELi2ELi1ELi1EEEJNS0_4SqrtIS8_EEEEEvT_T0_DpT1_,"axG",@progbits,_ZN2at6native12_GLOBAL__N_125multi_tensor_apply_kernelINS1_18TensorListMetadataILi2EEENS1_14UnaryOpFunctorIN3c107complexIfEELi2ELi1ELi1EEEJNS0_4SqrtIS8_EEEEEvT_T0_DpT1_,comdat
	.globl	_ZN2at6native12_GLOBAL__N_125multi_tensor_apply_kernelINS1_18TensorListMetadataILi2EEENS1_14UnaryOpFunctorIN3c107complexIfEELi2ELi1ELi1EEEJNS0_4SqrtIS8_EEEEEvT_T0_DpT1_ ; -- Begin function _ZN2at6native12_GLOBAL__N_125multi_tensor_apply_kernelINS1_18TensorListMetadataILi2EEENS1_14UnaryOpFunctorIN3c107complexIfEELi2ELi1ELi1EEEJNS0_4SqrtIS8_EEEEEvT_T0_DpT1_
	.p2align	8
	.type	_ZN2at6native12_GLOBAL__N_125multi_tensor_apply_kernelINS1_18TensorListMetadataILi2EEENS1_14UnaryOpFunctorIN3c107complexIfEELi2ELi1ELi1EEEJNS0_4SqrtIS8_EEEEEvT_T0_DpT1_,@function
_ZN2at6native12_GLOBAL__N_125multi_tensor_apply_kernelINS1_18TensorListMetadataILi2EEENS1_14UnaryOpFunctorIN3c107complexIfEELi2ELi1ELi1EEEJNS0_4SqrtIS8_EEEEEvT_T0_DpT1_: ; @_ZN2at6native12_GLOBAL__N_125multi_tensor_apply_kernelINS1_18TensorListMetadataILi2EEENS1_14UnaryOpFunctorIN3c107complexIfEELi2ELi1ELi1EEEJNS0_4SqrtIS8_EEEEEvT_T0_DpT1_
; %bb.0:
	v_mov_b32_e32 v1, s6
	global_load_ubyte v1, v1, s[4:5] offset:1536
	s_add_u32 s0, s4, s6
	s_mul_hi_u32 s2, s6, 3
	s_mul_i32 s6, s6, 3
	s_addc_u32 s7, s5, 0
	s_add_u32 s6, s0, s6
	s_addc_u32 s7, s7, s2
	s_load_dword s6, s[6:7], 0x740
	s_mov_b32 s1, 0
	s_mov_b32 s3, s1
	s_waitcnt lgkmcnt(0)
	s_ashr_i32 s7, s6, 31
	s_lshl_b64 s[16:17], s[6:7], 19
	s_waitcnt vmcnt(0)
	v_readfirstlane_b32 s0, v1
	s_lshl_b32 s0, s0, 3
	s_load_dwordx2 s[8:9], s[4:5], s0 offset:0x0
	s_load_dwordx2 s[10:11], s[4:5], s0 offset:0x400
	;; [unrolled: 1-line block ×3, first 2 shown]
	s_waitcnt lgkmcnt(0)
	s_add_u32 s12, s8, s16
	s_addc_u32 s13, s9, s17
	s_and_b32 s0, s12, 31
	s_add_u32 s14, s14, s16
	s_addc_u32 s15, s15, s17
	s_lshl_b64 s[6:7], s[6:7], 16
	s_and_b32 s2, s14, 31
	s_sub_u32 s6, s10, s6
	s_subb_u32 s7, s11, s7
	s_and_b32 s8, s10, 3
	s_mov_b32 s9, s1
	s_or_b64 s[2:3], s[2:3], s[8:9]
	s_or_b64 s[0:1], s[2:3], s[0:1]
	s_cmp_eq_u64 s[0:1], 0
	s_mov_b64 s[0:1], -1
	s_cbranch_scc0 .LBB228_125
; %bb.1:
	v_mov_b32_e32 v1, 0x10000
	v_mov_b32_e32 v2, 0
	v_cmp_lt_i64_e32 vcc, s[6:7], v[1:2]
	v_mov_b32_e32 v2, 0
	s_and_b64 s[0:1], vcc, exec
	s_cselect_b32 s9, s7, 0
	s_cselect_b32 s8, s6, 0x10000
	v_lshlrev_b32_e32 v1, 2, v0
	v_cmp_gt_i64_e32 vcc, s[8:9], v[1:2]
	s_and_saveexec_b64 s[10:11], vcc
	s_cbranch_execz .LBB228_124
; %bb.2:
	s_load_dword s0, s[4:5], 0xc5c
	v_mov_b32_e32 v1, v2
	v_mov_b32_e32 v13, v1
	v_lshlrev_b32_e32 v14, 5, v0
	s_mov_b64 s[16:17], 0
	s_waitcnt lgkmcnt(0)
	s_and_b32 s36, s0, 0xffff
	s_mov_b32 s33, 0x7f800000
	s_lshl_b32 s37, s36, 5
	s_mov_b32 s38, 0x7ed413cb
	s_mov_b32 s39, 0x1000000
	;; [unrolled: 1-line block ×3, first 2 shown]
	v_mov_b32_e32 v15, 0x260
	s_brev_b32 s41, -2
	v_mov_b32_e32 v16, 0x7f800000
	s_mov_b64 s[18:19], s[12:13]
	s_mov_b64 s[20:21], s[14:15]
	v_mov_b32_e32 v12, v0
	s_branch .LBB228_6
.LBB228_3:                              ;   in Loop: Header=BB228_6 Depth=1
	s_or_b64 exec, exec, s[0:1]
.LBB228_4:                              ;   in Loop: Header=BB228_6 Depth=1
	s_or_b64 exec, exec, s[24:25]
.LBB228_5:                              ;   in Loop: Header=BB228_6 Depth=1
	s_or_b64 exec, exec, s[22:23]
	v_mov_b32_e32 v6, s21
	v_add_co_u32_e32 v5, vcc, s20, v14
	v_addc_co_u32_e32 v6, vcc, 0, v6, vcc
	v_add_co_u32_e32 v12, vcc, s36, v12
	v_mov_b32_e32 v4, v11
	v_addc_co_u32_e32 v13, vcc, 0, v13, vcc
	global_store_dwordx4 v[5:6], v[1:4], off
	s_add_u32 s20, s20, s37
	v_lshlrev_b64 v[1:2], 2, v[12:13]
	s_addc_u32 s21, s21, 0
	s_add_u32 s18, s18, s37
	v_cmp_le_i64_e32 vcc, s[8:9], v[1:2]
	s_addc_u32 s19, s19, 0
	v_mov_b32_e32 v11, v7
	s_or_b64 s[16:17], vcc, s[16:17]
	global_store_dwordx4 v[5:6], v[8:11], off offset:16
	s_andn2_b64 exec, exec, s[16:17]
	s_cbranch_execz .LBB228_124
.LBB228_6:                              ; =>This Inner Loop Header: Depth=1
	v_mov_b32_e32 v2, s19
	v_add_co_u32_e32 v1, vcc, s18, v14
	v_addc_co_u32_e32 v2, vcc, 0, v2, vcc
	global_load_dwordx4 v[8:11], v[1:2], off
	global_load_dwordx4 v[4:7], v[1:2], off offset:16
	v_mov_b32_e32 v3, 0
	v_mov_b32_e32 v1, 0
	s_waitcnt vmcnt(1)
	v_cmp_neq_f32_e32 vcc, 0, v8
	v_cmp_neq_f32_e64 s[0:1], 0, v9
	s_or_b64 s[0:1], vcc, s[0:1]
	v_mov_b32_e32 v2, v9
	s_and_saveexec_b64 s[22:23], s[0:1]
	s_cbranch_execz .LBB228_35
; %bb.7:                                ;   in Loop: Header=BB228_6 Depth=1
	v_mov_b32_e32 v1, 0x7f800000
	v_cmp_neq_f32_e64 s[0:1], |v9|, v1
	v_mov_b32_e32 v2, v9
	s_and_saveexec_b64 s[24:25], s[0:1]
	s_cbranch_execz .LBB228_34
; %bb.8:                                ;   in Loop: Header=BB228_6 Depth=1
	v_cmp_o_f32_e32 vcc, v8, v8
	s_and_saveexec_b64 s[0:1], vcc
	s_xor_b64 s[26:27], exec, s[0:1]
	s_cbranch_execz .LBB228_31
; %bb.9:                                ;   in Loop: Header=BB228_6 Depth=1
	v_cmp_neq_f32_e64 s[0:1], |v8|, s33
	s_and_saveexec_b64 s[2:3], s[0:1]
	s_xor_b64 s[28:29], exec, s[2:3]
	s_cbranch_execz .LBB228_25
; %bb.10:                               ;   in Loop: Header=BB228_6 Depth=1
	v_max_f32_e64 v1, |v9|, |v9|
	v_max_f32_e64 v2, |v8|, |v8|
	v_max_f32_e32 v1, v2, v1
	v_cmp_nle_f32_e64 s[0:1], s38, v1
                                        ; implicit-def: $sgpr30_sgpr31
                                        ; implicit-def: $vgpr2
                                        ; implicit-def: $vgpr1
	s_and_saveexec_b64 s[2:3], s[0:1]
	s_xor_b64 s[2:3], exec, s[2:3]
	s_cbranch_execz .LBB228_14
; %bb.11:                               ;   in Loop: Header=BB228_6 Depth=1
	v_cmp_le_f32_e64 s[30:31], |v8|, s39
	v_cmp_le_f32_e64 s[34:35], |v9|, s39
	s_and_b64 s[42:43], s[30:31], s[34:35]
	s_mov_b64 s[30:31], 0
	v_mov_b32_e32 v2, v8
	v_mov_b32_e32 v1, v9
	s_and_saveexec_b64 s[34:35], s[42:43]
; %bb.12:                               ;   in Loop: Header=BB228_6 Depth=1
	s_mov_b64 s[30:31], exec
	v_mul_f32_e32 v2, 4.0, v8
	v_mul_f32_e32 v1, 4.0, v9
; %bb.13:                               ;   in Loop: Header=BB228_6 Depth=1
	s_or_b64 exec, exec, s[34:35]
.LBB228_14:                             ;   in Loop: Header=BB228_6 Depth=1
	s_andn2_saveexec_b64 s[2:3], s[2:3]
; %bb.15:                               ;   in Loop: Header=BB228_6 Depth=1
	v_mul_f32_e32 v2, 0x3e800000, v8
	v_mul_f32_e32 v1, 0x3e800000, v9
	s_andn2_b64 s[30:31], s[30:31], exec
; %bb.16:                               ;   in Loop: Header=BB228_6 Depth=1
	s_or_b64 exec, exec, s[2:3]
	v_max_f32_e64 v17, |v1|, |v1|
	v_max_f32_e64 v18, |v2|, |v2|
	v_max_f32_e32 v19, v18, v17
	v_cvt_f64_f32_e32 v[17:18], v19
	v_cmp_neq_f32_e64 s[2:3], s33, v19
	v_cmp_le_f32_e32 vcc, 0, v2
	v_frexp_exp_i32_f64_e32 v17, v[17:18]
	v_sub_u32_e32 v18, 0, v17
	v_ldexp_f32 v20, |v2|, v18
	v_ldexp_f32 v18, |v1|, v18
	v_mul_f32_e32 v18, v18, v18
	v_fmac_f32_e32 v18, v20, v20
	v_sqrt_f32_e32 v18, v18
	v_ldexp_f32 v17, v18, v17
	v_cndmask_b32_e64 v19, v16, v17, s[2:3]
                                        ; implicit-def: $vgpr18
                                        ; implicit-def: $vgpr17
	s_and_saveexec_b64 s[2:3], vcc
	s_xor_b64 s[34:35], exec, s[2:3]
	s_cbranch_execz .LBB228_20
; %bb.17:                               ;   in Loop: Header=BB228_6 Depth=1
	v_add_f32_e32 v2, v2, v19
	v_mul_f32_e32 v2, 0.5, v2
	v_mul_f32_e32 v17, 0x4f800000, v2
	v_cmp_gt_f32_e32 vcc, s40, v2
	v_cndmask_b32_e32 v2, v2, v17, vcc
	v_sqrt_f32_e32 v17, v2
	v_add_u32_e32 v18, -1, v17
	v_fma_f32 v20, -v18, v17, v2
	v_add_u32_e32 v19, 1, v17
	v_cmp_ge_f32_e64 s[2:3], 0, v20
	v_cndmask_b32_e64 v18, v17, v18, s[2:3]
	v_fma_f32 v17, -v19, v17, v2
	v_cmp_lt_f32_e64 s[2:3], 0, v17
	v_cndmask_b32_e64 v17, v18, v19, s[2:3]
	v_mul_f32_e32 v18, 0x37800000, v17
	v_cndmask_b32_e32 v17, v17, v18, vcc
	v_cmp_class_f32_e32 vcc, v2, v15
	v_cndmask_b32_e32 v17, v17, v2, vcc
	v_add_f32_e32 v2, v17, v17
	v_div_scale_f32 v18, s[2:3], v2, v2, v1
	v_div_scale_f32 v19, vcc, v1, v2, v1
	v_rcp_f32_e32 v20, v18
	v_fma_f32 v21, -v18, v20, 1.0
	v_fmac_f32_e32 v20, v21, v20
	v_mul_f32_e32 v21, v19, v20
	v_fma_f32 v22, -v18, v21, v19
	v_fmac_f32_e32 v21, v22, v20
	v_fma_f32 v18, -v18, v21, v19
	v_div_fmas_f32 v18, v18, v20, v21
                                        ; implicit-def: $vgpr19
	v_div_fixup_f32 v18, v18, v2, v1
                                        ; implicit-def: $vgpr2
                                        ; implicit-def: $vgpr1
	s_andn2_saveexec_b64 s[34:35], s[34:35]
	s_cbranch_execnz .LBB228_21
.LBB228_18:                             ;   in Loop: Header=BB228_6 Depth=1
	s_or_b64 exec, exec, s[34:35]
	s_and_saveexec_b64 s[2:3], s[0:1]
	s_xor_b64 s[0:1], exec, s[2:3]
	s_cbranch_execz .LBB228_22
.LBB228_19:                             ;   in Loop: Header=BB228_6 Depth=1
	v_mul_f32_e32 v1, 0.5, v17
	v_mul_f32_e32 v2, 0.5, v18
	v_cndmask_b32_e64 v1, v17, v1, s[30:31]
	v_cndmask_b32_e64 v2, v18, v2, s[30:31]
                                        ; implicit-def: $vgpr17
                                        ; implicit-def: $vgpr18
	s_andn2_saveexec_b64 s[0:1], s[0:1]
	s_cbranch_execnz .LBB228_23
	s_branch .LBB228_24
.LBB228_20:                             ;   in Loop: Header=BB228_6 Depth=1
	s_andn2_saveexec_b64 s[34:35], s[34:35]
	s_cbranch_execz .LBB228_18
.LBB228_21:                             ;   in Loop: Header=BB228_6 Depth=1
	v_sub_f32_e32 v2, v19, v2
	v_mul_f32_e32 v2, 0.5, v2
	v_mul_f32_e32 v17, 0x4f800000, v2
	v_cmp_gt_f32_e32 vcc, s40, v2
	v_cndmask_b32_e32 v2, v2, v17, vcc
	v_sqrt_f32_e32 v17, v2
	v_add_u32_e32 v18, -1, v17
	v_fma_f32 v20, -v18, v17, v2
	v_add_u32_e32 v19, 1, v17
	v_cmp_ge_f32_e64 s[2:3], 0, v20
	v_cndmask_b32_e64 v18, v17, v18, s[2:3]
	v_fma_f32 v17, -v19, v17, v2
	v_cmp_lt_f32_e64 s[2:3], 0, v17
	v_cndmask_b32_e64 v17, v18, v19, s[2:3]
	v_mul_f32_e32 v18, 0x37800000, v17
	v_cndmask_b32_e32 v17, v17, v18, vcc
	v_cmp_class_f32_e32 vcc, v2, v15
	v_cndmask_b32_e32 v2, v17, v2, vcc
	v_add_f32_e32 v17, v2, v2
	v_and_b32_e32 v18, 0x7fffffff, v1
	v_div_scale_f32 v19, s[2:3], v17, v17, v18
	v_div_scale_f32 v18, vcc, v18, v17, v18
	v_rcp_f32_e32 v20, v19
	v_fma_f32 v21, -v19, v20, 1.0
	v_fmac_f32_e32 v20, v21, v20
	v_mul_f32_e32 v21, v18, v20
	v_fma_f32 v22, -v19, v21, v18
	v_fmac_f32_e32 v21, v22, v20
	v_fma_f32 v18, -v19, v21, v18
	v_div_fmas_f32 v18, v18, v20, v21
	v_div_fixup_f32 v17, v18, v17, |v1|
	v_bfi_b32 v18, s41, v2, v1
	s_or_b64 exec, exec, s[34:35]
	s_and_saveexec_b64 s[2:3], s[0:1]
	s_xor_b64 s[0:1], exec, s[2:3]
	s_cbranch_execnz .LBB228_19
.LBB228_22:                             ;   in Loop: Header=BB228_6 Depth=1
	s_andn2_saveexec_b64 s[0:1], s[0:1]
.LBB228_23:                             ;   in Loop: Header=BB228_6 Depth=1
	v_add_f32_e32 v1, v17, v17
	v_add_f32_e32 v2, v18, v18
.LBB228_24:                             ;   in Loop: Header=BB228_6 Depth=1
	s_or_b64 exec, exec, s[0:1]
.LBB228_25:                             ;   in Loop: Header=BB228_6 Depth=1
	s_andn2_saveexec_b64 s[0:1], s[28:29]
	s_cbranch_execz .LBB228_47
; %bb.26:                               ;   in Loop: Header=BB228_6 Depth=1
	v_sub_f32_e32 v2, v9, v9
	v_cmp_lt_i32_e32 vcc, -1, v8
	v_and_b32_e32 v1, 0x7fffffff, v2
	s_and_saveexec_b64 s[2:3], vcc
	s_xor_b64 s[2:3], exec, s[2:3]
; %bb.27:                               ;   in Loop: Header=BB228_6 Depth=1
	v_bfi_b32 v2, s41, v2, v9
	v_mov_b32_e32 v1, v8
; %bb.28:                               ;   in Loop: Header=BB228_6 Depth=1
	s_andn2_saveexec_b64 s[2:3], s[2:3]
; %bb.29:                               ;   in Loop: Header=BB228_6 Depth=1
	v_bfi_b32 v2, s41, v8, v9
; %bb.30:                               ;   in Loop: Header=BB228_6 Depth=1
	s_or_b64 exec, exec, s[2:3]
	s_or_b64 exec, exec, s[0:1]
.LBB228_31:                             ;   in Loop: Header=BB228_6 Depth=1
	s_andn2_saveexec_b64 s[0:1], s[26:27]
	s_cbranch_execz .LBB228_33
.LBB228_32:                             ;   in Loop: Header=BB228_6 Depth=1
	v_sub_f32_e32 v1, v9, v9
	v_div_scale_f32 v2, vcc, v1, v1, v1
	v_rcp_f32_e32 v9, v2
	v_fma_f32 v17, -v2, v9, 1.0
	v_fmac_f32_e32 v9, v17, v9
	v_mul_f32_e32 v17, v2, v9
	v_fma_f32 v18, -v2, v17, v2
	v_fmac_f32_e32 v17, v18, v9
	v_fma_f32 v2, -v2, v17, v2
	v_div_fmas_f32 v2, v2, v9, v17
	v_div_fixup_f32 v2, v2, v1, v1
	v_mov_b32_e32 v1, v8
.LBB228_33:                             ;   in Loop: Header=BB228_6 Depth=1
	s_or_b64 exec, exec, s[0:1]
.LBB228_34:                             ;   in Loop: Header=BB228_6 Depth=1
	s_or_b64 exec, exec, s[24:25]
.LBB228_35:                             ;   in Loop: Header=BB228_6 Depth=1
	s_or_b64 exec, exec, s[22:23]
	v_cmp_neq_f32_e32 vcc, 0, v10
	v_cmp_neq_f32_e64 s[0:1], 0, v11
	s_or_b64 s[0:1], vcc, s[0:1]
	s_and_saveexec_b64 s[22:23], s[0:1]
	s_cbranch_execz .LBB228_66
; %bb.36:                               ;   in Loop: Header=BB228_6 Depth=1
	v_mov_b32_e32 v3, 0x7f800000
	v_cmp_neq_f32_e64 s[0:1], |v11|, v3
	s_and_saveexec_b64 s[24:25], s[0:1]
	s_cbranch_execz .LBB228_65
; %bb.37:                               ;   in Loop: Header=BB228_6 Depth=1
	v_cmp_o_f32_e32 vcc, v10, v10
	s_and_saveexec_b64 s[0:1], vcc
	s_xor_b64 s[26:27], exec, s[0:1]
	s_cbranch_execz .LBB228_62
; %bb.38:                               ;   in Loop: Header=BB228_6 Depth=1
	v_cmp_neq_f32_e64 s[0:1], |v10|, s33
	s_and_saveexec_b64 s[2:3], s[0:1]
	s_xor_b64 s[28:29], exec, s[2:3]
	s_cbranch_execz .LBB228_55
; %bb.39:                               ;   in Loop: Header=BB228_6 Depth=1
	v_max_f32_e64 v3, |v11|, |v11|
	v_max_f32_e64 v8, |v10|, |v10|
	v_max_f32_e32 v3, v8, v3
	v_cmp_nle_f32_e64 s[0:1], s38, v3
                                        ; implicit-def: $sgpr30_sgpr31
	s_and_saveexec_b64 s[2:3], s[0:1]
	s_xor_b64 s[2:3], exec, s[2:3]
	s_cbranch_execz .LBB228_43
; %bb.40:                               ;   in Loop: Header=BB228_6 Depth=1
	v_cmp_le_f32_e64 s[30:31], |v10|, s39
	v_cmp_le_f32_e64 s[34:35], |v11|, s39
	s_and_b64 s[42:43], s[30:31], s[34:35]
	s_mov_b64 s[30:31], 0
	s_and_saveexec_b64 s[34:35], s[42:43]
; %bb.41:                               ;   in Loop: Header=BB228_6 Depth=1
	s_mov_b64 s[30:31], exec
	v_mul_f32_e32 v10, 4.0, v10
	v_mul_f32_e32 v11, 4.0, v11
; %bb.42:                               ;   in Loop: Header=BB228_6 Depth=1
	s_or_b64 exec, exec, s[34:35]
.LBB228_43:                             ;   in Loop: Header=BB228_6 Depth=1
	s_andn2_saveexec_b64 s[2:3], s[2:3]
; %bb.44:                               ;   in Loop: Header=BB228_6 Depth=1
	v_mul_f32_e32 v10, 0x3e800000, v10
	v_mul_f32_e32 v11, 0x3e800000, v11
	s_andn2_b64 s[30:31], s[30:31], exec
; %bb.45:                               ;   in Loop: Header=BB228_6 Depth=1
	s_or_b64 exec, exec, s[2:3]
	v_max_f32_e64 v3, |v11|, |v11|
	v_max_f32_e64 v8, |v10|, |v10|
	v_max_f32_e32 v3, v8, v3
	v_cvt_f64_f32_e32 v[8:9], v3
	v_cmp_neq_f32_e64 s[2:3], s33, v3
	v_cmp_le_f32_e32 vcc, 0, v10
	v_frexp_exp_i32_f64_e32 v8, v[8:9]
	v_sub_u32_e32 v9, 0, v8
	v_ldexp_f32 v17, |v10|, v9
	v_ldexp_f32 v9, |v11|, v9
	v_mul_f32_e32 v9, v9, v9
	v_fmac_f32_e32 v9, v17, v17
	v_sqrt_f32_e32 v9, v9
	v_ldexp_f32 v8, v9, v8
	v_cndmask_b32_e64 v3, v16, v8, s[2:3]
                                        ; implicit-def: $vgpr9
                                        ; implicit-def: $vgpr8
	s_and_saveexec_b64 s[2:3], vcc
	s_xor_b64 s[34:35], exec, s[2:3]
	s_cbranch_execz .LBB228_48
; %bb.46:                               ;   in Loop: Header=BB228_6 Depth=1
	v_add_f32_e32 v3, v10, v3
	v_mul_f32_e32 v3, 0.5, v3
	v_mul_f32_e32 v8, 0x4f800000, v3
	v_cmp_gt_f32_e32 vcc, s40, v3
	v_cndmask_b32_e32 v3, v3, v8, vcc
	v_sqrt_f32_e32 v8, v3
	v_add_u32_e32 v9, -1, v8
	v_fma_f32 v17, -v9, v8, v3
	v_add_u32_e32 v10, 1, v8
	v_cmp_ge_f32_e64 s[2:3], 0, v17
	v_cndmask_b32_e64 v9, v8, v9, s[2:3]
	v_fma_f32 v8, -v10, v8, v3
	v_cmp_lt_f32_e64 s[2:3], 0, v8
	v_cndmask_b32_e64 v8, v9, v10, s[2:3]
	v_mul_f32_e32 v9, 0x37800000, v8
	v_cndmask_b32_e32 v8, v8, v9, vcc
	v_cmp_class_f32_e32 vcc, v3, v15
	v_cndmask_b32_e32 v8, v8, v3, vcc
	v_add_f32_e32 v3, v8, v8
	v_div_scale_f32 v9, s[2:3], v3, v3, v11
	v_div_scale_f32 v10, vcc, v11, v3, v11
	v_rcp_f32_e32 v17, v9
	v_fma_f32 v18, -v9, v17, 1.0
	v_fmac_f32_e32 v17, v18, v17
	v_mul_f32_e32 v18, v10, v17
	v_fma_f32 v19, -v9, v18, v10
	v_fmac_f32_e32 v18, v19, v17
	v_fma_f32 v9, -v9, v18, v10
	v_div_fmas_f32 v9, v9, v17, v18
	v_div_fixup_f32 v9, v9, v3, v11
                                        ; implicit-def: $vgpr3
                                        ; implicit-def: $vgpr10
	s_andn2_saveexec_b64 s[34:35], s[34:35]
	s_cbranch_execz .LBB228_50
	s_branch .LBB228_49
.LBB228_47:                             ;   in Loop: Header=BB228_6 Depth=1
	s_or_b64 exec, exec, s[0:1]
	s_andn2_saveexec_b64 s[0:1], s[26:27]
	s_cbranch_execnz .LBB228_32
	s_branch .LBB228_33
.LBB228_48:                             ;   in Loop: Header=BB228_6 Depth=1
	s_andn2_saveexec_b64 s[34:35], s[34:35]
	s_cbranch_execz .LBB228_50
.LBB228_49:                             ;   in Loop: Header=BB228_6 Depth=1
	v_sub_f32_e32 v3, v3, v10
	v_mul_f32_e32 v3, 0.5, v3
	v_mul_f32_e32 v8, 0x4f800000, v3
	v_cmp_gt_f32_e32 vcc, s40, v3
	v_cndmask_b32_e32 v3, v3, v8, vcc
	v_sqrt_f32_e32 v8, v3
	v_add_u32_e32 v9, -1, v8
	v_fma_f32 v17, -v9, v8, v3
	v_add_u32_e32 v10, 1, v8
	v_cmp_ge_f32_e64 s[2:3], 0, v17
	v_cndmask_b32_e64 v9, v8, v9, s[2:3]
	v_fma_f32 v8, -v10, v8, v3
	v_cmp_lt_f32_e64 s[2:3], 0, v8
	v_cndmask_b32_e64 v8, v9, v10, s[2:3]
	v_mul_f32_e32 v9, 0x37800000, v8
	v_cndmask_b32_e32 v8, v8, v9, vcc
	v_cmp_class_f32_e32 vcc, v3, v15
	v_cndmask_b32_e32 v3, v8, v3, vcc
	v_add_f32_e32 v8, v3, v3
	v_and_b32_e32 v9, 0x7fffffff, v11
	v_div_scale_f32 v10, s[2:3], v8, v8, v9
	v_div_scale_f32 v9, vcc, v9, v8, v9
	v_rcp_f32_e32 v17, v10
	v_fma_f32 v18, -v10, v17, 1.0
	v_fmac_f32_e32 v17, v18, v17
	v_mul_f32_e32 v18, v9, v17
	v_fma_f32 v19, -v10, v18, v9
	v_fmac_f32_e32 v18, v19, v17
	v_fma_f32 v9, -v10, v18, v9
	v_div_fmas_f32 v9, v9, v17, v18
	v_div_fixup_f32 v8, v9, v8, |v11|
	v_bfi_b32 v9, s41, v3, v11
.LBB228_50:                             ;   in Loop: Header=BB228_6 Depth=1
	s_or_b64 exec, exec, s[34:35]
                                        ; implicit-def: $vgpr11
	s_and_saveexec_b64 s[2:3], s[0:1]
	s_xor_b64 s[0:1], exec, s[2:3]
	s_cbranch_execz .LBB228_52
; %bb.51:                               ;   in Loop: Header=BB228_6 Depth=1
	v_mul_f32_e32 v3, 0.5, v8
	v_mul_f32_e32 v10, 0.5, v9
	v_cndmask_b32_e64 v3, v8, v3, s[30:31]
	v_cndmask_b32_e64 v11, v9, v10, s[30:31]
                                        ; implicit-def: $vgpr8
                                        ; implicit-def: $vgpr9
	s_andn2_saveexec_b64 s[0:1], s[0:1]
	s_cbranch_execnz .LBB228_53
	s_branch .LBB228_54
.LBB228_52:                             ;   in Loop: Header=BB228_6 Depth=1
	s_andn2_saveexec_b64 s[0:1], s[0:1]
.LBB228_53:                             ;   in Loop: Header=BB228_6 Depth=1
	v_add_f32_e32 v3, v8, v8
	v_add_f32_e32 v11, v9, v9
.LBB228_54:                             ;   in Loop: Header=BB228_6 Depth=1
	s_or_b64 exec, exec, s[0:1]
.LBB228_55:                             ;   in Loop: Header=BB228_6 Depth=1
	s_andn2_saveexec_b64 s[0:1], s[28:29]
	s_cbranch_execz .LBB228_61
; %bb.56:                               ;   in Loop: Header=BB228_6 Depth=1
	v_sub_f32_e32 v8, v11, v11
	v_cmp_lt_i32_e32 vcc, -1, v10
	v_and_b32_e32 v3, 0x7fffffff, v8
	s_and_saveexec_b64 s[2:3], vcc
	s_xor_b64 s[2:3], exec, s[2:3]
; %bb.57:                               ;   in Loop: Header=BB228_6 Depth=1
	v_bfi_b32 v11, s41, v8, v11
	v_mov_b32_e32 v3, v10
; %bb.58:                               ;   in Loop: Header=BB228_6 Depth=1
	s_andn2_saveexec_b64 s[2:3], s[2:3]
; %bb.59:                               ;   in Loop: Header=BB228_6 Depth=1
	v_bfi_b32 v11, s41, v10, v11
; %bb.60:                               ;   in Loop: Header=BB228_6 Depth=1
	s_or_b64 exec, exec, s[2:3]
.LBB228_61:                             ;   in Loop: Header=BB228_6 Depth=1
	s_or_b64 exec, exec, s[0:1]
.LBB228_62:                             ;   in Loop: Header=BB228_6 Depth=1
	s_andn2_saveexec_b64 s[0:1], s[26:27]
	s_cbranch_execz .LBB228_64
; %bb.63:                               ;   in Loop: Header=BB228_6 Depth=1
	v_sub_f32_e32 v3, v11, v11
	v_div_scale_f32 v8, vcc, v3, v3, v3
	v_rcp_f32_e32 v9, v8
	v_fma_f32 v11, -v8, v9, 1.0
	v_fmac_f32_e32 v9, v11, v9
	v_mul_f32_e32 v11, v8, v9
	v_fma_f32 v17, -v8, v11, v8
	v_fmac_f32_e32 v11, v17, v9
	v_fma_f32 v8, -v8, v11, v8
	v_div_fmas_f32 v8, v8, v9, v11
	v_div_fixup_f32 v11, v8, v3, v3
	v_mov_b32_e32 v3, v10
.LBB228_64:                             ;   in Loop: Header=BB228_6 Depth=1
	s_or_b64 exec, exec, s[0:1]
.LBB228_65:                             ;   in Loop: Header=BB228_6 Depth=1
	s_or_b64 exec, exec, s[24:25]
.LBB228_66:                             ;   in Loop: Header=BB228_6 Depth=1
	s_or_b64 exec, exec, s[22:23]
	s_waitcnt vmcnt(0)
	v_cmp_neq_f32_e32 vcc, 0, v4
	v_cmp_neq_f32_e64 s[0:1], 0, v5
	v_mov_b32_e32 v10, 0
	s_or_b64 s[0:1], vcc, s[0:1]
	v_mov_b32_e32 v8, 0
	v_mov_b32_e32 v9, v5
	s_and_saveexec_b64 s[22:23], s[0:1]
	s_cbranch_execz .LBB228_96
; %bb.67:                               ;   in Loop: Header=BB228_6 Depth=1
	v_mov_b32_e32 v8, 0x7f800000
	v_cmp_neq_f32_e64 s[0:1], |v5|, v8
	v_mov_b32_e32 v9, v5
	s_and_saveexec_b64 s[24:25], s[0:1]
	s_cbranch_execz .LBB228_95
; %bb.68:                               ;   in Loop: Header=BB228_6 Depth=1
	v_cmp_o_f32_e32 vcc, v4, v4
	s_and_saveexec_b64 s[0:1], vcc
	s_xor_b64 s[26:27], exec, s[0:1]
	s_cbranch_execz .LBB228_92
; %bb.69:                               ;   in Loop: Header=BB228_6 Depth=1
	v_cmp_neq_f32_e64 s[0:1], |v4|, s33
	s_and_saveexec_b64 s[2:3], s[0:1]
	s_xor_b64 s[28:29], exec, s[2:3]
	s_cbranch_execz .LBB228_85
; %bb.70:                               ;   in Loop: Header=BB228_6 Depth=1
	v_max_f32_e64 v8, |v5|, |v5|
	v_max_f32_e64 v9, |v4|, |v4|
	v_max_f32_e32 v8, v9, v8
	v_cmp_nle_f32_e64 s[0:1], s38, v8
                                        ; implicit-def: $sgpr30_sgpr31
                                        ; implicit-def: $vgpr9
                                        ; implicit-def: $vgpr8
	s_and_saveexec_b64 s[2:3], s[0:1]
	s_xor_b64 s[2:3], exec, s[2:3]
	s_cbranch_execz .LBB228_74
; %bb.71:                               ;   in Loop: Header=BB228_6 Depth=1
	v_cmp_le_f32_e64 s[30:31], |v4|, s39
	v_cmp_le_f32_e64 s[34:35], |v5|, s39
	s_and_b64 s[42:43], s[30:31], s[34:35]
	s_mov_b64 s[30:31], 0
	v_mov_b32_e32 v9, v4
	v_mov_b32_e32 v8, v5
	s_and_saveexec_b64 s[34:35], s[42:43]
; %bb.72:                               ;   in Loop: Header=BB228_6 Depth=1
	s_mov_b64 s[30:31], exec
	v_mul_f32_e32 v9, 4.0, v4
	v_mul_f32_e32 v8, 4.0, v5
; %bb.73:                               ;   in Loop: Header=BB228_6 Depth=1
	s_or_b64 exec, exec, s[34:35]
.LBB228_74:                             ;   in Loop: Header=BB228_6 Depth=1
	s_andn2_saveexec_b64 s[2:3], s[2:3]
; %bb.75:                               ;   in Loop: Header=BB228_6 Depth=1
	v_mul_f32_e32 v9, 0x3e800000, v4
	v_mul_f32_e32 v8, 0x3e800000, v5
	s_andn2_b64 s[30:31], s[30:31], exec
; %bb.76:                               ;   in Loop: Header=BB228_6 Depth=1
	s_or_b64 exec, exec, s[2:3]
	v_max_f32_e64 v17, |v8|, |v8|
	v_max_f32_e64 v18, |v9|, |v9|
	v_max_f32_e32 v19, v18, v17
	v_cvt_f64_f32_e32 v[17:18], v19
	v_cmp_neq_f32_e64 s[2:3], s33, v19
	v_cmp_le_f32_e32 vcc, 0, v9
	v_frexp_exp_i32_f64_e32 v17, v[17:18]
	v_sub_u32_e32 v18, 0, v17
	v_ldexp_f32 v20, |v9|, v18
	v_ldexp_f32 v18, |v8|, v18
	v_mul_f32_e32 v18, v18, v18
	v_fmac_f32_e32 v18, v20, v20
	v_sqrt_f32_e32 v18, v18
	v_ldexp_f32 v17, v18, v17
	v_cndmask_b32_e64 v19, v16, v17, s[2:3]
                                        ; implicit-def: $vgpr18
                                        ; implicit-def: $vgpr17
	s_and_saveexec_b64 s[2:3], vcc
	s_xor_b64 s[34:35], exec, s[2:3]
	s_cbranch_execz .LBB228_80
; %bb.77:                               ;   in Loop: Header=BB228_6 Depth=1
	v_add_f32_e32 v9, v9, v19
	v_mul_f32_e32 v9, 0.5, v9
	v_mul_f32_e32 v17, 0x4f800000, v9
	v_cmp_gt_f32_e32 vcc, s40, v9
	v_cndmask_b32_e32 v9, v9, v17, vcc
	v_sqrt_f32_e32 v17, v9
	v_add_u32_e32 v18, -1, v17
	v_fma_f32 v20, -v18, v17, v9
	v_add_u32_e32 v19, 1, v17
	v_cmp_ge_f32_e64 s[2:3], 0, v20
	v_cndmask_b32_e64 v18, v17, v18, s[2:3]
	v_fma_f32 v17, -v19, v17, v9
	v_cmp_lt_f32_e64 s[2:3], 0, v17
	v_cndmask_b32_e64 v17, v18, v19, s[2:3]
	v_mul_f32_e32 v18, 0x37800000, v17
	v_cndmask_b32_e32 v17, v17, v18, vcc
	v_cmp_class_f32_e32 vcc, v9, v15
	v_cndmask_b32_e32 v17, v17, v9, vcc
	v_add_f32_e32 v9, v17, v17
	v_div_scale_f32 v18, s[2:3], v9, v9, v8
	v_div_scale_f32 v19, vcc, v8, v9, v8
	v_rcp_f32_e32 v20, v18
	v_fma_f32 v21, -v18, v20, 1.0
	v_fmac_f32_e32 v20, v21, v20
	v_mul_f32_e32 v21, v19, v20
	v_fma_f32 v22, -v18, v21, v19
	v_fmac_f32_e32 v21, v22, v20
	v_fma_f32 v18, -v18, v21, v19
	v_div_fmas_f32 v18, v18, v20, v21
                                        ; implicit-def: $vgpr19
	v_div_fixup_f32 v18, v18, v9, v8
                                        ; implicit-def: $vgpr9
                                        ; implicit-def: $vgpr8
	s_andn2_saveexec_b64 s[34:35], s[34:35]
	s_cbranch_execnz .LBB228_81
.LBB228_78:                             ;   in Loop: Header=BB228_6 Depth=1
	s_or_b64 exec, exec, s[34:35]
	s_and_saveexec_b64 s[2:3], s[0:1]
	s_xor_b64 s[0:1], exec, s[2:3]
	s_cbranch_execz .LBB228_82
.LBB228_79:                             ;   in Loop: Header=BB228_6 Depth=1
	v_mul_f32_e32 v8, 0.5, v17
	v_mul_f32_e32 v9, 0.5, v18
	v_cndmask_b32_e64 v8, v17, v8, s[30:31]
	v_cndmask_b32_e64 v9, v18, v9, s[30:31]
                                        ; implicit-def: $vgpr17
                                        ; implicit-def: $vgpr18
	s_andn2_saveexec_b64 s[0:1], s[0:1]
	s_cbranch_execnz .LBB228_83
	s_branch .LBB228_84
.LBB228_80:                             ;   in Loop: Header=BB228_6 Depth=1
	s_andn2_saveexec_b64 s[34:35], s[34:35]
	s_cbranch_execz .LBB228_78
.LBB228_81:                             ;   in Loop: Header=BB228_6 Depth=1
	v_sub_f32_e32 v9, v19, v9
	v_mul_f32_e32 v9, 0.5, v9
	v_mul_f32_e32 v17, 0x4f800000, v9
	v_cmp_gt_f32_e32 vcc, s40, v9
	v_cndmask_b32_e32 v9, v9, v17, vcc
	v_sqrt_f32_e32 v17, v9
	v_add_u32_e32 v18, -1, v17
	v_fma_f32 v20, -v18, v17, v9
	v_add_u32_e32 v19, 1, v17
	v_cmp_ge_f32_e64 s[2:3], 0, v20
	v_cndmask_b32_e64 v18, v17, v18, s[2:3]
	v_fma_f32 v17, -v19, v17, v9
	v_cmp_lt_f32_e64 s[2:3], 0, v17
	v_cndmask_b32_e64 v17, v18, v19, s[2:3]
	v_mul_f32_e32 v18, 0x37800000, v17
	v_cndmask_b32_e32 v17, v17, v18, vcc
	v_cmp_class_f32_e32 vcc, v9, v15
	v_cndmask_b32_e32 v9, v17, v9, vcc
	v_add_f32_e32 v17, v9, v9
	v_and_b32_e32 v18, 0x7fffffff, v8
	v_div_scale_f32 v19, s[2:3], v17, v17, v18
	v_div_scale_f32 v18, vcc, v18, v17, v18
	v_rcp_f32_e32 v20, v19
	v_fma_f32 v21, -v19, v20, 1.0
	v_fmac_f32_e32 v20, v21, v20
	v_mul_f32_e32 v21, v18, v20
	v_fma_f32 v22, -v19, v21, v18
	v_fmac_f32_e32 v21, v22, v20
	v_fma_f32 v18, -v19, v21, v18
	v_div_fmas_f32 v18, v18, v20, v21
	v_div_fixup_f32 v17, v18, v17, |v8|
	v_bfi_b32 v18, s41, v9, v8
	s_or_b64 exec, exec, s[34:35]
	s_and_saveexec_b64 s[2:3], s[0:1]
	s_xor_b64 s[0:1], exec, s[2:3]
	s_cbranch_execnz .LBB228_79
.LBB228_82:                             ;   in Loop: Header=BB228_6 Depth=1
	s_andn2_saveexec_b64 s[0:1], s[0:1]
.LBB228_83:                             ;   in Loop: Header=BB228_6 Depth=1
	v_add_f32_e32 v8, v17, v17
	v_add_f32_e32 v9, v18, v18
.LBB228_84:                             ;   in Loop: Header=BB228_6 Depth=1
	s_or_b64 exec, exec, s[0:1]
.LBB228_85:                             ;   in Loop: Header=BB228_6 Depth=1
	s_andn2_saveexec_b64 s[0:1], s[28:29]
	s_cbranch_execz .LBB228_91
; %bb.86:                               ;   in Loop: Header=BB228_6 Depth=1
	v_sub_f32_e32 v9, v5, v5
	v_cmp_lt_i32_e32 vcc, -1, v4
	v_and_b32_e32 v8, 0x7fffffff, v9
	s_and_saveexec_b64 s[2:3], vcc
	s_xor_b64 s[2:3], exec, s[2:3]
; %bb.87:                               ;   in Loop: Header=BB228_6 Depth=1
	v_bfi_b32 v9, s41, v9, v5
	v_mov_b32_e32 v8, v4
; %bb.88:                               ;   in Loop: Header=BB228_6 Depth=1
	s_andn2_saveexec_b64 s[2:3], s[2:3]
; %bb.89:                               ;   in Loop: Header=BB228_6 Depth=1
	v_bfi_b32 v9, s41, v4, v5
; %bb.90:                               ;   in Loop: Header=BB228_6 Depth=1
	s_or_b64 exec, exec, s[2:3]
.LBB228_91:                             ;   in Loop: Header=BB228_6 Depth=1
	s_or_b64 exec, exec, s[0:1]
.LBB228_92:                             ;   in Loop: Header=BB228_6 Depth=1
	s_andn2_saveexec_b64 s[0:1], s[26:27]
	s_cbranch_execz .LBB228_94
; %bb.93:                               ;   in Loop: Header=BB228_6 Depth=1
	v_sub_f32_e32 v5, v5, v5
	v_div_scale_f32 v8, vcc, v5, v5, v5
	v_rcp_f32_e32 v9, v8
	v_fma_f32 v17, -v8, v9, 1.0
	v_fmac_f32_e32 v9, v17, v9
	v_mul_f32_e32 v17, v8, v9
	v_fma_f32 v18, -v8, v17, v8
	v_fmac_f32_e32 v17, v18, v9
	v_fma_f32 v8, -v8, v17, v8
	v_div_fmas_f32 v8, v8, v9, v17
	v_div_fixup_f32 v9, v8, v5, v5
	v_mov_b32_e32 v8, v4
.LBB228_94:                             ;   in Loop: Header=BB228_6 Depth=1
	s_or_b64 exec, exec, s[0:1]
.LBB228_95:                             ;   in Loop: Header=BB228_6 Depth=1
	s_or_b64 exec, exec, s[24:25]
.LBB228_96:                             ;   in Loop: Header=BB228_6 Depth=1
	s_or_b64 exec, exec, s[22:23]
	v_cmp_neq_f32_e32 vcc, 0, v6
	v_cmp_neq_f32_e64 s[0:1], 0, v7
	s_or_b64 s[0:1], vcc, s[0:1]
	s_and_saveexec_b64 s[22:23], s[0:1]
	s_cbranch_execz .LBB228_5
; %bb.97:                               ;   in Loop: Header=BB228_6 Depth=1
	v_mov_b32_e32 v10, 0x7f800000
	v_cmp_neq_f32_e64 s[0:1], |v7|, v10
	s_and_saveexec_b64 s[24:25], s[0:1]
	s_cbranch_execz .LBB228_4
; %bb.98:                               ;   in Loop: Header=BB228_6 Depth=1
	v_cmp_o_f32_e32 vcc, v6, v6
	s_and_saveexec_b64 s[0:1], vcc
	s_xor_b64 s[26:27], exec, s[0:1]
	s_cbranch_execz .LBB228_122
; %bb.99:                               ;   in Loop: Header=BB228_6 Depth=1
	v_cmp_neq_f32_e64 s[0:1], |v6|, s33
	s_and_saveexec_b64 s[2:3], s[0:1]
	s_xor_b64 s[28:29], exec, s[2:3]
	s_cbranch_execz .LBB228_115
; %bb.100:                              ;   in Loop: Header=BB228_6 Depth=1
	v_max_f32_e64 v4, |v7|, |v7|
	v_max_f32_e64 v5, |v6|, |v6|
	v_max_f32_e32 v4, v5, v4
	v_cmp_nle_f32_e64 s[0:1], s38, v4
                                        ; implicit-def: $sgpr30_sgpr31
	s_and_saveexec_b64 s[2:3], s[0:1]
	s_xor_b64 s[2:3], exec, s[2:3]
	s_cbranch_execz .LBB228_104
; %bb.101:                              ;   in Loop: Header=BB228_6 Depth=1
	v_cmp_le_f32_e64 s[30:31], |v6|, s39
	v_cmp_le_f32_e64 s[34:35], |v7|, s39
	s_and_b64 s[42:43], s[30:31], s[34:35]
	s_mov_b64 s[30:31], 0
	s_and_saveexec_b64 s[34:35], s[42:43]
; %bb.102:                              ;   in Loop: Header=BB228_6 Depth=1
	s_mov_b64 s[30:31], exec
	v_mul_f32_e32 v6, 4.0, v6
	v_mul_f32_e32 v7, 4.0, v7
; %bb.103:                              ;   in Loop: Header=BB228_6 Depth=1
	s_or_b64 exec, exec, s[34:35]
.LBB228_104:                            ;   in Loop: Header=BB228_6 Depth=1
	s_andn2_saveexec_b64 s[2:3], s[2:3]
; %bb.105:                              ;   in Loop: Header=BB228_6 Depth=1
	v_mul_f32_e32 v6, 0x3e800000, v6
	v_mul_f32_e32 v7, 0x3e800000, v7
	s_andn2_b64 s[30:31], s[30:31], exec
; %bb.106:                              ;   in Loop: Header=BB228_6 Depth=1
	s_or_b64 exec, exec, s[2:3]
	v_max_f32_e64 v4, |v7|, |v7|
	v_max_f32_e64 v5, |v6|, |v6|
	v_max_f32_e32 v10, v5, v4
	v_cvt_f64_f32_e32 v[4:5], v10
	v_cmp_neq_f32_e64 s[2:3], s33, v10
	v_cmp_le_f32_e32 vcc, 0, v6
	v_frexp_exp_i32_f64_e32 v4, v[4:5]
	v_sub_u32_e32 v5, 0, v4
	v_ldexp_f32 v17, |v6|, v5
	v_ldexp_f32 v5, |v7|, v5
	v_mul_f32_e32 v5, v5, v5
	v_fmac_f32_e32 v5, v17, v17
	v_sqrt_f32_e32 v5, v5
	v_ldexp_f32 v4, v5, v4
	v_cndmask_b32_e64 v10, v16, v4, s[2:3]
                                        ; implicit-def: $vgpr5
                                        ; implicit-def: $vgpr4
	s_and_saveexec_b64 s[2:3], vcc
	s_xor_b64 s[34:35], exec, s[2:3]
	s_cbranch_execz .LBB228_108
; %bb.107:                              ;   in Loop: Header=BB228_6 Depth=1
	v_add_f32_e32 v4, v6, v10
	v_mul_f32_e32 v4, 0.5, v4
	v_mul_f32_e32 v5, 0x4f800000, v4
	v_cmp_gt_f32_e32 vcc, s40, v4
	v_cndmask_b32_e32 v4, v4, v5, vcc
	v_sqrt_f32_e32 v5, v4
	v_add_u32_e32 v6, -1, v5
	v_fma_f32 v17, -v6, v5, v4
	v_add_u32_e32 v10, 1, v5
	v_cmp_ge_f32_e64 s[2:3], 0, v17
	v_cndmask_b32_e64 v6, v5, v6, s[2:3]
	v_fma_f32 v5, -v10, v5, v4
	v_cmp_lt_f32_e64 s[2:3], 0, v5
	v_cndmask_b32_e64 v5, v6, v10, s[2:3]
	v_mul_f32_e32 v6, 0x37800000, v5
	v_cndmask_b32_e32 v5, v5, v6, vcc
	v_cmp_class_f32_e32 vcc, v4, v15
	v_cndmask_b32_e32 v4, v5, v4, vcc
	v_add_f32_e32 v5, v4, v4
	v_div_scale_f32 v6, s[2:3], v5, v5, v7
	v_div_scale_f32 v10, vcc, v7, v5, v7
	v_rcp_f32_e32 v17, v6
	v_fma_f32 v18, -v6, v17, 1.0
	v_fmac_f32_e32 v17, v18, v17
	v_mul_f32_e32 v18, v10, v17
	v_fma_f32 v19, -v6, v18, v10
	v_fmac_f32_e32 v18, v19, v17
	v_fma_f32 v6, -v6, v18, v10
	v_div_fmas_f32 v6, v6, v17, v18
                                        ; implicit-def: $vgpr10
	v_div_fixup_f32 v5, v6, v5, v7
                                        ; implicit-def: $vgpr6
	s_andn2_saveexec_b64 s[34:35], s[34:35]
	s_cbranch_execz .LBB228_110
	s_branch .LBB228_109
.LBB228_108:                            ;   in Loop: Header=BB228_6 Depth=1
	s_andn2_saveexec_b64 s[34:35], s[34:35]
	s_cbranch_execz .LBB228_110
.LBB228_109:                            ;   in Loop: Header=BB228_6 Depth=1
	v_sub_f32_e32 v4, v10, v6
	v_mul_f32_e32 v4, 0.5, v4
	v_mul_f32_e32 v5, 0x4f800000, v4
	v_cmp_gt_f32_e32 vcc, s40, v4
	v_cndmask_b32_e32 v4, v4, v5, vcc
	v_sqrt_f32_e32 v5, v4
	v_add_u32_e32 v6, -1, v5
	v_fma_f32 v17, -v6, v5, v4
	v_add_u32_e32 v10, 1, v5
	v_cmp_ge_f32_e64 s[2:3], 0, v17
	v_cndmask_b32_e64 v6, v5, v6, s[2:3]
	v_fma_f32 v5, -v10, v5, v4
	v_cmp_lt_f32_e64 s[2:3], 0, v5
	v_cndmask_b32_e64 v5, v6, v10, s[2:3]
	v_mul_f32_e32 v6, 0x37800000, v5
	v_cndmask_b32_e32 v5, v5, v6, vcc
	v_cmp_class_f32_e32 vcc, v4, v15
	v_cndmask_b32_e32 v5, v5, v4, vcc
	v_add_f32_e32 v4, v5, v5
	v_and_b32_e32 v6, 0x7fffffff, v7
	v_div_scale_f32 v10, s[2:3], v4, v4, v6
	v_div_scale_f32 v6, vcc, v6, v4, v6
	v_bfi_b32 v5, s41, v5, v7
	v_rcp_f32_e32 v17, v10
	v_fma_f32 v18, -v10, v17, 1.0
	v_fmac_f32_e32 v17, v18, v17
	v_mul_f32_e32 v18, v6, v17
	v_fma_f32 v19, -v10, v18, v6
	v_fmac_f32_e32 v18, v19, v17
	v_fma_f32 v6, -v10, v18, v6
	v_div_fmas_f32 v6, v6, v17, v18
	v_div_fixup_f32 v4, v6, v4, |v7|
.LBB228_110:                            ;   in Loop: Header=BB228_6 Depth=1
	s_or_b64 exec, exec, s[34:35]
                                        ; implicit-def: $vgpr7
	s_and_saveexec_b64 s[2:3], s[0:1]
	s_xor_b64 s[0:1], exec, s[2:3]
	s_cbranch_execz .LBB228_112
; %bb.111:                              ;   in Loop: Header=BB228_6 Depth=1
	v_mul_f32_e32 v6, 0.5, v4
	v_mul_f32_e32 v7, 0.5, v5
	v_cndmask_b32_e64 v10, v4, v6, s[30:31]
	v_cndmask_b32_e64 v7, v5, v7, s[30:31]
                                        ; implicit-def: $vgpr4
                                        ; implicit-def: $vgpr5
	s_andn2_saveexec_b64 s[0:1], s[0:1]
	s_cbranch_execnz .LBB228_113
	s_branch .LBB228_114
.LBB228_112:                            ;   in Loop: Header=BB228_6 Depth=1
	s_andn2_saveexec_b64 s[0:1], s[0:1]
.LBB228_113:                            ;   in Loop: Header=BB228_6 Depth=1
	v_add_f32_e32 v10, v4, v4
	v_add_f32_e32 v7, v5, v5
.LBB228_114:                            ;   in Loop: Header=BB228_6 Depth=1
	s_or_b64 exec, exec, s[0:1]
.LBB228_115:                            ;   in Loop: Header=BB228_6 Depth=1
	s_andn2_saveexec_b64 s[0:1], s[28:29]
	s_cbranch_execz .LBB228_121
; %bb.116:                              ;   in Loop: Header=BB228_6 Depth=1
	v_sub_f32_e32 v4, v7, v7
	v_cmp_lt_i32_e32 vcc, -1, v6
	v_and_b32_e32 v10, 0x7fffffff, v4
	s_and_saveexec_b64 s[2:3], vcc
	s_xor_b64 s[2:3], exec, s[2:3]
; %bb.117:                              ;   in Loop: Header=BB228_6 Depth=1
	v_bfi_b32 v7, s41, v4, v7
	v_mov_b32_e32 v10, v6
; %bb.118:                              ;   in Loop: Header=BB228_6 Depth=1
	s_andn2_saveexec_b64 s[2:3], s[2:3]
; %bb.119:                              ;   in Loop: Header=BB228_6 Depth=1
	v_bfi_b32 v7, s41, v6, v7
; %bb.120:                              ;   in Loop: Header=BB228_6 Depth=1
	s_or_b64 exec, exec, s[2:3]
.LBB228_121:                            ;   in Loop: Header=BB228_6 Depth=1
	s_or_b64 exec, exec, s[0:1]
.LBB228_122:                            ;   in Loop: Header=BB228_6 Depth=1
	s_andn2_saveexec_b64 s[0:1], s[26:27]
	s_cbranch_execz .LBB228_3
; %bb.123:                              ;   in Loop: Header=BB228_6 Depth=1
	v_sub_f32_e32 v4, v7, v7
	v_div_scale_f32 v5, vcc, v4, v4, v4
	v_rcp_f32_e32 v7, v5
	v_fma_f32 v10, -v5, v7, 1.0
	v_fmac_f32_e32 v7, v10, v7
	v_mul_f32_e32 v10, v5, v7
	v_fma_f32 v17, -v5, v10, v5
	v_fmac_f32_e32 v10, v17, v7
	v_fma_f32 v5, -v5, v10, v5
	v_div_fmas_f32 v5, v5, v7, v10
	v_mov_b32_e32 v10, v6
	v_div_fixup_f32 v7, v5, v4, v4
	s_branch .LBB228_3
.LBB228_124:
	s_or_b64 exec, exec, s[10:11]
	s_mov_b64 s[0:1], 0
.LBB228_125:
	s_andn2_b64 vcc, exec, s[0:1]
	s_cbranch_vccnz .LBB228_265
; %bb.126:
	v_cmp_lt_i64_e64 s[0:1], s[6:7], 1
	s_and_b64 vcc, exec, s[0:1]
	s_cbranch_vccnz .LBB228_265
; %bb.127:
	v_mov_b32_e32 v1, 0x10000
	s_load_dword s2, s[4:5], 0xc5c
	v_mov_b32_e32 v2, 0
	v_cmp_lt_i64_e32 vcc, s[6:7], v[1:2]
	s_mov_b64 s[20:21], 0
	s_and_b64 s[0:1], vcc, exec
	v_cmp_lt_u64_e32 vcc, s[6:7], v[1:2]
	s_cselect_b32 s17, s7, 0
	s_cselect_b32 s16, s6, 0x10000
	s_waitcnt lgkmcnt(0)
	s_and_b32 s33, s2, 0xffff
	s_and_b64 s[0:1], vcc, exec
	s_cselect_b32 s19, s7, 0
	s_cselect_b32 s18, s6, 0x10000
	s_lshl_b32 s36, s33, 1
	s_mul_i32 s37, s33, 3
	s_lshl_b32 s38, s33, 2
	s_mov_b32 s39, 0x7f800000
	s_mov_b32 s40, 0x7ed413cb
	;; [unrolled: 1-line block ×4, first 2 shown]
	v_mov_b32_e32 v21, 0x260
	s_brev_b32 s43, -2
	v_mov_b32_e32 v22, 0x7f800000
	s_branch .LBB228_129
.LBB228_128:                            ;   in Loop: Header=BB228_129 Depth=1
	s_or_b64 exec, exec, s[0:1]
	s_add_u32 s20, s20, s38
	v_mov_b32_e32 v1, s16
	s_addc_u32 s21, s21, 0
	v_mov_b32_e32 v2, s17
	v_cmp_ge_i64_e32 vcc, s[20:21], v[1:2]
	s_cbranch_vccnz .LBB228_265
.LBB228_129:                            ; =>This Inner Loop Header: Depth=1
	v_mov_b32_e32 v2, s21
	v_add_co_u32_e32 v1, vcc, s20, v0
	v_addc_co_u32_e32 v2, vcc, 0, v2, vcc
	v_cmp_gt_u64_e64 s[0:1], s[18:19], v[1:2]
	v_mov_b32_e32 v8, 0
	v_mov_b32_e32 v7, 0
	s_and_saveexec_b64 s[2:3], s[0:1]
	s_cbranch_execz .LBB228_131
; %bb.130:                              ;   in Loop: Header=BB228_129 Depth=1
	v_lshlrev_b64 v[3:4], 3, v[1:2]
	v_mov_b32_e32 v5, s13
	v_add_co_u32_e32 v3, vcc, s12, v3
	v_addc_co_u32_e32 v4, vcc, v5, v4, vcc
	global_load_dwordx2 v[7:8], v[3:4], off
.LBB228_131:                            ;   in Loop: Header=BB228_129 Depth=1
	s_or_b64 exec, exec, s[2:3]
	v_add_co_u32_e32 v3, vcc, s33, v1
	v_addc_co_u32_e32 v4, vcc, 0, v2, vcc
	v_cmp_gt_u64_e64 s[2:3], s[18:19], v[3:4]
	v_mov_b32_e32 v6, 0
	v_mov_b32_e32 v14, 0
	;; [unrolled: 1-line block ×3, first 2 shown]
	s_and_saveexec_b64 s[4:5], s[2:3]
	s_cbranch_execz .LBB228_133
; %bb.132:                              ;   in Loop: Header=BB228_129 Depth=1
	v_lshlrev_b64 v[9:10], 3, v[3:4]
	v_mov_b32_e32 v5, s13
	v_add_co_u32_e32 v9, vcc, s12, v9
	v_addc_co_u32_e32 v10, vcc, v5, v10, vcc
	global_load_dwordx2 v[13:14], v[9:10], off
.LBB228_133:                            ;   in Loop: Header=BB228_129 Depth=1
	s_or_b64 exec, exec, s[4:5]
	v_add_co_u32_e32 v9, vcc, s36, v1
	v_addc_co_u32_e32 v10, vcc, 0, v2, vcc
	v_cmp_gt_u64_e64 s[4:5], s[18:19], v[9:10]
	v_mov_b32_e32 v5, 0
	s_and_saveexec_b64 s[6:7], s[4:5]
	s_cbranch_execz .LBB228_135
; %bb.134:                              ;   in Loop: Header=BB228_129 Depth=1
	v_lshlrev_b64 v[5:6], 3, v[9:10]
	v_mov_b32_e32 v11, s13
	v_add_co_u32_e32 v5, vcc, s12, v5
	v_addc_co_u32_e32 v6, vcc, v11, v6, vcc
	global_load_dwordx2 v[5:6], v[5:6], off
.LBB228_135:                            ;   in Loop: Header=BB228_129 Depth=1
	s_or_b64 exec, exec, s[6:7]
	v_add_co_u32_e32 v11, vcc, s37, v1
	v_addc_co_u32_e32 v12, vcc, 0, v2, vcc
	v_cmp_gt_u64_e64 s[6:7], s[18:19], v[11:12]
	v_mov_b32_e32 v17, 0
	v_mov_b32_e32 v16, 0
	;; [unrolled: 1-line block ×3, first 2 shown]
	s_and_saveexec_b64 s[8:9], s[6:7]
	s_cbranch_execz .LBB228_137
; %bb.136:                              ;   in Loop: Header=BB228_129 Depth=1
	v_lshlrev_b64 v[15:16], 3, v[11:12]
	v_mov_b32_e32 v18, s13
	v_add_co_u32_e32 v15, vcc, s12, v15
	v_addc_co_u32_e32 v16, vcc, v18, v16, vcc
	global_load_dwordx2 v[15:16], v[15:16], off
.LBB228_137:                            ;   in Loop: Header=BB228_129 Depth=1
	s_or_b64 exec, exec, s[8:9]
	s_waitcnt vmcnt(0)
	v_cmp_neq_f32_e32 vcc, 0, v7
	v_cmp_neq_f32_e64 s[8:9], 0, v8
	s_or_b64 s[8:9], vcc, s[8:9]
	s_and_saveexec_b64 s[22:23], s[8:9]
	s_cbranch_execz .LBB228_166
; %bb.138:                              ;   in Loop: Header=BB228_129 Depth=1
	v_mov_b32_e32 v17, 0x7f800000
	v_cmp_neq_f32_e64 s[8:9], |v8|, v17
	s_and_saveexec_b64 s[24:25], s[8:9]
	s_cbranch_execz .LBB228_165
; %bb.139:                              ;   in Loop: Header=BB228_129 Depth=1
	v_cmp_o_f32_e32 vcc, v7, v7
                                        ; implicit-def: $vgpr17
	s_and_saveexec_b64 s[8:9], vcc
	s_xor_b64 s[26:27], exec, s[8:9]
	s_cbranch_execz .LBB228_162
; %bb.140:                              ;   in Loop: Header=BB228_129 Depth=1
	v_cmp_neq_f32_e64 s[8:9], |v7|, s39
                                        ; implicit-def: $vgpr17
	s_and_saveexec_b64 s[10:11], s[8:9]
	s_xor_b64 s[28:29], exec, s[10:11]
	s_cbranch_execz .LBB228_156
; %bb.141:                              ;   in Loop: Header=BB228_129 Depth=1
	v_max_f32_e64 v17, |v7|, |v7|
	v_max_f32_e64 v18, |v8|, |v8|
	v_max_f32_e32 v17, v18, v17
	v_cmp_nle_f32_e64 s[8:9], s40, v17
                                        ; implicit-def: $sgpr30_sgpr31
	s_and_saveexec_b64 s[10:11], s[8:9]
	s_xor_b64 s[10:11], exec, s[10:11]
	s_cbranch_execz .LBB228_145
; %bb.142:                              ;   in Loop: Header=BB228_129 Depth=1
	v_cmp_le_f32_e64 s[30:31], |v7|, s41
	v_cmp_le_f32_e64 s[34:35], |v8|, s41
	s_and_b64 s[44:45], s[34:35], s[30:31]
	s_mov_b64 s[30:31], 0
	s_and_saveexec_b64 s[34:35], s[44:45]
; %bb.143:                              ;   in Loop: Header=BB228_129 Depth=1
	s_mov_b64 s[30:31], exec
	v_mul_f32_e32 v7, 4.0, v7
	v_mul_f32_e32 v8, 4.0, v8
; %bb.144:                              ;   in Loop: Header=BB228_129 Depth=1
	s_or_b64 exec, exec, s[34:35]
.LBB228_145:                            ;   in Loop: Header=BB228_129 Depth=1
	s_andn2_saveexec_b64 s[10:11], s[10:11]
; %bb.146:                              ;   in Loop: Header=BB228_129 Depth=1
	v_mul_f32_e32 v7, 0x3e800000, v7
	v_mul_f32_e32 v8, 0x3e800000, v8
	s_andn2_b64 s[30:31], s[30:31], exec
; %bb.147:                              ;   in Loop: Header=BB228_129 Depth=1
	s_or_b64 exec, exec, s[10:11]
	v_max_f32_e64 v17, |v8|, |v8|
	v_max_f32_e64 v18, |v7|, |v7|
	v_max_f32_e32 v19, v18, v17
	v_cvt_f64_f32_e32 v[17:18], v19
	v_cmp_neq_f32_e64 s[10:11], s39, v19
	v_cmp_le_f32_e32 vcc, 0, v7
                                        ; implicit-def: $vgpr19
	v_frexp_exp_i32_f64_e32 v17, v[17:18]
	v_sub_u32_e32 v18, 0, v17
	v_ldexp_f32 v20, |v7|, v18
	v_ldexp_f32 v18, |v8|, v18
	v_mul_f32_e32 v18, v18, v18
	v_fmac_f32_e32 v18, v20, v20
	v_sqrt_f32_e32 v18, v18
	v_ldexp_f32 v17, v18, v17
	v_cndmask_b32_e64 v17, v22, v17, s[10:11]
                                        ; implicit-def: $vgpr18
	s_and_saveexec_b64 s[10:11], vcc
	s_xor_b64 s[34:35], exec, s[10:11]
	s_cbranch_execz .LBB228_149
; %bb.148:                              ;   in Loop: Header=BB228_129 Depth=1
	v_add_f32_e32 v7, v7, v17
	v_mul_f32_e32 v7, 0.5, v7
	v_mul_f32_e32 v17, 0x4f800000, v7
	v_cmp_gt_f32_e32 vcc, s42, v7
	v_cndmask_b32_e32 v7, v7, v17, vcc
	v_sqrt_f32_e32 v17, v7
	v_add_u32_e32 v18, -1, v17
	v_add_u32_e32 v19, 1, v17
	v_fma_f32 v20, -v18, v17, v7
	v_fma_f32 v23, -v19, v17, v7
	v_cmp_ge_f32_e64 s[10:11], 0, v20
	v_cndmask_b32_e64 v17, v17, v18, s[10:11]
	v_cmp_lt_f32_e64 s[10:11], 0, v23
	v_cndmask_b32_e64 v17, v17, v19, s[10:11]
	v_mul_f32_e32 v18, 0x37800000, v17
	v_cndmask_b32_e32 v17, v17, v18, vcc
	v_cmp_class_f32_e32 vcc, v7, v21
	v_cndmask_b32_e32 v18, v17, v7, vcc
	v_add_f32_e32 v7, v18, v18
	v_div_scale_f32 v17, s[10:11], v7, v7, v8
	v_div_scale_f32 v19, vcc, v8, v7, v8
	v_rcp_f32_e32 v20, v17
	v_fma_f32 v23, -v17, v20, 1.0
	v_fmac_f32_e32 v20, v23, v20
	v_mul_f32_e32 v23, v19, v20
	v_fma_f32 v24, -v17, v23, v19
	v_fmac_f32_e32 v23, v24, v20
	v_fma_f32 v17, -v17, v23, v19
	v_div_fmas_f32 v17, v17, v20, v23
	v_div_fixup_f32 v19, v17, v7, v8
                                        ; implicit-def: $vgpr17
                                        ; implicit-def: $vgpr7
	s_andn2_saveexec_b64 s[34:35], s[34:35]
	s_cbranch_execz .LBB228_151
	s_branch .LBB228_150
.LBB228_149:                            ;   in Loop: Header=BB228_129 Depth=1
	s_andn2_saveexec_b64 s[34:35], s[34:35]
	s_cbranch_execz .LBB228_151
.LBB228_150:                            ;   in Loop: Header=BB228_129 Depth=1
	v_sub_f32_e32 v7, v17, v7
	v_mul_f32_e32 v7, 0.5, v7
	v_mul_f32_e32 v17, 0x4f800000, v7
	v_cmp_gt_f32_e32 vcc, s42, v7
	v_cndmask_b32_e32 v7, v7, v17, vcc
	v_sqrt_f32_e32 v17, v7
	v_add_u32_e32 v18, -1, v17
	v_fma_f32 v20, -v18, v17, v7
	v_add_u32_e32 v19, 1, v17
	v_cmp_ge_f32_e64 s[10:11], 0, v20
	v_cndmask_b32_e64 v18, v17, v18, s[10:11]
	v_fma_f32 v17, -v19, v17, v7
	v_cmp_lt_f32_e64 s[10:11], 0, v17
	v_cndmask_b32_e64 v17, v18, v19, s[10:11]
	v_mul_f32_e32 v18, 0x37800000, v17
	v_cndmask_b32_e32 v17, v17, v18, vcc
	v_cmp_class_f32_e32 vcc, v7, v21
	v_cndmask_b32_e32 v7, v17, v7, vcc
	v_add_f32_e32 v17, v7, v7
	v_and_b32_e32 v18, 0x7fffffff, v8
	v_div_scale_f32 v19, s[10:11], v17, v17, v18
	v_div_scale_f32 v18, vcc, v18, v17, v18
	v_rcp_f32_e32 v20, v19
	v_fma_f32 v23, -v19, v20, 1.0
	v_fmac_f32_e32 v20, v23, v20
	v_mul_f32_e32 v23, v18, v20
	v_fma_f32 v24, -v19, v23, v18
	v_fmac_f32_e32 v23, v24, v20
	v_fma_f32 v18, -v19, v23, v18
	v_div_fmas_f32 v18, v18, v20, v23
	v_bfi_b32 v19, s43, v7, v8
	v_div_fixup_f32 v18, v18, v17, |v8|
.LBB228_151:                            ;   in Loop: Header=BB228_129 Depth=1
	s_or_b64 exec, exec, s[34:35]
                                        ; implicit-def: $vgpr8
                                        ; implicit-def: $vgpr17
	s_and_saveexec_b64 s[10:11], s[8:9]
	s_xor_b64 s[8:9], exec, s[10:11]
	s_cbranch_execz .LBB228_153
; %bb.152:                              ;   in Loop: Header=BB228_129 Depth=1
	v_mul_f32_e32 v7, 0.5, v18
	v_mul_f32_e32 v8, 0.5, v19
	v_cndmask_b32_e64 v17, v18, v7, s[30:31]
	v_cndmask_b32_e64 v8, v19, v8, s[30:31]
                                        ; implicit-def: $vgpr18
                                        ; implicit-def: $vgpr19
	s_andn2_saveexec_b64 s[8:9], s[8:9]
	s_cbranch_execnz .LBB228_154
	s_branch .LBB228_155
.LBB228_153:                            ;   in Loop: Header=BB228_129 Depth=1
	s_andn2_saveexec_b64 s[8:9], s[8:9]
.LBB228_154:                            ;   in Loop: Header=BB228_129 Depth=1
	v_add_f32_e32 v17, v18, v18
	v_add_f32_e32 v8, v19, v19
.LBB228_155:                            ;   in Loop: Header=BB228_129 Depth=1
	s_or_b64 exec, exec, s[8:9]
.LBB228_156:                            ;   in Loop: Header=BB228_129 Depth=1
	s_andn2_saveexec_b64 s[8:9], s[28:29]
	s_cbranch_execz .LBB228_178
; %bb.157:                              ;   in Loop: Header=BB228_129 Depth=1
	v_sub_f32_e32 v18, v8, v8
	v_cmp_lt_i32_e32 vcc, -1, v7
	v_and_b32_e32 v17, 0x7fffffff, v18
	s_and_saveexec_b64 s[10:11], vcc
	s_xor_b64 s[10:11], exec, s[10:11]
; %bb.158:                              ;   in Loop: Header=BB228_129 Depth=1
	v_bfi_b32 v8, s43, v18, v8
	v_mov_b32_e32 v17, v7
; %bb.159:                              ;   in Loop: Header=BB228_129 Depth=1
	s_andn2_saveexec_b64 s[10:11], s[10:11]
; %bb.160:                              ;   in Loop: Header=BB228_129 Depth=1
	v_bfi_b32 v8, s43, v7, v8
; %bb.161:                              ;   in Loop: Header=BB228_129 Depth=1
	s_or_b64 exec, exec, s[10:11]
	s_or_b64 exec, exec, s[8:9]
.LBB228_162:                            ;   in Loop: Header=BB228_129 Depth=1
	s_andn2_saveexec_b64 s[8:9], s[26:27]
	s_cbranch_execz .LBB228_164
.LBB228_163:                            ;   in Loop: Header=BB228_129 Depth=1
	v_sub_f32_e32 v8, v8, v8
	v_div_scale_f32 v17, vcc, v8, v8, v8
	v_rcp_f32_e32 v18, v17
	v_fma_f32 v19, -v17, v18, 1.0
	v_fmac_f32_e32 v18, v19, v18
	v_mul_f32_e32 v19, v17, v18
	v_fma_f32 v20, -v17, v19, v17
	v_fmac_f32_e32 v19, v20, v18
	v_fma_f32 v17, -v17, v19, v17
	v_div_fmas_f32 v17, v17, v18, v19
	v_div_fixup_f32 v8, v17, v8, v8
	v_mov_b32_e32 v17, v7
.LBB228_164:                            ;   in Loop: Header=BB228_129 Depth=1
	s_or_b64 exec, exec, s[8:9]
.LBB228_165:                            ;   in Loop: Header=BB228_129 Depth=1
	s_or_b64 exec, exec, s[24:25]
.LBB228_166:                            ;   in Loop: Header=BB228_129 Depth=1
	s_or_b64 exec, exec, s[22:23]
	v_cmp_neq_f32_e32 vcc, 0, v13
	v_cmp_neq_f32_e64 s[8:9], 0, v14
	v_mov_b32_e32 v7, 0
	s_or_b64 s[8:9], vcc, s[8:9]
	v_mov_b32_e32 v19, 0
	s_and_saveexec_b64 s[22:23], s[8:9]
	s_cbranch_execz .LBB228_197
; %bb.167:                              ;   in Loop: Header=BB228_129 Depth=1
	v_mov_b32_e32 v19, 0x7f800000
	v_cmp_neq_f32_e64 s[8:9], |v14|, v19
	s_and_saveexec_b64 s[24:25], s[8:9]
	s_cbranch_execz .LBB228_196
; %bb.168:                              ;   in Loop: Header=BB228_129 Depth=1
	v_cmp_o_f32_e32 vcc, v13, v13
                                        ; implicit-def: $vgpr19
	s_and_saveexec_b64 s[8:9], vcc
	s_xor_b64 s[26:27], exec, s[8:9]
	s_cbranch_execz .LBB228_193
; %bb.169:                              ;   in Loop: Header=BB228_129 Depth=1
	v_cmp_neq_f32_e64 s[8:9], |v13|, s39
                                        ; implicit-def: $vgpr19
	s_and_saveexec_b64 s[10:11], s[8:9]
	s_xor_b64 s[28:29], exec, s[10:11]
	s_cbranch_execz .LBB228_186
; %bb.170:                              ;   in Loop: Header=BB228_129 Depth=1
	v_max_f32_e64 v18, |v13|, |v13|
	v_max_f32_e64 v19, |v14|, |v14|
	v_max_f32_e32 v18, v19, v18
	v_cmp_nle_f32_e64 s[8:9], s40, v18
                                        ; implicit-def: $sgpr30_sgpr31
	s_and_saveexec_b64 s[10:11], s[8:9]
	s_xor_b64 s[10:11], exec, s[10:11]
	s_cbranch_execz .LBB228_174
; %bb.171:                              ;   in Loop: Header=BB228_129 Depth=1
	v_cmp_le_f32_e64 s[30:31], |v13|, s41
	v_cmp_le_f32_e64 s[34:35], |v14|, s41
	s_and_b64 s[44:45], s[34:35], s[30:31]
	s_mov_b64 s[30:31], 0
	s_and_saveexec_b64 s[34:35], s[44:45]
; %bb.172:                              ;   in Loop: Header=BB228_129 Depth=1
	s_mov_b64 s[30:31], exec
	v_mul_f32_e32 v13, 4.0, v13
	v_mul_f32_e32 v14, 4.0, v14
; %bb.173:                              ;   in Loop: Header=BB228_129 Depth=1
	s_or_b64 exec, exec, s[34:35]
.LBB228_174:                            ;   in Loop: Header=BB228_129 Depth=1
	s_andn2_saveexec_b64 s[10:11], s[10:11]
; %bb.175:                              ;   in Loop: Header=BB228_129 Depth=1
	v_mul_f32_e32 v13, 0x3e800000, v13
	v_mul_f32_e32 v14, 0x3e800000, v14
	s_andn2_b64 s[30:31], s[30:31], exec
; %bb.176:                              ;   in Loop: Header=BB228_129 Depth=1
	s_or_b64 exec, exec, s[10:11]
	v_max_f32_e64 v18, |v14|, |v14|
	v_max_f32_e64 v19, |v13|, |v13|
	v_max_f32_e32 v20, v19, v18
	v_cvt_f64_f32_e32 v[18:19], v20
	v_cmp_neq_f32_e64 s[10:11], s39, v20
	v_cmp_le_f32_e32 vcc, 0, v13
                                        ; implicit-def: $vgpr20
	v_frexp_exp_i32_f64_e32 v18, v[18:19]
	v_sub_u32_e32 v19, 0, v18
	v_ldexp_f32 v23, |v13|, v19
	v_ldexp_f32 v19, |v14|, v19
	v_mul_f32_e32 v19, v19, v19
	v_fmac_f32_e32 v19, v23, v23
	v_sqrt_f32_e32 v19, v19
	v_ldexp_f32 v18, v19, v18
	v_cndmask_b32_e64 v19, v22, v18, s[10:11]
                                        ; implicit-def: $vgpr18
	s_and_saveexec_b64 s[10:11], vcc
	s_xor_b64 s[34:35], exec, s[10:11]
	s_cbranch_execz .LBB228_179
; %bb.177:                              ;   in Loop: Header=BB228_129 Depth=1
	v_add_f32_e32 v13, v13, v19
	v_mul_f32_e32 v13, 0.5, v13
	v_mul_f32_e32 v18, 0x4f800000, v13
	v_cmp_gt_f32_e32 vcc, s42, v13
	v_cndmask_b32_e32 v13, v13, v18, vcc
	v_sqrt_f32_e32 v18, v13
	v_add_u32_e32 v19, -1, v18
	v_fma_f32 v23, -v19, v18, v13
	v_add_u32_e32 v20, 1, v18
	v_cmp_ge_f32_e64 s[10:11], 0, v23
	v_cndmask_b32_e64 v19, v18, v19, s[10:11]
	v_fma_f32 v18, -v20, v18, v13
	v_cmp_lt_f32_e64 s[10:11], 0, v18
	v_cndmask_b32_e64 v18, v19, v20, s[10:11]
	v_mul_f32_e32 v19, 0x37800000, v18
	v_cndmask_b32_e32 v18, v18, v19, vcc
	v_cmp_class_f32_e32 vcc, v13, v21
	v_cndmask_b32_e32 v18, v18, v13, vcc
	v_add_f32_e32 v13, v18, v18
	v_div_scale_f32 v19, s[10:11], v13, v13, v14
	v_div_scale_f32 v20, vcc, v14, v13, v14
	v_rcp_f32_e32 v23, v19
	v_fma_f32 v24, -v19, v23, 1.0
	v_fmac_f32_e32 v23, v24, v23
	v_mul_f32_e32 v24, v20, v23
	v_fma_f32 v25, -v19, v24, v20
	v_fmac_f32_e32 v24, v25, v23
	v_fma_f32 v19, -v19, v24, v20
	v_div_fmas_f32 v19, v19, v23, v24
	v_div_fixup_f32 v20, v19, v13, v14
                                        ; implicit-def: $vgpr19
                                        ; implicit-def: $vgpr13
	s_andn2_saveexec_b64 s[34:35], s[34:35]
	s_cbranch_execz .LBB228_181
	s_branch .LBB228_180
.LBB228_178:                            ;   in Loop: Header=BB228_129 Depth=1
	s_or_b64 exec, exec, s[8:9]
	s_andn2_saveexec_b64 s[8:9], s[26:27]
	s_cbranch_execnz .LBB228_163
	s_branch .LBB228_164
.LBB228_179:                            ;   in Loop: Header=BB228_129 Depth=1
	s_andn2_saveexec_b64 s[34:35], s[34:35]
	s_cbranch_execz .LBB228_181
.LBB228_180:                            ;   in Loop: Header=BB228_129 Depth=1
	v_sub_f32_e32 v13, v19, v13
	v_mul_f32_e32 v13, 0.5, v13
	v_mul_f32_e32 v18, 0x4f800000, v13
	v_cmp_gt_f32_e32 vcc, s42, v13
	v_cndmask_b32_e32 v13, v13, v18, vcc
	v_sqrt_f32_e32 v18, v13
	v_add_u32_e32 v19, -1, v18
	v_fma_f32 v23, -v19, v18, v13
	v_add_u32_e32 v20, 1, v18
	v_cmp_ge_f32_e64 s[10:11], 0, v23
	v_cndmask_b32_e64 v19, v18, v19, s[10:11]
	v_fma_f32 v18, -v20, v18, v13
	v_cmp_lt_f32_e64 s[10:11], 0, v18
	v_cndmask_b32_e64 v18, v19, v20, s[10:11]
	v_mul_f32_e32 v19, 0x37800000, v18
	v_cndmask_b32_e32 v18, v18, v19, vcc
	v_cmp_class_f32_e32 vcc, v13, v21
	v_cndmask_b32_e32 v13, v18, v13, vcc
	v_add_f32_e32 v18, v13, v13
	v_and_b32_e32 v19, 0x7fffffff, v14
	v_div_scale_f32 v20, s[10:11], v18, v18, v19
	v_div_scale_f32 v19, vcc, v19, v18, v19
	v_rcp_f32_e32 v23, v20
	v_fma_f32 v24, -v20, v23, 1.0
	v_fmac_f32_e32 v23, v24, v23
	v_mul_f32_e32 v24, v19, v23
	v_fma_f32 v25, -v20, v24, v19
	v_fmac_f32_e32 v24, v25, v23
	v_fma_f32 v19, -v20, v24, v19
	v_div_fmas_f32 v19, v19, v23, v24
	v_bfi_b32 v20, s43, v13, v14
	v_div_fixup_f32 v18, v19, v18, |v14|
.LBB228_181:                            ;   in Loop: Header=BB228_129 Depth=1
	s_or_b64 exec, exec, s[34:35]
                                        ; implicit-def: $vgpr14
                                        ; implicit-def: $vgpr19
	s_and_saveexec_b64 s[10:11], s[8:9]
	s_xor_b64 s[8:9], exec, s[10:11]
	s_cbranch_execz .LBB228_183
; %bb.182:                              ;   in Loop: Header=BB228_129 Depth=1
	v_mul_f32_e32 v13, 0.5, v18
	v_mul_f32_e32 v14, 0.5, v20
	v_cndmask_b32_e64 v19, v18, v13, s[30:31]
	v_cndmask_b32_e64 v14, v20, v14, s[30:31]
                                        ; implicit-def: $vgpr18
                                        ; implicit-def: $vgpr20
	s_andn2_saveexec_b64 s[8:9], s[8:9]
	s_cbranch_execnz .LBB228_184
	s_branch .LBB228_185
.LBB228_183:                            ;   in Loop: Header=BB228_129 Depth=1
	s_andn2_saveexec_b64 s[8:9], s[8:9]
.LBB228_184:                            ;   in Loop: Header=BB228_129 Depth=1
	v_add_f32_e32 v19, v18, v18
	v_add_f32_e32 v14, v20, v20
.LBB228_185:                            ;   in Loop: Header=BB228_129 Depth=1
	s_or_b64 exec, exec, s[8:9]
.LBB228_186:                            ;   in Loop: Header=BB228_129 Depth=1
	s_andn2_saveexec_b64 s[8:9], s[28:29]
	s_cbranch_execz .LBB228_192
; %bb.187:                              ;   in Loop: Header=BB228_129 Depth=1
	v_sub_f32_e32 v18, v14, v14
	v_cmp_lt_i32_e32 vcc, -1, v13
	v_and_b32_e32 v19, 0x7fffffff, v18
	s_and_saveexec_b64 s[10:11], vcc
	s_xor_b64 s[10:11], exec, s[10:11]
; %bb.188:                              ;   in Loop: Header=BB228_129 Depth=1
	v_bfi_b32 v14, s43, v18, v14
	v_mov_b32_e32 v19, v13
; %bb.189:                              ;   in Loop: Header=BB228_129 Depth=1
	s_andn2_saveexec_b64 s[10:11], s[10:11]
; %bb.190:                              ;   in Loop: Header=BB228_129 Depth=1
	v_bfi_b32 v14, s43, v13, v14
; %bb.191:                              ;   in Loop: Header=BB228_129 Depth=1
	s_or_b64 exec, exec, s[10:11]
.LBB228_192:                            ;   in Loop: Header=BB228_129 Depth=1
	s_or_b64 exec, exec, s[8:9]
.LBB228_193:                            ;   in Loop: Header=BB228_129 Depth=1
	s_andn2_saveexec_b64 s[8:9], s[26:27]
	s_cbranch_execz .LBB228_195
; %bb.194:                              ;   in Loop: Header=BB228_129 Depth=1
	v_sub_f32_e32 v14, v14, v14
	v_div_scale_f32 v18, vcc, v14, v14, v14
	v_rcp_f32_e32 v19, v18
	v_fma_f32 v20, -v18, v19, 1.0
	v_fmac_f32_e32 v19, v20, v19
	v_mul_f32_e32 v20, v18, v19
	v_fma_f32 v23, -v18, v20, v18
	v_fmac_f32_e32 v20, v23, v19
	v_fma_f32 v18, -v18, v20, v18
	v_div_fmas_f32 v18, v18, v19, v20
	v_mov_b32_e32 v19, v13
	v_div_fixup_f32 v14, v18, v14, v14
.LBB228_195:                            ;   in Loop: Header=BB228_129 Depth=1
	s_or_b64 exec, exec, s[8:9]
.LBB228_196:                            ;   in Loop: Header=BB228_129 Depth=1
	s_or_b64 exec, exec, s[24:25]
.LBB228_197:                            ;   in Loop: Header=BB228_129 Depth=1
	s_or_b64 exec, exec, s[22:23]
	v_cmp_neq_f32_e32 vcc, 0, v5
	v_cmp_neq_f32_e64 s[8:9], 0, v6
	s_or_b64 s[8:9], vcc, s[8:9]
	s_and_saveexec_b64 s[22:23], s[8:9]
	s_cbranch_execz .LBB228_227
; %bb.198:                              ;   in Loop: Header=BB228_129 Depth=1
	v_mov_b32_e32 v7, 0x7f800000
	v_cmp_neq_f32_e64 s[8:9], |v6|, v7
	s_and_saveexec_b64 s[24:25], s[8:9]
	s_cbranch_execz .LBB228_226
; %bb.199:                              ;   in Loop: Header=BB228_129 Depth=1
	v_cmp_o_f32_e32 vcc, v5, v5
                                        ; implicit-def: $vgpr7
	s_and_saveexec_b64 s[8:9], vcc
	s_xor_b64 s[26:27], exec, s[8:9]
	s_cbranch_execz .LBB228_223
; %bb.200:                              ;   in Loop: Header=BB228_129 Depth=1
	v_cmp_neq_f32_e64 s[8:9], |v5|, s39
                                        ; implicit-def: $vgpr7
	s_and_saveexec_b64 s[10:11], s[8:9]
	s_xor_b64 s[28:29], exec, s[10:11]
	s_cbranch_execz .LBB228_216
; %bb.201:                              ;   in Loop: Header=BB228_129 Depth=1
	v_max_f32_e64 v7, |v5|, |v5|
	v_max_f32_e64 v13, |v6|, |v6|
	v_max_f32_e32 v7, v13, v7
	v_cmp_nle_f32_e64 s[8:9], s40, v7
                                        ; implicit-def: $sgpr30_sgpr31
	s_and_saveexec_b64 s[10:11], s[8:9]
	s_xor_b64 s[10:11], exec, s[10:11]
	s_cbranch_execz .LBB228_205
; %bb.202:                              ;   in Loop: Header=BB228_129 Depth=1
	v_cmp_le_f32_e64 s[30:31], |v5|, s41
	v_cmp_le_f32_e64 s[34:35], |v6|, s41
	s_and_b64 s[44:45], s[34:35], s[30:31]
	s_mov_b64 s[30:31], 0
	s_and_saveexec_b64 s[34:35], s[44:45]
; %bb.203:                              ;   in Loop: Header=BB228_129 Depth=1
	s_mov_b64 s[30:31], exec
	v_mul_f32_e32 v5, 4.0, v5
	v_mul_f32_e32 v6, 4.0, v6
; %bb.204:                              ;   in Loop: Header=BB228_129 Depth=1
	s_or_b64 exec, exec, s[34:35]
.LBB228_205:                            ;   in Loop: Header=BB228_129 Depth=1
	s_andn2_saveexec_b64 s[10:11], s[10:11]
; %bb.206:                              ;   in Loop: Header=BB228_129 Depth=1
	v_mul_f32_e32 v5, 0x3e800000, v5
	v_mul_f32_e32 v6, 0x3e800000, v6
	s_andn2_b64 s[30:31], s[30:31], exec
; %bb.207:                              ;   in Loop: Header=BB228_129 Depth=1
	s_or_b64 exec, exec, s[10:11]
	v_max_f32_e64 v7, |v6|, |v6|
	v_max_f32_e64 v13, |v5|, |v5|
	v_max_f32_e32 v7, v13, v7
	v_cvt_f64_f32_e32 v[23:24], v7
	v_cmp_neq_f32_e64 s[10:11], s39, v7
	v_cmp_le_f32_e32 vcc, 0, v5
	v_frexp_exp_i32_f64_e32 v13, v[23:24]
	v_sub_u32_e32 v18, 0, v13
	v_ldexp_f32 v20, |v5|, v18
	v_ldexp_f32 v18, |v6|, v18
	v_mul_f32_e32 v18, v18, v18
	v_fmac_f32_e32 v18, v20, v20
	v_sqrt_f32_e32 v18, v18
	v_ldexp_f32 v13, v18, v13
	v_cndmask_b32_e64 v7, v22, v13, s[10:11]
                                        ; implicit-def: $vgpr18
                                        ; implicit-def: $vgpr13
	s_and_saveexec_b64 s[10:11], vcc
	s_xor_b64 s[34:35], exec, s[10:11]
	s_cbranch_execz .LBB228_209
; %bb.208:                              ;   in Loop: Header=BB228_129 Depth=1
	v_add_f32_e32 v5, v5, v7
	v_mul_f32_e32 v5, 0.5, v5
	v_mul_f32_e32 v7, 0x4f800000, v5
	v_cmp_gt_f32_e32 vcc, s42, v5
	v_cndmask_b32_e32 v5, v5, v7, vcc
	v_sqrt_f32_e32 v7, v5
	v_add_u32_e32 v13, -1, v7
	v_fma_f32 v20, -v13, v7, v5
	v_add_u32_e32 v18, 1, v7
	v_cmp_ge_f32_e64 s[10:11], 0, v20
	v_cndmask_b32_e64 v13, v7, v13, s[10:11]
	v_fma_f32 v7, -v18, v7, v5
	v_cmp_lt_f32_e64 s[10:11], 0, v7
	v_cndmask_b32_e64 v7, v13, v18, s[10:11]
	v_mul_f32_e32 v13, 0x37800000, v7
	v_cndmask_b32_e32 v7, v7, v13, vcc
	v_cmp_class_f32_e32 vcc, v5, v21
	v_cndmask_b32_e32 v13, v7, v5, vcc
	v_add_f32_e32 v5, v13, v13
	v_div_scale_f32 v7, s[10:11], v5, v5, v6
	v_div_scale_f32 v18, vcc, v6, v5, v6
	v_rcp_f32_e32 v20, v7
	v_fma_f32 v23, -v7, v20, 1.0
	v_fmac_f32_e32 v20, v23, v20
	v_mul_f32_e32 v23, v18, v20
	v_fma_f32 v24, -v7, v23, v18
	v_fmac_f32_e32 v23, v24, v20
	v_fma_f32 v7, -v7, v23, v18
	v_div_fmas_f32 v7, v7, v20, v23
	v_div_fixup_f32 v18, v7, v5, v6
                                        ; implicit-def: $vgpr7
                                        ; implicit-def: $vgpr5
	s_andn2_saveexec_b64 s[34:35], s[34:35]
	s_cbranch_execz .LBB228_211
	s_branch .LBB228_210
.LBB228_209:                            ;   in Loop: Header=BB228_129 Depth=1
	s_andn2_saveexec_b64 s[34:35], s[34:35]
	s_cbranch_execz .LBB228_211
.LBB228_210:                            ;   in Loop: Header=BB228_129 Depth=1
	v_sub_f32_e32 v5, v7, v5
	v_mul_f32_e32 v5, 0.5, v5
	v_mul_f32_e32 v7, 0x4f800000, v5
	v_cmp_gt_f32_e32 vcc, s42, v5
	v_cndmask_b32_e32 v5, v5, v7, vcc
	v_sqrt_f32_e32 v7, v5
	v_add_u32_e32 v13, -1, v7
	v_fma_f32 v20, -v13, v7, v5
	v_add_u32_e32 v18, 1, v7
	v_cmp_ge_f32_e64 s[10:11], 0, v20
	v_cndmask_b32_e64 v13, v7, v13, s[10:11]
	v_fma_f32 v7, -v18, v7, v5
	v_cmp_lt_f32_e64 s[10:11], 0, v7
	v_cndmask_b32_e64 v7, v13, v18, s[10:11]
	v_mul_f32_e32 v13, 0x37800000, v7
	v_cndmask_b32_e32 v7, v7, v13, vcc
	v_cmp_class_f32_e32 vcc, v5, v21
	v_cndmask_b32_e32 v5, v7, v5, vcc
	v_add_f32_e32 v7, v5, v5
	v_and_b32_e32 v13, 0x7fffffff, v6
	v_div_scale_f32 v18, s[10:11], v7, v7, v13
	v_div_scale_f32 v13, vcc, v13, v7, v13
	v_rcp_f32_e32 v20, v18
	v_fma_f32 v23, -v18, v20, 1.0
	v_fmac_f32_e32 v20, v23, v20
	v_mul_f32_e32 v23, v13, v20
	v_fma_f32 v24, -v18, v23, v13
	v_fmac_f32_e32 v23, v24, v20
	v_fma_f32 v13, -v18, v23, v13
	v_div_fmas_f32 v13, v13, v20, v23
	v_bfi_b32 v18, s43, v5, v6
	v_div_fixup_f32 v13, v13, v7, |v6|
.LBB228_211:                            ;   in Loop: Header=BB228_129 Depth=1
	s_or_b64 exec, exec, s[34:35]
                                        ; implicit-def: $vgpr6
                                        ; implicit-def: $vgpr7
	s_and_saveexec_b64 s[10:11], s[8:9]
	s_xor_b64 s[8:9], exec, s[10:11]
	s_cbranch_execz .LBB228_213
; %bb.212:                              ;   in Loop: Header=BB228_129 Depth=1
	v_mul_f32_e32 v5, 0.5, v13
	v_mul_f32_e32 v6, 0.5, v18
	v_cndmask_b32_e64 v7, v13, v5, s[30:31]
	v_cndmask_b32_e64 v6, v18, v6, s[30:31]
                                        ; implicit-def: $vgpr13
                                        ; implicit-def: $vgpr18
	s_andn2_saveexec_b64 s[8:9], s[8:9]
	s_cbranch_execnz .LBB228_214
	s_branch .LBB228_215
.LBB228_213:                            ;   in Loop: Header=BB228_129 Depth=1
	s_andn2_saveexec_b64 s[8:9], s[8:9]
.LBB228_214:                            ;   in Loop: Header=BB228_129 Depth=1
	v_add_f32_e32 v7, v13, v13
	v_add_f32_e32 v6, v18, v18
.LBB228_215:                            ;   in Loop: Header=BB228_129 Depth=1
	s_or_b64 exec, exec, s[8:9]
.LBB228_216:                            ;   in Loop: Header=BB228_129 Depth=1
	s_andn2_saveexec_b64 s[8:9], s[28:29]
	s_cbranch_execz .LBB228_222
; %bb.217:                              ;   in Loop: Header=BB228_129 Depth=1
	v_sub_f32_e32 v13, v6, v6
	v_cmp_lt_i32_e32 vcc, -1, v5
	v_and_b32_e32 v7, 0x7fffffff, v13
	s_and_saveexec_b64 s[10:11], vcc
	s_xor_b64 s[10:11], exec, s[10:11]
; %bb.218:                              ;   in Loop: Header=BB228_129 Depth=1
	v_bfi_b32 v6, s43, v13, v6
	v_mov_b32_e32 v7, v5
; %bb.219:                              ;   in Loop: Header=BB228_129 Depth=1
	s_andn2_saveexec_b64 s[10:11], s[10:11]
; %bb.220:                              ;   in Loop: Header=BB228_129 Depth=1
	v_bfi_b32 v6, s43, v5, v6
; %bb.221:                              ;   in Loop: Header=BB228_129 Depth=1
	s_or_b64 exec, exec, s[10:11]
.LBB228_222:                            ;   in Loop: Header=BB228_129 Depth=1
	s_or_b64 exec, exec, s[8:9]
.LBB228_223:                            ;   in Loop: Header=BB228_129 Depth=1
	s_andn2_saveexec_b64 s[8:9], s[26:27]
	s_cbranch_execz .LBB228_225
; %bb.224:                              ;   in Loop: Header=BB228_129 Depth=1
	v_sub_f32_e32 v6, v6, v6
	v_div_scale_f32 v7, vcc, v6, v6, v6
	v_rcp_f32_e32 v13, v7
	v_fma_f32 v18, -v7, v13, 1.0
	v_fmac_f32_e32 v13, v18, v13
	v_mul_f32_e32 v18, v7, v13
	v_fma_f32 v20, -v7, v18, v7
	v_fmac_f32_e32 v18, v20, v13
	v_fma_f32 v7, -v7, v18, v7
	v_div_fmas_f32 v7, v7, v13, v18
	v_div_fixup_f32 v6, v7, v6, v6
	v_mov_b32_e32 v7, v5
.LBB228_225:                            ;   in Loop: Header=BB228_129 Depth=1
	s_or_b64 exec, exec, s[8:9]
.LBB228_226:                            ;   in Loop: Header=BB228_129 Depth=1
	s_or_b64 exec, exec, s[24:25]
.LBB228_227:                            ;   in Loop: Header=BB228_129 Depth=1
	s_or_b64 exec, exec, s[22:23]
	v_cmp_neq_f32_e32 vcc, 0, v15
	v_cmp_neq_f32_e64 s[8:9], 0, v16
	v_mov_b32_e32 v5, 0
	s_or_b64 s[8:9], vcc, s[8:9]
	s_and_saveexec_b64 s[22:23], s[8:9]
	s_cbranch_execz .LBB228_239
; %bb.228:                              ;   in Loop: Header=BB228_129 Depth=1
	v_mov_b32_e32 v5, 0x7f800000
	v_cmp_neq_f32_e64 s[8:9], |v16|, v5
	s_and_saveexec_b64 s[24:25], s[8:9]
	s_cbranch_execz .LBB228_260
; %bb.229:                              ;   in Loop: Header=BB228_129 Depth=1
	v_cmp_o_f32_e32 vcc, v15, v15
                                        ; implicit-def: $vgpr5
	s_and_saveexec_b64 s[8:9], vcc
	s_xor_b64 s[26:27], exec, s[8:9]
	s_cbranch_execz .LBB228_257
; %bb.230:                              ;   in Loop: Header=BB228_129 Depth=1
	v_cmp_neq_f32_e64 s[8:9], |v15|, s39
                                        ; implicit-def: $vgpr5
	s_and_saveexec_b64 s[10:11], s[8:9]
	s_xor_b64 s[28:29], exec, s[10:11]
	s_cbranch_execz .LBB228_250
; %bb.231:                              ;   in Loop: Header=BB228_129 Depth=1
	v_max_f32_e64 v5, |v15|, |v15|
	v_max_f32_e64 v13, |v16|, |v16|
	v_max_f32_e32 v5, v13, v5
	v_cmp_nle_f32_e64 s[8:9], s40, v5
                                        ; implicit-def: $sgpr30_sgpr31
	s_and_saveexec_b64 s[10:11], s[8:9]
	s_xor_b64 s[10:11], exec, s[10:11]
	s_cbranch_execz .LBB228_235
; %bb.232:                              ;   in Loop: Header=BB228_129 Depth=1
	v_cmp_le_f32_e64 s[30:31], |v15|, s41
	v_cmp_le_f32_e64 s[34:35], |v16|, s41
	s_and_b64 s[44:45], s[34:35], s[30:31]
	s_mov_b64 s[30:31], 0
	s_and_saveexec_b64 s[34:35], s[44:45]
; %bb.233:                              ;   in Loop: Header=BB228_129 Depth=1
	s_mov_b64 s[30:31], exec
	v_mul_f32_e32 v15, 4.0, v15
	v_mul_f32_e32 v16, 4.0, v16
; %bb.234:                              ;   in Loop: Header=BB228_129 Depth=1
	s_or_b64 exec, exec, s[34:35]
.LBB228_235:                            ;   in Loop: Header=BB228_129 Depth=1
	s_andn2_saveexec_b64 s[10:11], s[10:11]
; %bb.236:                              ;   in Loop: Header=BB228_129 Depth=1
	v_mul_f32_e32 v15, 0x3e800000, v15
	v_mul_f32_e32 v16, 0x3e800000, v16
	s_andn2_b64 s[30:31], s[30:31], exec
; %bb.237:                              ;   in Loop: Header=BB228_129 Depth=1
	s_or_b64 exec, exec, s[10:11]
	v_max_f32_e64 v5, |v16|, |v16|
	v_max_f32_e64 v13, |v15|, |v15|
	v_max_f32_e32 v5, v13, v5
	v_cvt_f64_f32_e32 v[23:24], v5
	v_cmp_neq_f32_e64 s[10:11], s39, v5
	v_cmp_le_f32_e32 vcc, 0, v15
	v_frexp_exp_i32_f64_e32 v13, v[23:24]
	v_sub_u32_e32 v18, 0, v13
	v_ldexp_f32 v20, |v15|, v18
	v_ldexp_f32 v18, |v16|, v18
	v_mul_f32_e32 v18, v18, v18
	v_fmac_f32_e32 v18, v20, v20
	v_sqrt_f32_e32 v18, v18
	v_ldexp_f32 v13, v18, v13
	v_cndmask_b32_e64 v5, v22, v13, s[10:11]
                                        ; implicit-def: $vgpr18
                                        ; implicit-def: $vgpr13
	s_and_saveexec_b64 s[10:11], vcc
	s_xor_b64 s[34:35], exec, s[10:11]
	s_cbranch_execz .LBB228_243
; %bb.238:                              ;   in Loop: Header=BB228_129 Depth=1
	v_add_f32_e32 v5, v15, v5
	v_mul_f32_e32 v5, 0.5, v5
	v_mul_f32_e32 v13, 0x4f800000, v5
	v_cmp_gt_f32_e32 vcc, s42, v5
	v_cndmask_b32_e32 v5, v5, v13, vcc
	v_sqrt_f32_e32 v13, v5
	v_add_u32_e32 v15, -1, v13
	v_fma_f32 v20, -v15, v13, v5
	v_add_u32_e32 v18, 1, v13
	v_cmp_ge_f32_e64 s[10:11], 0, v20
	v_cndmask_b32_e64 v15, v13, v15, s[10:11]
	v_fma_f32 v13, -v18, v13, v5
	v_cmp_lt_f32_e64 s[10:11], 0, v13
	v_cndmask_b32_e64 v13, v15, v18, s[10:11]
	v_mul_f32_e32 v15, 0x37800000, v13
	v_cndmask_b32_e32 v13, v13, v15, vcc
	v_cmp_class_f32_e32 vcc, v5, v21
	v_cndmask_b32_e32 v13, v13, v5, vcc
	v_add_f32_e32 v5, v13, v13
	v_div_scale_f32 v15, s[10:11], v5, v5, v16
	v_div_scale_f32 v18, vcc, v16, v5, v16
	v_rcp_f32_e32 v20, v15
	v_fma_f32 v23, -v15, v20, 1.0
	v_fmac_f32_e32 v20, v23, v20
	v_mul_f32_e32 v23, v18, v20
	v_fma_f32 v24, -v15, v23, v18
	v_fmac_f32_e32 v23, v24, v20
	v_fma_f32 v15, -v15, v23, v18
	v_div_fmas_f32 v15, v15, v20, v23
	v_div_fixup_f32 v18, v15, v5, v16
                                        ; implicit-def: $vgpr5
                                        ; implicit-def: $vgpr15
	s_andn2_saveexec_b64 s[34:35], s[34:35]
	s_cbranch_execz .LBB228_245
	s_branch .LBB228_244
.LBB228_239:                            ;   in Loop: Header=BB228_129 Depth=1
	s_or_b64 exec, exec, s[22:23]
	s_and_saveexec_b64 s[8:9], s[0:1]
	s_xor_b64 s[0:1], exec, s[8:9]
	s_cbranch_execz .LBB228_261
.LBB228_240:                            ;   in Loop: Header=BB228_129 Depth=1
	v_lshlrev_b64 v[1:2], 3, v[1:2]
	v_mov_b32_e32 v13, s15
	v_add_co_u32_e32 v1, vcc, s14, v1
	v_addc_co_u32_e32 v2, vcc, v13, v2, vcc
	v_mov_b32_e32 v18, v8
	global_store_dwordx2 v[1:2], v[17:18], off
	s_or_b64 exec, exec, s[0:1]
	s_and_saveexec_b64 s[0:1], s[2:3]
	s_cbranch_execnz .LBB228_262
.LBB228_241:                            ;   in Loop: Header=BB228_129 Depth=1
	s_or_b64 exec, exec, s[0:1]
	s_and_saveexec_b64 s[0:1], s[4:5]
	s_cbranch_execz .LBB228_263
.LBB228_242:                            ;   in Loop: Header=BB228_129 Depth=1
	v_lshlrev_b64 v[1:2], 3, v[9:10]
	v_mov_b32_e32 v3, s15
	v_add_co_u32_e32 v1, vcc, s14, v1
	v_addc_co_u32_e32 v2, vcc, v3, v2, vcc
	v_mov_b32_e32 v8, v6
	global_store_dwordx2 v[1:2], v[7:8], off
	s_or_b64 exec, exec, s[0:1]
	s_and_saveexec_b64 s[0:1], s[6:7]
	s_cbranch_execz .LBB228_128
	s_branch .LBB228_264
.LBB228_243:                            ;   in Loop: Header=BB228_129 Depth=1
	s_andn2_saveexec_b64 s[34:35], s[34:35]
	s_cbranch_execz .LBB228_245
.LBB228_244:                            ;   in Loop: Header=BB228_129 Depth=1
	v_sub_f32_e32 v5, v5, v15
	v_mul_f32_e32 v5, 0.5, v5
	v_mul_f32_e32 v13, 0x4f800000, v5
	v_cmp_gt_f32_e32 vcc, s42, v5
	v_cndmask_b32_e32 v5, v5, v13, vcc
	v_sqrt_f32_e32 v13, v5
	v_add_u32_e32 v15, -1, v13
	v_fma_f32 v20, -v15, v13, v5
	v_add_u32_e32 v18, 1, v13
	v_cmp_ge_f32_e64 s[10:11], 0, v20
	v_cndmask_b32_e64 v15, v13, v15, s[10:11]
	v_fma_f32 v13, -v18, v13, v5
	v_cmp_lt_f32_e64 s[10:11], 0, v13
	v_cndmask_b32_e64 v13, v15, v18, s[10:11]
	v_mul_f32_e32 v15, 0x37800000, v13
	v_cndmask_b32_e32 v13, v13, v15, vcc
	v_cmp_class_f32_e32 vcc, v5, v21
	v_cndmask_b32_e32 v5, v13, v5, vcc
	v_add_f32_e32 v13, v5, v5
	v_and_b32_e32 v15, 0x7fffffff, v16
	v_div_scale_f32 v18, s[10:11], v13, v13, v15
	v_div_scale_f32 v15, vcc, v15, v13, v15
	v_rcp_f32_e32 v20, v18
	v_fma_f32 v23, -v18, v20, 1.0
	v_fmac_f32_e32 v20, v23, v20
	v_mul_f32_e32 v23, v15, v20
	v_fma_f32 v24, -v18, v23, v15
	v_fmac_f32_e32 v23, v24, v20
	v_fma_f32 v15, -v18, v23, v15
	v_div_fmas_f32 v15, v15, v20, v23
	v_bfi_b32 v18, s43, v5, v16
	v_div_fixup_f32 v13, v15, v13, |v16|
.LBB228_245:                            ;   in Loop: Header=BB228_129 Depth=1
	s_or_b64 exec, exec, s[34:35]
                                        ; implicit-def: $vgpr16
                                        ; implicit-def: $vgpr5
	s_and_saveexec_b64 s[10:11], s[8:9]
	s_xor_b64 s[8:9], exec, s[10:11]
	s_cbranch_execz .LBB228_247
; %bb.246:                              ;   in Loop: Header=BB228_129 Depth=1
	v_mul_f32_e32 v5, 0.5, v13
	v_mul_f32_e32 v15, 0.5, v18
	v_cndmask_b32_e64 v5, v13, v5, s[30:31]
	v_cndmask_b32_e64 v16, v18, v15, s[30:31]
                                        ; implicit-def: $vgpr13
                                        ; implicit-def: $vgpr18
	s_andn2_saveexec_b64 s[8:9], s[8:9]
	s_cbranch_execnz .LBB228_248
	s_branch .LBB228_249
.LBB228_247:                            ;   in Loop: Header=BB228_129 Depth=1
	s_andn2_saveexec_b64 s[8:9], s[8:9]
.LBB228_248:                            ;   in Loop: Header=BB228_129 Depth=1
	v_add_f32_e32 v5, v13, v13
	v_add_f32_e32 v16, v18, v18
.LBB228_249:                            ;   in Loop: Header=BB228_129 Depth=1
	s_or_b64 exec, exec, s[8:9]
.LBB228_250:                            ;   in Loop: Header=BB228_129 Depth=1
	s_andn2_saveexec_b64 s[8:9], s[28:29]
	s_cbranch_execz .LBB228_256
; %bb.251:                              ;   in Loop: Header=BB228_129 Depth=1
	v_sub_f32_e32 v13, v16, v16
	v_cmp_lt_i32_e32 vcc, -1, v15
	v_and_b32_e32 v5, 0x7fffffff, v13
	s_and_saveexec_b64 s[10:11], vcc
	s_xor_b64 s[10:11], exec, s[10:11]
; %bb.252:                              ;   in Loop: Header=BB228_129 Depth=1
	v_bfi_b32 v16, s43, v13, v16
	v_mov_b32_e32 v5, v15
; %bb.253:                              ;   in Loop: Header=BB228_129 Depth=1
	s_andn2_saveexec_b64 s[10:11], s[10:11]
; %bb.254:                              ;   in Loop: Header=BB228_129 Depth=1
	v_bfi_b32 v16, s43, v15, v16
; %bb.255:                              ;   in Loop: Header=BB228_129 Depth=1
	s_or_b64 exec, exec, s[10:11]
.LBB228_256:                            ;   in Loop: Header=BB228_129 Depth=1
	s_or_b64 exec, exec, s[8:9]
.LBB228_257:                            ;   in Loop: Header=BB228_129 Depth=1
	s_andn2_saveexec_b64 s[8:9], s[26:27]
	s_cbranch_execz .LBB228_259
; %bb.258:                              ;   in Loop: Header=BB228_129 Depth=1
	v_sub_f32_e32 v5, v16, v16
	v_div_scale_f32 v13, vcc, v5, v5, v5
	v_rcp_f32_e32 v16, v13
	v_fma_f32 v18, -v13, v16, 1.0
	v_fmac_f32_e32 v16, v18, v16
	v_mul_f32_e32 v18, v13, v16
	v_fma_f32 v20, -v13, v18, v13
	v_fmac_f32_e32 v18, v20, v16
	v_fma_f32 v13, -v13, v18, v13
	v_div_fmas_f32 v13, v13, v16, v18
	v_div_fixup_f32 v16, v13, v5, v5
	v_mov_b32_e32 v5, v15
.LBB228_259:                            ;   in Loop: Header=BB228_129 Depth=1
	s_or_b64 exec, exec, s[8:9]
.LBB228_260:                            ;   in Loop: Header=BB228_129 Depth=1
	s_or_b64 exec, exec, s[24:25]
	s_or_b64 exec, exec, s[22:23]
	s_and_saveexec_b64 s[8:9], s[0:1]
	s_xor_b64 s[0:1], exec, s[8:9]
	s_cbranch_execnz .LBB228_240
.LBB228_261:                            ;   in Loop: Header=BB228_129 Depth=1
	s_or_b64 exec, exec, s[0:1]
	s_and_saveexec_b64 s[0:1], s[2:3]
	s_cbranch_execz .LBB228_241
.LBB228_262:                            ;   in Loop: Header=BB228_129 Depth=1
	v_lshlrev_b64 v[1:2], 3, v[3:4]
	v_mov_b32_e32 v3, s15
	v_add_co_u32_e32 v1, vcc, s14, v1
	v_addc_co_u32_e32 v2, vcc, v3, v2, vcc
	v_mov_b32_e32 v20, v14
	global_store_dwordx2 v[1:2], v[19:20], off
	s_or_b64 exec, exec, s[0:1]
	s_and_saveexec_b64 s[0:1], s[4:5]
	s_cbranch_execnz .LBB228_242
.LBB228_263:                            ;   in Loop: Header=BB228_129 Depth=1
	s_or_b64 exec, exec, s[0:1]
	s_and_saveexec_b64 s[0:1], s[6:7]
	s_cbranch_execz .LBB228_128
.LBB228_264:                            ;   in Loop: Header=BB228_129 Depth=1
	v_lshlrev_b64 v[1:2], 3, v[11:12]
	v_mov_b32_e32 v3, s15
	v_add_co_u32_e32 v1, vcc, s14, v1
	v_addc_co_u32_e32 v2, vcc, v3, v2, vcc
	v_mov_b32_e32 v6, v16
	global_store_dwordx2 v[1:2], v[5:6], off
	s_branch .LBB228_128
.LBB228_265:
	s_endpgm
	.section	.rodata,"a",@progbits
	.p2align	6, 0x0
	.amdhsa_kernel _ZN2at6native12_GLOBAL__N_125multi_tensor_apply_kernelINS1_18TensorListMetadataILi2EEENS1_14UnaryOpFunctorIN3c107complexIfEELi2ELi1ELi1EEEJNS0_4SqrtIS8_EEEEEvT_T0_DpT1_
		.amdhsa_group_segment_fixed_size 0
		.amdhsa_private_segment_fixed_size 0
		.amdhsa_kernarg_size 3408
		.amdhsa_user_sgpr_count 6
		.amdhsa_user_sgpr_private_segment_buffer 1
		.amdhsa_user_sgpr_dispatch_ptr 0
		.amdhsa_user_sgpr_queue_ptr 0
		.amdhsa_user_sgpr_kernarg_segment_ptr 1
		.amdhsa_user_sgpr_dispatch_id 0
		.amdhsa_user_sgpr_flat_scratch_init 0
		.amdhsa_user_sgpr_private_segment_size 0
		.amdhsa_uses_dynamic_stack 0
		.amdhsa_system_sgpr_private_segment_wavefront_offset 0
		.amdhsa_system_sgpr_workgroup_id_x 1
		.amdhsa_system_sgpr_workgroup_id_y 0
		.amdhsa_system_sgpr_workgroup_id_z 0
		.amdhsa_system_sgpr_workgroup_info 0
		.amdhsa_system_vgpr_workitem_id 0
		.amdhsa_next_free_vgpr 26
		.amdhsa_next_free_sgpr 46
		.amdhsa_reserve_vcc 1
		.amdhsa_reserve_flat_scratch 0
		.amdhsa_float_round_mode_32 0
		.amdhsa_float_round_mode_16_64 0
		.amdhsa_float_denorm_mode_32 3
		.amdhsa_float_denorm_mode_16_64 3
		.amdhsa_dx10_clamp 1
		.amdhsa_ieee_mode 1
		.amdhsa_fp16_overflow 0
		.amdhsa_exception_fp_ieee_invalid_op 0
		.amdhsa_exception_fp_denorm_src 0
		.amdhsa_exception_fp_ieee_div_zero 0
		.amdhsa_exception_fp_ieee_overflow 0
		.amdhsa_exception_fp_ieee_underflow 0
		.amdhsa_exception_fp_ieee_inexact 0
		.amdhsa_exception_int_div_zero 0
	.end_amdhsa_kernel
	.section	.text._ZN2at6native12_GLOBAL__N_125multi_tensor_apply_kernelINS1_18TensorListMetadataILi2EEENS1_14UnaryOpFunctorIN3c107complexIfEELi2ELi1ELi1EEEJNS0_4SqrtIS8_EEEEEvT_T0_DpT1_,"axG",@progbits,_ZN2at6native12_GLOBAL__N_125multi_tensor_apply_kernelINS1_18TensorListMetadataILi2EEENS1_14UnaryOpFunctorIN3c107complexIfEELi2ELi1ELi1EEEJNS0_4SqrtIS8_EEEEEvT_T0_DpT1_,comdat
.Lfunc_end228:
	.size	_ZN2at6native12_GLOBAL__N_125multi_tensor_apply_kernelINS1_18TensorListMetadataILi2EEENS1_14UnaryOpFunctorIN3c107complexIfEELi2ELi1ELi1EEEJNS0_4SqrtIS8_EEEEEvT_T0_DpT1_, .Lfunc_end228-_ZN2at6native12_GLOBAL__N_125multi_tensor_apply_kernelINS1_18TensorListMetadataILi2EEENS1_14UnaryOpFunctorIN3c107complexIfEELi2ELi1ELi1EEEJNS0_4SqrtIS8_EEEEEvT_T0_DpT1_
                                        ; -- End function
	.set _ZN2at6native12_GLOBAL__N_125multi_tensor_apply_kernelINS1_18TensorListMetadataILi2EEENS1_14UnaryOpFunctorIN3c107complexIfEELi2ELi1ELi1EEEJNS0_4SqrtIS8_EEEEEvT_T0_DpT1_.num_vgpr, 26
	.set _ZN2at6native12_GLOBAL__N_125multi_tensor_apply_kernelINS1_18TensorListMetadataILi2EEENS1_14UnaryOpFunctorIN3c107complexIfEELi2ELi1ELi1EEEJNS0_4SqrtIS8_EEEEEvT_T0_DpT1_.num_agpr, 0
	.set _ZN2at6native12_GLOBAL__N_125multi_tensor_apply_kernelINS1_18TensorListMetadataILi2EEENS1_14UnaryOpFunctorIN3c107complexIfEELi2ELi1ELi1EEEJNS0_4SqrtIS8_EEEEEvT_T0_DpT1_.numbered_sgpr, 46
	.set _ZN2at6native12_GLOBAL__N_125multi_tensor_apply_kernelINS1_18TensorListMetadataILi2EEENS1_14UnaryOpFunctorIN3c107complexIfEELi2ELi1ELi1EEEJNS0_4SqrtIS8_EEEEEvT_T0_DpT1_.num_named_barrier, 0
	.set _ZN2at6native12_GLOBAL__N_125multi_tensor_apply_kernelINS1_18TensorListMetadataILi2EEENS1_14UnaryOpFunctorIN3c107complexIfEELi2ELi1ELi1EEEJNS0_4SqrtIS8_EEEEEvT_T0_DpT1_.private_seg_size, 0
	.set _ZN2at6native12_GLOBAL__N_125multi_tensor_apply_kernelINS1_18TensorListMetadataILi2EEENS1_14UnaryOpFunctorIN3c107complexIfEELi2ELi1ELi1EEEJNS0_4SqrtIS8_EEEEEvT_T0_DpT1_.uses_vcc, 1
	.set _ZN2at6native12_GLOBAL__N_125multi_tensor_apply_kernelINS1_18TensorListMetadataILi2EEENS1_14UnaryOpFunctorIN3c107complexIfEELi2ELi1ELi1EEEJNS0_4SqrtIS8_EEEEEvT_T0_DpT1_.uses_flat_scratch, 0
	.set _ZN2at6native12_GLOBAL__N_125multi_tensor_apply_kernelINS1_18TensorListMetadataILi2EEENS1_14UnaryOpFunctorIN3c107complexIfEELi2ELi1ELi1EEEJNS0_4SqrtIS8_EEEEEvT_T0_DpT1_.has_dyn_sized_stack, 0
	.set _ZN2at6native12_GLOBAL__N_125multi_tensor_apply_kernelINS1_18TensorListMetadataILi2EEENS1_14UnaryOpFunctorIN3c107complexIfEELi2ELi1ELi1EEEJNS0_4SqrtIS8_EEEEEvT_T0_DpT1_.has_recursion, 0
	.set _ZN2at6native12_GLOBAL__N_125multi_tensor_apply_kernelINS1_18TensorListMetadataILi2EEENS1_14UnaryOpFunctorIN3c107complexIfEELi2ELi1ELi1EEEJNS0_4SqrtIS8_EEEEEvT_T0_DpT1_.has_indirect_call, 0
	.section	.AMDGPU.csdata,"",@progbits
; Kernel info:
; codeLenInByte = 8608
; TotalNumSgprs: 50
; NumVgprs: 26
; ScratchSize: 0
; MemoryBound: 0
; FloatMode: 240
; IeeeMode: 1
; LDSByteSize: 0 bytes/workgroup (compile time only)
; SGPRBlocks: 6
; VGPRBlocks: 6
; NumSGPRsForWavesPerEU: 50
; NumVGPRsForWavesPerEU: 26
; Occupancy: 9
; WaveLimiterHint : 0
; COMPUTE_PGM_RSRC2:SCRATCH_EN: 0
; COMPUTE_PGM_RSRC2:USER_SGPR: 6
; COMPUTE_PGM_RSRC2:TRAP_HANDLER: 0
; COMPUTE_PGM_RSRC2:TGID_X_EN: 1
; COMPUTE_PGM_RSRC2:TGID_Y_EN: 0
; COMPUTE_PGM_RSRC2:TGID_Z_EN: 0
; COMPUTE_PGM_RSRC2:TIDIG_COMP_CNT: 0
	.section	.text._ZN2at6native12_GLOBAL__N_125multi_tensor_apply_kernelINS1_18TensorListMetadataILi2EEENS1_14UnaryOpFunctorIN3c104HalfELi2ELi1ELi1EEEJNS0_4SqrtIfEEEEEvT_T0_DpT1_,"axG",@progbits,_ZN2at6native12_GLOBAL__N_125multi_tensor_apply_kernelINS1_18TensorListMetadataILi2EEENS1_14UnaryOpFunctorIN3c104HalfELi2ELi1ELi1EEEJNS0_4SqrtIfEEEEEvT_T0_DpT1_,comdat
	.globl	_ZN2at6native12_GLOBAL__N_125multi_tensor_apply_kernelINS1_18TensorListMetadataILi2EEENS1_14UnaryOpFunctorIN3c104HalfELi2ELi1ELi1EEEJNS0_4SqrtIfEEEEEvT_T0_DpT1_ ; -- Begin function _ZN2at6native12_GLOBAL__N_125multi_tensor_apply_kernelINS1_18TensorListMetadataILi2EEENS1_14UnaryOpFunctorIN3c104HalfELi2ELi1ELi1EEEJNS0_4SqrtIfEEEEEvT_T0_DpT1_
	.p2align	8
	.type	_ZN2at6native12_GLOBAL__N_125multi_tensor_apply_kernelINS1_18TensorListMetadataILi2EEENS1_14UnaryOpFunctorIN3c104HalfELi2ELi1ELi1EEEJNS0_4SqrtIfEEEEEvT_T0_DpT1_,@function
_ZN2at6native12_GLOBAL__N_125multi_tensor_apply_kernelINS1_18TensorListMetadataILi2EEENS1_14UnaryOpFunctorIN3c104HalfELi2ELi1ELi1EEEJNS0_4SqrtIfEEEEEvT_T0_DpT1_: ; @_ZN2at6native12_GLOBAL__N_125multi_tensor_apply_kernelINS1_18TensorListMetadataILi2EEENS1_14UnaryOpFunctorIN3c104HalfELi2ELi1ELi1EEEJNS0_4SqrtIfEEEEEvT_T0_DpT1_
; %bb.0:
	v_mov_b32_e32 v1, s6
	global_load_ubyte v1, v1, s[4:5] offset:1536
	s_add_u32 s0, s4, s6
	s_mul_hi_u32 s2, s6, 3
	s_mul_i32 s6, s6, 3
	s_addc_u32 s7, s5, 0
	s_add_u32 s6, s0, s6
	s_addc_u32 s7, s7, s2
	s_load_dword s6, s[6:7], 0x740
	s_mov_b32 s1, 0
	s_mov_b32 s3, s1
	s_waitcnt lgkmcnt(0)
	s_ashr_i32 s7, s6, 31
	s_lshl_b64 s[8:9], s[6:7], 17
	s_lshl_b64 s[6:7], s[6:7], 16
	s_waitcnt vmcnt(0)
	v_readfirstlane_b32 s0, v1
	s_lshl_b32 s0, s0, 3
	s_load_dwordx2 s[12:13], s[4:5], s0 offset:0x400
	s_load_dwordx2 s[14:15], s[4:5], s0 offset:0x0
	;; [unrolled: 1-line block ×3, first 2 shown]
	s_waitcnt lgkmcnt(0)
	s_add_u32 s0, s14, s8
	s_and_b32 s2, s10, 7
	s_and_b32 s0, s0, 7
	s_sub_u32 s16, s12, s6
	s_subb_u32 s17, s13, s7
	s_and_b32 s6, s12, 3
	s_mov_b32 s7, s1
	s_or_b64 s[2:3], s[2:3], s[6:7]
	s_or_b64 s[0:1], s[2:3], s[0:1]
	s_cmp_eq_u64 s[0:1], 0
	s_mov_b64 s[0:1], -1
	s_cbranch_scc0 .LBB229_5
; %bb.1:
	v_mov_b32_e32 v1, 0x10000
	v_mov_b32_e32 v2, 0
	v_cmp_lt_i64_e32 vcc, s[16:17], v[1:2]
	v_mov_b32_e32 v2, 0
	s_and_b64 s[0:1], vcc, exec
	s_cselect_b32 s13, s17, 0
	s_cselect_b32 s12, s16, 0x10000
	v_lshlrev_b32_e32 v1, 2, v0
	v_cmp_gt_i64_e32 vcc, s[12:13], v[1:2]
	s_and_saveexec_b64 s[18:19], vcc
	s_cbranch_execz .LBB229_4
; %bb.2:
	s_load_dword s0, s[4:5], 0xc5c
	v_mov_b32_e32 v1, v2
	v_lshlrev_b32_e32 v2, 3, v0
	v_mov_b32_e32 v4, s9
	v_add_co_u32_e32 v3, vcc, s8, v2
	s_waitcnt lgkmcnt(0)
	s_and_b32 s22, s0, 0xffff
	v_mov_b32_e32 v2, v1
	v_addc_co_u32_e32 v4, vcc, 0, v4, vcc
	s_lshl_b32 s23, s22, 3
	s_mov_b64 s[20:21], 0
	v_mov_b32_e32 v5, s15
	s_mov_b32 s24, 0xf800000
	v_mov_b32_e32 v6, 0x260
	v_mov_b32_e32 v7, s11
	;; [unrolled: 1-line block ×3, first 2 shown]
.LBB229_3:                              ; =>This Inner Loop Header: Depth=1
	v_add_co_u32_e32 v8, vcc, s14, v3
	v_addc_co_u32_e32 v9, vcc, v5, v4, vcc
	global_load_dwordx2 v[8:9], v[8:9], off
	v_add_co_u32_e32 v10, vcc, s10, v3
	v_addc_co_u32_e32 v11, vcc, v7, v4, vcc
	v_add_co_u32_e32 v1, vcc, s22, v1
	v_addc_co_u32_e32 v2, vcc, 0, v2, vcc
	;; [unrolled: 2-line block ×3, first 2 shown]
	v_lshlrev_b64 v[12:13], 2, v[1:2]
	s_waitcnt vmcnt(0)
	v_cvt_f32_f16_e32 v14, v8
	v_cvt_f32_f16_sdwa v8, v8 dst_sel:DWORD dst_unused:UNUSED_PAD src0_sel:WORD_1
	v_cvt_f32_f16_e32 v15, v9
	v_cvt_f32_f16_sdwa v9, v9 dst_sel:DWORD dst_unused:UNUSED_PAD src0_sel:WORD_1
	v_mul_f32_e32 v16, 0x4f800000, v14
	v_mul_f32_e32 v17, 0x4f800000, v8
	v_cmp_gt_f32_e32 vcc, s24, v8
	v_mul_f32_e32 v18, 0x4f800000, v15
	v_cmp_gt_f32_e64 s[0:1], s24, v15
	v_mul_f32_e32 v19, 0x4f800000, v9
	v_cmp_gt_f32_e64 s[2:3], s24, v9
	v_cmp_gt_f32_e64 s[6:7], s24, v14
	v_cndmask_b32_e64 v14, v14, v16, s[6:7]
	v_cndmask_b32_e32 v8, v8, v17, vcc
	v_cndmask_b32_e64 v15, v15, v18, s[0:1]
	v_cndmask_b32_e64 v9, v9, v19, s[2:3]
	v_rsq_f32_e32 v16, v14
	v_rsq_f32_e32 v17, v8
	v_rsq_f32_e32 v18, v15
	v_rsq_f32_e32 v19, v9
	v_mul_f32_e32 v20, v14, v16
	v_mul_f32_e32 v16, 0.5, v16
	v_mul_f32_e32 v21, v8, v17
	v_mul_f32_e32 v17, 0.5, v17
	;; [unrolled: 2-line block ×4, first 2 shown]
	v_fma_f32 v24, -v16, v20, 0.5
	v_fma_f32 v25, -v17, v21, 0.5
	;; [unrolled: 1-line block ×4, first 2 shown]
	v_fmac_f32_e32 v20, v20, v24
	v_fmac_f32_e32 v21, v21, v25
	;; [unrolled: 1-line block ×8, first 2 shown]
	v_fma_f32 v24, -v20, v20, v14
	v_fma_f32 v25, -v21, v21, v8
	;; [unrolled: 1-line block ×4, first 2 shown]
	v_fmac_f32_e32 v20, v24, v16
	v_fmac_f32_e32 v21, v25, v17
	v_fmac_f32_e32 v22, v26, v18
	v_fmac_f32_e32 v23, v27, v19
	v_mul_f32_e32 v16, 0x37800000, v20
	v_mul_f32_e32 v17, 0x37800000, v21
	;; [unrolled: 1-line block ×4, first 2 shown]
	v_cndmask_b32_e64 v16, v20, v16, s[6:7]
	v_cndmask_b32_e32 v17, v21, v17, vcc
	v_cndmask_b32_e64 v18, v22, v18, s[0:1]
	v_cmp_class_f32_e32 vcc, v8, v6
	v_cmp_class_f32_e64 s[0:1], v15, v6
	v_cndmask_b32_e64 v19, v23, v19, s[2:3]
	v_cmp_class_f32_e64 s[2:3], v9, v6
	v_cmp_class_f32_e64 s[6:7], v14, v6
	v_cndmask_b32_e64 v14, v16, v14, s[6:7]
	v_cndmask_b32_e32 v8, v17, v8, vcc
	v_cndmask_b32_e64 v15, v18, v15, s[0:1]
	v_cndmask_b32_e64 v9, v19, v9, s[2:3]
	v_cvt_f16_f32_e32 v14, v14
	v_cvt_f16_f32_e32 v8, v8
	;; [unrolled: 1-line block ×4, first 2 shown]
	v_cmp_le_i64_e32 vcc, s[12:13], v[12:13]
	v_pack_b32_f16 v8, v14, v8
	s_or_b64 s[20:21], vcc, s[20:21]
	v_pack_b32_f16 v9, v15, v9
	global_store_dwordx2 v[10:11], v[8:9], off
	s_andn2_b64 exec, exec, s[20:21]
	s_cbranch_execnz .LBB229_3
.LBB229_4:
	s_or_b64 exec, exec, s[18:19]
	s_mov_b64 s[0:1], 0
.LBB229_5:
	s_andn2_b64 vcc, exec, s[0:1]
	s_cbranch_vccnz .LBB229_25
; %bb.6:
	v_cmp_lt_i64_e64 s[0:1], s[16:17], 1
	s_and_b64 vcc, exec, s[0:1]
	s_cbranch_vccnz .LBB229_25
; %bb.7:
	v_mov_b32_e32 v1, 0x10000
	s_load_dword s2, s[4:5], 0xc5c
	v_mov_b32_e32 v2, 0
	v_cmp_lt_i64_e32 vcc, s[16:17], v[1:2]
	v_mov_b32_e32 v10, 0
	s_and_b64 s[0:1], vcc, exec
	v_cmp_lt_u64_e32 vcc, s[16:17], v[1:2]
	s_cselect_b32 s13, s17, 0
	s_cselect_b32 s12, s16, 0x10000
	s_waitcnt lgkmcnt(0)
	s_and_b32 s2, s2, 0xffff
	v_lshlrev_b32_e32 v9, 1, v0
	s_and_b64 s[0:1], vcc, exec
	v_mov_b32_e32 v2, s15
	v_add_co_u32_e32 v1, vcc, s14, v9
	v_mad_u64_u32 v[7:8], s[0:1], s2, 6, v[9:10]
	v_addc_co_u32_e32 v2, vcc, 0, v2, vcc
	v_mov_b32_e32 v4, s11
	v_add_co_u32_e32 v3, vcc, s10, v9
	v_addc_co_u32_e32 v4, vcc, 0, v4, vcc
	v_mov_b32_e32 v6, s15
	v_add_co_u32_e32 v5, vcc, s14, v7
	;; [unrolled: 3-line block ×3, first 2 shown]
	s_cselect_b32 s17, s17, 0
	s_cselect_b32 s16, s16, 0x10000
	s_lshl_b32 s18, s2, 2
	v_addc_co_u32_e32 v8, vcc, v10, v8, vcc
	v_add_co_u32_e32 v11, vcc, s18, v9
	v_addc_co_u32_e64 v12, s[0:1], 0, 0, vcc
	v_mov_b32_e32 v10, s15
	v_add_co_u32_e32 v9, vcc, s14, v11
	v_addc_co_u32_e32 v10, vcc, v10, v12, vcc
	v_mov_b32_e32 v13, s11
	v_add_co_u32_e32 v11, vcc, s10, v11
	v_addc_co_u32_e32 v12, vcc, v13, v12, vcc
	v_add_co_u32_e32 v13, vcc, s2, v0
	v_lshlrev_b32_e32 v17, 1, v13
	v_addc_co_u32_e64 v14, s[0:1], 0, 0, vcc
	v_mov_b32_e32 v16, s15
	v_add_co_u32_e32 v15, vcc, s14, v17
	v_addc_co_u32_e32 v16, vcc, 0, v16, vcc
	v_mov_b32_e32 v18, s11
	v_add_co_u32_e32 v17, vcc, s10, v17
	s_mul_i32 s4, s2, 3
	v_addc_co_u32_e32 v18, vcc, 0, v18, vcc
	s_lshl_b32 s3, s2, 1
	v_add_co_u32_e32 v19, vcc, s4, v0
	v_addc_co_u32_e64 v20, s[0:1], 0, 0, vcc
	v_add_co_u32_e32 v21, vcc, s3, v0
	s_lshl_b32 s19, s2, 3
	s_mov_b64 s[10:11], 0
	s_mov_b32 s20, 0xf800000
	v_addc_co_u32_e64 v22, s[0:1], 0, 0, vcc
	v_mov_b32_e32 v23, 0x260
	s_branch .LBB229_9
.LBB229_8:                              ;   in Loop: Header=BB229_9 Depth=1
	s_or_b64 exec, exec, s[0:1]
	v_add_co_u32_e32 v1, vcc, s19, v1
	v_addc_co_u32_e32 v2, vcc, 0, v2, vcc
	v_add_co_u32_e32 v3, vcc, s19, v3
	v_addc_co_u32_e32 v4, vcc, 0, v4, vcc
	;; [unrolled: 2-line block ×6, first 2 shown]
	s_add_u32 s10, s10, s18
	v_add_co_u32_e32 v15, vcc, s19, v15
	v_mov_b32_e32 v25, s13
	s_addc_u32 s11, s11, 0
	v_addc_co_u32_e32 v16, vcc, 0, v16, vcc
	v_mov_b32_e32 v24, s12
	v_cmp_ge_i64_e32 vcc, s[10:11], v[24:25]
	v_add_co_u32_e64 v17, s[0:1], s19, v17
	v_addc_co_u32_e64 v18, s[0:1], 0, v18, s[0:1]
	s_cbranch_vccnz .LBB229_25
.LBB229_9:                              ; =>This Inner Loop Header: Depth=1
	v_mov_b32_e32 v25, s11
	v_add_co_u32_e32 v24, vcc, s10, v0
	v_addc_co_u32_e32 v25, vcc, 0, v25, vcc
	v_cmp_gt_u64_e32 vcc, s[16:17], v[24:25]
	v_mov_b32_e32 v24, 0
	s_and_saveexec_b64 s[2:3], vcc
	s_cbranch_execz .LBB229_11
; %bb.10:                               ;   in Loop: Header=BB229_9 Depth=1
	v_mov_b32_e32 v25, s9
	v_add_co_u32_e64 v24, s[0:1], s8, v1
	v_addc_co_u32_e64 v25, s[0:1], v2, v25, s[0:1]
	global_load_ushort v24, v[24:25], off
	s_waitcnt vmcnt(0)
	v_cvt_f32_f16_e32 v24, v24
	v_mul_f32_e32 v25, 0x4f800000, v24
	v_cmp_gt_f32_e64 s[0:1], s20, v24
	v_cndmask_b32_e64 v24, v24, v25, s[0:1]
	v_rsq_f32_e32 v25, v24
	v_mul_f32_e32 v26, v24, v25
	v_mul_f32_e32 v25, 0.5, v25
	v_fma_f32 v27, -v25, v26, 0.5
	v_fmac_f32_e32 v26, v26, v27
	v_fmac_f32_e32 v25, v25, v27
	v_fma_f32 v27, -v26, v26, v24
	v_fmac_f32_e32 v26, v27, v25
	v_mul_f32_e32 v25, 0x37800000, v26
	v_cndmask_b32_e64 v25, v26, v25, s[0:1]
	v_cmp_class_f32_e64 s[0:1], v24, v23
	v_cndmask_b32_e64 v24, v25, v24, s[0:1]
	v_cvt_f16_f32_e32 v24, v24
.LBB229_11:                             ;   in Loop: Header=BB229_9 Depth=1
	s_or_b64 exec, exec, s[2:3]
	v_mov_b32_e32 v26, s11
	v_add_co_u32_e64 v25, s[0:1], s10, v13
	v_addc_co_u32_e64 v26, s[0:1], v14, v26, s[0:1]
	v_cmp_gt_u64_e64 s[0:1], s[16:17], v[25:26]
	v_mov_b32_e32 v25, 0
	v_mov_b32_e32 v26, 0
	s_and_saveexec_b64 s[4:5], s[0:1]
	s_cbranch_execz .LBB229_13
; %bb.12:                               ;   in Loop: Header=BB229_9 Depth=1
	v_mov_b32_e32 v27, s9
	v_add_co_u32_e64 v26, s[2:3], s8, v15
	v_addc_co_u32_e64 v27, s[2:3], v16, v27, s[2:3]
	global_load_ushort v26, v[26:27], off
	s_waitcnt vmcnt(0)
	v_cvt_f32_f16_e32 v26, v26
	v_mul_f32_e32 v27, 0x4f800000, v26
	v_cmp_gt_f32_e64 s[2:3], s20, v26
	v_cndmask_b32_e64 v26, v26, v27, s[2:3]
	v_rsq_f32_e32 v27, v26
	v_mul_f32_e32 v28, v26, v27
	v_mul_f32_e32 v27, 0.5, v27
	v_fma_f32 v29, -v27, v28, 0.5
	v_fmac_f32_e32 v28, v28, v29
	v_fmac_f32_e32 v27, v27, v29
	v_fma_f32 v29, -v28, v28, v26
	v_fmac_f32_e32 v28, v29, v27
	v_mul_f32_e32 v27, 0x37800000, v28
	v_cndmask_b32_e64 v27, v28, v27, s[2:3]
	v_cmp_class_f32_e64 s[2:3], v26, v23
	v_cndmask_b32_e64 v26, v27, v26, s[2:3]
	v_cvt_f16_f32_e32 v26, v26
.LBB229_13:                             ;   in Loop: Header=BB229_9 Depth=1
	s_or_b64 exec, exec, s[4:5]
	v_mov_b32_e32 v28, s11
	v_add_co_u32_e64 v27, s[2:3], s10, v21
	v_addc_co_u32_e64 v28, s[2:3], v22, v28, s[2:3]
	v_cmp_gt_u64_e64 s[2:3], s[16:17], v[27:28]
	s_and_saveexec_b64 s[6:7], s[2:3]
	s_cbranch_execz .LBB229_15
; %bb.14:                               ;   in Loop: Header=BB229_9 Depth=1
	v_mov_b32_e32 v25, s9
	v_add_co_u32_e64 v27, s[4:5], s8, v9
	v_addc_co_u32_e64 v28, s[4:5], v10, v25, s[4:5]
	global_load_ushort v25, v[27:28], off
	s_waitcnt vmcnt(0)
	v_cvt_f32_f16_e32 v25, v25
	v_mul_f32_e32 v27, 0x4f800000, v25
	v_cmp_gt_f32_e64 s[4:5], s20, v25
	v_cndmask_b32_e64 v25, v25, v27, s[4:5]
	v_rsq_f32_e32 v27, v25
	v_mul_f32_e32 v28, v25, v27
	v_mul_f32_e32 v27, 0.5, v27
	v_fma_f32 v29, -v27, v28, 0.5
	v_fmac_f32_e32 v28, v28, v29
	v_fmac_f32_e32 v27, v27, v29
	v_fma_f32 v29, -v28, v28, v25
	v_fmac_f32_e32 v28, v29, v27
	v_mul_f32_e32 v27, 0x37800000, v28
	v_cndmask_b32_e64 v27, v28, v27, s[4:5]
	v_cmp_class_f32_e64 s[4:5], v25, v23
	v_cndmask_b32_e64 v25, v27, v25, s[4:5]
	v_cvt_f16_f32_e32 v25, v25
.LBB229_15:                             ;   in Loop: Header=BB229_9 Depth=1
	s_or_b64 exec, exec, s[6:7]
	v_mov_b32_e32 v28, s11
	v_add_co_u32_e64 v27, s[4:5], s10, v19
	v_addc_co_u32_e64 v28, s[4:5], v20, v28, s[4:5]
	v_cmp_gt_u64_e64 s[4:5], s[16:17], v[27:28]
	v_mov_b32_e32 v27, 0
	s_and_saveexec_b64 s[14:15], s[4:5]
	s_cbranch_execnz .LBB229_20
; %bb.16:                               ;   in Loop: Header=BB229_9 Depth=1
	s_or_b64 exec, exec, s[14:15]
	s_and_saveexec_b64 s[6:7], vcc
	s_cbranch_execnz .LBB229_21
.LBB229_17:                             ;   in Loop: Header=BB229_9 Depth=1
	s_or_b64 exec, exec, s[6:7]
	s_and_saveexec_b64 s[6:7], s[0:1]
	s_cbranch_execnz .LBB229_22
.LBB229_18:                             ;   in Loop: Header=BB229_9 Depth=1
	s_or_b64 exec, exec, s[6:7]
	s_and_saveexec_b64 s[0:1], s[2:3]
	s_cbranch_execnz .LBB229_23
.LBB229_19:                             ;   in Loop: Header=BB229_9 Depth=1
	s_or_b64 exec, exec, s[0:1]
	s_and_saveexec_b64 s[0:1], s[4:5]
	s_cbranch_execz .LBB229_8
	s_branch .LBB229_24
.LBB229_20:                             ;   in Loop: Header=BB229_9 Depth=1
	v_mov_b32_e32 v28, s9
	v_add_co_u32_e64 v27, s[6:7], s8, v5
	v_addc_co_u32_e64 v28, s[6:7], v6, v28, s[6:7]
	global_load_ushort v27, v[27:28], off
	s_waitcnt vmcnt(0)
	v_cvt_f32_f16_e32 v27, v27
	v_mul_f32_e32 v28, 0x4f800000, v27
	v_cmp_gt_f32_e64 s[6:7], s20, v27
	v_cndmask_b32_e64 v27, v27, v28, s[6:7]
	v_rsq_f32_e32 v28, v27
	v_mul_f32_e32 v29, v27, v28
	v_mul_f32_e32 v28, 0.5, v28
	v_fma_f32 v30, -v28, v29, 0.5
	v_fmac_f32_e32 v29, v29, v30
	v_fmac_f32_e32 v28, v28, v30
	v_fma_f32 v30, -v29, v29, v27
	v_fmac_f32_e32 v29, v30, v28
	v_mul_f32_e32 v28, 0x37800000, v29
	v_cndmask_b32_e64 v28, v29, v28, s[6:7]
	v_cmp_class_f32_e64 s[6:7], v27, v23
	v_cndmask_b32_e64 v27, v28, v27, s[6:7]
	v_cvt_f16_f32_e32 v27, v27
	s_or_b64 exec, exec, s[14:15]
	s_and_saveexec_b64 s[6:7], vcc
	s_cbranch_execz .LBB229_17
.LBB229_21:                             ;   in Loop: Header=BB229_9 Depth=1
	v_mov_b32_e32 v29, s9
	v_add_co_u32_e32 v28, vcc, s8, v3
	v_addc_co_u32_e32 v29, vcc, v4, v29, vcc
	global_store_short v[28:29], v24, off
	s_or_b64 exec, exec, s[6:7]
	s_and_saveexec_b64 s[6:7], s[0:1]
	s_cbranch_execz .LBB229_18
.LBB229_22:                             ;   in Loop: Header=BB229_9 Depth=1
	v_mov_b32_e32 v24, s9
	v_add_co_u32_e32 v28, vcc, s8, v17
	v_addc_co_u32_e32 v29, vcc, v18, v24, vcc
	global_store_short v[28:29], v26, off
	s_or_b64 exec, exec, s[6:7]
	s_and_saveexec_b64 s[0:1], s[2:3]
	s_cbranch_execz .LBB229_19
.LBB229_23:                             ;   in Loop: Header=BB229_9 Depth=1
	v_mov_b32_e32 v24, s9
	v_add_co_u32_e32 v28, vcc, s8, v11
	v_addc_co_u32_e32 v29, vcc, v12, v24, vcc
	global_store_short v[28:29], v25, off
	s_or_b64 exec, exec, s[0:1]
	s_and_saveexec_b64 s[0:1], s[4:5]
	s_cbranch_execz .LBB229_8
.LBB229_24:                             ;   in Loop: Header=BB229_9 Depth=1
	v_mov_b32_e32 v25, s9
	v_add_co_u32_e32 v24, vcc, s8, v7
	v_addc_co_u32_e32 v25, vcc, v8, v25, vcc
	global_store_short v[24:25], v27, off
	s_branch .LBB229_8
.LBB229_25:
	s_endpgm
	.section	.rodata,"a",@progbits
	.p2align	6, 0x0
	.amdhsa_kernel _ZN2at6native12_GLOBAL__N_125multi_tensor_apply_kernelINS1_18TensorListMetadataILi2EEENS1_14UnaryOpFunctorIN3c104HalfELi2ELi1ELi1EEEJNS0_4SqrtIfEEEEEvT_T0_DpT1_
		.amdhsa_group_segment_fixed_size 0
		.amdhsa_private_segment_fixed_size 0
		.amdhsa_kernarg_size 3408
		.amdhsa_user_sgpr_count 6
		.amdhsa_user_sgpr_private_segment_buffer 1
		.amdhsa_user_sgpr_dispatch_ptr 0
		.amdhsa_user_sgpr_queue_ptr 0
		.amdhsa_user_sgpr_kernarg_segment_ptr 1
		.amdhsa_user_sgpr_dispatch_id 0
		.amdhsa_user_sgpr_flat_scratch_init 0
		.amdhsa_user_sgpr_private_segment_size 0
		.amdhsa_uses_dynamic_stack 0
		.amdhsa_system_sgpr_private_segment_wavefront_offset 0
		.amdhsa_system_sgpr_workgroup_id_x 1
		.amdhsa_system_sgpr_workgroup_id_y 0
		.amdhsa_system_sgpr_workgroup_id_z 0
		.amdhsa_system_sgpr_workgroup_info 0
		.amdhsa_system_vgpr_workitem_id 0
		.amdhsa_next_free_vgpr 31
		.amdhsa_next_free_sgpr 25
		.amdhsa_reserve_vcc 1
		.amdhsa_reserve_flat_scratch 0
		.amdhsa_float_round_mode_32 0
		.amdhsa_float_round_mode_16_64 0
		.amdhsa_float_denorm_mode_32 3
		.amdhsa_float_denorm_mode_16_64 3
		.amdhsa_dx10_clamp 1
		.amdhsa_ieee_mode 1
		.amdhsa_fp16_overflow 0
		.amdhsa_exception_fp_ieee_invalid_op 0
		.amdhsa_exception_fp_denorm_src 0
		.amdhsa_exception_fp_ieee_div_zero 0
		.amdhsa_exception_fp_ieee_overflow 0
		.amdhsa_exception_fp_ieee_underflow 0
		.amdhsa_exception_fp_ieee_inexact 0
		.amdhsa_exception_int_div_zero 0
	.end_amdhsa_kernel
	.section	.text._ZN2at6native12_GLOBAL__N_125multi_tensor_apply_kernelINS1_18TensorListMetadataILi2EEENS1_14UnaryOpFunctorIN3c104HalfELi2ELi1ELi1EEEJNS0_4SqrtIfEEEEEvT_T0_DpT1_,"axG",@progbits,_ZN2at6native12_GLOBAL__N_125multi_tensor_apply_kernelINS1_18TensorListMetadataILi2EEENS1_14UnaryOpFunctorIN3c104HalfELi2ELi1ELi1EEEJNS0_4SqrtIfEEEEEvT_T0_DpT1_,comdat
.Lfunc_end229:
	.size	_ZN2at6native12_GLOBAL__N_125multi_tensor_apply_kernelINS1_18TensorListMetadataILi2EEENS1_14UnaryOpFunctorIN3c104HalfELi2ELi1ELi1EEEJNS0_4SqrtIfEEEEEvT_T0_DpT1_, .Lfunc_end229-_ZN2at6native12_GLOBAL__N_125multi_tensor_apply_kernelINS1_18TensorListMetadataILi2EEENS1_14UnaryOpFunctorIN3c104HalfELi2ELi1ELi1EEEJNS0_4SqrtIfEEEEEvT_T0_DpT1_
                                        ; -- End function
	.set _ZN2at6native12_GLOBAL__N_125multi_tensor_apply_kernelINS1_18TensorListMetadataILi2EEENS1_14UnaryOpFunctorIN3c104HalfELi2ELi1ELi1EEEJNS0_4SqrtIfEEEEEvT_T0_DpT1_.num_vgpr, 31
	.set _ZN2at6native12_GLOBAL__N_125multi_tensor_apply_kernelINS1_18TensorListMetadataILi2EEENS1_14UnaryOpFunctorIN3c104HalfELi2ELi1ELi1EEEJNS0_4SqrtIfEEEEEvT_T0_DpT1_.num_agpr, 0
	.set _ZN2at6native12_GLOBAL__N_125multi_tensor_apply_kernelINS1_18TensorListMetadataILi2EEENS1_14UnaryOpFunctorIN3c104HalfELi2ELi1ELi1EEEJNS0_4SqrtIfEEEEEvT_T0_DpT1_.numbered_sgpr, 25
	.set _ZN2at6native12_GLOBAL__N_125multi_tensor_apply_kernelINS1_18TensorListMetadataILi2EEENS1_14UnaryOpFunctorIN3c104HalfELi2ELi1ELi1EEEJNS0_4SqrtIfEEEEEvT_T0_DpT1_.num_named_barrier, 0
	.set _ZN2at6native12_GLOBAL__N_125multi_tensor_apply_kernelINS1_18TensorListMetadataILi2EEENS1_14UnaryOpFunctorIN3c104HalfELi2ELi1ELi1EEEJNS0_4SqrtIfEEEEEvT_T0_DpT1_.private_seg_size, 0
	.set _ZN2at6native12_GLOBAL__N_125multi_tensor_apply_kernelINS1_18TensorListMetadataILi2EEENS1_14UnaryOpFunctorIN3c104HalfELi2ELi1ELi1EEEJNS0_4SqrtIfEEEEEvT_T0_DpT1_.uses_vcc, 1
	.set _ZN2at6native12_GLOBAL__N_125multi_tensor_apply_kernelINS1_18TensorListMetadataILi2EEENS1_14UnaryOpFunctorIN3c104HalfELi2ELi1ELi1EEEJNS0_4SqrtIfEEEEEvT_T0_DpT1_.uses_flat_scratch, 0
	.set _ZN2at6native12_GLOBAL__N_125multi_tensor_apply_kernelINS1_18TensorListMetadataILi2EEENS1_14UnaryOpFunctorIN3c104HalfELi2ELi1ELi1EEEJNS0_4SqrtIfEEEEEvT_T0_DpT1_.has_dyn_sized_stack, 0
	.set _ZN2at6native12_GLOBAL__N_125multi_tensor_apply_kernelINS1_18TensorListMetadataILi2EEENS1_14UnaryOpFunctorIN3c104HalfELi2ELi1ELi1EEEJNS0_4SqrtIfEEEEEvT_T0_DpT1_.has_recursion, 0
	.set _ZN2at6native12_GLOBAL__N_125multi_tensor_apply_kernelINS1_18TensorListMetadataILi2EEENS1_14UnaryOpFunctorIN3c104HalfELi2ELi1ELi1EEEJNS0_4SqrtIfEEEEEvT_T0_DpT1_.has_indirect_call, 0
	.section	.AMDGPU.csdata,"",@progbits
; Kernel info:
; codeLenInByte = 2084
; TotalNumSgprs: 29
; NumVgprs: 31
; ScratchSize: 0
; MemoryBound: 0
; FloatMode: 240
; IeeeMode: 1
; LDSByteSize: 0 bytes/workgroup (compile time only)
; SGPRBlocks: 3
; VGPRBlocks: 7
; NumSGPRsForWavesPerEU: 29
; NumVGPRsForWavesPerEU: 31
; Occupancy: 8
; WaveLimiterHint : 0
; COMPUTE_PGM_RSRC2:SCRATCH_EN: 0
; COMPUTE_PGM_RSRC2:USER_SGPR: 6
; COMPUTE_PGM_RSRC2:TRAP_HANDLER: 0
; COMPUTE_PGM_RSRC2:TGID_X_EN: 1
; COMPUTE_PGM_RSRC2:TGID_Y_EN: 0
; COMPUTE_PGM_RSRC2:TGID_Z_EN: 0
; COMPUTE_PGM_RSRC2:TIDIG_COMP_CNT: 0
	.section	.text._ZN2at6native12_GLOBAL__N_125multi_tensor_apply_kernelINS1_18TensorListMetadataILi2EEENS1_14UnaryOpFunctorIN3c108BFloat16ELi2ELi1ELi1EEEJNS0_4SqrtIfEEEEEvT_T0_DpT1_,"axG",@progbits,_ZN2at6native12_GLOBAL__N_125multi_tensor_apply_kernelINS1_18TensorListMetadataILi2EEENS1_14UnaryOpFunctorIN3c108BFloat16ELi2ELi1ELi1EEEJNS0_4SqrtIfEEEEEvT_T0_DpT1_,comdat
	.globl	_ZN2at6native12_GLOBAL__N_125multi_tensor_apply_kernelINS1_18TensorListMetadataILi2EEENS1_14UnaryOpFunctorIN3c108BFloat16ELi2ELi1ELi1EEEJNS0_4SqrtIfEEEEEvT_T0_DpT1_ ; -- Begin function _ZN2at6native12_GLOBAL__N_125multi_tensor_apply_kernelINS1_18TensorListMetadataILi2EEENS1_14UnaryOpFunctorIN3c108BFloat16ELi2ELi1ELi1EEEJNS0_4SqrtIfEEEEEvT_T0_DpT1_
	.p2align	8
	.type	_ZN2at6native12_GLOBAL__N_125multi_tensor_apply_kernelINS1_18TensorListMetadataILi2EEENS1_14UnaryOpFunctorIN3c108BFloat16ELi2ELi1ELi1EEEJNS0_4SqrtIfEEEEEvT_T0_DpT1_,@function
_ZN2at6native12_GLOBAL__N_125multi_tensor_apply_kernelINS1_18TensorListMetadataILi2EEENS1_14UnaryOpFunctorIN3c108BFloat16ELi2ELi1ELi1EEEJNS0_4SqrtIfEEEEEvT_T0_DpT1_: ; @_ZN2at6native12_GLOBAL__N_125multi_tensor_apply_kernelINS1_18TensorListMetadataILi2EEENS1_14UnaryOpFunctorIN3c108BFloat16ELi2ELi1ELi1EEEJNS0_4SqrtIfEEEEEvT_T0_DpT1_
; %bb.0:
	v_mov_b32_e32 v1, s6
	global_load_ubyte v1, v1, s[4:5] offset:1536
	s_add_u32 s0, s4, s6
	s_mul_hi_u32 s2, s6, 3
	s_mul_i32 s6, s6, 3
	s_addc_u32 s7, s5, 0
	s_add_u32 s6, s0, s6
	s_addc_u32 s7, s7, s2
	s_load_dword s6, s[6:7], 0x740
	s_mov_b32 s1, 0
	s_mov_b32 s3, s1
	s_waitcnt lgkmcnt(0)
	s_ashr_i32 s7, s6, 31
	s_lshl_b64 s[14:15], s[6:7], 17
	s_lshl_b64 s[6:7], s[6:7], 16
	s_waitcnt vmcnt(0)
	v_readfirstlane_b32 s0, v1
	s_lshl_b32 s0, s0, 3
	s_load_dwordx2 s[8:9], s[4:5], s0 offset:0x400
	s_load_dwordx2 s[18:19], s[4:5], s0 offset:0x0
	;; [unrolled: 1-line block ×3, first 2 shown]
	s_waitcnt lgkmcnt(0)
	s_add_u32 s0, s18, s14
	s_and_b32 s2, s16, 7
	s_and_b32 s0, s0, 7
	s_sub_u32 s20, s8, s6
	s_subb_u32 s21, s9, s7
	s_and_b32 s6, s8, 3
	s_mov_b32 s7, s1
	s_or_b64 s[2:3], s[2:3], s[6:7]
	s_or_b64 s[0:1], s[2:3], s[0:1]
	s_cmp_eq_u64 s[0:1], 0
	s_mov_b64 s[0:1], -1
	s_cbranch_scc0 .LBB230_5
; %bb.1:
	v_mov_b32_e32 v1, 0x10000
	v_mov_b32_e32 v2, 0
	v_cmp_lt_i64_e32 vcc, s[20:21], v[1:2]
	v_mov_b32_e32 v2, 0
	s_and_b64 s[0:1], vcc, exec
	s_cselect_b32 s23, s21, 0
	s_cselect_b32 s22, s20, 0x10000
	v_lshlrev_b32_e32 v1, 2, v0
	v_cmp_gt_i64_e32 vcc, s[22:23], v[1:2]
	s_and_saveexec_b64 s[24:25], vcc
	s_cbranch_execz .LBB230_4
; %bb.2:
	s_load_dword s0, s[4:5], 0xc5c
	v_mov_b32_e32 v1, v2
	v_lshlrev_b32_e32 v2, 3, v0
	v_mov_b32_e32 v4, s15
	v_add_co_u32_e32 v3, vcc, s14, v2
	s_waitcnt lgkmcnt(0)
	s_and_b32 s28, s0, 0xffff
	v_mov_b32_e32 v2, v1
	v_addc_co_u32_e32 v4, vcc, 0, v4, vcc
	s_lshl_b32 s29, s28, 3
	s_mov_b64 s[26:27], 0
	v_mov_b32_e32 v5, s19
	s_mov_b32 s30, 0xf800000
	v_mov_b32_e32 v6, 0x260
	s_movk_i32 s31, 0x7fff
	v_mov_b32_e32 v7, s17
	v_mov_b32_e32 v8, 0x7fc00000
	;; [unrolled: 1-line block ×4, first 2 shown]
.LBB230_3:                              ; =>This Inner Loop Header: Depth=1
	v_add_co_u32_e32 v10, vcc, s18, v3
	v_addc_co_u32_e32 v11, vcc, v5, v4, vcc
	global_load_dwordx2 v[10:11], v[10:11], off
	v_add_co_u32_e32 v1, vcc, s28, v1
	v_addc_co_u32_e32 v2, vcc, 0, v2, vcc
	v_add_co_u32_e32 v12, vcc, s16, v3
	v_addc_co_u32_e32 v13, vcc, v7, v4, vcc
	v_add_co_u32_e32 v3, vcc, s29, v3
	v_lshlrev_b64 v[14:15], 2, v[1:2]
	v_addc_co_u32_e32 v4, vcc, 0, v4, vcc
	v_cmp_le_i64_e32 vcc, s[22:23], v[14:15]
	s_or_b64 s[26:27], vcc, s[26:27]
	s_waitcnt vmcnt(0)
	v_lshlrev_b32_e32 v15, 16, v10
	v_and_b32_e32 v14, 0xffff0000, v10
	v_mul_f32_e32 v16, 0x4f800000, v15
	v_cmp_gt_f32_e64 s[2:3], s30, v15
	v_mul_f32_e32 v17, 0x4f800000, v14
	v_cmp_gt_f32_e32 vcc, s30, v14
	v_cndmask_b32_e64 v16, v15, v16, s[2:3]
	v_alignbit_b32 v10, v11, v10, 16
	v_and_b32_e32 v11, 0xffff0000, v11
	v_cndmask_b32_e32 v17, v14, v17, vcc
	v_sqrt_f32_e32 v20, v16
	v_and_b32_e32 v10, 0xffff0000, v10
	v_mul_f32_e32 v18, 0x4f800000, v11
	v_cmp_gt_f32_e64 s[0:1], s30, v11
	v_sqrt_f32_e32 v21, v17
	v_mul_f32_e32 v19, 0x4f800000, v10
	v_cmp_gt_f32_e64 s[6:7], s30, v10
	v_cndmask_b32_e64 v18, v11, v18, s[0:1]
	v_cndmask_b32_e64 v19, v10, v19, s[6:7]
	v_sqrt_f32_e32 v22, v18
	v_sqrt_f32_e32 v23, v19
	v_add_u32_e32 v24, -1, v20
	v_add_u32_e32 v26, -1, v21
	v_fma_f32 v30, -v24, v20, v16
	v_add_u32_e32 v25, 1, v20
	v_fma_f32 v32, -v26, v21, v17
	v_cmp_ge_f32_e64 s[8:9], 0, v30
	v_add_u32_e32 v27, 1, v21
	v_add_u32_e32 v28, -1, v22
	v_fma_f32 v31, -v25, v20, v16
	v_cndmask_b32_e64 v20, v20, v24, s[8:9]
	v_cmp_ge_f32_e64 s[8:9], 0, v32
	v_add_u32_e32 v29, 1, v22
	v_fma_f32 v30, -v27, v21, v17
	v_fma_f32 v24, -v28, v22, v18
	v_cndmask_b32_e64 v21, v21, v26, s[8:9]
	v_add_u32_e32 v26, -1, v23
	v_fma_f32 v32, -v29, v22, v18
	v_cmp_lt_f32_e64 s[8:9], 0, v30
	v_add_u32_e32 v30, 1, v23
	v_cmp_ge_f32_e64 s[10:11], 0, v24
	v_fma_f32 v24, -v26, v23, v19
	v_cndmask_b32_e64 v22, v22, v28, s[10:11]
	v_cmp_lt_f32_e64 s[10:11], 0, v32
	v_fma_f32 v28, -v30, v23, v19
	v_cmp_lt_f32_e64 s[12:13], 0, v31
	v_cndmask_b32_e64 v21, v21, v27, s[8:9]
	v_cmp_ge_f32_e64 s[8:9], 0, v24
	v_cndmask_b32_e64 v20, v20, v25, s[12:13]
	v_cndmask_b32_e64 v23, v23, v26, s[8:9]
	;; [unrolled: 1-line block ×3, first 2 shown]
	v_cmp_lt_f32_e64 s[8:9], 0, v28
	v_cndmask_b32_e64 v23, v23, v30, s[8:9]
	v_mul_f32_e32 v24, 0x37800000, v20
	v_mul_f32_e32 v25, 0x37800000, v21
	;; [unrolled: 1-line block ×3, first 2 shown]
	v_cndmask_b32_e64 v20, v20, v24, s[2:3]
	v_cndmask_b32_e32 v21, v21, v25, vcc
	v_cmp_class_f32_e32 vcc, v17, v6
	v_cndmask_b32_e64 v22, v22, v26, s[0:1]
	v_mul_f32_e32 v24, 0x37800000, v23
	v_cmp_class_f32_e64 s[0:1], v18, v6
	v_cmp_class_f32_e64 s[2:3], v16, v6
	v_cndmask_b32_e64 v16, v20, v16, s[2:3]
	v_cndmask_b32_e32 v17, v21, v17, vcc
	v_cndmask_b32_e64 v20, v23, v24, s[6:7]
	v_cmp_class_f32_e32 vcc, v19, v6
	v_cndmask_b32_e64 v18, v22, v18, s[0:1]
	v_bfe_u32 v21, v16, 16, 1
	v_bfe_u32 v22, v17, 16, 1
	v_cndmask_b32_e32 v19, v20, v19, vcc
	v_bfe_u32 v20, v18, 16, 1
	v_add3_u32 v16, v16, v21, s31
	v_add3_u32 v17, v17, v22, s31
	v_bfe_u32 v21, v19, 16, 1
	v_add3_u32 v18, v18, v20, s31
	v_lshrrev_b32_e32 v16, 16, v16
	v_and_b32_e32 v17, 0xffff0000, v17
	v_add3_u32 v19, v19, v21, s31
	v_and_b32_e32 v18, 0xffff0000, v18
	v_cmp_le_f32_e32 vcc, 0, v11
	v_cmp_le_f32_e64 s[0:1], 0, v14
	v_cmp_le_f32_e64 s[2:3], 0, v15
	v_lshrrev_b32_e32 v11, 16, v19
	v_cndmask_b32_e32 v14, v8, v18, vcc
	v_cndmask_b32_e64 v15, v8, v17, s[0:1]
	v_cndmask_b32_e64 v16, v9, v16, s[2:3]
	v_cmp_le_f32_e32 vcc, 0, v10
	v_cndmask_b32_e32 v10, v9, v11, vcc
	v_or_b32_e32 v15, v16, v15
	v_or3_b32 v11, 0, v10, v14
	v_or3_b32 v10, v15, 0, 0
	global_store_dwordx2 v[12:13], v[10:11], off
	s_andn2_b64 exec, exec, s[26:27]
	s_cbranch_execnz .LBB230_3
.LBB230_4:
	s_or_b64 exec, exec, s[24:25]
	s_mov_b64 s[0:1], 0
.LBB230_5:
	s_andn2_b64 vcc, exec, s[0:1]
	s_cbranch_vccnz .LBB230_25
; %bb.6:
	v_cmp_lt_i64_e64 s[0:1], s[20:21], 1
	s_and_b64 vcc, exec, s[0:1]
	s_cbranch_vccnz .LBB230_25
; %bb.7:
	v_mov_b32_e32 v1, 0x10000
	s_load_dword s2, s[4:5], 0xc5c
	v_mov_b32_e32 v2, 0
	v_cmp_lt_i64_e32 vcc, s[20:21], v[1:2]
	v_mov_b32_e32 v10, 0
	s_and_b64 s[0:1], vcc, exec
	v_cmp_lt_u64_e32 vcc, s[20:21], v[1:2]
	s_cselect_b32 s9, s21, 0
	s_cselect_b32 s8, s20, 0x10000
	s_waitcnt lgkmcnt(0)
	s_and_b32 s2, s2, 0xffff
	v_lshlrev_b32_e32 v9, 1, v0
	s_and_b64 s[0:1], vcc, exec
	v_mov_b32_e32 v2, s19
	v_add_co_u32_e32 v1, vcc, s18, v9
	v_mad_u64_u32 v[7:8], s[0:1], s2, 6, v[9:10]
	v_addc_co_u32_e32 v2, vcc, 0, v2, vcc
	v_mov_b32_e32 v4, s17
	v_add_co_u32_e32 v3, vcc, s16, v9
	v_addc_co_u32_e32 v4, vcc, 0, v4, vcc
	v_mov_b32_e32 v6, s19
	v_add_co_u32_e32 v5, vcc, s18, v7
	;; [unrolled: 3-line block ×3, first 2 shown]
	s_cselect_b32 s11, s21, 0
	s_cselect_b32 s10, s20, 0x10000
	s_lshl_b32 s20, s2, 2
	v_addc_co_u32_e32 v8, vcc, v10, v8, vcc
	v_add_co_u32_e32 v11, vcc, s20, v9
	v_addc_co_u32_e64 v12, s[0:1], 0, 0, vcc
	v_mov_b32_e32 v10, s19
	v_add_co_u32_e32 v9, vcc, s18, v11
	v_addc_co_u32_e32 v10, vcc, v10, v12, vcc
	v_mov_b32_e32 v13, s17
	v_add_co_u32_e32 v11, vcc, s16, v11
	v_addc_co_u32_e32 v12, vcc, v13, v12, vcc
	v_add_co_u32_e32 v13, vcc, s2, v0
	v_lshlrev_b32_e32 v17, 1, v13
	v_addc_co_u32_e64 v14, s[0:1], 0, 0, vcc
	v_mov_b32_e32 v16, s19
	v_add_co_u32_e32 v15, vcc, s18, v17
	v_addc_co_u32_e32 v16, vcc, 0, v16, vcc
	v_mov_b32_e32 v18, s17
	v_add_co_u32_e32 v17, vcc, s16, v17
	s_mul_i32 s4, s2, 3
	v_addc_co_u32_e32 v18, vcc, 0, v18, vcc
	s_lshl_b32 s3, s2, 1
	v_add_co_u32_e32 v19, vcc, s4, v0
	v_addc_co_u32_e64 v20, s[0:1], 0, 0, vcc
	v_add_co_u32_e32 v21, vcc, s3, v0
	s_lshl_b32 s21, s2, 3
	s_mov_b64 s[12:13], 0
	s_mov_b32 s18, 0xf800000
	s_movk_i32 s19, 0x7fff
	v_addc_co_u32_e64 v22, s[0:1], 0, 0, vcc
	v_mov_b32_e32 v23, 0x260
	v_mov_b32_e32 v24, 0x7fc0
	s_branch .LBB230_9
.LBB230_8:                              ;   in Loop: Header=BB230_9 Depth=1
	s_or_b64 exec, exec, s[2:3]
	v_add_co_u32_e32 v1, vcc, s21, v1
	v_addc_co_u32_e32 v2, vcc, 0, v2, vcc
	v_add_co_u32_e32 v3, vcc, s21, v3
	v_addc_co_u32_e32 v4, vcc, 0, v4, vcc
	;; [unrolled: 2-line block ×6, first 2 shown]
	s_add_u32 s12, s12, s20
	v_add_co_u32_e32 v15, vcc, s21, v15
	v_mov_b32_e32 v26, s9
	s_addc_u32 s13, s13, 0
	v_addc_co_u32_e32 v16, vcc, 0, v16, vcc
	v_mov_b32_e32 v25, s8
	v_cmp_ge_i64_e32 vcc, s[12:13], v[25:26]
	v_add_co_u32_e64 v17, s[0:1], s21, v17
	v_addc_co_u32_e64 v18, s[0:1], 0, v18, s[0:1]
	s_cbranch_vccnz .LBB230_25
.LBB230_9:                              ; =>This Inner Loop Header: Depth=1
	v_mov_b32_e32 v26, s13
	v_add_co_u32_e32 v25, vcc, s12, v0
	v_addc_co_u32_e32 v26, vcc, 0, v26, vcc
	v_cmp_gt_u64_e32 vcc, s[10:11], v[25:26]
	v_mov_b32_e32 v28, 0
	s_and_saveexec_b64 s[2:3], vcc
	s_cbranch_execz .LBB230_11
; %bb.10:                               ;   in Loop: Header=BB230_9 Depth=1
	v_mov_b32_e32 v26, s15
	v_add_co_u32_e64 v25, s[0:1], s14, v1
	v_addc_co_u32_e64 v26, s[0:1], v2, v26, s[0:1]
	global_load_ushort v25, v[25:26], off
	s_waitcnt vmcnt(0)
	v_lshlrev_b32_e32 v28, 16, v25
.LBB230_11:                             ;   in Loop: Header=BB230_9 Depth=1
	s_or_b64 exec, exec, s[2:3]
	v_mov_b32_e32 v26, s13
	v_add_co_u32_e64 v25, s[0:1], s12, v13
	v_addc_co_u32_e64 v26, s[0:1], v14, v26, s[0:1]
	v_cmp_gt_u64_e64 s[4:5], s[10:11], v[25:26]
	v_mov_b32_e32 v25, 0
	v_mov_b32_e32 v27, 0
	s_and_saveexec_b64 s[2:3], s[4:5]
	s_cbranch_execz .LBB230_13
; %bb.12:                               ;   in Loop: Header=BB230_9 Depth=1
	v_mov_b32_e32 v27, s15
	v_add_co_u32_e64 v26, s[0:1], s14, v15
	v_addc_co_u32_e64 v27, s[0:1], v16, v27, s[0:1]
	global_load_ushort v26, v[26:27], off
	s_waitcnt vmcnt(0)
	v_lshlrev_b32_e32 v27, 16, v26
.LBB230_13:                             ;   in Loop: Header=BB230_9 Depth=1
	s_or_b64 exec, exec, s[2:3]
	v_mov_b32_e32 v26, s13
	v_add_co_u32_e64 v29, s[0:1], s12, v21
	v_addc_co_u32_e64 v30, s[0:1], v22, v26, s[0:1]
	v_cmp_gt_u64_e64 s[2:3], s[10:11], v[29:30]
	s_and_saveexec_b64 s[6:7], s[2:3]
	s_cbranch_execz .LBB230_15
; %bb.14:                               ;   in Loop: Header=BB230_9 Depth=1
	v_mov_b32_e32 v26, s15
	v_add_co_u32_e64 v25, s[0:1], s14, v9
	v_addc_co_u32_e64 v26, s[0:1], v10, v26, s[0:1]
	global_load_ushort v25, v[25:26], off
	s_waitcnt vmcnt(0)
	v_lshlrev_b32_e32 v25, 16, v25
.LBB230_15:                             ;   in Loop: Header=BB230_9 Depth=1
	s_or_b64 exec, exec, s[6:7]
	v_mov_b32_e32 v26, s13
	v_add_co_u32_e64 v29, s[0:1], s12, v19
	v_addc_co_u32_e64 v30, s[0:1], v20, v26, s[0:1]
	v_cmp_gt_u64_e64 s[0:1], s[10:11], v[29:30]
	v_mov_b32_e32 v26, 0
	s_and_saveexec_b64 s[16:17], s[0:1]
	s_cbranch_execnz .LBB230_20
; %bb.16:                               ;   in Loop: Header=BB230_9 Depth=1
	s_or_b64 exec, exec, s[16:17]
	s_and_saveexec_b64 s[16:17], vcc
	s_cbranch_execnz .LBB230_21
.LBB230_17:                             ;   in Loop: Header=BB230_9 Depth=1
	s_or_b64 exec, exec, s[16:17]
	s_and_saveexec_b64 s[6:7], s[4:5]
	s_cbranch_execnz .LBB230_22
.LBB230_18:                             ;   in Loop: Header=BB230_9 Depth=1
	s_or_b64 exec, exec, s[6:7]
	s_and_saveexec_b64 s[4:5], s[2:3]
	s_cbranch_execnz .LBB230_23
.LBB230_19:                             ;   in Loop: Header=BB230_9 Depth=1
	s_or_b64 exec, exec, s[4:5]
	s_and_saveexec_b64 s[2:3], s[0:1]
	s_cbranch_execz .LBB230_8
	s_branch .LBB230_24
.LBB230_20:                             ;   in Loop: Header=BB230_9 Depth=1
	v_mov_b32_e32 v26, s15
	v_add_co_u32_e64 v29, s[6:7], s14, v5
	v_addc_co_u32_e64 v30, s[6:7], v6, v26, s[6:7]
	global_load_ushort v26, v[29:30], off
	s_waitcnt vmcnt(0)
	v_lshlrev_b32_e32 v26, 16, v26
	s_or_b64 exec, exec, s[16:17]
	s_and_saveexec_b64 s[16:17], vcc
	s_cbranch_execz .LBB230_17
.LBB230_21:                             ;   in Loop: Header=BB230_9 Depth=1
	v_mul_f32_e32 v29, 0x4f800000, v28
	v_cmp_gt_f32_e32 vcc, s18, v28
	v_cndmask_b32_e32 v29, v28, v29, vcc
	v_sqrt_f32_e32 v30, v29
	v_add_u32_e32 v31, -1, v30
	v_add_u32_e32 v32, 1, v30
	v_fma_f32 v33, -v31, v30, v29
	v_fma_f32 v34, -v32, v30, v29
	v_cmp_ge_f32_e64 s[6:7], 0, v33
	v_cndmask_b32_e64 v30, v30, v31, s[6:7]
	v_cmp_lt_f32_e64 s[6:7], 0, v34
	v_cndmask_b32_e64 v30, v30, v32, s[6:7]
	v_mul_f32_e32 v31, 0x37800000, v30
	v_cndmask_b32_e32 v30, v30, v31, vcc
	v_cmp_class_f32_e32 vcc, v29, v23
	v_cndmask_b32_e32 v29, v30, v29, vcc
	v_bfe_u32 v30, v29, 16, 1
	v_add3_u32 v29, v29, v30, s19
	v_cmp_le_f32_e32 vcc, 0, v28
	v_cndmask_b32_sdwa v30, v24, v29, vcc dst_sel:DWORD dst_unused:UNUSED_PAD src0_sel:DWORD src1_sel:WORD_1
	v_mov_b32_e32 v29, s15
	v_add_co_u32_e32 v28, vcc, s14, v3
	v_addc_co_u32_e32 v29, vcc, v4, v29, vcc
	global_store_short v[28:29], v30, off
	s_or_b64 exec, exec, s[16:17]
	s_and_saveexec_b64 s[6:7], s[4:5]
	s_cbranch_execz .LBB230_18
.LBB230_22:                             ;   in Loop: Header=BB230_9 Depth=1
	v_mul_f32_e32 v28, 0x4f800000, v27
	v_cmp_gt_f32_e32 vcc, s18, v27
	v_cndmask_b32_e32 v28, v27, v28, vcc
	v_sqrt_f32_e32 v29, v28
	v_add_u32_e32 v30, -1, v29
	v_fma_f32 v32, -v30, v29, v28
	v_add_u32_e32 v31, 1, v29
	v_cmp_ge_f32_e64 s[4:5], 0, v32
	v_cndmask_b32_e64 v30, v29, v30, s[4:5]
	v_fma_f32 v29, -v31, v29, v28
	v_cmp_lt_f32_e64 s[4:5], 0, v29
	v_cndmask_b32_e64 v29, v30, v31, s[4:5]
	v_mul_f32_e32 v30, 0x37800000, v29
	v_cndmask_b32_e32 v29, v29, v30, vcc
	v_cmp_class_f32_e32 vcc, v28, v23
	v_cndmask_b32_e32 v28, v29, v28, vcc
	v_bfe_u32 v29, v28, 16, 1
	v_add3_u32 v28, v28, v29, s19
	v_cmp_le_f32_e32 vcc, 0, v27
	v_cndmask_b32_sdwa v29, v24, v28, vcc dst_sel:DWORD dst_unused:UNUSED_PAD src0_sel:DWORD src1_sel:WORD_1
	v_mov_b32_e32 v28, s15
	v_add_co_u32_e32 v27, vcc, s14, v17
	v_addc_co_u32_e32 v28, vcc, v18, v28, vcc
	global_store_short v[27:28], v29, off
	s_or_b64 exec, exec, s[6:7]
	s_and_saveexec_b64 s[4:5], s[2:3]
	s_cbranch_execz .LBB230_19
.LBB230_23:                             ;   in Loop: Header=BB230_9 Depth=1
	v_mul_f32_e32 v27, 0x4f800000, v25
	v_cmp_gt_f32_e32 vcc, s18, v25
	v_cndmask_b32_e32 v27, v25, v27, vcc
	v_sqrt_f32_e32 v28, v27
	v_add_u32_e32 v29, -1, v28
	v_fma_f32 v31, -v29, v28, v27
	v_add_u32_e32 v30, 1, v28
	v_cmp_ge_f32_e64 s[2:3], 0, v31
	v_cndmask_b32_e64 v29, v28, v29, s[2:3]
	v_fma_f32 v28, -v30, v28, v27
	v_cmp_lt_f32_e64 s[2:3], 0, v28
	v_cndmask_b32_e64 v28, v29, v30, s[2:3]
	v_mul_f32_e32 v29, 0x37800000, v28
	v_cndmask_b32_e32 v28, v28, v29, vcc
	v_cmp_class_f32_e32 vcc, v27, v23
	v_cndmask_b32_e32 v27, v28, v27, vcc
	v_bfe_u32 v28, v27, 16, 1
	v_add3_u32 v27, v27, v28, s19
	v_cmp_le_f32_e32 vcc, 0, v25
	v_cndmask_b32_sdwa v25, v24, v27, vcc dst_sel:DWORD dst_unused:UNUSED_PAD src0_sel:DWORD src1_sel:WORD_1
	v_mov_b32_e32 v28, s15
	v_add_co_u32_e32 v27, vcc, s14, v11
	v_addc_co_u32_e32 v28, vcc, v12, v28, vcc
	global_store_short v[27:28], v25, off
	s_or_b64 exec, exec, s[4:5]
	s_and_saveexec_b64 s[2:3], s[0:1]
	s_cbranch_execz .LBB230_8
.LBB230_24:                             ;   in Loop: Header=BB230_9 Depth=1
	v_mul_f32_e32 v25, 0x4f800000, v26
	v_cmp_gt_f32_e32 vcc, s18, v26
	v_cndmask_b32_e32 v25, v26, v25, vcc
	v_sqrt_f32_e32 v27, v25
	v_add_u32_e32 v28, -1, v27
	v_fma_f32 v30, -v28, v27, v25
	v_add_u32_e32 v29, 1, v27
	v_cmp_ge_f32_e64 s[0:1], 0, v30
	v_cndmask_b32_e64 v28, v27, v28, s[0:1]
	v_fma_f32 v27, -v29, v27, v25
	v_cmp_lt_f32_e64 s[0:1], 0, v27
	v_cndmask_b32_e64 v27, v28, v29, s[0:1]
	v_mul_f32_e32 v28, 0x37800000, v27
	v_cndmask_b32_e32 v27, v27, v28, vcc
	v_cmp_class_f32_e32 vcc, v25, v23
	v_cndmask_b32_e32 v25, v27, v25, vcc
	v_bfe_u32 v27, v25, 16, 1
	v_add3_u32 v25, v25, v27, s19
	v_cmp_le_f32_e32 vcc, 0, v26
	v_cndmask_b32_sdwa v27, v24, v25, vcc dst_sel:DWORD dst_unused:UNUSED_PAD src0_sel:DWORD src1_sel:WORD_1
	v_mov_b32_e32 v26, s15
	v_add_co_u32_e32 v25, vcc, s14, v7
	v_addc_co_u32_e32 v26, vcc, v8, v26, vcc
	global_store_short v[25:26], v27, off
	s_branch .LBB230_8
.LBB230_25:
	s_endpgm
	.section	.rodata,"a",@progbits
	.p2align	6, 0x0
	.amdhsa_kernel _ZN2at6native12_GLOBAL__N_125multi_tensor_apply_kernelINS1_18TensorListMetadataILi2EEENS1_14UnaryOpFunctorIN3c108BFloat16ELi2ELi1ELi1EEEJNS0_4SqrtIfEEEEEvT_T0_DpT1_
		.amdhsa_group_segment_fixed_size 0
		.amdhsa_private_segment_fixed_size 0
		.amdhsa_kernarg_size 3408
		.amdhsa_user_sgpr_count 6
		.amdhsa_user_sgpr_private_segment_buffer 1
		.amdhsa_user_sgpr_dispatch_ptr 0
		.amdhsa_user_sgpr_queue_ptr 0
		.amdhsa_user_sgpr_kernarg_segment_ptr 1
		.amdhsa_user_sgpr_dispatch_id 0
		.amdhsa_user_sgpr_flat_scratch_init 0
		.amdhsa_user_sgpr_private_segment_size 0
		.amdhsa_uses_dynamic_stack 0
		.amdhsa_system_sgpr_private_segment_wavefront_offset 0
		.amdhsa_system_sgpr_workgroup_id_x 1
		.amdhsa_system_sgpr_workgroup_id_y 0
		.amdhsa_system_sgpr_workgroup_id_z 0
		.amdhsa_system_sgpr_workgroup_info 0
		.amdhsa_system_vgpr_workitem_id 0
		.amdhsa_next_free_vgpr 35
		.amdhsa_next_free_sgpr 32
		.amdhsa_reserve_vcc 1
		.amdhsa_reserve_flat_scratch 0
		.amdhsa_float_round_mode_32 0
		.amdhsa_float_round_mode_16_64 0
		.amdhsa_float_denorm_mode_32 3
		.amdhsa_float_denorm_mode_16_64 3
		.amdhsa_dx10_clamp 1
		.amdhsa_ieee_mode 1
		.amdhsa_fp16_overflow 0
		.amdhsa_exception_fp_ieee_invalid_op 0
		.amdhsa_exception_fp_denorm_src 0
		.amdhsa_exception_fp_ieee_div_zero 0
		.amdhsa_exception_fp_ieee_overflow 0
		.amdhsa_exception_fp_ieee_underflow 0
		.amdhsa_exception_fp_ieee_inexact 0
		.amdhsa_exception_int_div_zero 0
	.end_amdhsa_kernel
	.section	.text._ZN2at6native12_GLOBAL__N_125multi_tensor_apply_kernelINS1_18TensorListMetadataILi2EEENS1_14UnaryOpFunctorIN3c108BFloat16ELi2ELi1ELi1EEEJNS0_4SqrtIfEEEEEvT_T0_DpT1_,"axG",@progbits,_ZN2at6native12_GLOBAL__N_125multi_tensor_apply_kernelINS1_18TensorListMetadataILi2EEENS1_14UnaryOpFunctorIN3c108BFloat16ELi2ELi1ELi1EEEJNS0_4SqrtIfEEEEEvT_T0_DpT1_,comdat
.Lfunc_end230:
	.size	_ZN2at6native12_GLOBAL__N_125multi_tensor_apply_kernelINS1_18TensorListMetadataILi2EEENS1_14UnaryOpFunctorIN3c108BFloat16ELi2ELi1ELi1EEEJNS0_4SqrtIfEEEEEvT_T0_DpT1_, .Lfunc_end230-_ZN2at6native12_GLOBAL__N_125multi_tensor_apply_kernelINS1_18TensorListMetadataILi2EEENS1_14UnaryOpFunctorIN3c108BFloat16ELi2ELi1ELi1EEEJNS0_4SqrtIfEEEEEvT_T0_DpT1_
                                        ; -- End function
	.set _ZN2at6native12_GLOBAL__N_125multi_tensor_apply_kernelINS1_18TensorListMetadataILi2EEENS1_14UnaryOpFunctorIN3c108BFloat16ELi2ELi1ELi1EEEJNS0_4SqrtIfEEEEEvT_T0_DpT1_.num_vgpr, 35
	.set _ZN2at6native12_GLOBAL__N_125multi_tensor_apply_kernelINS1_18TensorListMetadataILi2EEENS1_14UnaryOpFunctorIN3c108BFloat16ELi2ELi1ELi1EEEJNS0_4SqrtIfEEEEEvT_T0_DpT1_.num_agpr, 0
	.set _ZN2at6native12_GLOBAL__N_125multi_tensor_apply_kernelINS1_18TensorListMetadataILi2EEENS1_14UnaryOpFunctorIN3c108BFloat16ELi2ELi1ELi1EEEJNS0_4SqrtIfEEEEEvT_T0_DpT1_.numbered_sgpr, 32
	.set _ZN2at6native12_GLOBAL__N_125multi_tensor_apply_kernelINS1_18TensorListMetadataILi2EEENS1_14UnaryOpFunctorIN3c108BFloat16ELi2ELi1ELi1EEEJNS0_4SqrtIfEEEEEvT_T0_DpT1_.num_named_barrier, 0
	.set _ZN2at6native12_GLOBAL__N_125multi_tensor_apply_kernelINS1_18TensorListMetadataILi2EEENS1_14UnaryOpFunctorIN3c108BFloat16ELi2ELi1ELi1EEEJNS0_4SqrtIfEEEEEvT_T0_DpT1_.private_seg_size, 0
	.set _ZN2at6native12_GLOBAL__N_125multi_tensor_apply_kernelINS1_18TensorListMetadataILi2EEENS1_14UnaryOpFunctorIN3c108BFloat16ELi2ELi1ELi1EEEJNS0_4SqrtIfEEEEEvT_T0_DpT1_.uses_vcc, 1
	.set _ZN2at6native12_GLOBAL__N_125multi_tensor_apply_kernelINS1_18TensorListMetadataILi2EEENS1_14UnaryOpFunctorIN3c108BFloat16ELi2ELi1ELi1EEEJNS0_4SqrtIfEEEEEvT_T0_DpT1_.uses_flat_scratch, 0
	.set _ZN2at6native12_GLOBAL__N_125multi_tensor_apply_kernelINS1_18TensorListMetadataILi2EEENS1_14UnaryOpFunctorIN3c108BFloat16ELi2ELi1ELi1EEEJNS0_4SqrtIfEEEEEvT_T0_DpT1_.has_dyn_sized_stack, 0
	.set _ZN2at6native12_GLOBAL__N_125multi_tensor_apply_kernelINS1_18TensorListMetadataILi2EEENS1_14UnaryOpFunctorIN3c108BFloat16ELi2ELi1ELi1EEEJNS0_4SqrtIfEEEEEvT_T0_DpT1_.has_recursion, 0
	.set _ZN2at6native12_GLOBAL__N_125multi_tensor_apply_kernelINS1_18TensorListMetadataILi2EEENS1_14UnaryOpFunctorIN3c108BFloat16ELi2ELi1ELi1EEEJNS0_4SqrtIfEEEEEvT_T0_DpT1_.has_indirect_call, 0
	.section	.AMDGPU.csdata,"",@progbits
; Kernel info:
; codeLenInByte = 2420
; TotalNumSgprs: 36
; NumVgprs: 35
; ScratchSize: 0
; MemoryBound: 0
; FloatMode: 240
; IeeeMode: 1
; LDSByteSize: 0 bytes/workgroup (compile time only)
; SGPRBlocks: 4
; VGPRBlocks: 8
; NumSGPRsForWavesPerEU: 36
; NumVGPRsForWavesPerEU: 35
; Occupancy: 7
; WaveLimiterHint : 0
; COMPUTE_PGM_RSRC2:SCRATCH_EN: 0
; COMPUTE_PGM_RSRC2:USER_SGPR: 6
; COMPUTE_PGM_RSRC2:TRAP_HANDLER: 0
; COMPUTE_PGM_RSRC2:TGID_X_EN: 1
; COMPUTE_PGM_RSRC2:TGID_Y_EN: 0
; COMPUTE_PGM_RSRC2:TGID_Z_EN: 0
; COMPUTE_PGM_RSRC2:TIDIG_COMP_CNT: 0
	.section	.text._ZN2at6native12_GLOBAL__N_125multi_tensor_apply_kernelINS1_18TensorListMetadataILi1EEENS1_14UnaryOpFunctorIdLi1ELi1ELi0EEEJNS0_4SqrtIdEEEEEvT_T0_DpT1_,"axG",@progbits,_ZN2at6native12_GLOBAL__N_125multi_tensor_apply_kernelINS1_18TensorListMetadataILi1EEENS1_14UnaryOpFunctorIdLi1ELi1ELi0EEEJNS0_4SqrtIdEEEEEvT_T0_DpT1_,comdat
	.globl	_ZN2at6native12_GLOBAL__N_125multi_tensor_apply_kernelINS1_18TensorListMetadataILi1EEENS1_14UnaryOpFunctorIdLi1ELi1ELi0EEEJNS0_4SqrtIdEEEEEvT_T0_DpT1_ ; -- Begin function _ZN2at6native12_GLOBAL__N_125multi_tensor_apply_kernelINS1_18TensorListMetadataILi1EEENS1_14UnaryOpFunctorIdLi1ELi1ELi0EEEJNS0_4SqrtIdEEEEEvT_T0_DpT1_
	.p2align	8
	.type	_ZN2at6native12_GLOBAL__N_125multi_tensor_apply_kernelINS1_18TensorListMetadataILi1EEENS1_14UnaryOpFunctorIdLi1ELi1ELi0EEEJNS0_4SqrtIdEEEEEvT_T0_DpT1_,@function
_ZN2at6native12_GLOBAL__N_125multi_tensor_apply_kernelINS1_18TensorListMetadataILi1EEENS1_14UnaryOpFunctorIdLi1ELi1ELi0EEEJNS0_4SqrtIdEEEEEvT_T0_DpT1_: ; @_ZN2at6native12_GLOBAL__N_125multi_tensor_apply_kernelINS1_18TensorListMetadataILi1EEENS1_14UnaryOpFunctorIdLi1ELi1ELi0EEEJNS0_4SqrtIdEEEEEvT_T0_DpT1_
; %bb.0:
	v_mov_b32_e32 v1, s6
	global_load_ubyte v1, v1, s[4:5] offset:1760
	s_add_u32 s0, s4, s6
	s_mul_hi_u32 s1, s6, 3
	s_mul_i32 s6, s6, 3
	s_addc_u32 s2, s5, 0
	s_add_u32 s0, s0, s6
	s_addc_u32 s1, s2, s1
	s_load_dword s0, s[0:1], 0x820
	s_mov_b32 s7, 0
	s_waitcnt vmcnt(0)
	v_readfirstlane_b32 s1, v1
	s_lshl_b32 s1, s1, 3
	s_load_dwordx2 s[2:3], s[4:5], s1 offset:0x370
	s_load_dwordx2 s[10:11], s[4:5], s1 offset:0x0
	s_waitcnt lgkmcnt(0)
	s_ashr_i32 s1, s0, 31
	s_lshl_b64 s[12:13], s[0:1], 19
	s_lshl_b64 s[0:1], s[0:1], 16
	s_and_b32 s6, s10, 31
	s_sub_u32 s14, s2, s0
	s_subb_u32 s15, s3, s1
	s_and_b32 s0, s2, 3
	s_mov_b32 s1, s7
	s_or_b64 s[0:1], s[6:7], s[0:1]
	s_cmp_eq_u64 s[0:1], 0
	s_cbranch_scc1 .LBB231_21
; %bb.1:
	v_cmp_lt_i64_e64 s[0:1], s[14:15], 1
	s_and_b64 vcc, exec, s[0:1]
	s_cbranch_vccnz .LBB231_20
; %bb.2:
	v_mov_b32_e32 v1, 0x10000
	s_load_dword s2, s[4:5], 0xd3c
	v_mov_b32_e32 v2, 0
	v_cmp_lt_i64_e32 vcc, s[14:15], v[1:2]
	s_mov_b32 s22, 0
	s_and_b64 s[0:1], vcc, exec
	v_cmp_lt_u64_e32 vcc, s[14:15], v[1:2]
	s_cselect_b32 s17, s15, 0
	s_cselect_b32 s16, s14, 0x10000
	s_waitcnt lgkmcnt(0)
	s_and_b32 s2, s2, 0xffff
	s_and_b64 s[0:1], vcc, exec
	s_cselect_b32 s19, s15, 0
	s_cselect_b32 s18, s14, 0x10000
	s_lshl_b32 s3, s2, 1
	s_lshl_b32 s26, s2, 2
	s_add_u32 s6, s10, s12
	v_lshlrev_b32_e32 v1, 3, v0
	s_addc_u32 s7, s11, s13
	v_mov_b32_e32 v2, s7
	v_add_co_u32_e32 v1, vcc, s6, v1
	s_mul_i32 s0, s2, 3
	v_addc_co_u32_e32 v2, vcc, 0, v2, vcc
	v_add_co_u32_e32 v13, vcc, s0, v0
	v_addc_co_u32_e64 v14, s[0:1], 0, 0, vcc
	v_add_co_u32_e32 v15, vcc, s3, v0
	v_addc_co_u32_e64 v16, s[0:1], 0, 0, vcc
	v_add_co_u32_e32 v17, vcc, s2, v0
	v_lshlrev_b32_e32 v3, 3, v17
	v_addc_co_u32_e64 v18, s[0:1], 0, 0, vcc
	v_mov_b32_e32 v4, s7
	v_add_co_u32_e32 v3, vcc, s6, v3
	s_lshl_b32 s27, s2, 5
	s_mul_i32 s28, s2, 24
	s_lshl_b32 s29, s2, 4
	v_addc_co_u32_e32 v4, vcc, 0, v4, vcc
	s_mov_b64 s[20:21], 0
	s_brev_b32 s23, 8
	v_mov_b32_e32 v19, 0x260
	v_mov_b32_e32 v20, 0x100
	;; [unrolled: 1-line block ×3, first 2 shown]
	s_branch .LBB231_4
.LBB231_3:                              ;   in Loop: Header=BB231_4 Depth=1
	s_or_b64 exec, exec, s[0:1]
	s_add_u32 s20, s20, s26
	v_add_co_u32_e32 v1, vcc, s27, v1
	v_mov_b32_e32 v5, s16
	s_addc_u32 s21, s21, 0
	v_addc_co_u32_e32 v2, vcc, 0, v2, vcc
	v_mov_b32_e32 v6, s17
	v_cmp_lt_i64_e32 vcc, s[20:21], v[5:6]
	v_add_co_u32_e64 v3, s[0:1], s27, v3
	v_addc_co_u32_e64 v4, s[0:1], 0, v4, s[0:1]
	s_cbranch_vccz .LBB231_20
.LBB231_4:                              ; =>This Inner Loop Header: Depth=1
	v_mov_b32_e32 v6, s21
	v_add_co_u32_e32 v5, vcc, s20, v0
	v_addc_co_u32_e32 v6, vcc, 0, v6, vcc
	v_cmp_gt_u64_e32 vcc, s[18:19], v[5:6]
	v_mov_b32_e32 v5, 0
	v_mov_b32_e32 v7, 0
	;; [unrolled: 1-line block ×4, first 2 shown]
	s_and_saveexec_b64 s[2:3], vcc
	s_cbranch_execz .LBB231_6
; %bb.5:                                ;   in Loop: Header=BB231_4 Depth=1
	global_load_dwordx2 v[7:8], v[1:2], off
	s_waitcnt vmcnt(0)
	v_cmp_gt_f64_e64 s[0:1], s[22:23], v[7:8]
	v_cndmask_b32_e64 v9, 0, v20, s[0:1]
	v_ldexp_f64 v[7:8], v[7:8], v9
	v_rsq_f64_e32 v[9:10], v[7:8]
	v_mul_f64 v[11:12], v[7:8], v[9:10]
	v_mul_f64 v[9:10], v[9:10], 0.5
	v_fma_f64 v[22:23], -v[9:10], v[11:12], 0.5
	v_fma_f64 v[11:12], v[11:12], v[22:23], v[11:12]
	v_fma_f64 v[9:10], v[9:10], v[22:23], v[9:10]
	v_fma_f64 v[22:23], -v[11:12], v[11:12], v[7:8]
	v_fma_f64 v[11:12], v[22:23], v[9:10], v[11:12]
	v_fma_f64 v[22:23], -v[11:12], v[11:12], v[7:8]
	v_fma_f64 v[9:10], v[22:23], v[9:10], v[11:12]
	v_cndmask_b32_e64 v11, 0, v21, s[0:1]
	v_cmp_class_f64_e64 s[0:1], v[7:8], v19
	v_ldexp_f64 v[9:10], v[9:10], v11
	v_cndmask_b32_e64 v8, v10, v8, s[0:1]
	v_cndmask_b32_e64 v7, v9, v7, s[0:1]
.LBB231_6:                              ;   in Loop: Header=BB231_4 Depth=1
	s_or_b64 exec, exec, s[2:3]
	v_mov_b32_e32 v10, s21
	v_add_co_u32_e64 v9, s[0:1], s20, v17
	v_addc_co_u32_e64 v10, s[0:1], v18, v10, s[0:1]
	v_cmp_gt_u64_e64 s[0:1], s[18:19], v[9:10]
	s_and_saveexec_b64 s[6:7], s[0:1]
	s_cbranch_execz .LBB231_8
; %bb.7:                                ;   in Loop: Header=BB231_4 Depth=1
	global_load_dwordx2 v[5:6], v[3:4], off
	s_waitcnt vmcnt(0)
	v_cmp_gt_f64_e64 s[2:3], s[22:23], v[5:6]
	v_cndmask_b32_e64 v9, 0, v20, s[2:3]
	v_ldexp_f64 v[5:6], v[5:6], v9
	v_rsq_f64_e32 v[9:10], v[5:6]
	v_mul_f64 v[11:12], v[5:6], v[9:10]
	v_mul_f64 v[9:10], v[9:10], 0.5
	v_fma_f64 v[22:23], -v[9:10], v[11:12], 0.5
	v_fma_f64 v[11:12], v[11:12], v[22:23], v[11:12]
	v_fma_f64 v[9:10], v[9:10], v[22:23], v[9:10]
	v_fma_f64 v[22:23], -v[11:12], v[11:12], v[5:6]
	v_fma_f64 v[11:12], v[22:23], v[9:10], v[11:12]
	v_fma_f64 v[22:23], -v[11:12], v[11:12], v[5:6]
	v_fma_f64 v[9:10], v[22:23], v[9:10], v[11:12]
	v_cndmask_b32_e64 v11, 0, v21, s[2:3]
	v_cmp_class_f64_e64 s[2:3], v[5:6], v19
	v_ldexp_f64 v[9:10], v[9:10], v11
	v_cndmask_b32_e64 v6, v10, v6, s[2:3]
	v_cndmask_b32_e64 v5, v9, v5, s[2:3]
.LBB231_8:                              ;   in Loop: Header=BB231_4 Depth=1
	s_or_b64 exec, exec, s[6:7]
	v_mov_b32_e32 v10, s21
	v_add_co_u32_e64 v9, s[2:3], s20, v15
	v_addc_co_u32_e64 v10, s[2:3], v16, v10, s[2:3]
	v_cmp_gt_u64_e64 s[2:3], s[18:19], v[9:10]
	v_mov_b32_e32 v9, 0
	v_mov_b32_e32 v11, 0
	;; [unrolled: 1-line block ×4, first 2 shown]
	s_and_saveexec_b64 s[8:9], s[2:3]
	s_cbranch_execz .LBB231_10
; %bb.9:                                ;   in Loop: Header=BB231_4 Depth=1
	v_add_co_u32_e64 v11, s[6:7], s29, v1
	v_addc_co_u32_e64 v12, s[6:7], 0, v2, s[6:7]
	global_load_dwordx2 v[11:12], v[11:12], off
	s_waitcnt vmcnt(0)
	v_cmp_gt_f64_e64 s[6:7], s[22:23], v[11:12]
	v_cndmask_b32_e64 v22, 0, v20, s[6:7]
	v_ldexp_f64 v[11:12], v[11:12], v22
	v_rsq_f64_e32 v[22:23], v[11:12]
	v_mul_f64 v[24:25], v[11:12], v[22:23]
	v_mul_f64 v[22:23], v[22:23], 0.5
	v_fma_f64 v[26:27], -v[22:23], v[24:25], 0.5
	v_fma_f64 v[24:25], v[24:25], v[26:27], v[24:25]
	v_fma_f64 v[22:23], v[22:23], v[26:27], v[22:23]
	v_fma_f64 v[26:27], -v[24:25], v[24:25], v[11:12]
	v_fma_f64 v[24:25], v[26:27], v[22:23], v[24:25]
	v_fma_f64 v[26:27], -v[24:25], v[24:25], v[11:12]
	v_fma_f64 v[22:23], v[26:27], v[22:23], v[24:25]
	v_cndmask_b32_e64 v24, 0, v21, s[6:7]
	v_cmp_class_f64_e64 s[6:7], v[11:12], v19
	v_ldexp_f64 v[22:23], v[22:23], v24
	v_cndmask_b32_e64 v12, v23, v12, s[6:7]
	v_cndmask_b32_e64 v11, v22, v11, s[6:7]
.LBB231_10:                             ;   in Loop: Header=BB231_4 Depth=1
	s_or_b64 exec, exec, s[8:9]
	v_mov_b32_e32 v23, s21
	v_add_co_u32_e64 v22, s[6:7], s20, v13
	v_addc_co_u32_e64 v23, s[6:7], v14, v23, s[6:7]
	v_cmp_gt_u64_e64 s[6:7], s[18:19], v[22:23]
	s_and_saveexec_b64 s[24:25], s[6:7]
	s_cbranch_execnz .LBB231_15
; %bb.11:                               ;   in Loop: Header=BB231_4 Depth=1
	s_or_b64 exec, exec, s[24:25]
	s_and_saveexec_b64 s[8:9], vcc
	s_cbranch_execnz .LBB231_16
.LBB231_12:                             ;   in Loop: Header=BB231_4 Depth=1
	s_or_b64 exec, exec, s[8:9]
	s_and_saveexec_b64 s[8:9], s[0:1]
	s_cbranch_execnz .LBB231_17
.LBB231_13:                             ;   in Loop: Header=BB231_4 Depth=1
	s_or_b64 exec, exec, s[8:9]
	s_and_saveexec_b64 s[0:1], s[2:3]
	s_cbranch_execnz .LBB231_18
.LBB231_14:                             ;   in Loop: Header=BB231_4 Depth=1
	s_or_b64 exec, exec, s[0:1]
	s_and_saveexec_b64 s[0:1], s[6:7]
	s_cbranch_execz .LBB231_3
	s_branch .LBB231_19
.LBB231_15:                             ;   in Loop: Header=BB231_4 Depth=1
	v_add_co_u32_e64 v9, s[8:9], s28, v1
	v_addc_co_u32_e64 v10, s[8:9], 0, v2, s[8:9]
	global_load_dwordx2 v[9:10], v[9:10], off
	s_waitcnt vmcnt(0)
	v_cmp_gt_f64_e64 s[8:9], s[22:23], v[9:10]
	v_cndmask_b32_e64 v22, 0, v20, s[8:9]
	v_ldexp_f64 v[9:10], v[9:10], v22
	v_rsq_f64_e32 v[22:23], v[9:10]
	v_mul_f64 v[24:25], v[9:10], v[22:23]
	v_mul_f64 v[22:23], v[22:23], 0.5
	v_fma_f64 v[26:27], -v[22:23], v[24:25], 0.5
	v_fma_f64 v[24:25], v[24:25], v[26:27], v[24:25]
	v_fma_f64 v[22:23], v[22:23], v[26:27], v[22:23]
	v_fma_f64 v[26:27], -v[24:25], v[24:25], v[9:10]
	v_fma_f64 v[24:25], v[26:27], v[22:23], v[24:25]
	v_fma_f64 v[26:27], -v[24:25], v[24:25], v[9:10]
	v_fma_f64 v[22:23], v[26:27], v[22:23], v[24:25]
	v_cndmask_b32_e64 v24, 0, v21, s[8:9]
	v_cmp_class_f64_e64 s[8:9], v[9:10], v19
	v_ldexp_f64 v[22:23], v[22:23], v24
	v_cndmask_b32_e64 v10, v23, v10, s[8:9]
	v_cndmask_b32_e64 v9, v22, v9, s[8:9]
	s_or_b64 exec, exec, s[24:25]
	s_and_saveexec_b64 s[8:9], vcc
	s_cbranch_execz .LBB231_12
.LBB231_16:                             ;   in Loop: Header=BB231_4 Depth=1
	global_store_dwordx2 v[1:2], v[7:8], off
	s_or_b64 exec, exec, s[8:9]
	s_and_saveexec_b64 s[8:9], s[0:1]
	s_cbranch_execz .LBB231_13
.LBB231_17:                             ;   in Loop: Header=BB231_4 Depth=1
	global_store_dwordx2 v[3:4], v[5:6], off
	s_or_b64 exec, exec, s[8:9]
	s_and_saveexec_b64 s[0:1], s[2:3]
	s_cbranch_execz .LBB231_14
.LBB231_18:                             ;   in Loop: Header=BB231_4 Depth=1
	v_add_co_u32_e32 v5, vcc, s29, v1
	v_addc_co_u32_e32 v6, vcc, 0, v2, vcc
	global_store_dwordx2 v[5:6], v[11:12], off
	s_or_b64 exec, exec, s[0:1]
	s_and_saveexec_b64 s[0:1], s[6:7]
	s_cbranch_execz .LBB231_3
.LBB231_19:                             ;   in Loop: Header=BB231_4 Depth=1
	v_add_co_u32_e32 v5, vcc, s28, v1
	v_addc_co_u32_e32 v6, vcc, 0, v2, vcc
	global_store_dwordx2 v[5:6], v[9:10], off
	s_branch .LBB231_3
.LBB231_20:
	s_cbranch_execz .LBB231_22
	s_branch .LBB231_25
.LBB231_21:
.LBB231_22:
	v_mov_b32_e32 v1, 0x10000
	v_mov_b32_e32 v2, 0
	v_cmp_lt_i64_e32 vcc, s[14:15], v[1:2]
	v_mov_b32_e32 v2, 0
	s_and_b64 s[0:1], vcc, exec
	s_cselect_b32 s9, s15, 0
	s_cselect_b32 s8, s14, 0x10000
	v_lshlrev_b32_e32 v1, 2, v0
	v_cmp_gt_i64_e32 vcc, s[8:9], v[1:2]
	s_and_saveexec_b64 s[0:1], vcc
	s_cbranch_execz .LBB231_25
; %bb.23:
	s_load_dword s0, s[4:5], 0xd3c
	v_mov_b32_e32 v1, v2
	v_lshlrev_b32_e32 v2, 5, v0
	v_mov_b32_e32 v4, 0x100
	v_mov_b32_e32 v5, 0xffffff80
	s_waitcnt lgkmcnt(0)
	s_and_b32 s14, s0, 0xffff
	s_add_u32 s0, s10, s12
	s_addc_u32 s1, s11, s13
	v_mov_b32_e32 v3, s1
	v_add_co_u32_e32 v2, vcc, s0, v2
	v_addc_co_u32_e32 v3, vcc, 0, v3, vcc
	v_add_co_u32_e32 v2, vcc, 16, v2
	s_mov_b32 s12, 0
	v_addc_co_u32_e32 v3, vcc, 0, v3, vcc
	s_lshl_b32 s15, s14, 5
	s_mov_b64 s[10:11], 0
	s_brev_b32 s13, 8
	v_mov_b32_e32 v6, 0x260
.LBB231_24:                             ; =>This Inner Loop Header: Depth=1
	global_load_dwordx4 v[7:10], v[2:3], off offset:-16
	global_load_dwordx4 v[11:14], v[2:3], off
	v_add_co_u32_e64 v0, s[6:7], s14, v0
	v_addc_co_u32_e64 v1, s[6:7], 0, v1, s[6:7]
	s_waitcnt vmcnt(1)
	v_cmp_gt_f64_e32 vcc, s[12:13], v[7:8]
	v_cmp_gt_f64_e64 s[0:1], s[12:13], v[9:10]
	s_waitcnt vmcnt(0)
	v_cmp_gt_f64_e64 s[2:3], s[12:13], v[11:12]
	v_cmp_gt_f64_e64 s[4:5], s[12:13], v[13:14]
	v_cndmask_b32_e32 v15, 0, v4, vcc
	v_ldexp_f64 v[7:8], v[7:8], v15
	v_cndmask_b32_e64 v21, 0, v4, s[0:1]
	v_ldexp_f64 v[9:10], v[9:10], v21
	v_cndmask_b32_e64 v23, 0, v4, s[2:3]
	;; [unrolled: 2-line block ×3, first 2 shown]
	v_ldexp_f64 v[13:14], v[13:14], v23
	v_cndmask_b32_e32 v27, 0, v5, vcc
	v_rsq_f64_e32 v[15:16], v[7:8]
	v_cmp_class_f64_e32 vcc, v[7:8], v6
	v_rsq_f64_e32 v[21:22], v[9:10]
	v_mul_f64 v[17:18], v[7:8], v[15:16]
	v_mul_f64 v[15:16], v[15:16], 0.5
	v_mul_f64 v[23:24], v[9:10], v[21:22]
	v_mul_f64 v[21:22], v[21:22], 0.5
	v_fma_f64 v[19:20], -v[15:16], v[17:18], 0.5
	v_fma_f64 v[17:18], v[17:18], v[19:20], v[17:18]
	v_fma_f64 v[15:16], v[15:16], v[19:20], v[15:16]
	v_fma_f64 v[19:20], -v[17:18], v[17:18], v[7:8]
	v_fma_f64 v[17:18], v[19:20], v[15:16], v[17:18]
	v_rsq_f64_e32 v[19:20], v[11:12]
	v_fma_f64 v[25:26], -v[17:18], v[17:18], v[7:8]
	v_fma_f64 v[15:16], v[25:26], v[15:16], v[17:18]
	v_fma_f64 v[17:18], -v[21:22], v[23:24], 0.5
	v_mul_f64 v[25:26], v[11:12], v[19:20]
	v_mul_f64 v[19:20], v[19:20], 0.5
	v_ldexp_f64 v[15:16], v[15:16], v27
	v_fma_f64 v[23:24], v[23:24], v[17:18], v[23:24]
	v_fma_f64 v[17:18], v[21:22], v[17:18], v[21:22]
	v_fma_f64 v[21:22], -v[19:20], v[25:26], 0.5
	v_cndmask_b32_e32 v8, v16, v8, vcc
	v_cndmask_b32_e32 v7, v15, v7, vcc
	v_fma_f64 v[25:26], v[25:26], v[21:22], v[25:26]
	v_fma_f64 v[19:20], v[19:20], v[21:22], v[19:20]
	v_fma_f64 v[21:22], -v[23:24], v[23:24], v[9:10]
	v_fma_f64 v[21:22], v[21:22], v[17:18], v[23:24]
	v_fma_f64 v[23:24], -v[25:26], v[25:26], v[11:12]
	;; [unrolled: 2-line block ×3, first 2 shown]
	v_fma_f64 v[17:18], v[25:26], v[17:18], v[21:22]
	v_rsq_f64_e32 v[21:22], v[13:14]
	v_fma_f64 v[25:26], -v[23:24], v[23:24], v[11:12]
	v_fma_f64 v[19:20], v[25:26], v[19:20], v[23:24]
	v_mul_f64 v[23:24], v[13:14], v[21:22]
	v_mul_f64 v[21:22], v[21:22], 0.5
	v_fma_f64 v[25:26], -v[21:22], v[23:24], 0.5
	v_fma_f64 v[23:24], v[23:24], v[25:26], v[23:24]
	v_fma_f64 v[21:22], v[21:22], v[25:26], v[21:22]
	v_fma_f64 v[25:26], -v[23:24], v[23:24], v[13:14]
	v_fma_f64 v[23:24], v[25:26], v[21:22], v[23:24]
	v_lshlrev_b64 v[25:26], 2, v[0:1]
	v_cmp_le_i64_e64 s[6:7], s[8:9], v[25:26]
	s_or_b64 s[10:11], s[6:7], s[10:11]
	v_fma_f64 v[25:26], -v[23:24], v[23:24], v[13:14]
	v_fma_f64 v[21:22], v[25:26], v[21:22], v[23:24]
	v_cndmask_b32_e64 v23, 0, v5, s[0:1]
	v_cndmask_b32_e64 v24, 0, v5, s[2:3]
	v_cndmask_b32_e64 v25, 0, v5, s[4:5]
	v_ldexp_f64 v[17:18], v[17:18], v23
	v_cmp_class_f64_e64 s[0:1], v[9:10], v6
	v_ldexp_f64 v[19:20], v[19:20], v24
	v_cmp_class_f64_e64 s[2:3], v[11:12], v6
	;; [unrolled: 2-line block ×3, first 2 shown]
	v_cndmask_b32_e64 v10, v18, v10, s[0:1]
	v_cndmask_b32_e64 v9, v17, v9, s[0:1]
	;; [unrolled: 1-line block ×6, first 2 shown]
	global_store_dwordx4 v[2:3], v[7:10], off offset:-16
	global_store_dwordx4 v[2:3], v[11:14], off
	v_add_co_u32_e32 v2, vcc, s15, v2
	v_addc_co_u32_e32 v3, vcc, 0, v3, vcc
	s_andn2_b64 exec, exec, s[10:11]
	s_cbranch_execnz .LBB231_24
.LBB231_25:
	s_endpgm
	.section	.rodata,"a",@progbits
	.p2align	6, 0x0
	.amdhsa_kernel _ZN2at6native12_GLOBAL__N_125multi_tensor_apply_kernelINS1_18TensorListMetadataILi1EEENS1_14UnaryOpFunctorIdLi1ELi1ELi0EEEJNS0_4SqrtIdEEEEEvT_T0_DpT1_
		.amdhsa_group_segment_fixed_size 0
		.amdhsa_private_segment_fixed_size 0
		.amdhsa_kernarg_size 3632
		.amdhsa_user_sgpr_count 6
		.amdhsa_user_sgpr_private_segment_buffer 1
		.amdhsa_user_sgpr_dispatch_ptr 0
		.amdhsa_user_sgpr_queue_ptr 0
		.amdhsa_user_sgpr_kernarg_segment_ptr 1
		.amdhsa_user_sgpr_dispatch_id 0
		.amdhsa_user_sgpr_flat_scratch_init 0
		.amdhsa_user_sgpr_private_segment_size 0
		.amdhsa_uses_dynamic_stack 0
		.amdhsa_system_sgpr_private_segment_wavefront_offset 0
		.amdhsa_system_sgpr_workgroup_id_x 1
		.amdhsa_system_sgpr_workgroup_id_y 0
		.amdhsa_system_sgpr_workgroup_id_z 0
		.amdhsa_system_sgpr_workgroup_info 0
		.amdhsa_system_vgpr_workitem_id 0
		.amdhsa_next_free_vgpr 28
		.amdhsa_next_free_sgpr 30
		.amdhsa_reserve_vcc 1
		.amdhsa_reserve_flat_scratch 0
		.amdhsa_float_round_mode_32 0
		.amdhsa_float_round_mode_16_64 0
		.amdhsa_float_denorm_mode_32 3
		.amdhsa_float_denorm_mode_16_64 3
		.amdhsa_dx10_clamp 1
		.amdhsa_ieee_mode 1
		.amdhsa_fp16_overflow 0
		.amdhsa_exception_fp_ieee_invalid_op 0
		.amdhsa_exception_fp_denorm_src 0
		.amdhsa_exception_fp_ieee_div_zero 0
		.amdhsa_exception_fp_ieee_overflow 0
		.amdhsa_exception_fp_ieee_underflow 0
		.amdhsa_exception_fp_ieee_inexact 0
		.amdhsa_exception_int_div_zero 0
	.end_amdhsa_kernel
	.section	.text._ZN2at6native12_GLOBAL__N_125multi_tensor_apply_kernelINS1_18TensorListMetadataILi1EEENS1_14UnaryOpFunctorIdLi1ELi1ELi0EEEJNS0_4SqrtIdEEEEEvT_T0_DpT1_,"axG",@progbits,_ZN2at6native12_GLOBAL__N_125multi_tensor_apply_kernelINS1_18TensorListMetadataILi1EEENS1_14UnaryOpFunctorIdLi1ELi1ELi0EEEJNS0_4SqrtIdEEEEEvT_T0_DpT1_,comdat
.Lfunc_end231:
	.size	_ZN2at6native12_GLOBAL__N_125multi_tensor_apply_kernelINS1_18TensorListMetadataILi1EEENS1_14UnaryOpFunctorIdLi1ELi1ELi0EEEJNS0_4SqrtIdEEEEEvT_T0_DpT1_, .Lfunc_end231-_ZN2at6native12_GLOBAL__N_125multi_tensor_apply_kernelINS1_18TensorListMetadataILi1EEENS1_14UnaryOpFunctorIdLi1ELi1ELi0EEEJNS0_4SqrtIdEEEEEvT_T0_DpT1_
                                        ; -- End function
	.set _ZN2at6native12_GLOBAL__N_125multi_tensor_apply_kernelINS1_18TensorListMetadataILi1EEENS1_14UnaryOpFunctorIdLi1ELi1ELi0EEEJNS0_4SqrtIdEEEEEvT_T0_DpT1_.num_vgpr, 28
	.set _ZN2at6native12_GLOBAL__N_125multi_tensor_apply_kernelINS1_18TensorListMetadataILi1EEENS1_14UnaryOpFunctorIdLi1ELi1ELi0EEEJNS0_4SqrtIdEEEEEvT_T0_DpT1_.num_agpr, 0
	.set _ZN2at6native12_GLOBAL__N_125multi_tensor_apply_kernelINS1_18TensorListMetadataILi1EEENS1_14UnaryOpFunctorIdLi1ELi1ELi0EEEJNS0_4SqrtIdEEEEEvT_T0_DpT1_.numbered_sgpr, 30
	.set _ZN2at6native12_GLOBAL__N_125multi_tensor_apply_kernelINS1_18TensorListMetadataILi1EEENS1_14UnaryOpFunctorIdLi1ELi1ELi0EEEJNS0_4SqrtIdEEEEEvT_T0_DpT1_.num_named_barrier, 0
	.set _ZN2at6native12_GLOBAL__N_125multi_tensor_apply_kernelINS1_18TensorListMetadataILi1EEENS1_14UnaryOpFunctorIdLi1ELi1ELi0EEEJNS0_4SqrtIdEEEEEvT_T0_DpT1_.private_seg_size, 0
	.set _ZN2at6native12_GLOBAL__N_125multi_tensor_apply_kernelINS1_18TensorListMetadataILi1EEENS1_14UnaryOpFunctorIdLi1ELi1ELi0EEEJNS0_4SqrtIdEEEEEvT_T0_DpT1_.uses_vcc, 1
	.set _ZN2at6native12_GLOBAL__N_125multi_tensor_apply_kernelINS1_18TensorListMetadataILi1EEENS1_14UnaryOpFunctorIdLi1ELi1ELi0EEEJNS0_4SqrtIdEEEEEvT_T0_DpT1_.uses_flat_scratch, 0
	.set _ZN2at6native12_GLOBAL__N_125multi_tensor_apply_kernelINS1_18TensorListMetadataILi1EEENS1_14UnaryOpFunctorIdLi1ELi1ELi0EEEJNS0_4SqrtIdEEEEEvT_T0_DpT1_.has_dyn_sized_stack, 0
	.set _ZN2at6native12_GLOBAL__N_125multi_tensor_apply_kernelINS1_18TensorListMetadataILi1EEENS1_14UnaryOpFunctorIdLi1ELi1ELi0EEEJNS0_4SqrtIdEEEEEvT_T0_DpT1_.has_recursion, 0
	.set _ZN2at6native12_GLOBAL__N_125multi_tensor_apply_kernelINS1_18TensorListMetadataILi1EEENS1_14UnaryOpFunctorIdLi1ELi1ELi0EEEJNS0_4SqrtIdEEEEEvT_T0_DpT1_.has_indirect_call, 0
	.section	.AMDGPU.csdata,"",@progbits
; Kernel info:
; codeLenInByte = 2160
; TotalNumSgprs: 34
; NumVgprs: 28
; ScratchSize: 0
; MemoryBound: 1
; FloatMode: 240
; IeeeMode: 1
; LDSByteSize: 0 bytes/workgroup (compile time only)
; SGPRBlocks: 4
; VGPRBlocks: 6
; NumSGPRsForWavesPerEU: 34
; NumVGPRsForWavesPerEU: 28
; Occupancy: 9
; WaveLimiterHint : 0
; COMPUTE_PGM_RSRC2:SCRATCH_EN: 0
; COMPUTE_PGM_RSRC2:USER_SGPR: 6
; COMPUTE_PGM_RSRC2:TRAP_HANDLER: 0
; COMPUTE_PGM_RSRC2:TGID_X_EN: 1
; COMPUTE_PGM_RSRC2:TGID_Y_EN: 0
; COMPUTE_PGM_RSRC2:TGID_Z_EN: 0
; COMPUTE_PGM_RSRC2:TIDIG_COMP_CNT: 0
	.section	.text._ZN2at6native12_GLOBAL__N_125multi_tensor_apply_kernelINS1_18TensorListMetadataILi1EEENS1_14UnaryOpFunctorIfLi1ELi1ELi0EEEJNS0_4SqrtIfEEEEEvT_T0_DpT1_,"axG",@progbits,_ZN2at6native12_GLOBAL__N_125multi_tensor_apply_kernelINS1_18TensorListMetadataILi1EEENS1_14UnaryOpFunctorIfLi1ELi1ELi0EEEJNS0_4SqrtIfEEEEEvT_T0_DpT1_,comdat
	.globl	_ZN2at6native12_GLOBAL__N_125multi_tensor_apply_kernelINS1_18TensorListMetadataILi1EEENS1_14UnaryOpFunctorIfLi1ELi1ELi0EEEJNS0_4SqrtIfEEEEEvT_T0_DpT1_ ; -- Begin function _ZN2at6native12_GLOBAL__N_125multi_tensor_apply_kernelINS1_18TensorListMetadataILi1EEENS1_14UnaryOpFunctorIfLi1ELi1ELi0EEEJNS0_4SqrtIfEEEEEvT_T0_DpT1_
	.p2align	8
	.type	_ZN2at6native12_GLOBAL__N_125multi_tensor_apply_kernelINS1_18TensorListMetadataILi1EEENS1_14UnaryOpFunctorIfLi1ELi1ELi0EEEJNS0_4SqrtIfEEEEEvT_T0_DpT1_,@function
_ZN2at6native12_GLOBAL__N_125multi_tensor_apply_kernelINS1_18TensorListMetadataILi1EEENS1_14UnaryOpFunctorIfLi1ELi1ELi0EEEJNS0_4SqrtIfEEEEEvT_T0_DpT1_: ; @_ZN2at6native12_GLOBAL__N_125multi_tensor_apply_kernelINS1_18TensorListMetadataILi1EEENS1_14UnaryOpFunctorIfLi1ELi1ELi0EEEJNS0_4SqrtIfEEEEEvT_T0_DpT1_
; %bb.0:
	v_mov_b32_e32 v1, s6
	global_load_ubyte v1, v1, s[4:5] offset:1760
	s_add_u32 s0, s4, s6
	s_mul_hi_u32 s1, s6, 3
	s_mul_i32 s6, s6, 3
	s_addc_u32 s2, s5, 0
	s_add_u32 s0, s0, s6
	s_addc_u32 s1, s2, s1
	s_load_dword s0, s[0:1], 0x820
	s_mov_b32 s7, 0
	s_waitcnt vmcnt(0)
	v_readfirstlane_b32 s1, v1
	s_lshl_b32 s1, s1, 3
	s_load_dwordx2 s[2:3], s[4:5], s1 offset:0x370
	s_load_dwordx2 s[12:13], s[4:5], s1 offset:0x0
	s_waitcnt lgkmcnt(0)
	s_ashr_i32 s1, s0, 31
	s_lshl_b64 s[14:15], s[0:1], 18
	s_lshl_b64 s[0:1], s[0:1], 16
	s_and_b32 s6, s12, 15
	s_sub_u32 s16, s2, s0
	s_subb_u32 s17, s3, s1
	s_and_b32 s0, s2, 3
	s_mov_b32 s1, s7
	s_or_b64 s[0:1], s[6:7], s[0:1]
	s_cmp_eq_u64 s[0:1], 0
	s_cbranch_scc1 .LBB232_21
; %bb.1:
	v_cmp_lt_i64_e64 s[0:1], s[16:17], 1
	s_and_b64 vcc, exec, s[0:1]
	s_cbranch_vccnz .LBB232_20
; %bb.2:
	v_mov_b32_e32 v1, 0x10000
	s_load_dword s2, s[4:5], 0xd3c
	v_mov_b32_e32 v2, 0
	v_cmp_lt_i64_e32 vcc, s[16:17], v[1:2]
	s_mov_b64 s[22:23], 0
	s_and_b64 s[0:1], vcc, exec
	v_cmp_lt_u64_e32 vcc, s[16:17], v[1:2]
	s_cselect_b32 s19, s17, 0
	s_cselect_b32 s18, s16, 0x10000
	s_waitcnt lgkmcnt(0)
	s_and_b32 s2, s2, 0xffff
	s_and_b64 s[0:1], vcc, exec
	s_cselect_b32 s21, s17, 0
	s_cselect_b32 s20, s16, 0x10000
	s_lshl_b32 s3, s2, 1
	s_lshl_b32 s26, s2, 2
	s_add_u32 s6, s12, s14
	v_lshlrev_b32_e32 v1, 2, v0
	s_addc_u32 s7, s13, s15
	v_mov_b32_e32 v2, s7
	v_add_co_u32_e32 v1, vcc, s6, v1
	s_mul_i32 s0, s2, 3
	v_addc_co_u32_e32 v2, vcc, 0, v2, vcc
	v_add_co_u32_e32 v5, vcc, s0, v0
	v_addc_co_u32_e64 v6, s[0:1], 0, 0, vcc
	v_add_co_u32_e32 v7, vcc, s3, v0
	v_addc_co_u32_e64 v8, s[0:1], 0, 0, vcc
	v_add_co_u32_e32 v9, vcc, s2, v0
	v_lshlrev_b32_e32 v3, 2, v9
	v_addc_co_u32_e64 v10, s[0:1], 0, 0, vcc
	v_mov_b32_e32 v4, s7
	v_add_co_u32_e32 v3, vcc, s6, v3
	s_lshl_b32 s27, s2, 4
	s_mul_i32 s28, s2, 12
	s_lshl_b32 s29, s2, 3
	v_addc_co_u32_e32 v4, vcc, 0, v4, vcc
	s_mov_b32 s30, 0xf800000
	v_mov_b32_e32 v11, 0x260
	s_branch .LBB232_4
.LBB232_3:                              ;   in Loop: Header=BB232_4 Depth=1
	s_or_b64 exec, exec, s[0:1]
	s_add_u32 s22, s22, s26
	v_add_co_u32_e32 v1, vcc, s27, v1
	v_mov_b32_e32 v12, s18
	s_addc_u32 s23, s23, 0
	v_addc_co_u32_e32 v2, vcc, 0, v2, vcc
	v_mov_b32_e32 v13, s19
	v_cmp_lt_i64_e32 vcc, s[22:23], v[12:13]
	v_add_co_u32_e64 v3, s[0:1], s27, v3
	v_addc_co_u32_e64 v4, s[0:1], 0, v4, s[0:1]
	s_cbranch_vccz .LBB232_20
.LBB232_4:                              ; =>This Inner Loop Header: Depth=1
	v_mov_b32_e32 v13, s23
	v_add_co_u32_e32 v12, vcc, s22, v0
	v_addc_co_u32_e32 v13, vcc, 0, v13, vcc
	v_cmp_gt_u64_e32 vcc, s[20:21], v[12:13]
	v_mov_b32_e32 v12, 0
	s_and_saveexec_b64 s[6:7], vcc
	s_cbranch_execz .LBB232_6
; %bb.5:                                ;   in Loop: Header=BB232_4 Depth=1
	global_load_dword v12, v[1:2], off
	s_waitcnt vmcnt(0)
	v_mul_f32_e32 v13, 0x4f800000, v12
	v_cmp_gt_f32_e64 s[0:1], s30, v12
	v_cndmask_b32_e64 v12, v12, v13, s[0:1]
	v_sqrt_f32_e32 v13, v12
	v_add_u32_e32 v14, -1, v13
	v_add_u32_e32 v15, 1, v13
	v_fma_f32 v16, -v14, v13, v12
	v_fma_f32 v17, -v15, v13, v12
	v_cmp_ge_f32_e64 s[2:3], 0, v16
	v_cndmask_b32_e64 v13, v13, v14, s[2:3]
	v_cmp_lt_f32_e64 s[2:3], 0, v17
	v_cndmask_b32_e64 v13, v13, v15, s[2:3]
	v_mul_f32_e32 v14, 0x37800000, v13
	v_cndmask_b32_e64 v13, v13, v14, s[0:1]
	v_cmp_class_f32_e64 s[0:1], v12, v11
	v_cndmask_b32_e64 v12, v13, v12, s[0:1]
.LBB232_6:                              ;   in Loop: Header=BB232_4 Depth=1
	s_or_b64 exec, exec, s[6:7]
	v_mov_b32_e32 v14, s23
	v_add_co_u32_e64 v13, s[0:1], s22, v9
	v_addc_co_u32_e64 v14, s[0:1], v10, v14, s[0:1]
	v_cmp_gt_u64_e64 s[0:1], s[20:21], v[13:14]
	v_mov_b32_e32 v13, 0
	v_mov_b32_e32 v14, 0
	s_and_saveexec_b64 s[8:9], s[0:1]
	s_cbranch_execz .LBB232_8
; %bb.7:                                ;   in Loop: Header=BB232_4 Depth=1
	global_load_dword v14, v[3:4], off
	s_waitcnt vmcnt(0)
	v_mul_f32_e32 v15, 0x4f800000, v14
	v_cmp_gt_f32_e64 s[2:3], s30, v14
	v_cndmask_b32_e64 v14, v14, v15, s[2:3]
	v_sqrt_f32_e32 v15, v14
	v_add_u32_e32 v16, -1, v15
	v_add_u32_e32 v17, 1, v15
	v_fma_f32 v18, -v16, v15, v14
	v_fma_f32 v19, -v17, v15, v14
	v_cmp_ge_f32_e64 s[6:7], 0, v18
	v_cndmask_b32_e64 v15, v15, v16, s[6:7]
	v_cmp_lt_f32_e64 s[6:7], 0, v19
	v_cndmask_b32_e64 v15, v15, v17, s[6:7]
	v_mul_f32_e32 v16, 0x37800000, v15
	v_cndmask_b32_e64 v15, v15, v16, s[2:3]
	v_cmp_class_f32_e64 s[2:3], v14, v11
	v_cndmask_b32_e64 v14, v15, v14, s[2:3]
.LBB232_8:                              ;   in Loop: Header=BB232_4 Depth=1
	s_or_b64 exec, exec, s[8:9]
	v_mov_b32_e32 v16, s23
	v_add_co_u32_e64 v15, s[2:3], s22, v7
	v_addc_co_u32_e64 v16, s[2:3], v8, v16, s[2:3]
	v_cmp_gt_u64_e64 s[2:3], s[20:21], v[15:16]
	s_and_saveexec_b64 s[10:11], s[2:3]
	s_cbranch_execz .LBB232_10
; %bb.9:                                ;   in Loop: Header=BB232_4 Depth=1
	v_add_co_u32_e64 v15, s[6:7], s29, v1
	v_addc_co_u32_e64 v16, s[6:7], 0, v2, s[6:7]
	global_load_dword v13, v[15:16], off
	s_waitcnt vmcnt(0)
	v_mul_f32_e32 v15, 0x4f800000, v13
	v_cmp_gt_f32_e64 s[6:7], s30, v13
	v_cndmask_b32_e64 v13, v13, v15, s[6:7]
	v_sqrt_f32_e32 v15, v13
	v_add_u32_e32 v16, -1, v15
	v_add_u32_e32 v17, 1, v15
	v_fma_f32 v18, -v16, v15, v13
	v_fma_f32 v19, -v17, v15, v13
	v_cmp_ge_f32_e64 s[8:9], 0, v18
	v_cndmask_b32_e64 v15, v15, v16, s[8:9]
	v_cmp_lt_f32_e64 s[8:9], 0, v19
	v_cndmask_b32_e64 v15, v15, v17, s[8:9]
	v_mul_f32_e32 v16, 0x37800000, v15
	v_cndmask_b32_e64 v15, v15, v16, s[6:7]
	v_cmp_class_f32_e64 s[6:7], v13, v11
	v_cndmask_b32_e64 v13, v15, v13, s[6:7]
.LBB232_10:                             ;   in Loop: Header=BB232_4 Depth=1
	s_or_b64 exec, exec, s[10:11]
	v_mov_b32_e32 v16, s23
	v_add_co_u32_e64 v15, s[6:7], s22, v5
	v_addc_co_u32_e64 v16, s[6:7], v6, v16, s[6:7]
	v_cmp_gt_u64_e64 s[6:7], s[20:21], v[15:16]
	v_mov_b32_e32 v15, 0
	s_and_saveexec_b64 s[24:25], s[6:7]
	s_cbranch_execnz .LBB232_15
; %bb.11:                               ;   in Loop: Header=BB232_4 Depth=1
	s_or_b64 exec, exec, s[24:25]
	s_and_saveexec_b64 s[8:9], vcc
	s_cbranch_execnz .LBB232_16
.LBB232_12:                             ;   in Loop: Header=BB232_4 Depth=1
	s_or_b64 exec, exec, s[8:9]
	s_and_saveexec_b64 s[8:9], s[0:1]
	s_cbranch_execnz .LBB232_17
.LBB232_13:                             ;   in Loop: Header=BB232_4 Depth=1
	s_or_b64 exec, exec, s[8:9]
	s_and_saveexec_b64 s[0:1], s[2:3]
	s_cbranch_execnz .LBB232_18
.LBB232_14:                             ;   in Loop: Header=BB232_4 Depth=1
	s_or_b64 exec, exec, s[0:1]
	s_and_saveexec_b64 s[0:1], s[6:7]
	s_cbranch_execz .LBB232_3
	s_branch .LBB232_19
.LBB232_15:                             ;   in Loop: Header=BB232_4 Depth=1
	v_add_co_u32_e64 v15, s[8:9], s28, v1
	v_addc_co_u32_e64 v16, s[8:9], 0, v2, s[8:9]
	global_load_dword v15, v[15:16], off
	s_waitcnt vmcnt(0)
	v_mul_f32_e32 v16, 0x4f800000, v15
	v_cmp_gt_f32_e64 s[8:9], s30, v15
	v_cndmask_b32_e64 v15, v15, v16, s[8:9]
	v_sqrt_f32_e32 v16, v15
	v_add_u32_e32 v17, -1, v16
	v_add_u32_e32 v18, 1, v16
	v_fma_f32 v19, -v17, v16, v15
	v_fma_f32 v20, -v18, v16, v15
	v_cmp_ge_f32_e64 s[10:11], 0, v19
	v_cndmask_b32_e64 v16, v16, v17, s[10:11]
	v_cmp_lt_f32_e64 s[10:11], 0, v20
	v_cndmask_b32_e64 v16, v16, v18, s[10:11]
	v_mul_f32_e32 v17, 0x37800000, v16
	v_cndmask_b32_e64 v16, v16, v17, s[8:9]
	v_cmp_class_f32_e64 s[8:9], v15, v11
	v_cndmask_b32_e64 v15, v16, v15, s[8:9]
	s_or_b64 exec, exec, s[24:25]
	s_and_saveexec_b64 s[8:9], vcc
	s_cbranch_execz .LBB232_12
.LBB232_16:                             ;   in Loop: Header=BB232_4 Depth=1
	global_store_dword v[1:2], v12, off
	s_or_b64 exec, exec, s[8:9]
	s_and_saveexec_b64 s[8:9], s[0:1]
	s_cbranch_execz .LBB232_13
.LBB232_17:                             ;   in Loop: Header=BB232_4 Depth=1
	global_store_dword v[3:4], v14, off
	s_or_b64 exec, exec, s[8:9]
	s_and_saveexec_b64 s[0:1], s[2:3]
	s_cbranch_execz .LBB232_14
.LBB232_18:                             ;   in Loop: Header=BB232_4 Depth=1
	v_add_co_u32_e32 v16, vcc, s29, v1
	v_addc_co_u32_e32 v17, vcc, 0, v2, vcc
	global_store_dword v[16:17], v13, off
	s_or_b64 exec, exec, s[0:1]
	s_and_saveexec_b64 s[0:1], s[6:7]
	s_cbranch_execz .LBB232_3
.LBB232_19:                             ;   in Loop: Header=BB232_4 Depth=1
	v_add_co_u32_e32 v12, vcc, s28, v1
	v_addc_co_u32_e32 v13, vcc, 0, v2, vcc
	global_store_dword v[12:13], v15, off
	s_branch .LBB232_3
.LBB232_20:
	s_cbranch_execz .LBB232_22
	s_branch .LBB232_25
.LBB232_21:
.LBB232_22:
	v_mov_b32_e32 v1, 0x10000
	v_mov_b32_e32 v2, 0
	v_cmp_lt_i64_e32 vcc, s[16:17], v[1:2]
	v_mov_b32_e32 v2, 0
	s_and_b64 s[0:1], vcc, exec
	s_cselect_b32 s17, s17, 0
	s_cselect_b32 s16, s16, 0x10000
	v_lshlrev_b32_e32 v1, 2, v0
	v_cmp_gt_i64_e32 vcc, s[16:17], v[1:2]
	s_and_saveexec_b64 s[0:1], vcc
	s_cbranch_execz .LBB232_25
; %bb.23:
	s_load_dword s0, s[4:5], 0xd3c
	v_mov_b32_e32 v1, v2
	v_lshlrev_b32_e32 v2, 4, v0
	s_mov_b32 s20, 0xf800000
	v_mov_b32_e32 v4, 0x260
	s_waitcnt lgkmcnt(0)
	s_and_b32 s18, s0, 0xffff
	s_add_u32 s0, s12, s14
	s_addc_u32 s1, s13, s15
	v_mov_b32_e32 v3, s1
	v_add_co_u32_e32 v2, vcc, s0, v2
	v_addc_co_u32_e32 v3, vcc, 0, v3, vcc
	v_add_co_u32_e32 v2, vcc, 8, v2
	v_addc_co_u32_e32 v3, vcc, 0, v3, vcc
	s_lshl_b32 s19, s18, 4
	s_mov_b64 s[14:15], 0
.LBB232_24:                             ; =>This Inner Loop Header: Depth=1
	global_load_dwordx4 v[5:8], v[2:3], off offset:-8
	v_add_co_u32_e32 v0, vcc, s18, v0
	v_addc_co_u32_e32 v1, vcc, 0, v1, vcc
	v_lshlrev_b64 v[9:10], 2, v[0:1]
	v_cmp_le_i64_e32 vcc, s[16:17], v[9:10]
	s_or_b64 s[14:15], vcc, s[14:15]
	s_waitcnt vmcnt(0)
	v_mul_f32_e32 v9, 0x4f800000, v5
	v_cmp_gt_f32_e32 vcc, s20, v5
	v_cndmask_b32_e32 v5, v5, v9, vcc
	v_sqrt_f32_e32 v9, v5
	v_mul_f32_e32 v10, 0x4f800000, v6
	v_cmp_gt_f32_e64 s[0:1], s20, v6
	v_mul_f32_e32 v11, 0x4f800000, v7
	v_cndmask_b32_e64 v6, v6, v10, s[0:1]
	v_cmp_gt_f32_e64 s[2:3], s20, v7
	v_mul_f32_e32 v12, 0x4f800000, v8
	v_cndmask_b32_e64 v7, v7, v11, s[2:3]
	v_cmp_gt_f32_e64 s[4:5], s20, v8
	v_sqrt_f32_e32 v10, v6
	v_cndmask_b32_e64 v8, v8, v12, s[4:5]
	v_sqrt_f32_e32 v11, v7
	v_add_u32_e32 v13, -1, v9
	v_sqrt_f32_e32 v12, v8
	v_fma_f32 v19, -v13, v9, v5
	v_add_u32_e32 v14, 1, v9
	v_cmp_ge_f32_e64 s[6:7], 0, v19
	v_add_u32_e32 v15, -1, v10
	v_cndmask_b32_e64 v13, v9, v13, s[6:7]
	v_fma_f32 v9, -v14, v9, v5
	v_add_u32_e32 v17, -1, v11
	v_cmp_lt_f32_e64 s[6:7], 0, v9
	v_fma_f32 v9, -v15, v10, v6
	v_add_u32_e32 v16, 1, v10
	v_add_u32_e32 v19, -1, v12
	v_cmp_ge_f32_e64 s[8:9], 0, v9
	v_fma_f32 v9, -v17, v11, v7
	v_add_u32_e32 v18, 1, v11
	v_cmp_ge_f32_e64 s[10:11], 0, v9
	v_fma_f32 v9, -v19, v12, v8
	v_cndmask_b32_e64 v15, v10, v15, s[8:9]
	v_fma_f32 v10, -v16, v10, v6
	v_cmp_ge_f32_e64 s[12:13], 0, v9
	v_add_u32_e32 v9, 1, v12
	v_cndmask_b32_e64 v17, v11, v17, s[10:11]
	v_fma_f32 v11, -v18, v11, v7
	v_cndmask_b32_e64 v13, v13, v14, s[6:7]
	v_cmp_lt_f32_e64 s[6:7], 0, v10
	v_cndmask_b32_e64 v19, v12, v19, s[12:13]
	v_fma_f32 v12, -v9, v12, v8
	v_cndmask_b32_e64 v10, v15, v16, s[6:7]
	v_cmp_lt_f32_e64 s[6:7], 0, v11
	v_cndmask_b32_e64 v11, v17, v18, s[6:7]
	v_cmp_lt_f32_e64 s[6:7], 0, v12
	v_mul_f32_e32 v12, 0x37800000, v13
	v_mul_f32_e32 v14, 0x37800000, v10
	v_cndmask_b32_e32 v12, v13, v12, vcc
	v_cmp_class_f32_e32 vcc, v5, v4
	v_cndmask_b32_e64 v9, v19, v9, s[6:7]
	v_mul_f32_e32 v15, 0x37800000, v11
	v_cndmask_b32_e64 v10, v10, v14, s[0:1]
	v_cndmask_b32_e32 v5, v12, v5, vcc
	v_cmp_class_f32_e32 vcc, v6, v4
	v_mul_f32_e32 v16, 0x37800000, v9
	v_cndmask_b32_e64 v11, v11, v15, s[2:3]
	v_cndmask_b32_e32 v6, v10, v6, vcc
	v_cmp_class_f32_e32 vcc, v7, v4
	v_cndmask_b32_e64 v9, v9, v16, s[4:5]
	v_cndmask_b32_e32 v7, v11, v7, vcc
	v_cmp_class_f32_e32 vcc, v8, v4
	v_cndmask_b32_e32 v8, v9, v8, vcc
	global_store_dwordx4 v[2:3], v[5:8], off offset:-8
	v_add_co_u32_e32 v2, vcc, s19, v2
	v_addc_co_u32_e32 v3, vcc, 0, v3, vcc
	s_andn2_b64 exec, exec, s[14:15]
	s_cbranch_execnz .LBB232_24
.LBB232_25:
	s_endpgm
	.section	.rodata,"a",@progbits
	.p2align	6, 0x0
	.amdhsa_kernel _ZN2at6native12_GLOBAL__N_125multi_tensor_apply_kernelINS1_18TensorListMetadataILi1EEENS1_14UnaryOpFunctorIfLi1ELi1ELi0EEEJNS0_4SqrtIfEEEEEvT_T0_DpT1_
		.amdhsa_group_segment_fixed_size 0
		.amdhsa_private_segment_fixed_size 0
		.amdhsa_kernarg_size 3632
		.amdhsa_user_sgpr_count 6
		.amdhsa_user_sgpr_private_segment_buffer 1
		.amdhsa_user_sgpr_dispatch_ptr 0
		.amdhsa_user_sgpr_queue_ptr 0
		.amdhsa_user_sgpr_kernarg_segment_ptr 1
		.amdhsa_user_sgpr_dispatch_id 0
		.amdhsa_user_sgpr_flat_scratch_init 0
		.amdhsa_user_sgpr_private_segment_size 0
		.amdhsa_uses_dynamic_stack 0
		.amdhsa_system_sgpr_private_segment_wavefront_offset 0
		.amdhsa_system_sgpr_workgroup_id_x 1
		.amdhsa_system_sgpr_workgroup_id_y 0
		.amdhsa_system_sgpr_workgroup_id_z 0
		.amdhsa_system_sgpr_workgroup_info 0
		.amdhsa_system_vgpr_workitem_id 0
		.amdhsa_next_free_vgpr 21
		.amdhsa_next_free_sgpr 31
		.amdhsa_reserve_vcc 1
		.amdhsa_reserve_flat_scratch 0
		.amdhsa_float_round_mode_32 0
		.amdhsa_float_round_mode_16_64 0
		.amdhsa_float_denorm_mode_32 3
		.amdhsa_float_denorm_mode_16_64 3
		.amdhsa_dx10_clamp 1
		.amdhsa_ieee_mode 1
		.amdhsa_fp16_overflow 0
		.amdhsa_exception_fp_ieee_invalid_op 0
		.amdhsa_exception_fp_denorm_src 0
		.amdhsa_exception_fp_ieee_div_zero 0
		.amdhsa_exception_fp_ieee_overflow 0
		.amdhsa_exception_fp_ieee_underflow 0
		.amdhsa_exception_fp_ieee_inexact 0
		.amdhsa_exception_int_div_zero 0
	.end_amdhsa_kernel
	.section	.text._ZN2at6native12_GLOBAL__N_125multi_tensor_apply_kernelINS1_18TensorListMetadataILi1EEENS1_14UnaryOpFunctorIfLi1ELi1ELi0EEEJNS0_4SqrtIfEEEEEvT_T0_DpT1_,"axG",@progbits,_ZN2at6native12_GLOBAL__N_125multi_tensor_apply_kernelINS1_18TensorListMetadataILi1EEENS1_14UnaryOpFunctorIfLi1ELi1ELi0EEEJNS0_4SqrtIfEEEEEvT_T0_DpT1_,comdat
.Lfunc_end232:
	.size	_ZN2at6native12_GLOBAL__N_125multi_tensor_apply_kernelINS1_18TensorListMetadataILi1EEENS1_14UnaryOpFunctorIfLi1ELi1ELi0EEEJNS0_4SqrtIfEEEEEvT_T0_DpT1_, .Lfunc_end232-_ZN2at6native12_GLOBAL__N_125multi_tensor_apply_kernelINS1_18TensorListMetadataILi1EEENS1_14UnaryOpFunctorIfLi1ELi1ELi0EEEJNS0_4SqrtIfEEEEEvT_T0_DpT1_
                                        ; -- End function
	.set _ZN2at6native12_GLOBAL__N_125multi_tensor_apply_kernelINS1_18TensorListMetadataILi1EEENS1_14UnaryOpFunctorIfLi1ELi1ELi0EEEJNS0_4SqrtIfEEEEEvT_T0_DpT1_.num_vgpr, 21
	.set _ZN2at6native12_GLOBAL__N_125multi_tensor_apply_kernelINS1_18TensorListMetadataILi1EEENS1_14UnaryOpFunctorIfLi1ELi1ELi0EEEJNS0_4SqrtIfEEEEEvT_T0_DpT1_.num_agpr, 0
	.set _ZN2at6native12_GLOBAL__N_125multi_tensor_apply_kernelINS1_18TensorListMetadataILi1EEENS1_14UnaryOpFunctorIfLi1ELi1ELi0EEEJNS0_4SqrtIfEEEEEvT_T0_DpT1_.numbered_sgpr, 31
	.set _ZN2at6native12_GLOBAL__N_125multi_tensor_apply_kernelINS1_18TensorListMetadataILi1EEENS1_14UnaryOpFunctorIfLi1ELi1ELi0EEEJNS0_4SqrtIfEEEEEvT_T0_DpT1_.num_named_barrier, 0
	.set _ZN2at6native12_GLOBAL__N_125multi_tensor_apply_kernelINS1_18TensorListMetadataILi1EEENS1_14UnaryOpFunctorIfLi1ELi1ELi0EEEJNS0_4SqrtIfEEEEEvT_T0_DpT1_.private_seg_size, 0
	.set _ZN2at6native12_GLOBAL__N_125multi_tensor_apply_kernelINS1_18TensorListMetadataILi1EEENS1_14UnaryOpFunctorIfLi1ELi1ELi0EEEJNS0_4SqrtIfEEEEEvT_T0_DpT1_.uses_vcc, 1
	.set _ZN2at6native12_GLOBAL__N_125multi_tensor_apply_kernelINS1_18TensorListMetadataILi1EEENS1_14UnaryOpFunctorIfLi1ELi1ELi0EEEJNS0_4SqrtIfEEEEEvT_T0_DpT1_.uses_flat_scratch, 0
	.set _ZN2at6native12_GLOBAL__N_125multi_tensor_apply_kernelINS1_18TensorListMetadataILi1EEENS1_14UnaryOpFunctorIfLi1ELi1ELi0EEEJNS0_4SqrtIfEEEEEvT_T0_DpT1_.has_dyn_sized_stack, 0
	.set _ZN2at6native12_GLOBAL__N_125multi_tensor_apply_kernelINS1_18TensorListMetadataILi1EEENS1_14UnaryOpFunctorIfLi1ELi1ELi0EEEJNS0_4SqrtIfEEEEEvT_T0_DpT1_.has_recursion, 0
	.set _ZN2at6native12_GLOBAL__N_125multi_tensor_apply_kernelINS1_18TensorListMetadataILi1EEENS1_14UnaryOpFunctorIfLi1ELi1ELi0EEEJNS0_4SqrtIfEEEEEvT_T0_DpT1_.has_indirect_call, 0
	.section	.AMDGPU.csdata,"",@progbits
; Kernel info:
; codeLenInByte = 1868
; TotalNumSgprs: 35
; NumVgprs: 21
; ScratchSize: 0
; MemoryBound: 0
; FloatMode: 240
; IeeeMode: 1
; LDSByteSize: 0 bytes/workgroup (compile time only)
; SGPRBlocks: 4
; VGPRBlocks: 5
; NumSGPRsForWavesPerEU: 35
; NumVGPRsForWavesPerEU: 21
; Occupancy: 10
; WaveLimiterHint : 0
; COMPUTE_PGM_RSRC2:SCRATCH_EN: 0
; COMPUTE_PGM_RSRC2:USER_SGPR: 6
; COMPUTE_PGM_RSRC2:TRAP_HANDLER: 0
; COMPUTE_PGM_RSRC2:TGID_X_EN: 1
; COMPUTE_PGM_RSRC2:TGID_Y_EN: 0
; COMPUTE_PGM_RSRC2:TGID_Z_EN: 0
; COMPUTE_PGM_RSRC2:TIDIG_COMP_CNT: 0
	.section	.text._ZN2at6native12_GLOBAL__N_125multi_tensor_apply_kernelINS1_18TensorListMetadataILi1EEENS1_14UnaryOpFunctorIN3c107complexIdEELi1ELi1ELi0EEEJNS0_4SqrtIS8_EEEEEvT_T0_DpT1_,"axG",@progbits,_ZN2at6native12_GLOBAL__N_125multi_tensor_apply_kernelINS1_18TensorListMetadataILi1EEENS1_14UnaryOpFunctorIN3c107complexIdEELi1ELi1ELi0EEEJNS0_4SqrtIS8_EEEEEvT_T0_DpT1_,comdat
	.globl	_ZN2at6native12_GLOBAL__N_125multi_tensor_apply_kernelINS1_18TensorListMetadataILi1EEENS1_14UnaryOpFunctorIN3c107complexIdEELi1ELi1ELi0EEEJNS0_4SqrtIS8_EEEEEvT_T0_DpT1_ ; -- Begin function _ZN2at6native12_GLOBAL__N_125multi_tensor_apply_kernelINS1_18TensorListMetadataILi1EEENS1_14UnaryOpFunctorIN3c107complexIdEELi1ELi1ELi0EEEJNS0_4SqrtIS8_EEEEEvT_T0_DpT1_
	.p2align	8
	.type	_ZN2at6native12_GLOBAL__N_125multi_tensor_apply_kernelINS1_18TensorListMetadataILi1EEENS1_14UnaryOpFunctorIN3c107complexIdEELi1ELi1ELi0EEEJNS0_4SqrtIS8_EEEEEvT_T0_DpT1_,@function
_ZN2at6native12_GLOBAL__N_125multi_tensor_apply_kernelINS1_18TensorListMetadataILi1EEENS1_14UnaryOpFunctorIN3c107complexIdEELi1ELi1ELi0EEEJNS0_4SqrtIS8_EEEEEvT_T0_DpT1_: ; @_ZN2at6native12_GLOBAL__N_125multi_tensor_apply_kernelINS1_18TensorListMetadataILi1EEENS1_14UnaryOpFunctorIN3c107complexIdEELi1ELi1ELi0EEEJNS0_4SqrtIS8_EEEEEvT_T0_DpT1_
; %bb.0:
	v_mov_b32_e32 v1, s6
	global_load_ubyte v1, v1, s[4:5] offset:1760
	s_add_u32 s0, s4, s6
	s_mul_hi_u32 s1, s6, 3
	s_mul_i32 s6, s6, 3
	s_addc_u32 s2, s5, 0
	s_add_u32 s0, s0, s6
	s_addc_u32 s1, s2, s1
	s_load_dword s0, s[0:1], 0x820
	s_mov_b32 s7, 0
	s_waitcnt vmcnt(0)
	v_readfirstlane_b32 s1, v1
	s_lshl_b32 s1, s1, 3
	s_load_dwordx2 s[14:15], s[4:5], s1 offset:0x0
	s_load_dwordx2 s[2:3], s[4:5], s1 offset:0x370
	s_waitcnt lgkmcnt(0)
	s_ashr_i32 s1, s0, 31
	s_lshl_b64 s[16:17], s[0:1], 20
	s_add_u32 s33, s14, s16
	s_addc_u32 s48, s15, s17
	s_lshl_b64 s[0:1], s[0:1], 16
	s_and_b32 s6, s33, 63
	s_sub_u32 s18, s2, s0
	s_subb_u32 s19, s3, s1
	s_and_b32 s0, s2, 3
	s_mov_b32 s1, s7
	s_or_b64 s[0:1], s[6:7], s[0:1]
	s_cmp_eq_u64 s[0:1], 0
	s_cbranch_scc1 .LBB233_141
; %bb.1:
	v_cmp_lt_i64_e64 s[0:1], s[18:19], 1
	s_and_b64 vcc, exec, s[0:1]
	s_cbranch_vccnz .LBB233_140
; %bb.2:
	v_mov_b32_e32 v1, 0x10000
	s_load_dword s2, s[4:5], 0xd3c
	v_mov_b32_e32 v2, 0
	v_cmp_lt_i64_e32 vcc, s[18:19], v[1:2]
	v_mov_b32_e32 v24, 0
	s_and_b64 s[0:1], vcc, exec
	v_cmp_lt_u64_e32 vcc, s[18:19], v[1:2]
	s_cselect_b32 s21, s19, 0
	s_cselect_b32 s20, s18, 0x10000
	s_waitcnt lgkmcnt(0)
	s_and_b32 s2, s2, 0xffff
	s_and_b64 s[0:1], vcc, exec
	s_mul_i32 s6, s2, 3
	v_add_co_u32_e32 v28, vcc, s2, v0
	v_lshlrev_b32_e32 v23, 4, v0
	v_addc_co_u32_e64 v29, s[0:1], 0, 0, vcc
	v_add_co_u32_e32 v30, vcc, s6, v0
	v_mad_u64_u32 v[24:25], s[0:1], s2, 48, v[23:24]
	v_addc_co_u32_e64 v31, s[0:1], 0, 0, vcc
	s_cselect_b32 s23, s19, 0
	s_cselect_b32 s22, s18, 0x10000
	s_lshl_b32 s0, s2, 5
	s_lshl_b32 s3, s2, 1
	v_add_co_u32_e32 v1, vcc, s0, v23
	v_addc_co_u32_e64 v33, s[0:1], 0, 0, vcc
	v_add_co_u32_e32 v35, vcc, s3, v0
	s_mov_b32 s26, 0
	s_mov_b32 s28, 0x99fcef32
	;; [unrolled: 1-line block ×4, first 2 shown]
	s_lshl_b32 s49, s2, 2
	s_lshl_b32 s50, s2, 6
	v_or_b32_e32 v24, 8, v24
	v_lshlrev_b32_e32 v32, 4, v28
	v_or_b32_e32 v34, 8, v1
	v_addc_co_u32_e64 v36, s[0:1], 0, 0, vcc
	s_mov_b64 s[24:25], 0
	s_mov_b32 s27, 0x7ff00000
	s_mov_b32 s29, 0x7fda8279
	;; [unrolled: 1-line block ×3, first 2 shown]
	s_movk_i32 s51, 0x204
	s_brev_b32 s35, 8
	v_mov_b32_e32 v37, 0x260
	s_brev_b32 s52, -2
	v_mov_b32_e32 v38, 0x7ff80000
	v_mov_b32_e32 v39, 0x7ff00000
	v_mov_b32_e32 v40, 0x100
	v_mov_b32_e32 v41, 0xffffff80
	s_branch .LBB233_4
.LBB233_3:                              ;   in Loop: Header=BB233_4 Depth=1
	s_or_b64 exec, exec, s[0:1]
	s_add_u32 s24, s24, s49
	v_mov_b32_e32 v1, s20
	s_addc_u32 s25, s25, 0
	v_mov_b32_e32 v2, s21
	v_cmp_ge_i64_e32 vcc, s[24:25], v[1:2]
	s_add_u32 s33, s33, s50
	s_addc_u32 s48, s48, 0
	s_cbranch_vccnz .LBB233_140
.LBB233_4:                              ; =>This Inner Loop Header: Depth=1
	v_mov_b32_e32 v2, s25
	v_add_co_u32_e32 v1, vcc, s24, v0
	v_addc_co_u32_e32 v2, vcc, 0, v2, vcc
	v_cmp_gt_u64_e64 s[0:1], s[22:23], v[1:2]
	v_mov_b32_e32 v3, 0
	v_mov_b32_e32 v7, 0
	;; [unrolled: 1-line block ×6, first 2 shown]
	s_and_saveexec_b64 s[2:3], s[0:1]
	s_cbranch_execz .LBB233_6
; %bb.5:                                ;   in Loop: Header=BB233_4 Depth=1
	v_mov_b32_e32 v2, s48
	v_add_co_u32_e32 v1, vcc, s33, v23
	v_addc_co_u32_e32 v2, vcc, 0, v2, vcc
	global_load_dwordx4 v[5:8], v[1:2], off
.LBB233_6:                              ;   in Loop: Header=BB233_4 Depth=1
	s_or_b64 exec, exec, s[2:3]
	v_mov_b32_e32 v2, s25
	v_add_co_u32_e32 v1, vcc, s24, v28
	v_addc_co_u32_e32 v2, vcc, v29, v2, vcc
	v_cmp_gt_u64_e64 s[2:3], s[22:23], v[1:2]
	v_mov_b32_e32 v1, 0
	v_mov_b32_e32 v2, 0
	s_and_saveexec_b64 s[6:7], s[2:3]
	s_cbranch_execz .LBB233_8
; %bb.7:                                ;   in Loop: Header=BB233_4 Depth=1
	v_mov_b32_e32 v2, s48
	v_add_co_u32_e32 v1, vcc, s33, v32
	v_addc_co_u32_e32 v2, vcc, 0, v2, vcc
	global_load_dwordx4 v[1:4], v[1:2], off
.LBB233_8:                              ;   in Loop: Header=BB233_4 Depth=1
	s_or_b64 exec, exec, s[6:7]
	v_mov_b32_e32 v10, s25
	v_add_co_u32_e32 v9, vcc, s24, v35
	v_addc_co_u32_e32 v10, vcc, v36, v10, vcc
	v_cmp_gt_u64_e64 s[6:7], s[22:23], v[9:10]
	v_mov_b32_e32 v11, 0
	v_mov_b32_e32 v15, 0
	;; [unrolled: 1-line block ×6, first 2 shown]
	s_and_saveexec_b64 s[8:9], s[6:7]
	s_cbranch_execz .LBB233_10
; %bb.9:                                ;   in Loop: Header=BB233_4 Depth=1
	v_mov_b32_e32 v10, s48
	v_add_co_u32_e32 v9, vcc, s33, v34
	v_addc_co_u32_e32 v10, vcc, v10, v33, vcc
	global_load_dwordx4 v[13:16], v[9:10], off offset:-8
.LBB233_10:                             ;   in Loop: Header=BB233_4 Depth=1
	s_or_b64 exec, exec, s[8:9]
	v_mov_b32_e32 v10, s25
	v_add_co_u32_e32 v9, vcc, s24, v30
	v_addc_co_u32_e32 v10, vcc, v31, v10, vcc
	v_cmp_gt_u64_e64 s[8:9], s[22:23], v[9:10]
	v_mov_b32_e32 v9, 0
	v_mov_b32_e32 v10, 0
	s_and_saveexec_b64 s[10:11], s[8:9]
	s_cbranch_execz .LBB233_12
; %bb.11:                               ;   in Loop: Header=BB233_4 Depth=1
	v_mov_b32_e32 v10, s48
	v_add_co_u32_e32 v9, vcc, s33, v24
	v_addc_co_u32_e32 v10, vcc, v10, v25, vcc
	global_load_dwordx4 v[9:12], v[9:10], off offset:-8
.LBB233_12:                             ;   in Loop: Header=BB233_4 Depth=1
	s_or_b64 exec, exec, s[10:11]
	s_waitcnt vmcnt(0)
	v_cmp_neq_f64_e32 vcc, 0, v[5:6]
	v_cmp_neq_f64_e64 s[10:11], 0, v[7:8]
	v_mov_b32_e32 v17, 0
	v_mov_b32_e32 v19, 0
	;; [unrolled: 1-line block ×4, first 2 shown]
	s_or_b64 s[10:11], vcc, s[10:11]
	s_and_saveexec_b64 s[36:37], s[10:11]
	s_cbranch_execz .LBB233_41
; %bb.13:                               ;   in Loop: Header=BB233_4 Depth=1
	v_mov_b32_e32 v19, 0
	v_mov_b32_e32 v20, 0x7ff00000
	v_cmp_neq_f64_e64 s[10:11], |v[7:8]|, v[19:20]
	s_and_saveexec_b64 s[38:39], s[10:11]
	s_cbranch_execz .LBB233_40
; %bb.14:                               ;   in Loop: Header=BB233_4 Depth=1
	v_cmp_o_f64_e32 vcc, v[5:6], v[5:6]
                                        ; implicit-def: $vgpr19_vgpr20
	s_and_saveexec_b64 s[10:11], vcc
	s_xor_b64 s[40:41], exec, s[10:11]
	s_cbranch_execz .LBB233_37
; %bb.15:                               ;   in Loop: Header=BB233_4 Depth=1
	v_cmp_neq_f64_e64 s[10:11], |v[5:6]|, s[26:27]
                                        ; implicit-def: $vgpr19_vgpr20
	s_and_saveexec_b64 s[12:13], s[10:11]
	s_xor_b64 s[42:43], exec, s[12:13]
	s_cbranch_execz .LBB233_31
; %bb.16:                               ;   in Loop: Header=BB233_4 Depth=1
	v_max_f64 v[19:20], |v[5:6]|, |v[5:6]|
	v_max_f64 v[21:22], |v[7:8]|, |v[7:8]|
                                        ; implicit-def: $sgpr44_sgpr45
	v_max_f64 v[19:20], v[21:22], v[19:20]
	v_cmp_nle_f64_e64 s[10:11], s[28:29], v[19:20]
	s_and_saveexec_b64 s[12:13], s[10:11]
	s_xor_b64 s[12:13], exec, s[12:13]
	s_cbranch_execz .LBB233_20
; %bb.17:                               ;   in Loop: Header=BB233_4 Depth=1
	v_cmp_le_f64_e64 s[44:45], |v[5:6]|, s[30:31]
	v_cmp_le_f64_e64 s[46:47], |v[7:8]|, s[30:31]
	s_and_b64 s[54:55], s[46:47], s[44:45]
	s_mov_b64 s[44:45], 0
	s_and_saveexec_b64 s[46:47], s[54:55]
	s_cbranch_execz .LBB233_19
; %bb.18:                               ;   in Loop: Header=BB233_4 Depth=1
	v_mul_f64 v[5:6], v[5:6], 4.0
	v_mul_f64 v[7:8], v[7:8], 4.0
	s_mov_b64 s[44:45], exec
.LBB233_19:                             ;   in Loop: Header=BB233_4 Depth=1
	s_or_b64 exec, exec, s[46:47]
.LBB233_20:                             ;   in Loop: Header=BB233_4 Depth=1
	s_andn2_saveexec_b64 s[12:13], s[12:13]
	s_cbranch_execz .LBB233_22
; %bb.21:                               ;   in Loop: Header=BB233_4 Depth=1
	v_ldexp_f64 v[5:6], v[5:6], -2
	v_ldexp_f64 v[7:8], v[7:8], -2
	s_andn2_b64 s[44:45], s[44:45], exec
.LBB233_22:                             ;   in Loop: Header=BB233_4 Depth=1
	s_or_b64 exec, exec, s[12:13]
	v_max_f64 v[19:20], |v[7:8]|, |v[7:8]|
	v_max_f64 v[21:22], |v[5:6]|, |v[5:6]|
	v_cmp_class_f64_e64 s[46:47], v[5:6], s51
	v_cmp_class_f64_e64 s[54:55], v[7:8], s51
	v_cmp_le_f64_e64 s[12:13], 0, v[5:6]
	v_max_f64 v[19:20], v[21:22], v[19:20]
	v_frexp_exp_i32_f64_e32 v44, v[19:20]
	v_sub_u32_e32 v21, 0, v44
	v_ldexp_f64 v[19:20], |v[7:8]|, v21
	v_ldexp_f64 v[21:22], |v[5:6]|, v21
	v_mul_f64 v[19:20], v[19:20], v[19:20]
	v_fma_f64 v[19:20], v[21:22], v[21:22], v[19:20]
	v_rsq_f64_e32 v[21:22], v[19:20]
	v_cmp_eq_f64_e32 vcc, 0, v[19:20]
	v_mul_f64 v[26:27], v[19:20], v[21:22]
	v_mul_f64 v[21:22], v[21:22], 0.5
	v_fma_f64 v[42:43], -v[21:22], v[26:27], 0.5
	v_fma_f64 v[26:27], v[26:27], v[42:43], v[26:27]
	v_fma_f64 v[21:22], v[21:22], v[42:43], v[21:22]
	v_fma_f64 v[42:43], -v[26:27], v[26:27], v[19:20]
	v_fma_f64 v[21:22], v[42:43], v[21:22], v[26:27]
                                        ; implicit-def: $vgpr26_vgpr27
	v_cndmask_b32_e32 v20, v22, v20, vcc
	v_cndmask_b32_e32 v19, v21, v19, vcc
	v_ldexp_f64 v[19:20], v[19:20], v44
	v_cmp_o_f64_e32 vcc, v[7:8], v[7:8]
                                        ; implicit-def: $vgpr21_vgpr22
	v_cndmask_b32_e32 v19, 0, v19, vcc
	v_cndmask_b32_e32 v20, v38, v20, vcc
	s_or_b64 vcc, s[54:55], s[46:47]
	v_cndmask_b32_e32 v20, v20, v39, vcc
	v_cndmask_b32_e64 v19, v19, 0, vcc
	s_and_saveexec_b64 s[46:47], s[12:13]
	s_xor_b64 s[12:13], exec, s[46:47]
	s_cbranch_execz .LBB233_24
; %bb.23:                               ;   in Loop: Header=BB233_4 Depth=1
	v_add_f64 v[5:6], v[5:6], v[19:20]
	v_mul_f64 v[5:6], v[5:6], 0.5
	v_cmp_gt_f64_e32 vcc, s[34:35], v[5:6]
	v_cndmask_b32_e32 v19, 0, v40, vcc
	v_ldexp_f64 v[5:6], v[5:6], v19
	v_rsq_f64_e32 v[19:20], v[5:6]
	v_mul_f64 v[21:22], v[5:6], v[19:20]
	v_mul_f64 v[19:20], v[19:20], 0.5
	v_fma_f64 v[26:27], -v[19:20], v[21:22], 0.5
	v_fma_f64 v[21:22], v[21:22], v[26:27], v[21:22]
	v_fma_f64 v[19:20], v[19:20], v[26:27], v[19:20]
	v_fma_f64 v[26:27], -v[21:22], v[21:22], v[5:6]
	v_fma_f64 v[21:22], v[26:27], v[19:20], v[21:22]
	v_fma_f64 v[26:27], -v[21:22], v[21:22], v[5:6]
	v_fma_f64 v[19:20], v[26:27], v[19:20], v[21:22]
	v_cndmask_b32_e32 v21, 0, v41, vcc
	v_cmp_class_f64_e32 vcc, v[5:6], v37
	v_ldexp_f64 v[19:20], v[19:20], v21
	v_cndmask_b32_e32 v27, v20, v6, vcc
	v_cndmask_b32_e32 v26, v19, v5, vcc
	v_add_f64 v[5:6], v[26:27], v[26:27]
	v_div_scale_f64 v[19:20], s[46:47], v[5:6], v[5:6], v[7:8]
	v_div_scale_f64 v[44:45], vcc, v[7:8], v[5:6], v[7:8]
	v_rcp_f64_e32 v[21:22], v[19:20]
	v_fma_f64 v[42:43], -v[19:20], v[21:22], 1.0
	v_fma_f64 v[21:22], v[21:22], v[42:43], v[21:22]
	v_fma_f64 v[42:43], -v[19:20], v[21:22], 1.0
	v_fma_f64 v[21:22], v[21:22], v[42:43], v[21:22]
	v_mul_f64 v[42:43], v[44:45], v[21:22]
	v_fma_f64 v[19:20], -v[19:20], v[42:43], v[44:45]
	v_div_fmas_f64 v[19:20], v[19:20], v[21:22], v[42:43]
	v_div_fixup_f64 v[21:22], v[19:20], v[5:6], v[7:8]
                                        ; implicit-def: $vgpr19_vgpr20
                                        ; implicit-def: $vgpr5_vgpr6
	s_andn2_saveexec_b64 s[12:13], s[12:13]
	s_cbranch_execz .LBB233_26
	s_branch .LBB233_25
.LBB233_24:                             ;   in Loop: Header=BB233_4 Depth=1
	s_andn2_saveexec_b64 s[12:13], s[12:13]
	s_cbranch_execz .LBB233_26
.LBB233_25:                             ;   in Loop: Header=BB233_4 Depth=1
	v_add_f64 v[5:6], v[19:20], -v[5:6]
	v_mul_f64 v[5:6], v[5:6], 0.5
	v_cmp_gt_f64_e32 vcc, s[34:35], v[5:6]
	v_cndmask_b32_e32 v19, 0, v40, vcc
	v_ldexp_f64 v[5:6], v[5:6], v19
	v_rsq_f64_e32 v[19:20], v[5:6]
	v_mul_f64 v[21:22], v[5:6], v[19:20]
	v_mul_f64 v[19:20], v[19:20], 0.5
	v_fma_f64 v[26:27], -v[19:20], v[21:22], 0.5
	v_fma_f64 v[21:22], v[21:22], v[26:27], v[21:22]
	v_fma_f64 v[19:20], v[19:20], v[26:27], v[19:20]
	v_fma_f64 v[26:27], -v[21:22], v[21:22], v[5:6]
	v_fma_f64 v[21:22], v[26:27], v[19:20], v[21:22]
	v_fma_f64 v[26:27], -v[21:22], v[21:22], v[5:6]
	v_fma_f64 v[19:20], v[26:27], v[19:20], v[21:22]
	v_cndmask_b32_e32 v21, 0, v41, vcc
	v_cmp_class_f64_e32 vcc, v[5:6], v37
	v_ldexp_f64 v[19:20], v[19:20], v21
	v_cndmask_b32_e32 v22, v20, v6, vcc
	v_cndmask_b32_e32 v21, v19, v5, vcc
	v_add_f64 v[5:6], v[21:22], v[21:22]
	v_and_b32_e32 v20, 0x7fffffff, v8
	v_mov_b32_e32 v19, v7
	v_bfi_b32 v22, s52, v22, v8
	v_div_scale_f64 v[26:27], s[46:47], v[5:6], v[5:6], v[19:20]
	v_div_scale_f64 v[19:20], vcc, v[19:20], v[5:6], v[19:20]
	v_rcp_f64_e32 v[42:43], v[26:27]
	v_fma_f64 v[44:45], -v[26:27], v[42:43], 1.0
	v_fma_f64 v[42:43], v[42:43], v[44:45], v[42:43]
	v_fma_f64 v[44:45], -v[26:27], v[42:43], 1.0
	v_fma_f64 v[42:43], v[42:43], v[44:45], v[42:43]
	v_mul_f64 v[44:45], v[19:20], v[42:43]
	v_fma_f64 v[19:20], -v[26:27], v[44:45], v[19:20]
	v_div_fmas_f64 v[19:20], v[19:20], v[42:43], v[44:45]
	v_div_fixup_f64 v[26:27], v[19:20], v[5:6], |v[7:8]|
.LBB233_26:                             ;   in Loop: Header=BB233_4 Depth=1
	s_or_b64 exec, exec, s[12:13]
                                        ; implicit-def: $vgpr7_vgpr8
                                        ; implicit-def: $vgpr19_vgpr20
	s_and_saveexec_b64 s[12:13], s[10:11]
	s_xor_b64 s[10:11], exec, s[12:13]
	s_cbranch_execz .LBB233_28
; %bb.27:                               ;   in Loop: Header=BB233_4 Depth=1
	v_mul_f64 v[5:6], v[26:27], 0.5
	v_mul_f64 v[7:8], v[21:22], 0.5
	v_cndmask_b32_e64 v20, v27, v6, s[44:45]
	v_cndmask_b32_e64 v19, v26, v5, s[44:45]
	;; [unrolled: 1-line block ×4, first 2 shown]
                                        ; implicit-def: $vgpr26_vgpr27
                                        ; implicit-def: $vgpr21_vgpr22
	s_andn2_saveexec_b64 s[10:11], s[10:11]
	s_cbranch_execnz .LBB233_29
	s_branch .LBB233_30
.LBB233_28:                             ;   in Loop: Header=BB233_4 Depth=1
	s_andn2_saveexec_b64 s[10:11], s[10:11]
	s_cbranch_execz .LBB233_30
.LBB233_29:                             ;   in Loop: Header=BB233_4 Depth=1
	v_add_f64 v[19:20], v[26:27], v[26:27]
	v_add_f64 v[7:8], v[21:22], v[21:22]
.LBB233_30:                             ;   in Loop: Header=BB233_4 Depth=1
	s_or_b64 exec, exec, s[10:11]
.LBB233_31:                             ;   in Loop: Header=BB233_4 Depth=1
	s_andn2_saveexec_b64 s[10:11], s[42:43]
	s_cbranch_execz .LBB233_53
; %bb.32:                               ;   in Loop: Header=BB233_4 Depth=1
	v_add_f64 v[21:22], v[7:8], -v[7:8]
	v_cmp_lt_i64_e32 vcc, -1, v[5:6]
	v_and_b32_e32 v20, 0x7fffffff, v22
	v_mov_b32_e32 v19, v21
	s_and_saveexec_b64 s[12:13], vcc
	s_xor_b64 s[12:13], exec, s[12:13]
; %bb.33:                               ;   in Loop: Header=BB233_4 Depth=1
	v_bfi_b32 v22, s52, v22, v8
	v_mov_b32_e32 v7, v21
	v_mov_b32_e32 v20, v6
	;; [unrolled: 1-line block ×4, first 2 shown]
; %bb.34:                               ;   in Loop: Header=BB233_4 Depth=1
	s_andn2_saveexec_b64 s[12:13], s[12:13]
; %bb.35:                               ;   in Loop: Header=BB233_4 Depth=1
	v_bfi_b32 v6, s52, v6, v8
	v_mov_b32_e32 v8, v6
	v_mov_b32_e32 v7, v5
; %bb.36:                               ;   in Loop: Header=BB233_4 Depth=1
	s_or_b64 exec, exec, s[12:13]
	s_or_b64 exec, exec, s[10:11]
.LBB233_37:                             ;   in Loop: Header=BB233_4 Depth=1
	s_andn2_saveexec_b64 s[10:11], s[40:41]
	s_cbranch_execz .LBB233_39
.LBB233_38:                             ;   in Loop: Header=BB233_4 Depth=1
	v_add_f64 v[7:8], v[7:8], -v[7:8]
	v_div_scale_f64 v[19:20], vcc, v[7:8], v[7:8], v[7:8]
	v_rcp_f64_e32 v[21:22], v[19:20]
	v_fma_f64 v[26:27], -v[19:20], v[21:22], 1.0
	v_fma_f64 v[21:22], v[21:22], v[26:27], v[21:22]
	v_fma_f64 v[26:27], -v[19:20], v[21:22], 1.0
	v_fma_f64 v[21:22], v[21:22], v[26:27], v[21:22]
	v_mul_f64 v[26:27], v[19:20], v[21:22]
	v_fma_f64 v[19:20], -v[19:20], v[26:27], v[19:20]
	v_div_fmas_f64 v[19:20], v[19:20], v[21:22], v[26:27]
	v_div_fixup_f64 v[7:8], v[19:20], v[7:8], v[7:8]
	v_mov_b32_e32 v20, v6
	v_mov_b32_e32 v19, v5
.LBB233_39:                             ;   in Loop: Header=BB233_4 Depth=1
	s_or_b64 exec, exec, s[10:11]
.LBB233_40:                             ;   in Loop: Header=BB233_4 Depth=1
	s_or_b64 exec, exec, s[38:39]
.LBB233_41:                             ;   in Loop: Header=BB233_4 Depth=1
	s_or_b64 exec, exec, s[36:37]
	v_cmp_neq_f64_e32 vcc, 0, v[1:2]
	v_cmp_neq_f64_e64 s[10:11], 0, v[3:4]
	s_or_b64 s[10:11], vcc, s[10:11]
	s_and_saveexec_b64 s[36:37], s[10:11]
	s_cbranch_execz .LBB233_72
; %bb.42:                               ;   in Loop: Header=BB233_4 Depth=1
	v_mov_b32_e32 v17, 0
	v_mov_b32_e32 v18, 0x7ff00000
	v_cmp_neq_f64_e64 s[10:11], |v[3:4]|, v[17:18]
	s_and_saveexec_b64 s[38:39], s[10:11]
	s_cbranch_execz .LBB233_71
; %bb.43:                               ;   in Loop: Header=BB233_4 Depth=1
	v_cmp_o_f64_e32 vcc, v[1:2], v[1:2]
                                        ; implicit-def: $vgpr17_vgpr18
	s_and_saveexec_b64 s[10:11], vcc
	s_xor_b64 s[40:41], exec, s[10:11]
	s_cbranch_execz .LBB233_68
; %bb.44:                               ;   in Loop: Header=BB233_4 Depth=1
	v_cmp_neq_f64_e64 s[10:11], |v[1:2]|, s[26:27]
                                        ; implicit-def: $vgpr17_vgpr18
	s_and_saveexec_b64 s[12:13], s[10:11]
	s_xor_b64 s[42:43], exec, s[12:13]
	s_cbranch_execz .LBB233_61
; %bb.45:                               ;   in Loop: Header=BB233_4 Depth=1
	v_max_f64 v[5:6], |v[1:2]|, |v[1:2]|
	v_max_f64 v[17:18], |v[3:4]|, |v[3:4]|
                                        ; implicit-def: $sgpr44_sgpr45
	v_max_f64 v[5:6], v[17:18], v[5:6]
	v_cmp_nle_f64_e64 s[10:11], s[28:29], v[5:6]
	s_and_saveexec_b64 s[12:13], s[10:11]
	s_xor_b64 s[12:13], exec, s[12:13]
	s_cbranch_execz .LBB233_49
; %bb.46:                               ;   in Loop: Header=BB233_4 Depth=1
	v_cmp_le_f64_e64 s[44:45], |v[1:2]|, s[30:31]
	v_cmp_le_f64_e64 s[46:47], |v[3:4]|, s[30:31]
	s_and_b64 s[54:55], s[46:47], s[44:45]
	s_mov_b64 s[44:45], 0
	s_and_saveexec_b64 s[46:47], s[54:55]
	s_cbranch_execz .LBB233_48
; %bb.47:                               ;   in Loop: Header=BB233_4 Depth=1
	v_mul_f64 v[1:2], v[1:2], 4.0
	v_mul_f64 v[3:4], v[3:4], 4.0
	s_mov_b64 s[44:45], exec
.LBB233_48:                             ;   in Loop: Header=BB233_4 Depth=1
	s_or_b64 exec, exec, s[46:47]
.LBB233_49:                             ;   in Loop: Header=BB233_4 Depth=1
	s_andn2_saveexec_b64 s[12:13], s[12:13]
	s_cbranch_execz .LBB233_51
; %bb.50:                               ;   in Loop: Header=BB233_4 Depth=1
	v_ldexp_f64 v[1:2], v[1:2], -2
	v_ldexp_f64 v[3:4], v[3:4], -2
	s_andn2_b64 s[44:45], s[44:45], exec
.LBB233_51:                             ;   in Loop: Header=BB233_4 Depth=1
	s_or_b64 exec, exec, s[12:13]
	v_max_f64 v[5:6], |v[3:4]|, |v[3:4]|
	v_max_f64 v[17:18], |v[1:2]|, |v[1:2]|
	v_cmp_class_f64_e64 s[46:47], v[1:2], s51
	v_cmp_class_f64_e64 s[54:55], v[3:4], s51
	v_cmp_le_f64_e64 s[12:13], 0, v[1:2]
	v_max_f64 v[5:6], v[17:18], v[5:6]
	v_frexp_exp_i32_f64_e32 v42, v[5:6]
	v_sub_u32_e32 v17, 0, v42
	v_ldexp_f64 v[5:6], |v[3:4]|, v17
	v_ldexp_f64 v[17:18], |v[1:2]|, v17
	v_mul_f64 v[5:6], v[5:6], v[5:6]
	v_fma_f64 v[5:6], v[17:18], v[17:18], v[5:6]
	v_rsq_f64_e32 v[17:18], v[5:6]
	v_cmp_eq_f64_e32 vcc, 0, v[5:6]
	v_mul_f64 v[21:22], v[5:6], v[17:18]
	v_mul_f64 v[17:18], v[17:18], 0.5
	v_fma_f64 v[26:27], -v[17:18], v[21:22], 0.5
	v_fma_f64 v[21:22], v[21:22], v[26:27], v[21:22]
	v_fma_f64 v[17:18], v[17:18], v[26:27], v[17:18]
	v_fma_f64 v[26:27], -v[21:22], v[21:22], v[5:6]
	v_fma_f64 v[17:18], v[26:27], v[17:18], v[21:22]
                                        ; implicit-def: $vgpr21_vgpr22
	v_cndmask_b32_e32 v6, v18, v6, vcc
	v_cndmask_b32_e32 v5, v17, v5, vcc
	v_ldexp_f64 v[5:6], v[5:6], v42
	v_cmp_o_f64_e32 vcc, v[3:4], v[3:4]
	v_cndmask_b32_e32 v5, 0, v5, vcc
	v_cndmask_b32_e32 v6, v38, v6, vcc
	s_or_b64 vcc, s[54:55], s[46:47]
	v_cndmask_b32_e32 v18, v6, v39, vcc
	v_cndmask_b32_e64 v17, v5, 0, vcc
                                        ; implicit-def: $vgpr5_vgpr6
	s_and_saveexec_b64 s[46:47], s[12:13]
	s_xor_b64 s[12:13], exec, s[46:47]
	s_cbranch_execz .LBB233_54
; %bb.52:                               ;   in Loop: Header=BB233_4 Depth=1
	v_add_f64 v[1:2], v[1:2], v[17:18]
	v_mul_f64 v[1:2], v[1:2], 0.5
	v_cmp_gt_f64_e32 vcc, s[34:35], v[1:2]
	v_cndmask_b32_e32 v5, 0, v40, vcc
	v_ldexp_f64 v[1:2], v[1:2], v5
	v_rsq_f64_e32 v[5:6], v[1:2]
	v_mul_f64 v[17:18], v[1:2], v[5:6]
	v_mul_f64 v[5:6], v[5:6], 0.5
	v_fma_f64 v[21:22], -v[5:6], v[17:18], 0.5
	v_fma_f64 v[17:18], v[17:18], v[21:22], v[17:18]
	v_fma_f64 v[5:6], v[5:6], v[21:22], v[5:6]
	v_fma_f64 v[21:22], -v[17:18], v[17:18], v[1:2]
	v_fma_f64 v[17:18], v[21:22], v[5:6], v[17:18]
	v_fma_f64 v[21:22], -v[17:18], v[17:18], v[1:2]
	v_fma_f64 v[5:6], v[21:22], v[5:6], v[17:18]
	v_cndmask_b32_e32 v17, 0, v41, vcc
	v_cmp_class_f64_e32 vcc, v[1:2], v37
	v_ldexp_f64 v[5:6], v[5:6], v17
	v_cndmask_b32_e32 v22, v6, v2, vcc
	v_cndmask_b32_e32 v21, v5, v1, vcc
	v_add_f64 v[1:2], v[21:22], v[21:22]
	v_div_scale_f64 v[5:6], s[46:47], v[1:2], v[1:2], v[3:4]
	v_div_scale_f64 v[42:43], vcc, v[3:4], v[1:2], v[3:4]
	v_rcp_f64_e32 v[17:18], v[5:6]
	v_fma_f64 v[26:27], -v[5:6], v[17:18], 1.0
	v_fma_f64 v[17:18], v[17:18], v[26:27], v[17:18]
	v_fma_f64 v[26:27], -v[5:6], v[17:18], 1.0
	v_fma_f64 v[17:18], v[17:18], v[26:27], v[17:18]
	v_mul_f64 v[26:27], v[42:43], v[17:18]
	v_fma_f64 v[5:6], -v[5:6], v[26:27], v[42:43]
	v_div_fmas_f64 v[5:6], v[5:6], v[17:18], v[26:27]
                                        ; implicit-def: $vgpr17_vgpr18
	v_div_fixup_f64 v[5:6], v[5:6], v[1:2], v[3:4]
                                        ; implicit-def: $vgpr1_vgpr2
	s_andn2_saveexec_b64 s[12:13], s[12:13]
	s_cbranch_execz .LBB233_56
	s_branch .LBB233_55
.LBB233_53:                             ;   in Loop: Header=BB233_4 Depth=1
	s_or_b64 exec, exec, s[10:11]
	s_andn2_saveexec_b64 s[10:11], s[40:41]
	s_cbranch_execnz .LBB233_38
	s_branch .LBB233_39
.LBB233_54:                             ;   in Loop: Header=BB233_4 Depth=1
	s_andn2_saveexec_b64 s[12:13], s[12:13]
	s_cbranch_execz .LBB233_56
.LBB233_55:                             ;   in Loop: Header=BB233_4 Depth=1
	v_add_f64 v[1:2], v[17:18], -v[1:2]
	v_mul_f64 v[1:2], v[1:2], 0.5
	v_cmp_gt_f64_e32 vcc, s[34:35], v[1:2]
	v_cndmask_b32_e32 v5, 0, v40, vcc
	v_ldexp_f64 v[1:2], v[1:2], v5
	v_rsq_f64_e32 v[5:6], v[1:2]
	v_mul_f64 v[17:18], v[1:2], v[5:6]
	v_mul_f64 v[5:6], v[5:6], 0.5
	v_fma_f64 v[21:22], -v[5:6], v[17:18], 0.5
	v_fma_f64 v[17:18], v[17:18], v[21:22], v[17:18]
	v_fma_f64 v[5:6], v[5:6], v[21:22], v[5:6]
	v_fma_f64 v[21:22], -v[17:18], v[17:18], v[1:2]
	v_fma_f64 v[17:18], v[21:22], v[5:6], v[17:18]
	v_fma_f64 v[21:22], -v[17:18], v[17:18], v[1:2]
	v_fma_f64 v[5:6], v[21:22], v[5:6], v[17:18]
	v_cndmask_b32_e32 v17, 0, v41, vcc
	v_cmp_class_f64_e32 vcc, v[1:2], v37
	v_and_b32_e32 v18, 0x7fffffff, v4
	v_ldexp_f64 v[5:6], v[5:6], v17
	v_mov_b32_e32 v17, v3
	v_cndmask_b32_e32 v6, v6, v2, vcc
	v_cndmask_b32_e32 v5, v5, v1, vcc
	v_add_f64 v[1:2], v[5:6], v[5:6]
	v_bfi_b32 v6, s52, v6, v4
	v_div_scale_f64 v[21:22], s[46:47], v[1:2], v[1:2], v[17:18]
	v_div_scale_f64 v[17:18], vcc, v[17:18], v[1:2], v[17:18]
	v_rcp_f64_e32 v[26:27], v[21:22]
	v_fma_f64 v[42:43], -v[21:22], v[26:27], 1.0
	v_fma_f64 v[26:27], v[26:27], v[42:43], v[26:27]
	v_fma_f64 v[42:43], -v[21:22], v[26:27], 1.0
	v_fma_f64 v[26:27], v[26:27], v[42:43], v[26:27]
	v_mul_f64 v[42:43], v[17:18], v[26:27]
	v_fma_f64 v[17:18], -v[21:22], v[42:43], v[17:18]
	v_div_fmas_f64 v[17:18], v[17:18], v[26:27], v[42:43]
	v_div_fixup_f64 v[21:22], v[17:18], v[1:2], |v[3:4]|
.LBB233_56:                             ;   in Loop: Header=BB233_4 Depth=1
	s_or_b64 exec, exec, s[12:13]
                                        ; implicit-def: $vgpr3_vgpr4
                                        ; implicit-def: $vgpr17_vgpr18
	s_and_saveexec_b64 s[12:13], s[10:11]
	s_xor_b64 s[10:11], exec, s[12:13]
	s_cbranch_execz .LBB233_58
; %bb.57:                               ;   in Loop: Header=BB233_4 Depth=1
	v_mul_f64 v[1:2], v[21:22], 0.5
	v_mul_f64 v[3:4], v[5:6], 0.5
	v_cndmask_b32_e64 v18, v22, v2, s[44:45]
	v_cndmask_b32_e64 v17, v21, v1, s[44:45]
	;; [unrolled: 1-line block ×4, first 2 shown]
                                        ; implicit-def: $vgpr21_vgpr22
                                        ; implicit-def: $vgpr5_vgpr6
	s_andn2_saveexec_b64 s[10:11], s[10:11]
	s_cbranch_execnz .LBB233_59
	s_branch .LBB233_60
.LBB233_58:                             ;   in Loop: Header=BB233_4 Depth=1
	s_andn2_saveexec_b64 s[10:11], s[10:11]
	s_cbranch_execz .LBB233_60
.LBB233_59:                             ;   in Loop: Header=BB233_4 Depth=1
	v_add_f64 v[17:18], v[21:22], v[21:22]
	v_add_f64 v[3:4], v[5:6], v[5:6]
.LBB233_60:                             ;   in Loop: Header=BB233_4 Depth=1
	s_or_b64 exec, exec, s[10:11]
.LBB233_61:                             ;   in Loop: Header=BB233_4 Depth=1
	s_andn2_saveexec_b64 s[10:11], s[42:43]
	s_cbranch_execz .LBB233_67
; %bb.62:                               ;   in Loop: Header=BB233_4 Depth=1
	v_add_f64 v[5:6], v[3:4], -v[3:4]
	v_cmp_lt_i64_e32 vcc, -1, v[1:2]
	v_and_b32_e32 v18, 0x7fffffff, v6
	v_mov_b32_e32 v17, v5
	s_and_saveexec_b64 s[12:13], vcc
	s_xor_b64 s[12:13], exec, s[12:13]
; %bb.63:                               ;   in Loop: Header=BB233_4 Depth=1
	v_bfi_b32 v6, s52, v6, v4
	v_mov_b32_e32 v3, v5
	v_mov_b32_e32 v18, v2
	;; [unrolled: 1-line block ×4, first 2 shown]
; %bb.64:                               ;   in Loop: Header=BB233_4 Depth=1
	s_andn2_saveexec_b64 s[12:13], s[12:13]
; %bb.65:                               ;   in Loop: Header=BB233_4 Depth=1
	v_bfi_b32 v2, s52, v2, v4
	v_mov_b32_e32 v4, v2
	v_mov_b32_e32 v3, v1
; %bb.66:                               ;   in Loop: Header=BB233_4 Depth=1
	s_or_b64 exec, exec, s[12:13]
.LBB233_67:                             ;   in Loop: Header=BB233_4 Depth=1
	s_or_b64 exec, exec, s[10:11]
.LBB233_68:                             ;   in Loop: Header=BB233_4 Depth=1
	s_andn2_saveexec_b64 s[10:11], s[40:41]
	s_cbranch_execz .LBB233_70
; %bb.69:                               ;   in Loop: Header=BB233_4 Depth=1
	v_add_f64 v[3:4], v[3:4], -v[3:4]
	v_div_scale_f64 v[5:6], vcc, v[3:4], v[3:4], v[3:4]
	v_rcp_f64_e32 v[17:18], v[5:6]
	v_fma_f64 v[21:22], -v[5:6], v[17:18], 1.0
	v_fma_f64 v[17:18], v[17:18], v[21:22], v[17:18]
	v_fma_f64 v[21:22], -v[5:6], v[17:18], 1.0
	v_fma_f64 v[17:18], v[17:18], v[21:22], v[17:18]
	v_mul_f64 v[21:22], v[5:6], v[17:18]
	v_fma_f64 v[5:6], -v[5:6], v[21:22], v[5:6]
	v_div_fmas_f64 v[5:6], v[5:6], v[17:18], v[21:22]
	v_mov_b32_e32 v18, v2
	v_mov_b32_e32 v17, v1
	v_div_fixup_f64 v[3:4], v[5:6], v[3:4], v[3:4]
.LBB233_70:                             ;   in Loop: Header=BB233_4 Depth=1
	s_or_b64 exec, exec, s[10:11]
.LBB233_71:                             ;   in Loop: Header=BB233_4 Depth=1
	s_or_b64 exec, exec, s[38:39]
.LBB233_72:                             ;   in Loop: Header=BB233_4 Depth=1
	s_or_b64 exec, exec, s[36:37]
	v_cmp_neq_f64_e32 vcc, 0, v[13:14]
	v_cmp_neq_f64_e64 s[10:11], 0, v[15:16]
	v_mov_b32_e32 v1, 0
	v_mov_b32_e32 v5, 0
	v_mov_b32_e32 v2, 0
	v_mov_b32_e32 v6, 0
	s_or_b64 s[10:11], vcc, s[10:11]
	s_and_saveexec_b64 s[36:37], s[10:11]
	s_cbranch_execz .LBB233_102
; %bb.73:                               ;   in Loop: Header=BB233_4 Depth=1
	v_mov_b32_e32 v5, 0
	v_mov_b32_e32 v6, 0x7ff00000
	v_cmp_neq_f64_e64 s[10:11], |v[15:16]|, v[5:6]
	s_and_saveexec_b64 s[38:39], s[10:11]
	s_cbranch_execz .LBB233_101
; %bb.74:                               ;   in Loop: Header=BB233_4 Depth=1
	v_cmp_o_f64_e32 vcc, v[13:14], v[13:14]
                                        ; implicit-def: $vgpr5_vgpr6
	s_and_saveexec_b64 s[10:11], vcc
	s_xor_b64 s[40:41], exec, s[10:11]
	s_cbranch_execz .LBB233_98
; %bb.75:                               ;   in Loop: Header=BB233_4 Depth=1
	v_cmp_neq_f64_e64 s[10:11], |v[13:14]|, s[26:27]
                                        ; implicit-def: $vgpr5_vgpr6
	s_and_saveexec_b64 s[12:13], s[10:11]
	s_xor_b64 s[42:43], exec, s[12:13]
	s_cbranch_execz .LBB233_91
; %bb.76:                               ;   in Loop: Header=BB233_4 Depth=1
	v_max_f64 v[5:6], |v[13:14]|, |v[13:14]|
	v_max_f64 v[21:22], |v[15:16]|, |v[15:16]|
                                        ; implicit-def: $sgpr44_sgpr45
	v_max_f64 v[5:6], v[21:22], v[5:6]
	v_cmp_nle_f64_e64 s[10:11], s[28:29], v[5:6]
	s_and_saveexec_b64 s[12:13], s[10:11]
	s_xor_b64 s[12:13], exec, s[12:13]
	s_cbranch_execz .LBB233_80
; %bb.77:                               ;   in Loop: Header=BB233_4 Depth=1
	v_cmp_le_f64_e64 s[44:45], |v[13:14]|, s[30:31]
	v_cmp_le_f64_e64 s[46:47], |v[15:16]|, s[30:31]
	s_and_b64 s[54:55], s[46:47], s[44:45]
	s_mov_b64 s[44:45], 0
	s_and_saveexec_b64 s[46:47], s[54:55]
	s_cbranch_execz .LBB233_79
; %bb.78:                               ;   in Loop: Header=BB233_4 Depth=1
	v_mul_f64 v[13:14], v[13:14], 4.0
	v_mul_f64 v[15:16], v[15:16], 4.0
	s_mov_b64 s[44:45], exec
.LBB233_79:                             ;   in Loop: Header=BB233_4 Depth=1
	s_or_b64 exec, exec, s[46:47]
.LBB233_80:                             ;   in Loop: Header=BB233_4 Depth=1
	s_andn2_saveexec_b64 s[12:13], s[12:13]
	s_cbranch_execz .LBB233_82
; %bb.81:                               ;   in Loop: Header=BB233_4 Depth=1
	v_ldexp_f64 v[13:14], v[13:14], -2
	v_ldexp_f64 v[15:16], v[15:16], -2
	s_andn2_b64 s[44:45], s[44:45], exec
.LBB233_82:                             ;   in Loop: Header=BB233_4 Depth=1
	s_or_b64 exec, exec, s[12:13]
	v_max_f64 v[5:6], |v[15:16]|, |v[15:16]|
	v_max_f64 v[21:22], |v[13:14]|, |v[13:14]|
	v_cmp_class_f64_e64 s[46:47], v[13:14], s51
	v_cmp_class_f64_e64 s[54:55], v[15:16], s51
	v_cmp_le_f64_e64 s[12:13], 0, v[13:14]
	v_max_f64 v[5:6], v[21:22], v[5:6]
	v_frexp_exp_i32_f64_e32 v44, v[5:6]
	v_sub_u32_e32 v21, 0, v44
	v_ldexp_f64 v[5:6], |v[15:16]|, v21
	v_ldexp_f64 v[21:22], |v[13:14]|, v21
	v_mul_f64 v[5:6], v[5:6], v[5:6]
	v_fma_f64 v[5:6], v[21:22], v[21:22], v[5:6]
	v_rsq_f64_e32 v[21:22], v[5:6]
	v_cmp_eq_f64_e32 vcc, 0, v[5:6]
	v_mul_f64 v[26:27], v[5:6], v[21:22]
	v_mul_f64 v[21:22], v[21:22], 0.5
	v_fma_f64 v[42:43], -v[21:22], v[26:27], 0.5
	v_fma_f64 v[26:27], v[26:27], v[42:43], v[26:27]
	v_fma_f64 v[21:22], v[21:22], v[42:43], v[21:22]
	v_fma_f64 v[42:43], -v[26:27], v[26:27], v[5:6]
	v_fma_f64 v[21:22], v[42:43], v[21:22], v[26:27]
                                        ; implicit-def: $vgpr26_vgpr27
	v_cndmask_b32_e32 v6, v22, v6, vcc
	v_cndmask_b32_e32 v5, v21, v5, vcc
	v_ldexp_f64 v[5:6], v[5:6], v44
	v_cmp_o_f64_e32 vcc, v[15:16], v[15:16]
                                        ; implicit-def: $vgpr21_vgpr22
	v_cndmask_b32_e32 v5, 0, v5, vcc
	v_cndmask_b32_e32 v6, v38, v6, vcc
	s_or_b64 vcc, s[54:55], s[46:47]
	v_cndmask_b32_e32 v6, v6, v39, vcc
	v_cndmask_b32_e64 v5, v5, 0, vcc
	s_and_saveexec_b64 s[46:47], s[12:13]
	s_xor_b64 s[12:13], exec, s[46:47]
	s_cbranch_execz .LBB233_84
; %bb.83:                               ;   in Loop: Header=BB233_4 Depth=1
	v_add_f64 v[5:6], v[13:14], v[5:6]
	v_mul_f64 v[5:6], v[5:6], 0.5
	v_cmp_gt_f64_e32 vcc, s[34:35], v[5:6]
	v_cndmask_b32_e32 v13, 0, v40, vcc
	v_ldexp_f64 v[5:6], v[5:6], v13
	v_rsq_f64_e32 v[13:14], v[5:6]
	v_mul_f64 v[21:22], v[5:6], v[13:14]
	v_mul_f64 v[13:14], v[13:14], 0.5
	v_fma_f64 v[26:27], -v[13:14], v[21:22], 0.5
	v_fma_f64 v[21:22], v[21:22], v[26:27], v[21:22]
	v_fma_f64 v[13:14], v[13:14], v[26:27], v[13:14]
	v_fma_f64 v[26:27], -v[21:22], v[21:22], v[5:6]
	v_fma_f64 v[21:22], v[26:27], v[13:14], v[21:22]
	v_fma_f64 v[26:27], -v[21:22], v[21:22], v[5:6]
	v_fma_f64 v[13:14], v[26:27], v[13:14], v[21:22]
	v_cndmask_b32_e32 v21, 0, v41, vcc
	v_cmp_class_f64_e32 vcc, v[5:6], v37
	v_ldexp_f64 v[13:14], v[13:14], v21
	v_cndmask_b32_e32 v27, v14, v6, vcc
	v_cndmask_b32_e32 v26, v13, v5, vcc
	v_add_f64 v[5:6], v[26:27], v[26:27]
	v_div_scale_f64 v[13:14], s[46:47], v[5:6], v[5:6], v[15:16]
	v_div_scale_f64 v[44:45], vcc, v[15:16], v[5:6], v[15:16]
	v_rcp_f64_e32 v[21:22], v[13:14]
	v_fma_f64 v[42:43], -v[13:14], v[21:22], 1.0
	v_fma_f64 v[21:22], v[21:22], v[42:43], v[21:22]
	v_fma_f64 v[42:43], -v[13:14], v[21:22], 1.0
	v_fma_f64 v[21:22], v[21:22], v[42:43], v[21:22]
	v_mul_f64 v[42:43], v[44:45], v[21:22]
	v_fma_f64 v[13:14], -v[13:14], v[42:43], v[44:45]
	v_div_fmas_f64 v[13:14], v[13:14], v[21:22], v[42:43]
	v_div_fixup_f64 v[21:22], v[13:14], v[5:6], v[15:16]
                                        ; implicit-def: $vgpr5_vgpr6
                                        ; implicit-def: $vgpr13_vgpr14
	s_andn2_saveexec_b64 s[12:13], s[12:13]
	s_cbranch_execz .LBB233_86
	s_branch .LBB233_85
.LBB233_84:                             ;   in Loop: Header=BB233_4 Depth=1
	s_andn2_saveexec_b64 s[12:13], s[12:13]
	s_cbranch_execz .LBB233_86
.LBB233_85:                             ;   in Loop: Header=BB233_4 Depth=1
	v_add_f64 v[5:6], v[5:6], -v[13:14]
	v_mul_f64 v[5:6], v[5:6], 0.5
	v_cmp_gt_f64_e32 vcc, s[34:35], v[5:6]
	v_cndmask_b32_e32 v13, 0, v40, vcc
	v_ldexp_f64 v[5:6], v[5:6], v13
	v_rsq_f64_e32 v[13:14], v[5:6]
	v_mul_f64 v[21:22], v[5:6], v[13:14]
	v_mul_f64 v[13:14], v[13:14], 0.5
	v_fma_f64 v[26:27], -v[13:14], v[21:22], 0.5
	v_fma_f64 v[21:22], v[21:22], v[26:27], v[21:22]
	v_fma_f64 v[13:14], v[13:14], v[26:27], v[13:14]
	v_fma_f64 v[26:27], -v[21:22], v[21:22], v[5:6]
	v_fma_f64 v[21:22], v[26:27], v[13:14], v[21:22]
	v_fma_f64 v[26:27], -v[21:22], v[21:22], v[5:6]
	v_fma_f64 v[13:14], v[26:27], v[13:14], v[21:22]
	v_cndmask_b32_e32 v21, 0, v41, vcc
	v_cmp_class_f64_e32 vcc, v[5:6], v37
	v_ldexp_f64 v[13:14], v[13:14], v21
	v_cndmask_b32_e32 v22, v14, v6, vcc
	v_cndmask_b32_e32 v21, v13, v5, vcc
	v_add_f64 v[5:6], v[21:22], v[21:22]
	v_and_b32_e32 v14, 0x7fffffff, v16
	v_mov_b32_e32 v13, v15
	v_bfi_b32 v22, s52, v22, v16
	v_div_scale_f64 v[26:27], s[46:47], v[5:6], v[5:6], v[13:14]
	v_div_scale_f64 v[13:14], vcc, v[13:14], v[5:6], v[13:14]
	v_rcp_f64_e32 v[42:43], v[26:27]
	v_fma_f64 v[44:45], -v[26:27], v[42:43], 1.0
	v_fma_f64 v[42:43], v[42:43], v[44:45], v[42:43]
	v_fma_f64 v[44:45], -v[26:27], v[42:43], 1.0
	v_fma_f64 v[42:43], v[42:43], v[44:45], v[42:43]
	v_mul_f64 v[44:45], v[13:14], v[42:43]
	v_fma_f64 v[13:14], -v[26:27], v[44:45], v[13:14]
	v_div_fmas_f64 v[13:14], v[13:14], v[42:43], v[44:45]
	v_div_fixup_f64 v[26:27], v[13:14], v[5:6], |v[15:16]|
.LBB233_86:                             ;   in Loop: Header=BB233_4 Depth=1
	s_or_b64 exec, exec, s[12:13]
                                        ; implicit-def: $vgpr15_vgpr16
                                        ; implicit-def: $vgpr5_vgpr6
	s_and_saveexec_b64 s[12:13], s[10:11]
	s_xor_b64 s[10:11], exec, s[12:13]
	s_cbranch_execz .LBB233_88
; %bb.87:                               ;   in Loop: Header=BB233_4 Depth=1
	v_mul_f64 v[5:6], v[26:27], 0.5
	v_mul_f64 v[13:14], v[21:22], 0.5
	v_cndmask_b32_e64 v6, v27, v6, s[44:45]
	v_cndmask_b32_e64 v5, v26, v5, s[44:45]
	;; [unrolled: 1-line block ×4, first 2 shown]
                                        ; implicit-def: $vgpr26_vgpr27
                                        ; implicit-def: $vgpr21_vgpr22
	s_andn2_saveexec_b64 s[10:11], s[10:11]
	s_cbranch_execnz .LBB233_89
	s_branch .LBB233_90
.LBB233_88:                             ;   in Loop: Header=BB233_4 Depth=1
	s_andn2_saveexec_b64 s[10:11], s[10:11]
	s_cbranch_execz .LBB233_90
.LBB233_89:                             ;   in Loop: Header=BB233_4 Depth=1
	v_add_f64 v[5:6], v[26:27], v[26:27]
	v_add_f64 v[15:16], v[21:22], v[21:22]
.LBB233_90:                             ;   in Loop: Header=BB233_4 Depth=1
	s_or_b64 exec, exec, s[10:11]
.LBB233_91:                             ;   in Loop: Header=BB233_4 Depth=1
	s_andn2_saveexec_b64 s[10:11], s[42:43]
	s_cbranch_execz .LBB233_97
; %bb.92:                               ;   in Loop: Header=BB233_4 Depth=1
	v_add_f64 v[21:22], v[15:16], -v[15:16]
	v_cmp_lt_i64_e32 vcc, -1, v[13:14]
	v_and_b32_e32 v6, 0x7fffffff, v22
	v_mov_b32_e32 v5, v21
	s_and_saveexec_b64 s[12:13], vcc
	s_xor_b64 s[12:13], exec, s[12:13]
; %bb.93:                               ;   in Loop: Header=BB233_4 Depth=1
	v_bfi_b32 v22, s52, v22, v16
	v_mov_b32_e32 v15, v21
	v_mov_b32_e32 v5, v13
	;; [unrolled: 1-line block ×4, first 2 shown]
; %bb.94:                               ;   in Loop: Header=BB233_4 Depth=1
	s_andn2_saveexec_b64 s[12:13], s[12:13]
; %bb.95:                               ;   in Loop: Header=BB233_4 Depth=1
	v_bfi_b32 v14, s52, v14, v16
	v_mov_b32_e32 v16, v14
	v_mov_b32_e32 v15, v13
; %bb.96:                               ;   in Loop: Header=BB233_4 Depth=1
	s_or_b64 exec, exec, s[12:13]
.LBB233_97:                             ;   in Loop: Header=BB233_4 Depth=1
	s_or_b64 exec, exec, s[10:11]
.LBB233_98:                             ;   in Loop: Header=BB233_4 Depth=1
	s_andn2_saveexec_b64 s[10:11], s[40:41]
	s_cbranch_execz .LBB233_100
; %bb.99:                               ;   in Loop: Header=BB233_4 Depth=1
	v_add_f64 v[5:6], v[15:16], -v[15:16]
	v_div_scale_f64 v[15:16], vcc, v[5:6], v[5:6], v[5:6]
	v_rcp_f64_e32 v[21:22], v[15:16]
	v_fma_f64 v[26:27], -v[15:16], v[21:22], 1.0
	v_fma_f64 v[21:22], v[21:22], v[26:27], v[21:22]
	v_fma_f64 v[26:27], -v[15:16], v[21:22], 1.0
	v_fma_f64 v[21:22], v[21:22], v[26:27], v[21:22]
	v_mul_f64 v[26:27], v[15:16], v[21:22]
	v_fma_f64 v[15:16], -v[15:16], v[26:27], v[15:16]
	v_div_fmas_f64 v[15:16], v[15:16], v[21:22], v[26:27]
	v_div_fixup_f64 v[15:16], v[15:16], v[5:6], v[5:6]
	v_mov_b32_e32 v5, v13
	v_mov_b32_e32 v6, v14
.LBB233_100:                            ;   in Loop: Header=BB233_4 Depth=1
	s_or_b64 exec, exec, s[10:11]
.LBB233_101:                            ;   in Loop: Header=BB233_4 Depth=1
	s_or_b64 exec, exec, s[38:39]
.LBB233_102:                            ;   in Loop: Header=BB233_4 Depth=1
	s_or_b64 exec, exec, s[36:37]
	v_cmp_neq_f64_e32 vcc, 0, v[9:10]
	v_cmp_neq_f64_e64 s[10:11], 0, v[11:12]
	s_or_b64 s[10:11], vcc, s[10:11]
	s_and_saveexec_b64 s[36:37], s[10:11]
	s_cbranch_execz .LBB233_114
; %bb.103:                              ;   in Loop: Header=BB233_4 Depth=1
	v_mov_b32_e32 v1, 0
	v_mov_b32_e32 v2, 0x7ff00000
	v_cmp_neq_f64_e64 s[10:11], |v[11:12]|, v[1:2]
	s_and_saveexec_b64 s[38:39], s[10:11]
	s_cbranch_execz .LBB233_135
; %bb.104:                              ;   in Loop: Header=BB233_4 Depth=1
	v_cmp_o_f64_e32 vcc, v[9:10], v[9:10]
                                        ; implicit-def: $vgpr1_vgpr2
	s_and_saveexec_b64 s[10:11], vcc
	s_xor_b64 s[40:41], exec, s[10:11]
	s_cbranch_execz .LBB233_132
; %bb.105:                              ;   in Loop: Header=BB233_4 Depth=1
	v_cmp_neq_f64_e64 s[10:11], |v[9:10]|, s[26:27]
                                        ; implicit-def: $vgpr1_vgpr2
	s_and_saveexec_b64 s[12:13], s[10:11]
	s_xor_b64 s[42:43], exec, s[12:13]
	s_cbranch_execz .LBB233_125
; %bb.106:                              ;   in Loop: Header=BB233_4 Depth=1
	v_max_f64 v[1:2], |v[9:10]|, |v[9:10]|
	v_max_f64 v[13:14], |v[11:12]|, |v[11:12]|
                                        ; implicit-def: $sgpr44_sgpr45
	v_max_f64 v[1:2], v[13:14], v[1:2]
	v_cmp_nle_f64_e64 s[10:11], s[28:29], v[1:2]
	s_and_saveexec_b64 s[12:13], s[10:11]
	s_xor_b64 s[12:13], exec, s[12:13]
	s_cbranch_execz .LBB233_110
; %bb.107:                              ;   in Loop: Header=BB233_4 Depth=1
	v_cmp_le_f64_e64 s[44:45], |v[9:10]|, s[30:31]
	v_cmp_le_f64_e64 s[46:47], |v[11:12]|, s[30:31]
	s_and_b64 s[54:55], s[46:47], s[44:45]
	s_mov_b64 s[44:45], 0
	s_and_saveexec_b64 s[46:47], s[54:55]
	s_cbranch_execz .LBB233_109
; %bb.108:                              ;   in Loop: Header=BB233_4 Depth=1
	v_mul_f64 v[9:10], v[9:10], 4.0
	v_mul_f64 v[11:12], v[11:12], 4.0
	s_mov_b64 s[44:45], exec
.LBB233_109:                            ;   in Loop: Header=BB233_4 Depth=1
	s_or_b64 exec, exec, s[46:47]
.LBB233_110:                            ;   in Loop: Header=BB233_4 Depth=1
	s_andn2_saveexec_b64 s[12:13], s[12:13]
	s_cbranch_execz .LBB233_112
; %bb.111:                              ;   in Loop: Header=BB233_4 Depth=1
	v_ldexp_f64 v[9:10], v[9:10], -2
	v_ldexp_f64 v[11:12], v[11:12], -2
	s_andn2_b64 s[44:45], s[44:45], exec
.LBB233_112:                            ;   in Loop: Header=BB233_4 Depth=1
	s_or_b64 exec, exec, s[12:13]
	v_max_f64 v[1:2], |v[11:12]|, |v[11:12]|
	v_max_f64 v[13:14], |v[9:10]|, |v[9:10]|
	v_cmp_class_f64_e64 s[46:47], v[9:10], s51
	v_cmp_class_f64_e64 s[54:55], v[11:12], s51
	v_cmp_le_f64_e64 s[12:13], 0, v[9:10]
	v_max_f64 v[1:2], v[13:14], v[1:2]
	v_frexp_exp_i32_f64_e32 v42, v[1:2]
	v_sub_u32_e32 v13, 0, v42
	v_ldexp_f64 v[1:2], |v[11:12]|, v13
	v_ldexp_f64 v[13:14], |v[9:10]|, v13
	v_mul_f64 v[1:2], v[1:2], v[1:2]
	v_fma_f64 v[1:2], v[13:14], v[13:14], v[1:2]
	v_rsq_f64_e32 v[13:14], v[1:2]
	v_cmp_eq_f64_e32 vcc, 0, v[1:2]
	v_mul_f64 v[21:22], v[1:2], v[13:14]
	v_mul_f64 v[13:14], v[13:14], 0.5
	v_fma_f64 v[26:27], -v[13:14], v[21:22], 0.5
	v_fma_f64 v[21:22], v[21:22], v[26:27], v[21:22]
	v_fma_f64 v[13:14], v[13:14], v[26:27], v[13:14]
	v_fma_f64 v[26:27], -v[21:22], v[21:22], v[1:2]
	v_fma_f64 v[13:14], v[26:27], v[13:14], v[21:22]
                                        ; implicit-def: $vgpr21_vgpr22
	v_cndmask_b32_e32 v2, v14, v2, vcc
	v_cndmask_b32_e32 v1, v13, v1, vcc
	v_ldexp_f64 v[1:2], v[1:2], v42
	v_cmp_o_f64_e32 vcc, v[11:12], v[11:12]
                                        ; implicit-def: $vgpr13_vgpr14
	v_cndmask_b32_e32 v1, 0, v1, vcc
	v_cndmask_b32_e32 v2, v38, v2, vcc
	s_or_b64 vcc, s[54:55], s[46:47]
	v_cndmask_b32_e32 v2, v2, v39, vcc
	v_cndmask_b32_e64 v1, v1, 0, vcc
	s_and_saveexec_b64 s[46:47], s[12:13]
	s_xor_b64 s[12:13], exec, s[46:47]
	s_cbranch_execz .LBB233_118
; %bb.113:                              ;   in Loop: Header=BB233_4 Depth=1
	v_add_f64 v[1:2], v[9:10], v[1:2]
	v_mul_f64 v[1:2], v[1:2], 0.5
	v_cmp_gt_f64_e32 vcc, s[34:35], v[1:2]
	v_cndmask_b32_e32 v9, 0, v40, vcc
	v_ldexp_f64 v[1:2], v[1:2], v9
	v_rsq_f64_e32 v[9:10], v[1:2]
	v_mul_f64 v[13:14], v[1:2], v[9:10]
	v_mul_f64 v[9:10], v[9:10], 0.5
	v_fma_f64 v[21:22], -v[9:10], v[13:14], 0.5
	v_fma_f64 v[13:14], v[13:14], v[21:22], v[13:14]
	v_fma_f64 v[9:10], v[9:10], v[21:22], v[9:10]
	v_fma_f64 v[21:22], -v[13:14], v[13:14], v[1:2]
	v_fma_f64 v[13:14], v[21:22], v[9:10], v[13:14]
	v_fma_f64 v[21:22], -v[13:14], v[13:14], v[1:2]
	v_fma_f64 v[9:10], v[21:22], v[9:10], v[13:14]
	v_cndmask_b32_e32 v13, 0, v41, vcc
	v_cmp_class_f64_e32 vcc, v[1:2], v37
	v_ldexp_f64 v[9:10], v[9:10], v13
	v_cndmask_b32_e32 v22, v10, v2, vcc
	v_cndmask_b32_e32 v21, v9, v1, vcc
	v_add_f64 v[1:2], v[21:22], v[21:22]
	v_div_scale_f64 v[9:10], s[46:47], v[1:2], v[1:2], v[11:12]
	v_div_scale_f64 v[42:43], vcc, v[11:12], v[1:2], v[11:12]
	v_rcp_f64_e32 v[13:14], v[9:10]
	v_fma_f64 v[26:27], -v[9:10], v[13:14], 1.0
	v_fma_f64 v[13:14], v[13:14], v[26:27], v[13:14]
	v_fma_f64 v[26:27], -v[9:10], v[13:14], 1.0
	v_fma_f64 v[13:14], v[13:14], v[26:27], v[13:14]
	v_mul_f64 v[26:27], v[42:43], v[13:14]
	v_fma_f64 v[9:10], -v[9:10], v[26:27], v[42:43]
	v_div_fmas_f64 v[9:10], v[9:10], v[13:14], v[26:27]
	v_div_fixup_f64 v[13:14], v[9:10], v[1:2], v[11:12]
                                        ; implicit-def: $vgpr1_vgpr2
                                        ; implicit-def: $vgpr9_vgpr10
	s_andn2_saveexec_b64 s[12:13], s[12:13]
	s_cbranch_execz .LBB233_120
	s_branch .LBB233_119
.LBB233_114:                            ;   in Loop: Header=BB233_4 Depth=1
	s_or_b64 exec, exec, s[36:37]
	s_and_saveexec_b64 s[10:11], s[0:1]
	s_xor_b64 s[0:1], exec, s[10:11]
	s_cbranch_execz .LBB233_136
.LBB233_115:                            ;   in Loop: Header=BB233_4 Depth=1
	v_mov_b32_e32 v10, s48
	v_add_co_u32_e32 v9, vcc, s33, v23
	v_addc_co_u32_e32 v10, vcc, 0, v10, vcc
	v_mov_b32_e32 v21, v7
	v_mov_b32_e32 v22, v8
	global_store_dwordx4 v[9:10], v[19:22], off
	s_or_b64 exec, exec, s[0:1]
	s_and_saveexec_b64 s[0:1], s[2:3]
	s_cbranch_execnz .LBB233_137
.LBB233_116:                            ;   in Loop: Header=BB233_4 Depth=1
	s_or_b64 exec, exec, s[0:1]
	s_and_saveexec_b64 s[0:1], s[6:7]
	s_cbranch_execz .LBB233_138
.LBB233_117:                            ;   in Loop: Header=BB233_4 Depth=1
	v_mov_b32_e32 v4, s48
	v_add_co_u32_e32 v3, vcc, s33, v34
	v_addc_co_u32_e32 v4, vcc, v4, v33, vcc
	v_mov_b32_e32 v7, v15
	v_mov_b32_e32 v8, v16
	global_store_dwordx4 v[3:4], v[5:8], off offset:-8
	s_or_b64 exec, exec, s[0:1]
	s_and_saveexec_b64 s[0:1], s[8:9]
	s_cbranch_execz .LBB233_3
	s_branch .LBB233_139
.LBB233_118:                            ;   in Loop: Header=BB233_4 Depth=1
	s_andn2_saveexec_b64 s[12:13], s[12:13]
	s_cbranch_execz .LBB233_120
.LBB233_119:                            ;   in Loop: Header=BB233_4 Depth=1
	v_add_f64 v[1:2], v[1:2], -v[9:10]
	v_mul_f64 v[1:2], v[1:2], 0.5
	v_cmp_gt_f64_e32 vcc, s[34:35], v[1:2]
	v_cndmask_b32_e32 v9, 0, v40, vcc
	v_ldexp_f64 v[1:2], v[1:2], v9
	v_rsq_f64_e32 v[9:10], v[1:2]
	v_mul_f64 v[13:14], v[1:2], v[9:10]
	v_mul_f64 v[9:10], v[9:10], 0.5
	v_fma_f64 v[21:22], -v[9:10], v[13:14], 0.5
	v_fma_f64 v[13:14], v[13:14], v[21:22], v[13:14]
	v_fma_f64 v[9:10], v[9:10], v[21:22], v[9:10]
	v_fma_f64 v[21:22], -v[13:14], v[13:14], v[1:2]
	v_fma_f64 v[13:14], v[21:22], v[9:10], v[13:14]
	v_fma_f64 v[21:22], -v[13:14], v[13:14], v[1:2]
	v_fma_f64 v[9:10], v[21:22], v[9:10], v[13:14]
	v_cndmask_b32_e32 v13, 0, v41, vcc
	v_cmp_class_f64_e32 vcc, v[1:2], v37
	v_ldexp_f64 v[9:10], v[9:10], v13
	v_cndmask_b32_e32 v14, v10, v2, vcc
	v_cndmask_b32_e32 v13, v9, v1, vcc
	v_add_f64 v[1:2], v[13:14], v[13:14]
	v_and_b32_e32 v10, 0x7fffffff, v12
	v_mov_b32_e32 v9, v11
	v_bfi_b32 v14, s52, v14, v12
	v_div_scale_f64 v[21:22], s[46:47], v[1:2], v[1:2], v[9:10]
	v_div_scale_f64 v[9:10], vcc, v[9:10], v[1:2], v[9:10]
	v_rcp_f64_e32 v[26:27], v[21:22]
	v_fma_f64 v[42:43], -v[21:22], v[26:27], 1.0
	v_fma_f64 v[26:27], v[26:27], v[42:43], v[26:27]
	v_fma_f64 v[42:43], -v[21:22], v[26:27], 1.0
	v_fma_f64 v[26:27], v[26:27], v[42:43], v[26:27]
	v_mul_f64 v[42:43], v[9:10], v[26:27]
	v_fma_f64 v[9:10], -v[21:22], v[42:43], v[9:10]
	v_div_fmas_f64 v[9:10], v[9:10], v[26:27], v[42:43]
	v_div_fixup_f64 v[21:22], v[9:10], v[1:2], |v[11:12]|
.LBB233_120:                            ;   in Loop: Header=BB233_4 Depth=1
	s_or_b64 exec, exec, s[12:13]
                                        ; implicit-def: $vgpr11_vgpr12
                                        ; implicit-def: $vgpr1_vgpr2
	s_and_saveexec_b64 s[12:13], s[10:11]
	s_xor_b64 s[10:11], exec, s[12:13]
	s_cbranch_execz .LBB233_122
; %bb.121:                              ;   in Loop: Header=BB233_4 Depth=1
	v_mul_f64 v[1:2], v[21:22], 0.5
	v_mul_f64 v[9:10], v[13:14], 0.5
	v_cndmask_b32_e64 v2, v22, v2, s[44:45]
	v_cndmask_b32_e64 v1, v21, v1, s[44:45]
	;; [unrolled: 1-line block ×4, first 2 shown]
                                        ; implicit-def: $vgpr21_vgpr22
                                        ; implicit-def: $vgpr13_vgpr14
	s_andn2_saveexec_b64 s[10:11], s[10:11]
	s_cbranch_execnz .LBB233_123
	s_branch .LBB233_124
.LBB233_122:                            ;   in Loop: Header=BB233_4 Depth=1
	s_andn2_saveexec_b64 s[10:11], s[10:11]
	s_cbranch_execz .LBB233_124
.LBB233_123:                            ;   in Loop: Header=BB233_4 Depth=1
	v_add_f64 v[1:2], v[21:22], v[21:22]
	v_add_f64 v[11:12], v[13:14], v[13:14]
.LBB233_124:                            ;   in Loop: Header=BB233_4 Depth=1
	s_or_b64 exec, exec, s[10:11]
.LBB233_125:                            ;   in Loop: Header=BB233_4 Depth=1
	s_andn2_saveexec_b64 s[10:11], s[42:43]
	s_cbranch_execz .LBB233_131
; %bb.126:                              ;   in Loop: Header=BB233_4 Depth=1
	v_add_f64 v[13:14], v[11:12], -v[11:12]
	v_cmp_lt_i64_e32 vcc, -1, v[9:10]
	v_and_b32_e32 v2, 0x7fffffff, v14
	v_mov_b32_e32 v1, v13
	s_and_saveexec_b64 s[12:13], vcc
	s_xor_b64 s[12:13], exec, s[12:13]
; %bb.127:                              ;   in Loop: Header=BB233_4 Depth=1
	v_bfi_b32 v14, s52, v14, v12
	v_mov_b32_e32 v11, v13
	v_mov_b32_e32 v1, v9
	;; [unrolled: 1-line block ×4, first 2 shown]
; %bb.128:                              ;   in Loop: Header=BB233_4 Depth=1
	s_andn2_saveexec_b64 s[12:13], s[12:13]
; %bb.129:                              ;   in Loop: Header=BB233_4 Depth=1
	v_bfi_b32 v10, s52, v10, v12
	v_mov_b32_e32 v12, v10
	v_mov_b32_e32 v11, v9
; %bb.130:                              ;   in Loop: Header=BB233_4 Depth=1
	s_or_b64 exec, exec, s[12:13]
.LBB233_131:                            ;   in Loop: Header=BB233_4 Depth=1
	s_or_b64 exec, exec, s[10:11]
.LBB233_132:                            ;   in Loop: Header=BB233_4 Depth=1
	s_andn2_saveexec_b64 s[10:11], s[40:41]
	s_cbranch_execz .LBB233_134
; %bb.133:                              ;   in Loop: Header=BB233_4 Depth=1
	v_add_f64 v[1:2], v[11:12], -v[11:12]
	v_div_scale_f64 v[11:12], vcc, v[1:2], v[1:2], v[1:2]
	v_rcp_f64_e32 v[13:14], v[11:12]
	v_fma_f64 v[21:22], -v[11:12], v[13:14], 1.0
	v_fma_f64 v[13:14], v[13:14], v[21:22], v[13:14]
	v_fma_f64 v[21:22], -v[11:12], v[13:14], 1.0
	v_fma_f64 v[13:14], v[13:14], v[21:22], v[13:14]
	v_mul_f64 v[21:22], v[11:12], v[13:14]
	v_fma_f64 v[11:12], -v[11:12], v[21:22], v[11:12]
	v_div_fmas_f64 v[11:12], v[11:12], v[13:14], v[21:22]
	v_div_fixup_f64 v[11:12], v[11:12], v[1:2], v[1:2]
	v_mov_b32_e32 v1, v9
	v_mov_b32_e32 v2, v10
.LBB233_134:                            ;   in Loop: Header=BB233_4 Depth=1
	s_or_b64 exec, exec, s[10:11]
.LBB233_135:                            ;   in Loop: Header=BB233_4 Depth=1
	s_or_b64 exec, exec, s[38:39]
	s_or_b64 exec, exec, s[36:37]
	s_and_saveexec_b64 s[10:11], s[0:1]
	s_xor_b64 s[0:1], exec, s[10:11]
	s_cbranch_execnz .LBB233_115
.LBB233_136:                            ;   in Loop: Header=BB233_4 Depth=1
	s_or_b64 exec, exec, s[0:1]
	s_and_saveexec_b64 s[0:1], s[2:3]
	s_cbranch_execz .LBB233_116
.LBB233_137:                            ;   in Loop: Header=BB233_4 Depth=1
	v_mov_b32_e32 v8, s48
	v_add_co_u32_e32 v7, vcc, s33, v32
	v_addc_co_u32_e32 v8, vcc, 0, v8, vcc
	v_mov_b32_e32 v19, v3
	v_mov_b32_e32 v20, v4
	global_store_dwordx4 v[7:8], v[17:20], off
	s_or_b64 exec, exec, s[0:1]
	s_and_saveexec_b64 s[0:1], s[6:7]
	s_cbranch_execnz .LBB233_117
.LBB233_138:                            ;   in Loop: Header=BB233_4 Depth=1
	s_or_b64 exec, exec, s[0:1]
	s_and_saveexec_b64 s[0:1], s[8:9]
	s_cbranch_execz .LBB233_3
.LBB233_139:                            ;   in Loop: Header=BB233_4 Depth=1
	v_mov_b32_e32 v3, s48
	v_add_co_u32_e32 v5, vcc, s33, v24
	v_addc_co_u32_e32 v6, vcc, v3, v25, vcc
	v_mov_b32_e32 v3, v11
	v_mov_b32_e32 v4, v12
	global_store_dwordx4 v[5:6], v[1:4], off offset:-8
	s_branch .LBB233_3
.LBB233_140:
	s_cbranch_execz .LBB233_142
	s_branch .LBB233_265
.LBB233_141:
.LBB233_142:
	v_mov_b32_e32 v1, 0x10000
	v_mov_b32_e32 v2, 0
	v_cmp_lt_i64_e32 vcc, s[18:19], v[1:2]
	v_mov_b32_e32 v2, 0
	s_and_b64 s[0:1], vcc, exec
	s_cselect_b32 s7, s19, 0
	s_cselect_b32 s6, s18, 0x10000
	v_lshlrev_b32_e32 v1, 2, v0
	v_cmp_gt_i64_e32 vcc, s[6:7], v[1:2]
	s_and_saveexec_b64 s[0:1], vcc
	s_cbranch_execz .LBB233_265
; %bb.143:
	s_load_dword s0, s[4:5], 0xd3c
	v_mov_b32_e32 v1, v2
	v_lshlrev_b32_e32 v2, 6, v0
	s_mov_b32 s8, 0
	s_mov_b32 s10, 0x99fcef32
	s_waitcnt lgkmcnt(0)
	s_and_b32 s28, s0, 0xffff
	s_add_u32 s0, s14, s16
	s_addc_u32 s1, s15, s17
	v_mov_b32_e32 v3, s1
	v_add_co_u32_e32 v24, vcc, s0, v2
	s_mov_b32 s12, 0
	s_mov_b32 s14, 0
	v_addc_co_u32_e32 v25, vcc, 0, v3, vcc
	s_lshl_b32 s29, s28, 6
	s_mov_b64 s[4:5], 0
	s_mov_b32 s9, 0x7ff00000
	s_mov_b32 s11, 0x7fda8279
	;; [unrolled: 1-line block ×3, first 2 shown]
	s_movk_i32 s30, 0x204
	s_brev_b32 s15, 8
	v_mov_b32_e32 v28, 0x260
	s_brev_b32 s31, -2
	v_mov_b32_e32 v29, 0x7ff80000
	v_mov_b32_e32 v30, 0x7ff00000
	;; [unrolled: 1-line block ×4, first 2 shown]
	s_branch .LBB233_147
.LBB233_144:                            ;   in Loop: Header=BB233_147 Depth=1
	s_or_b64 exec, exec, s[0:1]
.LBB233_145:                            ;   in Loop: Header=BB233_147 Depth=1
	s_or_b64 exec, exec, s[18:19]
.LBB233_146:                            ;   in Loop: Header=BB233_147 Depth=1
	s_or_b64 exec, exec, s[16:17]
	v_add_co_u32_e32 v0, vcc, s28, v0
	v_addc_co_u32_e32 v1, vcc, 0, v1, vcc
	v_lshlrev_b64 v[2:3], 2, v[0:1]
	v_mov_b32_e32 v22, v16
	v_mov_b32_e32 v23, v17
	v_cmp_le_i64_e32 vcc, s[6:7], v[2:3]
	global_store_dwordx4 v[24:25], v[20:23], off
	v_mov_b32_e32 v16, v8
	v_mov_b32_e32 v20, v12
	;; [unrolled: 1-line block ×6, first 2 shown]
	global_store_dwordx4 v[24:25], v[18:21], off offset:16
	global_store_dwordx4 v[24:25], v[14:17], off offset:32
	;; [unrolled: 1-line block ×3, first 2 shown]
	s_or_b64 s[4:5], vcc, s[4:5]
	v_add_co_u32_e32 v24, vcc, s29, v24
	v_addc_co_u32_e32 v25, vcc, 0, v25, vcc
	s_andn2_b64 exec, exec, s[4:5]
	s_cbranch_execz .LBB233_265
.LBB233_147:                            ; =>This Inner Loop Header: Depth=1
	global_load_dwordx4 v[14:17], v[24:25], off
	global_load_dwordx4 v[10:13], v[24:25], off offset:16
	global_load_dwordx4 v[2:5], v[24:25], off offset:48
	;; [unrolled: 1-line block ×3, first 2 shown]
	v_mov_b32_e32 v18, 0
	v_mov_b32_e32 v20, 0
	;; [unrolled: 1-line block ×4, first 2 shown]
	s_waitcnt vmcnt(3)
	v_cmp_neq_f64_e32 vcc, 0, v[14:15]
	v_cmp_neq_f64_e64 s[0:1], 0, v[16:17]
	s_or_b64 s[0:1], vcc, s[0:1]
	s_and_saveexec_b64 s[16:17], s[0:1]
	s_cbranch_execz .LBB233_176
; %bb.148:                              ;   in Loop: Header=BB233_147 Depth=1
	v_mov_b32_e32 v20, 0
	v_mov_b32_e32 v21, 0x7ff00000
	v_cmp_neq_f64_e64 s[0:1], |v[16:17]|, v[20:21]
	s_and_saveexec_b64 s[18:19], s[0:1]
	s_cbranch_execz .LBB233_175
; %bb.149:                              ;   in Loop: Header=BB233_147 Depth=1
	v_cmp_o_f64_e32 vcc, v[14:15], v[14:15]
                                        ; implicit-def: $vgpr20_vgpr21
	s_and_saveexec_b64 s[0:1], vcc
	s_xor_b64 s[20:21], exec, s[0:1]
	s_cbranch_execz .LBB233_172
; %bb.150:                              ;   in Loop: Header=BB233_147 Depth=1
	v_cmp_neq_f64_e64 s[0:1], |v[14:15]|, s[8:9]
                                        ; implicit-def: $vgpr20_vgpr21
	s_and_saveexec_b64 s[2:3], s[0:1]
	s_xor_b64 s[22:23], exec, s[2:3]
	s_cbranch_execz .LBB233_166
; %bb.151:                              ;   in Loop: Header=BB233_147 Depth=1
	v_max_f64 v[20:21], |v[16:17]|, |v[16:17]|
	v_max_f64 v[22:23], |v[14:15]|, |v[14:15]|
                                        ; implicit-def: $sgpr24_sgpr25
	v_max_f64 v[20:21], v[22:23], v[20:21]
	v_cmp_nle_f64_e64 s[0:1], s[10:11], v[20:21]
	s_and_saveexec_b64 s[2:3], s[0:1]
	s_xor_b64 s[2:3], exec, s[2:3]
	s_cbranch_execz .LBB233_155
; %bb.152:                              ;   in Loop: Header=BB233_147 Depth=1
	v_cmp_le_f64_e64 s[24:25], |v[14:15]|, s[12:13]
	v_cmp_le_f64_e64 s[26:27], |v[16:17]|, s[12:13]
	s_and_b64 s[34:35], s[24:25], s[26:27]
	s_mov_b64 s[24:25], 0
	s_and_saveexec_b64 s[26:27], s[34:35]
	s_cbranch_execz .LBB233_154
; %bb.153:                              ;   in Loop: Header=BB233_147 Depth=1
	v_mul_f64 v[14:15], v[14:15], 4.0
	v_mul_f64 v[16:17], v[16:17], 4.0
	s_mov_b64 s[24:25], exec
.LBB233_154:                            ;   in Loop: Header=BB233_147 Depth=1
	s_or_b64 exec, exec, s[26:27]
.LBB233_155:                            ;   in Loop: Header=BB233_147 Depth=1
	s_andn2_saveexec_b64 s[2:3], s[2:3]
	s_cbranch_execz .LBB233_157
; %bb.156:                              ;   in Loop: Header=BB233_147 Depth=1
	v_ldexp_f64 v[14:15], v[14:15], -2
	v_ldexp_f64 v[16:17], v[16:17], -2
	s_andn2_b64 s[24:25], s[24:25], exec
.LBB233_157:                            ;   in Loop: Header=BB233_147 Depth=1
	s_or_b64 exec, exec, s[2:3]
	v_max_f64 v[20:21], |v[16:17]|, |v[16:17]|
	v_max_f64 v[22:23], |v[14:15]|, |v[14:15]|
	v_cmp_class_f64_e64 s[26:27], v[14:15], s30
	v_cmp_class_f64_e64 s[34:35], v[16:17], s30
	v_cmp_le_f64_e64 s[2:3], 0, v[14:15]
	v_max_f64 v[20:21], v[22:23], v[20:21]
	v_frexp_exp_i32_f64_e32 v35, v[20:21]
	v_sub_u32_e32 v22, 0, v35
	v_ldexp_f64 v[20:21], |v[16:17]|, v22
	v_ldexp_f64 v[22:23], |v[14:15]|, v22
	v_mul_f64 v[20:21], v[20:21], v[20:21]
	v_fma_f64 v[20:21], v[22:23], v[22:23], v[20:21]
	v_rsq_f64_e32 v[22:23], v[20:21]
	v_cmp_eq_f64_e32 vcc, 0, v[20:21]
	v_mul_f64 v[26:27], v[20:21], v[22:23]
	v_mul_f64 v[22:23], v[22:23], 0.5
	v_fma_f64 v[33:34], -v[22:23], v[26:27], 0.5
	v_fma_f64 v[26:27], v[26:27], v[33:34], v[26:27]
	v_fma_f64 v[22:23], v[22:23], v[33:34], v[22:23]
	v_fma_f64 v[33:34], -v[26:27], v[26:27], v[20:21]
	v_fma_f64 v[22:23], v[33:34], v[22:23], v[26:27]
                                        ; implicit-def: $vgpr26_vgpr27
	v_cndmask_b32_e32 v21, v23, v21, vcc
	v_cndmask_b32_e32 v20, v22, v20, vcc
	v_ldexp_f64 v[20:21], v[20:21], v35
	v_cmp_o_f64_e32 vcc, v[16:17], v[16:17]
                                        ; implicit-def: $vgpr22_vgpr23
	v_cndmask_b32_e32 v20, 0, v20, vcc
	v_cndmask_b32_e32 v21, v29, v21, vcc
	s_or_b64 vcc, s[34:35], s[26:27]
	v_cndmask_b32_e32 v21, v21, v30, vcc
	v_cndmask_b32_e64 v20, v20, 0, vcc
	s_and_saveexec_b64 s[26:27], s[2:3]
	s_xor_b64 s[2:3], exec, s[26:27]
	s_cbranch_execz .LBB233_159
; %bb.158:                              ;   in Loop: Header=BB233_147 Depth=1
	v_add_f64 v[14:15], v[14:15], v[20:21]
	v_mul_f64 v[14:15], v[14:15], 0.5
	v_cmp_gt_f64_e32 vcc, s[14:15], v[14:15]
	v_cndmask_b32_e32 v20, 0, v31, vcc
	v_ldexp_f64 v[14:15], v[14:15], v20
	v_rsq_f64_e32 v[20:21], v[14:15]
	v_mul_f64 v[22:23], v[14:15], v[20:21]
	v_mul_f64 v[20:21], v[20:21], 0.5
	v_fma_f64 v[26:27], -v[20:21], v[22:23], 0.5
	v_fma_f64 v[22:23], v[22:23], v[26:27], v[22:23]
	v_fma_f64 v[20:21], v[20:21], v[26:27], v[20:21]
	v_fma_f64 v[26:27], -v[22:23], v[22:23], v[14:15]
	v_fma_f64 v[22:23], v[26:27], v[20:21], v[22:23]
	v_fma_f64 v[26:27], -v[22:23], v[22:23], v[14:15]
	v_fma_f64 v[20:21], v[26:27], v[20:21], v[22:23]
	v_cndmask_b32_e32 v22, 0, v32, vcc
	v_cmp_class_f64_e32 vcc, v[14:15], v28
	v_ldexp_f64 v[20:21], v[20:21], v22
	v_cndmask_b32_e32 v27, v21, v15, vcc
	v_cndmask_b32_e32 v26, v20, v14, vcc
	v_add_f64 v[14:15], v[26:27], v[26:27]
	v_div_scale_f64 v[20:21], s[26:27], v[14:15], v[14:15], v[16:17]
	v_div_scale_f64 v[35:36], vcc, v[16:17], v[14:15], v[16:17]
	v_rcp_f64_e32 v[22:23], v[20:21]
	v_fma_f64 v[33:34], -v[20:21], v[22:23], 1.0
	v_fma_f64 v[22:23], v[22:23], v[33:34], v[22:23]
	v_fma_f64 v[33:34], -v[20:21], v[22:23], 1.0
	v_fma_f64 v[22:23], v[22:23], v[33:34], v[22:23]
	v_mul_f64 v[33:34], v[35:36], v[22:23]
	v_fma_f64 v[20:21], -v[20:21], v[33:34], v[35:36]
	v_div_fmas_f64 v[20:21], v[20:21], v[22:23], v[33:34]
	v_div_fixup_f64 v[22:23], v[20:21], v[14:15], v[16:17]
                                        ; implicit-def: $vgpr20_vgpr21
                                        ; implicit-def: $vgpr14_vgpr15
	s_andn2_saveexec_b64 s[2:3], s[2:3]
	s_cbranch_execz .LBB233_161
	s_branch .LBB233_160
.LBB233_159:                            ;   in Loop: Header=BB233_147 Depth=1
	s_andn2_saveexec_b64 s[2:3], s[2:3]
	s_cbranch_execz .LBB233_161
.LBB233_160:                            ;   in Loop: Header=BB233_147 Depth=1
	v_add_f64 v[14:15], v[20:21], -v[14:15]
	v_mul_f64 v[14:15], v[14:15], 0.5
	v_cmp_gt_f64_e32 vcc, s[14:15], v[14:15]
	v_cndmask_b32_e32 v20, 0, v31, vcc
	v_ldexp_f64 v[14:15], v[14:15], v20
	v_rsq_f64_e32 v[20:21], v[14:15]
	v_mul_f64 v[22:23], v[14:15], v[20:21]
	v_mul_f64 v[20:21], v[20:21], 0.5
	v_fma_f64 v[26:27], -v[20:21], v[22:23], 0.5
	v_fma_f64 v[22:23], v[22:23], v[26:27], v[22:23]
	v_fma_f64 v[20:21], v[20:21], v[26:27], v[20:21]
	v_fma_f64 v[26:27], -v[22:23], v[22:23], v[14:15]
	v_fma_f64 v[22:23], v[26:27], v[20:21], v[22:23]
	v_fma_f64 v[26:27], -v[22:23], v[22:23], v[14:15]
	v_fma_f64 v[20:21], v[26:27], v[20:21], v[22:23]
	v_cndmask_b32_e32 v22, 0, v32, vcc
	v_cmp_class_f64_e32 vcc, v[14:15], v28
	v_ldexp_f64 v[20:21], v[20:21], v22
	v_cndmask_b32_e32 v23, v21, v15, vcc
	v_cndmask_b32_e32 v22, v20, v14, vcc
	v_add_f64 v[14:15], v[22:23], v[22:23]
	v_and_b32_e32 v21, 0x7fffffff, v17
	v_mov_b32_e32 v20, v16
	v_bfi_b32 v23, s31, v23, v17
	v_div_scale_f64 v[26:27], s[26:27], v[14:15], v[14:15], v[20:21]
	v_div_scale_f64 v[20:21], vcc, v[20:21], v[14:15], v[20:21]
	v_rcp_f64_e32 v[33:34], v[26:27]
	v_fma_f64 v[35:36], -v[26:27], v[33:34], 1.0
	v_fma_f64 v[33:34], v[33:34], v[35:36], v[33:34]
	v_fma_f64 v[35:36], -v[26:27], v[33:34], 1.0
	v_fma_f64 v[33:34], v[33:34], v[35:36], v[33:34]
	v_mul_f64 v[35:36], v[20:21], v[33:34]
	v_fma_f64 v[20:21], -v[26:27], v[35:36], v[20:21]
	v_div_fmas_f64 v[20:21], v[20:21], v[33:34], v[35:36]
	v_div_fixup_f64 v[26:27], v[20:21], v[14:15], |v[16:17]|
.LBB233_161:                            ;   in Loop: Header=BB233_147 Depth=1
	s_or_b64 exec, exec, s[2:3]
                                        ; implicit-def: $vgpr16_vgpr17
                                        ; implicit-def: $vgpr20_vgpr21
	s_and_saveexec_b64 s[2:3], s[0:1]
	s_xor_b64 s[0:1], exec, s[2:3]
	s_cbranch_execz .LBB233_163
; %bb.162:                              ;   in Loop: Header=BB233_147 Depth=1
	v_mul_f64 v[14:15], v[26:27], 0.5
	v_mul_f64 v[16:17], v[22:23], 0.5
	v_cndmask_b32_e64 v21, v27, v15, s[24:25]
	v_cndmask_b32_e64 v20, v26, v14, s[24:25]
	;; [unrolled: 1-line block ×4, first 2 shown]
                                        ; implicit-def: $vgpr26_vgpr27
                                        ; implicit-def: $vgpr22_vgpr23
	s_andn2_saveexec_b64 s[0:1], s[0:1]
	s_cbranch_execnz .LBB233_164
	s_branch .LBB233_165
.LBB233_163:                            ;   in Loop: Header=BB233_147 Depth=1
	s_andn2_saveexec_b64 s[0:1], s[0:1]
	s_cbranch_execz .LBB233_165
.LBB233_164:                            ;   in Loop: Header=BB233_147 Depth=1
	v_add_f64 v[20:21], v[26:27], v[26:27]
	v_add_f64 v[16:17], v[22:23], v[22:23]
.LBB233_165:                            ;   in Loop: Header=BB233_147 Depth=1
	s_or_b64 exec, exec, s[0:1]
.LBB233_166:                            ;   in Loop: Header=BB233_147 Depth=1
	s_andn2_saveexec_b64 s[0:1], s[22:23]
	s_cbranch_execz .LBB233_188
; %bb.167:                              ;   in Loop: Header=BB233_147 Depth=1
	v_add_f64 v[22:23], v[16:17], -v[16:17]
	v_cmp_lt_i64_e32 vcc, -1, v[14:15]
	v_and_b32_e32 v21, 0x7fffffff, v23
	v_mov_b32_e32 v20, v22
	s_and_saveexec_b64 s[2:3], vcc
	s_xor_b64 s[2:3], exec, s[2:3]
; %bb.168:                              ;   in Loop: Header=BB233_147 Depth=1
	v_bfi_b32 v23, s31, v23, v17
	v_mov_b32_e32 v16, v22
	v_mov_b32_e32 v21, v15
	;; [unrolled: 1-line block ×4, first 2 shown]
; %bb.169:                              ;   in Loop: Header=BB233_147 Depth=1
	s_andn2_saveexec_b64 s[2:3], s[2:3]
; %bb.170:                              ;   in Loop: Header=BB233_147 Depth=1
	v_bfi_b32 v15, s31, v15, v17
	v_mov_b32_e32 v17, v15
	v_mov_b32_e32 v16, v14
; %bb.171:                              ;   in Loop: Header=BB233_147 Depth=1
	s_or_b64 exec, exec, s[2:3]
	s_or_b64 exec, exec, s[0:1]
.LBB233_172:                            ;   in Loop: Header=BB233_147 Depth=1
	s_andn2_saveexec_b64 s[0:1], s[20:21]
	s_cbranch_execz .LBB233_174
.LBB233_173:                            ;   in Loop: Header=BB233_147 Depth=1
	v_add_f64 v[16:17], v[16:17], -v[16:17]
	v_div_scale_f64 v[20:21], vcc, v[16:17], v[16:17], v[16:17]
	v_rcp_f64_e32 v[22:23], v[20:21]
	v_fma_f64 v[26:27], -v[20:21], v[22:23], 1.0
	v_fma_f64 v[22:23], v[22:23], v[26:27], v[22:23]
	v_fma_f64 v[26:27], -v[20:21], v[22:23], 1.0
	v_fma_f64 v[22:23], v[22:23], v[26:27], v[22:23]
	v_mul_f64 v[26:27], v[20:21], v[22:23]
	v_fma_f64 v[20:21], -v[20:21], v[26:27], v[20:21]
	v_div_fmas_f64 v[20:21], v[20:21], v[22:23], v[26:27]
	v_div_fixup_f64 v[16:17], v[20:21], v[16:17], v[16:17]
	v_mov_b32_e32 v21, v15
	v_mov_b32_e32 v20, v14
.LBB233_174:                            ;   in Loop: Header=BB233_147 Depth=1
	s_or_b64 exec, exec, s[0:1]
.LBB233_175:                            ;   in Loop: Header=BB233_147 Depth=1
	s_or_b64 exec, exec, s[18:19]
.LBB233_176:                            ;   in Loop: Header=BB233_147 Depth=1
	s_or_b64 exec, exec, s[16:17]
	s_waitcnt vmcnt(2)
	v_cmp_neq_f64_e32 vcc, 0, v[10:11]
	v_cmp_neq_f64_e64 s[0:1], 0, v[12:13]
	s_or_b64 s[0:1], vcc, s[0:1]
	s_and_saveexec_b64 s[16:17], s[0:1]
	s_cbranch_execz .LBB233_207
; %bb.177:                              ;   in Loop: Header=BB233_147 Depth=1
	v_mov_b32_e32 v18, 0
	v_mov_b32_e32 v19, 0x7ff00000
	v_cmp_neq_f64_e64 s[0:1], |v[12:13]|, v[18:19]
	s_and_saveexec_b64 s[18:19], s[0:1]
	s_cbranch_execz .LBB233_206
; %bb.178:                              ;   in Loop: Header=BB233_147 Depth=1
	v_cmp_o_f64_e32 vcc, v[10:11], v[10:11]
                                        ; implicit-def: $vgpr18_vgpr19
	s_and_saveexec_b64 s[0:1], vcc
	s_xor_b64 s[20:21], exec, s[0:1]
	s_cbranch_execz .LBB233_203
; %bb.179:                              ;   in Loop: Header=BB233_147 Depth=1
	v_cmp_neq_f64_e64 s[0:1], |v[10:11]|, s[8:9]
                                        ; implicit-def: $vgpr18_vgpr19
	s_and_saveexec_b64 s[2:3], s[0:1]
	s_xor_b64 s[22:23], exec, s[2:3]
	s_cbranch_execz .LBB233_196
; %bb.180:                              ;   in Loop: Header=BB233_147 Depth=1
	v_max_f64 v[14:15], |v[12:13]|, |v[12:13]|
	v_max_f64 v[18:19], |v[10:11]|, |v[10:11]|
                                        ; implicit-def: $sgpr24_sgpr25
	v_max_f64 v[14:15], v[18:19], v[14:15]
	v_cmp_nle_f64_e64 s[0:1], s[10:11], v[14:15]
	s_and_saveexec_b64 s[2:3], s[0:1]
	s_xor_b64 s[2:3], exec, s[2:3]
	s_cbranch_execz .LBB233_184
; %bb.181:                              ;   in Loop: Header=BB233_147 Depth=1
	v_cmp_le_f64_e64 s[24:25], |v[10:11]|, s[12:13]
	v_cmp_le_f64_e64 s[26:27], |v[12:13]|, s[12:13]
	s_and_b64 s[34:35], s[24:25], s[26:27]
	s_mov_b64 s[24:25], 0
	s_and_saveexec_b64 s[26:27], s[34:35]
	s_cbranch_execz .LBB233_183
; %bb.182:                              ;   in Loop: Header=BB233_147 Depth=1
	v_mul_f64 v[10:11], v[10:11], 4.0
	v_mul_f64 v[12:13], v[12:13], 4.0
	s_mov_b64 s[24:25], exec
.LBB233_183:                            ;   in Loop: Header=BB233_147 Depth=1
	s_or_b64 exec, exec, s[26:27]
.LBB233_184:                            ;   in Loop: Header=BB233_147 Depth=1
	s_andn2_saveexec_b64 s[2:3], s[2:3]
	s_cbranch_execz .LBB233_186
; %bb.185:                              ;   in Loop: Header=BB233_147 Depth=1
	v_ldexp_f64 v[10:11], v[10:11], -2
	v_ldexp_f64 v[12:13], v[12:13], -2
	s_andn2_b64 s[24:25], s[24:25], exec
.LBB233_186:                            ;   in Loop: Header=BB233_147 Depth=1
	s_or_b64 exec, exec, s[2:3]
	v_max_f64 v[14:15], |v[12:13]|, |v[12:13]|
	v_max_f64 v[18:19], |v[10:11]|, |v[10:11]|
	v_cmp_class_f64_e64 s[26:27], v[10:11], s30
	v_cmp_class_f64_e64 s[34:35], v[12:13], s30
	v_cmp_le_f64_e64 s[2:3], 0, v[10:11]
	v_max_f64 v[14:15], v[18:19], v[14:15]
	v_frexp_exp_i32_f64_e32 v33, v[14:15]
	v_sub_u32_e32 v18, 0, v33
	v_ldexp_f64 v[14:15], |v[12:13]|, v18
	v_ldexp_f64 v[18:19], |v[10:11]|, v18
	v_mul_f64 v[14:15], v[14:15], v[14:15]
	v_fma_f64 v[14:15], v[18:19], v[18:19], v[14:15]
	v_rsq_f64_e32 v[18:19], v[14:15]
	v_cmp_eq_f64_e32 vcc, 0, v[14:15]
	v_mul_f64 v[22:23], v[14:15], v[18:19]
	v_mul_f64 v[18:19], v[18:19], 0.5
	v_fma_f64 v[26:27], -v[18:19], v[22:23], 0.5
	v_fma_f64 v[22:23], v[22:23], v[26:27], v[22:23]
	v_fma_f64 v[18:19], v[18:19], v[26:27], v[18:19]
	v_fma_f64 v[26:27], -v[22:23], v[22:23], v[14:15]
	v_fma_f64 v[18:19], v[26:27], v[18:19], v[22:23]
                                        ; implicit-def: $vgpr22_vgpr23
	v_cndmask_b32_e32 v15, v19, v15, vcc
	v_cndmask_b32_e32 v14, v18, v14, vcc
	v_ldexp_f64 v[14:15], v[14:15], v33
	v_cmp_o_f64_e32 vcc, v[12:13], v[12:13]
	v_cndmask_b32_e32 v14, 0, v14, vcc
	v_cndmask_b32_e32 v15, v29, v15, vcc
	s_or_b64 vcc, s[34:35], s[26:27]
	v_cndmask_b32_e32 v19, v15, v30, vcc
	v_cndmask_b32_e64 v18, v14, 0, vcc
                                        ; implicit-def: $vgpr14_vgpr15
	s_and_saveexec_b64 s[26:27], s[2:3]
	s_xor_b64 s[2:3], exec, s[26:27]
	s_cbranch_execz .LBB233_189
; %bb.187:                              ;   in Loop: Header=BB233_147 Depth=1
	v_add_f64 v[10:11], v[10:11], v[18:19]
	v_mul_f64 v[10:11], v[10:11], 0.5
	v_cmp_gt_f64_e32 vcc, s[14:15], v[10:11]
	v_cndmask_b32_e32 v14, 0, v31, vcc
	v_ldexp_f64 v[10:11], v[10:11], v14
	v_rsq_f64_e32 v[14:15], v[10:11]
	v_mul_f64 v[18:19], v[10:11], v[14:15]
	v_mul_f64 v[14:15], v[14:15], 0.5
	v_fma_f64 v[22:23], -v[14:15], v[18:19], 0.5
	v_fma_f64 v[18:19], v[18:19], v[22:23], v[18:19]
	v_fma_f64 v[14:15], v[14:15], v[22:23], v[14:15]
	v_fma_f64 v[22:23], -v[18:19], v[18:19], v[10:11]
	v_fma_f64 v[18:19], v[22:23], v[14:15], v[18:19]
	v_fma_f64 v[22:23], -v[18:19], v[18:19], v[10:11]
	v_fma_f64 v[14:15], v[22:23], v[14:15], v[18:19]
	v_cndmask_b32_e32 v18, 0, v32, vcc
	v_cmp_class_f64_e32 vcc, v[10:11], v28
	v_ldexp_f64 v[14:15], v[14:15], v18
	v_cndmask_b32_e32 v23, v15, v11, vcc
	v_cndmask_b32_e32 v22, v14, v10, vcc
	v_add_f64 v[10:11], v[22:23], v[22:23]
	v_div_scale_f64 v[14:15], s[26:27], v[10:11], v[10:11], v[12:13]
	v_div_scale_f64 v[33:34], vcc, v[12:13], v[10:11], v[12:13]
	v_rcp_f64_e32 v[18:19], v[14:15]
	v_fma_f64 v[26:27], -v[14:15], v[18:19], 1.0
	v_fma_f64 v[18:19], v[18:19], v[26:27], v[18:19]
	v_fma_f64 v[26:27], -v[14:15], v[18:19], 1.0
	v_fma_f64 v[18:19], v[18:19], v[26:27], v[18:19]
	v_mul_f64 v[26:27], v[33:34], v[18:19]
	v_fma_f64 v[14:15], -v[14:15], v[26:27], v[33:34]
	v_div_fmas_f64 v[14:15], v[14:15], v[18:19], v[26:27]
                                        ; implicit-def: $vgpr18_vgpr19
	v_div_fixup_f64 v[14:15], v[14:15], v[10:11], v[12:13]
                                        ; implicit-def: $vgpr10_vgpr11
	s_andn2_saveexec_b64 s[2:3], s[2:3]
	s_cbranch_execz .LBB233_191
	s_branch .LBB233_190
.LBB233_188:                            ;   in Loop: Header=BB233_147 Depth=1
	s_or_b64 exec, exec, s[0:1]
	s_andn2_saveexec_b64 s[0:1], s[20:21]
	s_cbranch_execnz .LBB233_173
	s_branch .LBB233_174
.LBB233_189:                            ;   in Loop: Header=BB233_147 Depth=1
	s_andn2_saveexec_b64 s[2:3], s[2:3]
	s_cbranch_execz .LBB233_191
.LBB233_190:                            ;   in Loop: Header=BB233_147 Depth=1
	v_add_f64 v[10:11], v[18:19], -v[10:11]
	v_mul_f64 v[10:11], v[10:11], 0.5
	v_cmp_gt_f64_e32 vcc, s[14:15], v[10:11]
	v_cndmask_b32_e32 v14, 0, v31, vcc
	v_ldexp_f64 v[10:11], v[10:11], v14
	v_rsq_f64_e32 v[14:15], v[10:11]
	v_mul_f64 v[18:19], v[10:11], v[14:15]
	v_mul_f64 v[14:15], v[14:15], 0.5
	v_fma_f64 v[22:23], -v[14:15], v[18:19], 0.5
	v_fma_f64 v[18:19], v[18:19], v[22:23], v[18:19]
	v_fma_f64 v[14:15], v[14:15], v[22:23], v[14:15]
	v_fma_f64 v[22:23], -v[18:19], v[18:19], v[10:11]
	v_fma_f64 v[18:19], v[22:23], v[14:15], v[18:19]
	v_fma_f64 v[22:23], -v[18:19], v[18:19], v[10:11]
	v_fma_f64 v[14:15], v[22:23], v[14:15], v[18:19]
	v_cndmask_b32_e32 v18, 0, v32, vcc
	v_cmp_class_f64_e32 vcc, v[10:11], v28
	v_and_b32_e32 v19, 0x7fffffff, v13
	v_ldexp_f64 v[14:15], v[14:15], v18
	v_mov_b32_e32 v18, v12
	v_cndmask_b32_e32 v15, v15, v11, vcc
	v_cndmask_b32_e32 v14, v14, v10, vcc
	v_add_f64 v[10:11], v[14:15], v[14:15]
	v_bfi_b32 v15, s31, v15, v13
	v_div_scale_f64 v[22:23], s[26:27], v[10:11], v[10:11], v[18:19]
	v_div_scale_f64 v[18:19], vcc, v[18:19], v[10:11], v[18:19]
	v_rcp_f64_e32 v[26:27], v[22:23]
	v_fma_f64 v[33:34], -v[22:23], v[26:27], 1.0
	v_fma_f64 v[26:27], v[26:27], v[33:34], v[26:27]
	v_fma_f64 v[33:34], -v[22:23], v[26:27], 1.0
	v_fma_f64 v[26:27], v[26:27], v[33:34], v[26:27]
	v_mul_f64 v[33:34], v[18:19], v[26:27]
	v_fma_f64 v[18:19], -v[22:23], v[33:34], v[18:19]
	v_div_fmas_f64 v[18:19], v[18:19], v[26:27], v[33:34]
	v_div_fixup_f64 v[22:23], v[18:19], v[10:11], |v[12:13]|
.LBB233_191:                            ;   in Loop: Header=BB233_147 Depth=1
	s_or_b64 exec, exec, s[2:3]
                                        ; implicit-def: $vgpr12_vgpr13
                                        ; implicit-def: $vgpr18_vgpr19
	s_and_saveexec_b64 s[2:3], s[0:1]
	s_xor_b64 s[0:1], exec, s[2:3]
	s_cbranch_execz .LBB233_193
; %bb.192:                              ;   in Loop: Header=BB233_147 Depth=1
	v_mul_f64 v[10:11], v[22:23], 0.5
	v_mul_f64 v[12:13], v[14:15], 0.5
	v_cndmask_b32_e64 v19, v23, v11, s[24:25]
	v_cndmask_b32_e64 v18, v22, v10, s[24:25]
	;; [unrolled: 1-line block ×4, first 2 shown]
                                        ; implicit-def: $vgpr22_vgpr23
                                        ; implicit-def: $vgpr14_vgpr15
	s_andn2_saveexec_b64 s[0:1], s[0:1]
	s_cbranch_execnz .LBB233_194
	s_branch .LBB233_195
.LBB233_193:                            ;   in Loop: Header=BB233_147 Depth=1
	s_andn2_saveexec_b64 s[0:1], s[0:1]
	s_cbranch_execz .LBB233_195
.LBB233_194:                            ;   in Loop: Header=BB233_147 Depth=1
	v_add_f64 v[18:19], v[22:23], v[22:23]
	v_add_f64 v[12:13], v[14:15], v[14:15]
.LBB233_195:                            ;   in Loop: Header=BB233_147 Depth=1
	s_or_b64 exec, exec, s[0:1]
.LBB233_196:                            ;   in Loop: Header=BB233_147 Depth=1
	s_andn2_saveexec_b64 s[0:1], s[22:23]
	s_cbranch_execz .LBB233_202
; %bb.197:                              ;   in Loop: Header=BB233_147 Depth=1
	v_add_f64 v[14:15], v[12:13], -v[12:13]
	v_cmp_lt_i64_e32 vcc, -1, v[10:11]
	v_and_b32_e32 v19, 0x7fffffff, v15
	v_mov_b32_e32 v18, v14
	s_and_saveexec_b64 s[2:3], vcc
	s_xor_b64 s[2:3], exec, s[2:3]
; %bb.198:                              ;   in Loop: Header=BB233_147 Depth=1
	v_bfi_b32 v15, s31, v15, v13
	v_mov_b32_e32 v12, v14
	v_mov_b32_e32 v19, v11
	;; [unrolled: 1-line block ×4, first 2 shown]
; %bb.199:                              ;   in Loop: Header=BB233_147 Depth=1
	s_andn2_saveexec_b64 s[2:3], s[2:3]
; %bb.200:                              ;   in Loop: Header=BB233_147 Depth=1
	v_bfi_b32 v11, s31, v11, v13
	v_mov_b32_e32 v13, v11
	v_mov_b32_e32 v12, v10
; %bb.201:                              ;   in Loop: Header=BB233_147 Depth=1
	s_or_b64 exec, exec, s[2:3]
.LBB233_202:                            ;   in Loop: Header=BB233_147 Depth=1
	s_or_b64 exec, exec, s[0:1]
.LBB233_203:                            ;   in Loop: Header=BB233_147 Depth=1
	s_andn2_saveexec_b64 s[0:1], s[20:21]
	s_cbranch_execz .LBB233_205
; %bb.204:                              ;   in Loop: Header=BB233_147 Depth=1
	v_add_f64 v[12:13], v[12:13], -v[12:13]
	v_div_scale_f64 v[14:15], vcc, v[12:13], v[12:13], v[12:13]
	v_rcp_f64_e32 v[18:19], v[14:15]
	v_fma_f64 v[22:23], -v[14:15], v[18:19], 1.0
	v_fma_f64 v[18:19], v[18:19], v[22:23], v[18:19]
	v_fma_f64 v[22:23], -v[14:15], v[18:19], 1.0
	v_fma_f64 v[18:19], v[18:19], v[22:23], v[18:19]
	v_mul_f64 v[22:23], v[14:15], v[18:19]
	v_fma_f64 v[14:15], -v[14:15], v[22:23], v[14:15]
	v_div_fmas_f64 v[14:15], v[14:15], v[18:19], v[22:23]
	v_mov_b32_e32 v19, v11
	v_mov_b32_e32 v18, v10
	v_div_fixup_f64 v[12:13], v[14:15], v[12:13], v[12:13]
.LBB233_205:                            ;   in Loop: Header=BB233_147 Depth=1
	s_or_b64 exec, exec, s[0:1]
.LBB233_206:                            ;   in Loop: Header=BB233_147 Depth=1
	s_or_b64 exec, exec, s[18:19]
.LBB233_207:                            ;   in Loop: Header=BB233_147 Depth=1
	s_or_b64 exec, exec, s[16:17]
	s_waitcnt vmcnt(0)
	v_cmp_neq_f64_e32 vcc, 0, v[6:7]
	v_cmp_neq_f64_e64 s[0:1], 0, v[8:9]
	v_mov_b32_e32 v10, 0
	v_mov_b32_e32 v14, 0
	;; [unrolled: 1-line block ×4, first 2 shown]
	s_or_b64 s[0:1], vcc, s[0:1]
	s_and_saveexec_b64 s[16:17], s[0:1]
	s_cbranch_execz .LBB233_237
; %bb.208:                              ;   in Loop: Header=BB233_147 Depth=1
	v_mov_b32_e32 v14, 0
	v_mov_b32_e32 v15, 0x7ff00000
	v_cmp_neq_f64_e64 s[0:1], |v[8:9]|, v[14:15]
	s_and_saveexec_b64 s[18:19], s[0:1]
	s_cbranch_execz .LBB233_236
; %bb.209:                              ;   in Loop: Header=BB233_147 Depth=1
	v_cmp_o_f64_e32 vcc, v[6:7], v[6:7]
                                        ; implicit-def: $vgpr14_vgpr15
	s_and_saveexec_b64 s[0:1], vcc
	s_xor_b64 s[20:21], exec, s[0:1]
	s_cbranch_execz .LBB233_233
; %bb.210:                              ;   in Loop: Header=BB233_147 Depth=1
	v_cmp_neq_f64_e64 s[0:1], |v[6:7]|, s[8:9]
                                        ; implicit-def: $vgpr14_vgpr15
	s_and_saveexec_b64 s[2:3], s[0:1]
	s_xor_b64 s[22:23], exec, s[2:3]
	s_cbranch_execz .LBB233_226
; %bb.211:                              ;   in Loop: Header=BB233_147 Depth=1
	v_max_f64 v[14:15], |v[8:9]|, |v[8:9]|
	v_max_f64 v[22:23], |v[6:7]|, |v[6:7]|
                                        ; implicit-def: $sgpr24_sgpr25
	v_max_f64 v[14:15], v[22:23], v[14:15]
	v_cmp_nle_f64_e64 s[0:1], s[10:11], v[14:15]
	s_and_saveexec_b64 s[2:3], s[0:1]
	s_xor_b64 s[2:3], exec, s[2:3]
	s_cbranch_execz .LBB233_215
; %bb.212:                              ;   in Loop: Header=BB233_147 Depth=1
	v_cmp_le_f64_e64 s[24:25], |v[6:7]|, s[12:13]
	v_cmp_le_f64_e64 s[26:27], |v[8:9]|, s[12:13]
	s_and_b64 s[34:35], s[24:25], s[26:27]
	s_mov_b64 s[24:25], 0
	s_and_saveexec_b64 s[26:27], s[34:35]
	s_cbranch_execz .LBB233_214
; %bb.213:                              ;   in Loop: Header=BB233_147 Depth=1
	v_mul_f64 v[6:7], v[6:7], 4.0
	v_mul_f64 v[8:9], v[8:9], 4.0
	s_mov_b64 s[24:25], exec
.LBB233_214:                            ;   in Loop: Header=BB233_147 Depth=1
	s_or_b64 exec, exec, s[26:27]
.LBB233_215:                            ;   in Loop: Header=BB233_147 Depth=1
	s_andn2_saveexec_b64 s[2:3], s[2:3]
	s_cbranch_execz .LBB233_217
; %bb.216:                              ;   in Loop: Header=BB233_147 Depth=1
	v_ldexp_f64 v[6:7], v[6:7], -2
	v_ldexp_f64 v[8:9], v[8:9], -2
	s_andn2_b64 s[24:25], s[24:25], exec
.LBB233_217:                            ;   in Loop: Header=BB233_147 Depth=1
	s_or_b64 exec, exec, s[2:3]
	v_max_f64 v[14:15], |v[8:9]|, |v[8:9]|
	v_max_f64 v[22:23], |v[6:7]|, |v[6:7]|
	v_cmp_class_f64_e64 s[26:27], v[6:7], s30
	v_cmp_class_f64_e64 s[34:35], v[8:9], s30
	v_cmp_le_f64_e64 s[2:3], 0, v[6:7]
	v_max_f64 v[14:15], v[22:23], v[14:15]
	v_frexp_exp_i32_f64_e32 v35, v[14:15]
	v_sub_u32_e32 v22, 0, v35
	v_ldexp_f64 v[14:15], |v[8:9]|, v22
	v_ldexp_f64 v[22:23], |v[6:7]|, v22
	v_mul_f64 v[14:15], v[14:15], v[14:15]
	v_fma_f64 v[14:15], v[22:23], v[22:23], v[14:15]
	v_rsq_f64_e32 v[22:23], v[14:15]
	v_cmp_eq_f64_e32 vcc, 0, v[14:15]
	v_mul_f64 v[26:27], v[14:15], v[22:23]
	v_mul_f64 v[22:23], v[22:23], 0.5
	v_fma_f64 v[33:34], -v[22:23], v[26:27], 0.5
	v_fma_f64 v[26:27], v[26:27], v[33:34], v[26:27]
	v_fma_f64 v[22:23], v[22:23], v[33:34], v[22:23]
	v_fma_f64 v[33:34], -v[26:27], v[26:27], v[14:15]
	v_fma_f64 v[22:23], v[33:34], v[22:23], v[26:27]
                                        ; implicit-def: $vgpr26_vgpr27
	v_cndmask_b32_e32 v15, v23, v15, vcc
	v_cndmask_b32_e32 v14, v22, v14, vcc
	v_ldexp_f64 v[14:15], v[14:15], v35
	v_cmp_o_f64_e32 vcc, v[8:9], v[8:9]
                                        ; implicit-def: $vgpr22_vgpr23
	v_cndmask_b32_e32 v14, 0, v14, vcc
	v_cndmask_b32_e32 v15, v29, v15, vcc
	s_or_b64 vcc, s[34:35], s[26:27]
	v_cndmask_b32_e32 v15, v15, v30, vcc
	v_cndmask_b32_e64 v14, v14, 0, vcc
	s_and_saveexec_b64 s[26:27], s[2:3]
	s_xor_b64 s[2:3], exec, s[26:27]
	s_cbranch_execz .LBB233_219
; %bb.218:                              ;   in Loop: Header=BB233_147 Depth=1
	v_add_f64 v[6:7], v[6:7], v[14:15]
	v_mul_f64 v[6:7], v[6:7], 0.5
	v_cmp_gt_f64_e32 vcc, s[14:15], v[6:7]
	v_cndmask_b32_e32 v14, 0, v31, vcc
	v_ldexp_f64 v[6:7], v[6:7], v14
	v_rsq_f64_e32 v[14:15], v[6:7]
	v_mul_f64 v[22:23], v[6:7], v[14:15]
	v_mul_f64 v[14:15], v[14:15], 0.5
	v_fma_f64 v[26:27], -v[14:15], v[22:23], 0.5
	v_fma_f64 v[22:23], v[22:23], v[26:27], v[22:23]
	v_fma_f64 v[14:15], v[14:15], v[26:27], v[14:15]
	v_fma_f64 v[26:27], -v[22:23], v[22:23], v[6:7]
	v_fma_f64 v[22:23], v[26:27], v[14:15], v[22:23]
	v_fma_f64 v[26:27], -v[22:23], v[22:23], v[6:7]
	v_fma_f64 v[14:15], v[26:27], v[14:15], v[22:23]
	v_cndmask_b32_e32 v22, 0, v32, vcc
	v_cmp_class_f64_e32 vcc, v[6:7], v28
	v_ldexp_f64 v[14:15], v[14:15], v22
	v_cndmask_b32_e32 v27, v15, v7, vcc
	v_cndmask_b32_e32 v26, v14, v6, vcc
	v_add_f64 v[6:7], v[26:27], v[26:27]
	v_div_scale_f64 v[14:15], s[26:27], v[6:7], v[6:7], v[8:9]
	v_div_scale_f64 v[35:36], vcc, v[8:9], v[6:7], v[8:9]
	v_rcp_f64_e32 v[22:23], v[14:15]
	v_fma_f64 v[33:34], -v[14:15], v[22:23], 1.0
	v_fma_f64 v[22:23], v[22:23], v[33:34], v[22:23]
	v_fma_f64 v[33:34], -v[14:15], v[22:23], 1.0
	v_fma_f64 v[22:23], v[22:23], v[33:34], v[22:23]
	v_mul_f64 v[33:34], v[35:36], v[22:23]
	v_fma_f64 v[14:15], -v[14:15], v[33:34], v[35:36]
	v_div_fmas_f64 v[14:15], v[14:15], v[22:23], v[33:34]
	v_div_fixup_f64 v[22:23], v[14:15], v[6:7], v[8:9]
                                        ; implicit-def: $vgpr14_vgpr15
                                        ; implicit-def: $vgpr6_vgpr7
	s_andn2_saveexec_b64 s[2:3], s[2:3]
	s_cbranch_execz .LBB233_221
	s_branch .LBB233_220
.LBB233_219:                            ;   in Loop: Header=BB233_147 Depth=1
	s_andn2_saveexec_b64 s[2:3], s[2:3]
	s_cbranch_execz .LBB233_221
.LBB233_220:                            ;   in Loop: Header=BB233_147 Depth=1
	v_add_f64 v[6:7], v[14:15], -v[6:7]
	v_mul_f64 v[6:7], v[6:7], 0.5
	v_cmp_gt_f64_e32 vcc, s[14:15], v[6:7]
	v_cndmask_b32_e32 v14, 0, v31, vcc
	v_ldexp_f64 v[6:7], v[6:7], v14
	v_rsq_f64_e32 v[14:15], v[6:7]
	v_mul_f64 v[22:23], v[6:7], v[14:15]
	v_mul_f64 v[14:15], v[14:15], 0.5
	v_fma_f64 v[26:27], -v[14:15], v[22:23], 0.5
	v_fma_f64 v[22:23], v[22:23], v[26:27], v[22:23]
	v_fma_f64 v[14:15], v[14:15], v[26:27], v[14:15]
	v_fma_f64 v[26:27], -v[22:23], v[22:23], v[6:7]
	v_fma_f64 v[22:23], v[26:27], v[14:15], v[22:23]
	v_fma_f64 v[26:27], -v[22:23], v[22:23], v[6:7]
	v_fma_f64 v[14:15], v[26:27], v[14:15], v[22:23]
	v_cndmask_b32_e32 v22, 0, v32, vcc
	v_cmp_class_f64_e32 vcc, v[6:7], v28
	v_ldexp_f64 v[14:15], v[14:15], v22
	v_cndmask_b32_e32 v23, v15, v7, vcc
	v_cndmask_b32_e32 v22, v14, v6, vcc
	v_add_f64 v[6:7], v[22:23], v[22:23]
	v_and_b32_e32 v15, 0x7fffffff, v9
	v_mov_b32_e32 v14, v8
	v_bfi_b32 v23, s31, v23, v9
	v_div_scale_f64 v[26:27], s[26:27], v[6:7], v[6:7], v[14:15]
	v_div_scale_f64 v[14:15], vcc, v[14:15], v[6:7], v[14:15]
	v_rcp_f64_e32 v[33:34], v[26:27]
	v_fma_f64 v[35:36], -v[26:27], v[33:34], 1.0
	v_fma_f64 v[33:34], v[33:34], v[35:36], v[33:34]
	v_fma_f64 v[35:36], -v[26:27], v[33:34], 1.0
	v_fma_f64 v[33:34], v[33:34], v[35:36], v[33:34]
	v_mul_f64 v[35:36], v[14:15], v[33:34]
	v_fma_f64 v[14:15], -v[26:27], v[35:36], v[14:15]
	v_div_fmas_f64 v[14:15], v[14:15], v[33:34], v[35:36]
	v_div_fixup_f64 v[26:27], v[14:15], v[6:7], |v[8:9]|
.LBB233_221:                            ;   in Loop: Header=BB233_147 Depth=1
	s_or_b64 exec, exec, s[2:3]
                                        ; implicit-def: $vgpr8_vgpr9
                                        ; implicit-def: $vgpr14_vgpr15
	s_and_saveexec_b64 s[2:3], s[0:1]
	s_xor_b64 s[0:1], exec, s[2:3]
	s_cbranch_execz .LBB233_223
; %bb.222:                              ;   in Loop: Header=BB233_147 Depth=1
	v_mul_f64 v[6:7], v[26:27], 0.5
	v_mul_f64 v[8:9], v[22:23], 0.5
	v_cndmask_b32_e64 v15, v27, v7, s[24:25]
	v_cndmask_b32_e64 v14, v26, v6, s[24:25]
	;; [unrolled: 1-line block ×4, first 2 shown]
                                        ; implicit-def: $vgpr26_vgpr27
                                        ; implicit-def: $vgpr22_vgpr23
	s_andn2_saveexec_b64 s[0:1], s[0:1]
	s_cbranch_execnz .LBB233_224
	s_branch .LBB233_225
.LBB233_223:                            ;   in Loop: Header=BB233_147 Depth=1
	s_andn2_saveexec_b64 s[0:1], s[0:1]
	s_cbranch_execz .LBB233_225
.LBB233_224:                            ;   in Loop: Header=BB233_147 Depth=1
	v_add_f64 v[14:15], v[26:27], v[26:27]
	v_add_f64 v[8:9], v[22:23], v[22:23]
.LBB233_225:                            ;   in Loop: Header=BB233_147 Depth=1
	s_or_b64 exec, exec, s[0:1]
.LBB233_226:                            ;   in Loop: Header=BB233_147 Depth=1
	s_andn2_saveexec_b64 s[0:1], s[22:23]
	s_cbranch_execz .LBB233_232
; %bb.227:                              ;   in Loop: Header=BB233_147 Depth=1
	v_add_f64 v[22:23], v[8:9], -v[8:9]
	v_cmp_lt_i64_e32 vcc, -1, v[6:7]
	v_and_b32_e32 v15, 0x7fffffff, v23
	v_mov_b32_e32 v14, v22
	s_and_saveexec_b64 s[2:3], vcc
	s_xor_b64 s[2:3], exec, s[2:3]
; %bb.228:                              ;   in Loop: Header=BB233_147 Depth=1
	v_bfi_b32 v23, s31, v23, v9
	v_mov_b32_e32 v8, v22
	v_mov_b32_e32 v15, v7
	;; [unrolled: 1-line block ×4, first 2 shown]
; %bb.229:                              ;   in Loop: Header=BB233_147 Depth=1
	s_andn2_saveexec_b64 s[2:3], s[2:3]
; %bb.230:                              ;   in Loop: Header=BB233_147 Depth=1
	v_bfi_b32 v7, s31, v7, v9
	v_mov_b32_e32 v9, v7
	v_mov_b32_e32 v8, v6
; %bb.231:                              ;   in Loop: Header=BB233_147 Depth=1
	s_or_b64 exec, exec, s[2:3]
.LBB233_232:                            ;   in Loop: Header=BB233_147 Depth=1
	s_or_b64 exec, exec, s[0:1]
.LBB233_233:                            ;   in Loop: Header=BB233_147 Depth=1
	s_andn2_saveexec_b64 s[0:1], s[20:21]
	s_cbranch_execz .LBB233_235
; %bb.234:                              ;   in Loop: Header=BB233_147 Depth=1
	v_add_f64 v[8:9], v[8:9], -v[8:9]
	v_div_scale_f64 v[14:15], vcc, v[8:9], v[8:9], v[8:9]
	v_rcp_f64_e32 v[22:23], v[14:15]
	v_fma_f64 v[26:27], -v[14:15], v[22:23], 1.0
	v_fma_f64 v[22:23], v[22:23], v[26:27], v[22:23]
	v_fma_f64 v[26:27], -v[14:15], v[22:23], 1.0
	v_fma_f64 v[22:23], v[22:23], v[26:27], v[22:23]
	v_mul_f64 v[26:27], v[14:15], v[22:23]
	v_fma_f64 v[14:15], -v[14:15], v[26:27], v[14:15]
	v_div_fmas_f64 v[14:15], v[14:15], v[22:23], v[26:27]
	v_div_fixup_f64 v[8:9], v[14:15], v[8:9], v[8:9]
	v_mov_b32_e32 v15, v7
	v_mov_b32_e32 v14, v6
.LBB233_235:                            ;   in Loop: Header=BB233_147 Depth=1
	s_or_b64 exec, exec, s[0:1]
.LBB233_236:                            ;   in Loop: Header=BB233_147 Depth=1
	s_or_b64 exec, exec, s[18:19]
.LBB233_237:                            ;   in Loop: Header=BB233_147 Depth=1
	s_or_b64 exec, exec, s[16:17]
	v_cmp_neq_f64_e32 vcc, 0, v[2:3]
	v_cmp_neq_f64_e64 s[0:1], 0, v[4:5]
	s_or_b64 s[0:1], vcc, s[0:1]
	s_and_saveexec_b64 s[16:17], s[0:1]
	s_cbranch_execz .LBB233_146
; %bb.238:                              ;   in Loop: Header=BB233_147 Depth=1
	v_mov_b32_e32 v10, 0
	v_mov_b32_e32 v11, 0x7ff00000
	v_cmp_neq_f64_e64 s[0:1], |v[4:5]|, v[10:11]
	s_and_saveexec_b64 s[18:19], s[0:1]
	s_cbranch_execz .LBB233_145
; %bb.239:                              ;   in Loop: Header=BB233_147 Depth=1
	v_cmp_o_f64_e32 vcc, v[2:3], v[2:3]
                                        ; implicit-def: $vgpr10_vgpr11
	s_and_saveexec_b64 s[0:1], vcc
	s_xor_b64 s[20:21], exec, s[0:1]
	s_cbranch_execz .LBB233_263
; %bb.240:                              ;   in Loop: Header=BB233_147 Depth=1
	v_cmp_neq_f64_e64 s[0:1], |v[2:3]|, s[8:9]
                                        ; implicit-def: $vgpr10_vgpr11
	s_and_saveexec_b64 s[2:3], s[0:1]
	s_xor_b64 s[22:23], exec, s[2:3]
	s_cbranch_execz .LBB233_256
; %bb.241:                              ;   in Loop: Header=BB233_147 Depth=1
	v_max_f64 v[6:7], |v[4:5]|, |v[4:5]|
	v_max_f64 v[10:11], |v[2:3]|, |v[2:3]|
                                        ; implicit-def: $sgpr24_sgpr25
	v_max_f64 v[6:7], v[10:11], v[6:7]
	v_cmp_nle_f64_e64 s[0:1], s[10:11], v[6:7]
	s_and_saveexec_b64 s[2:3], s[0:1]
	s_xor_b64 s[2:3], exec, s[2:3]
	s_cbranch_execz .LBB233_245
; %bb.242:                              ;   in Loop: Header=BB233_147 Depth=1
	v_cmp_le_f64_e64 s[24:25], |v[2:3]|, s[12:13]
	v_cmp_le_f64_e64 s[26:27], |v[4:5]|, s[12:13]
	s_and_b64 s[34:35], s[24:25], s[26:27]
	s_mov_b64 s[24:25], 0
	s_and_saveexec_b64 s[26:27], s[34:35]
	s_cbranch_execz .LBB233_244
; %bb.243:                              ;   in Loop: Header=BB233_147 Depth=1
	v_mul_f64 v[2:3], v[2:3], 4.0
	v_mul_f64 v[4:5], v[4:5], 4.0
	s_mov_b64 s[24:25], exec
.LBB233_244:                            ;   in Loop: Header=BB233_147 Depth=1
	s_or_b64 exec, exec, s[26:27]
.LBB233_245:                            ;   in Loop: Header=BB233_147 Depth=1
	s_andn2_saveexec_b64 s[2:3], s[2:3]
	s_cbranch_execz .LBB233_247
; %bb.246:                              ;   in Loop: Header=BB233_147 Depth=1
	v_ldexp_f64 v[2:3], v[2:3], -2
	v_ldexp_f64 v[4:5], v[4:5], -2
	s_andn2_b64 s[24:25], s[24:25], exec
.LBB233_247:                            ;   in Loop: Header=BB233_147 Depth=1
	s_or_b64 exec, exec, s[2:3]
	v_max_f64 v[6:7], |v[4:5]|, |v[4:5]|
	v_max_f64 v[10:11], |v[2:3]|, |v[2:3]|
	v_cmp_class_f64_e64 s[26:27], v[2:3], s30
	v_cmp_class_f64_e64 s[34:35], v[4:5], s30
	v_cmp_le_f64_e64 s[2:3], 0, v[2:3]
	v_max_f64 v[6:7], v[10:11], v[6:7]
	v_frexp_exp_i32_f64_e32 v33, v[6:7]
	v_sub_u32_e32 v10, 0, v33
	v_ldexp_f64 v[6:7], |v[4:5]|, v10
	v_ldexp_f64 v[10:11], |v[2:3]|, v10
	v_mul_f64 v[6:7], v[6:7], v[6:7]
	v_fma_f64 v[6:7], v[10:11], v[10:11], v[6:7]
	v_rsq_f64_e32 v[10:11], v[6:7]
	v_cmp_eq_f64_e32 vcc, 0, v[6:7]
	v_mul_f64 v[22:23], v[6:7], v[10:11]
	v_mul_f64 v[10:11], v[10:11], 0.5
	v_fma_f64 v[26:27], -v[10:11], v[22:23], 0.5
	v_fma_f64 v[22:23], v[22:23], v[26:27], v[22:23]
	v_fma_f64 v[10:11], v[10:11], v[26:27], v[10:11]
	v_fma_f64 v[26:27], -v[22:23], v[22:23], v[6:7]
	v_fma_f64 v[10:11], v[26:27], v[10:11], v[22:23]
                                        ; implicit-def: $vgpr22_vgpr23
	v_cndmask_b32_e32 v7, v11, v7, vcc
	v_cndmask_b32_e32 v6, v10, v6, vcc
	v_ldexp_f64 v[6:7], v[6:7], v33
	v_cmp_o_f64_e32 vcc, v[4:5], v[4:5]
	v_cndmask_b32_e32 v6, 0, v6, vcc
	v_cndmask_b32_e32 v7, v29, v7, vcc
	s_or_b64 vcc, s[34:35], s[26:27]
	v_cndmask_b32_e32 v11, v7, v30, vcc
	v_cndmask_b32_e64 v10, v6, 0, vcc
                                        ; implicit-def: $vgpr6_vgpr7
	s_and_saveexec_b64 s[26:27], s[2:3]
	s_xor_b64 s[2:3], exec, s[26:27]
	s_cbranch_execz .LBB233_249
; %bb.248:                              ;   in Loop: Header=BB233_147 Depth=1
	v_add_f64 v[2:3], v[2:3], v[10:11]
	v_mul_f64 v[2:3], v[2:3], 0.5
	v_cmp_gt_f64_e32 vcc, s[14:15], v[2:3]
	v_cndmask_b32_e32 v6, 0, v31, vcc
	v_ldexp_f64 v[2:3], v[2:3], v6
	v_rsq_f64_e32 v[6:7], v[2:3]
	v_mul_f64 v[10:11], v[2:3], v[6:7]
	v_mul_f64 v[6:7], v[6:7], 0.5
	v_fma_f64 v[22:23], -v[6:7], v[10:11], 0.5
	v_fma_f64 v[10:11], v[10:11], v[22:23], v[10:11]
	v_fma_f64 v[6:7], v[6:7], v[22:23], v[6:7]
	v_fma_f64 v[22:23], -v[10:11], v[10:11], v[2:3]
	v_fma_f64 v[10:11], v[22:23], v[6:7], v[10:11]
	v_fma_f64 v[22:23], -v[10:11], v[10:11], v[2:3]
	v_fma_f64 v[6:7], v[22:23], v[6:7], v[10:11]
	v_cndmask_b32_e32 v10, 0, v32, vcc
	v_cmp_class_f64_e32 vcc, v[2:3], v28
	v_ldexp_f64 v[6:7], v[6:7], v10
	v_cndmask_b32_e32 v23, v7, v3, vcc
	v_cndmask_b32_e32 v22, v6, v2, vcc
	v_add_f64 v[2:3], v[22:23], v[22:23]
	v_div_scale_f64 v[6:7], s[26:27], v[2:3], v[2:3], v[4:5]
	v_div_scale_f64 v[33:34], vcc, v[4:5], v[2:3], v[4:5]
	v_rcp_f64_e32 v[10:11], v[6:7]
	v_fma_f64 v[26:27], -v[6:7], v[10:11], 1.0
	v_fma_f64 v[10:11], v[10:11], v[26:27], v[10:11]
	v_fma_f64 v[26:27], -v[6:7], v[10:11], 1.0
	v_fma_f64 v[10:11], v[10:11], v[26:27], v[10:11]
	v_mul_f64 v[26:27], v[33:34], v[10:11]
	v_fma_f64 v[6:7], -v[6:7], v[26:27], v[33:34]
	v_div_fmas_f64 v[6:7], v[6:7], v[10:11], v[26:27]
                                        ; implicit-def: $vgpr10_vgpr11
	v_div_fixup_f64 v[6:7], v[6:7], v[2:3], v[4:5]
                                        ; implicit-def: $vgpr2_vgpr3
	s_andn2_saveexec_b64 s[2:3], s[2:3]
	s_cbranch_execz .LBB233_251
	s_branch .LBB233_250
.LBB233_249:                            ;   in Loop: Header=BB233_147 Depth=1
	s_andn2_saveexec_b64 s[2:3], s[2:3]
	s_cbranch_execz .LBB233_251
.LBB233_250:                            ;   in Loop: Header=BB233_147 Depth=1
	v_add_f64 v[2:3], v[10:11], -v[2:3]
	v_mul_f64 v[2:3], v[2:3], 0.5
	v_cmp_gt_f64_e32 vcc, s[14:15], v[2:3]
	v_cndmask_b32_e32 v6, 0, v31, vcc
	v_ldexp_f64 v[2:3], v[2:3], v6
	v_rsq_f64_e32 v[6:7], v[2:3]
	v_mul_f64 v[10:11], v[2:3], v[6:7]
	v_mul_f64 v[6:7], v[6:7], 0.5
	v_fma_f64 v[22:23], -v[6:7], v[10:11], 0.5
	v_fma_f64 v[10:11], v[10:11], v[22:23], v[10:11]
	v_fma_f64 v[6:7], v[6:7], v[22:23], v[6:7]
	v_fma_f64 v[22:23], -v[10:11], v[10:11], v[2:3]
	v_fma_f64 v[10:11], v[22:23], v[6:7], v[10:11]
	v_fma_f64 v[22:23], -v[10:11], v[10:11], v[2:3]
	v_fma_f64 v[6:7], v[22:23], v[6:7], v[10:11]
	v_cndmask_b32_e32 v10, 0, v32, vcc
	v_cmp_class_f64_e32 vcc, v[2:3], v28
	v_and_b32_e32 v11, 0x7fffffff, v5
	v_ldexp_f64 v[6:7], v[6:7], v10
	v_mov_b32_e32 v10, v4
	v_cndmask_b32_e32 v7, v7, v3, vcc
	v_cndmask_b32_e32 v6, v6, v2, vcc
	v_add_f64 v[2:3], v[6:7], v[6:7]
	v_bfi_b32 v7, s31, v7, v5
	v_div_scale_f64 v[22:23], s[26:27], v[2:3], v[2:3], v[10:11]
	v_div_scale_f64 v[10:11], vcc, v[10:11], v[2:3], v[10:11]
	v_rcp_f64_e32 v[26:27], v[22:23]
	v_fma_f64 v[33:34], -v[22:23], v[26:27], 1.0
	v_fma_f64 v[26:27], v[26:27], v[33:34], v[26:27]
	v_fma_f64 v[33:34], -v[22:23], v[26:27], 1.0
	v_fma_f64 v[26:27], v[26:27], v[33:34], v[26:27]
	v_mul_f64 v[33:34], v[10:11], v[26:27]
	v_fma_f64 v[10:11], -v[22:23], v[33:34], v[10:11]
	v_div_fmas_f64 v[10:11], v[10:11], v[26:27], v[33:34]
	v_div_fixup_f64 v[22:23], v[10:11], v[2:3], |v[4:5]|
.LBB233_251:                            ;   in Loop: Header=BB233_147 Depth=1
	s_or_b64 exec, exec, s[2:3]
                                        ; implicit-def: $vgpr4_vgpr5
                                        ; implicit-def: $vgpr10_vgpr11
	s_and_saveexec_b64 s[2:3], s[0:1]
	s_xor_b64 s[0:1], exec, s[2:3]
	s_cbranch_execz .LBB233_253
; %bb.252:                              ;   in Loop: Header=BB233_147 Depth=1
	v_mul_f64 v[2:3], v[22:23], 0.5
	v_mul_f64 v[4:5], v[6:7], 0.5
	v_cndmask_b32_e64 v11, v23, v3, s[24:25]
	v_cndmask_b32_e64 v10, v22, v2, s[24:25]
	;; [unrolled: 1-line block ×4, first 2 shown]
                                        ; implicit-def: $vgpr22_vgpr23
                                        ; implicit-def: $vgpr6_vgpr7
	s_andn2_saveexec_b64 s[0:1], s[0:1]
	s_cbranch_execnz .LBB233_254
	s_branch .LBB233_255
.LBB233_253:                            ;   in Loop: Header=BB233_147 Depth=1
	s_andn2_saveexec_b64 s[0:1], s[0:1]
	s_cbranch_execz .LBB233_255
.LBB233_254:                            ;   in Loop: Header=BB233_147 Depth=1
	v_add_f64 v[10:11], v[22:23], v[22:23]
	v_add_f64 v[4:5], v[6:7], v[6:7]
.LBB233_255:                            ;   in Loop: Header=BB233_147 Depth=1
	s_or_b64 exec, exec, s[0:1]
.LBB233_256:                            ;   in Loop: Header=BB233_147 Depth=1
	s_andn2_saveexec_b64 s[0:1], s[22:23]
	s_cbranch_execz .LBB233_262
; %bb.257:                              ;   in Loop: Header=BB233_147 Depth=1
	v_add_f64 v[6:7], v[4:5], -v[4:5]
	v_cmp_lt_i64_e32 vcc, -1, v[2:3]
	v_and_b32_e32 v11, 0x7fffffff, v7
	v_mov_b32_e32 v10, v6
	s_and_saveexec_b64 s[2:3], vcc
	s_xor_b64 s[2:3], exec, s[2:3]
; %bb.258:                              ;   in Loop: Header=BB233_147 Depth=1
	v_bfi_b32 v7, s31, v7, v5
	v_mov_b32_e32 v4, v6
	v_mov_b32_e32 v11, v3
	;; [unrolled: 1-line block ×4, first 2 shown]
; %bb.259:                              ;   in Loop: Header=BB233_147 Depth=1
	s_andn2_saveexec_b64 s[2:3], s[2:3]
; %bb.260:                              ;   in Loop: Header=BB233_147 Depth=1
	v_bfi_b32 v3, s31, v3, v5
	v_mov_b32_e32 v5, v3
	v_mov_b32_e32 v4, v2
; %bb.261:                              ;   in Loop: Header=BB233_147 Depth=1
	s_or_b64 exec, exec, s[2:3]
.LBB233_262:                            ;   in Loop: Header=BB233_147 Depth=1
	s_or_b64 exec, exec, s[0:1]
.LBB233_263:                            ;   in Loop: Header=BB233_147 Depth=1
	s_andn2_saveexec_b64 s[0:1], s[20:21]
	s_cbranch_execz .LBB233_144
; %bb.264:                              ;   in Loop: Header=BB233_147 Depth=1
	v_add_f64 v[4:5], v[4:5], -v[4:5]
	v_div_scale_f64 v[6:7], vcc, v[4:5], v[4:5], v[4:5]
	v_rcp_f64_e32 v[10:11], v[6:7]
	v_fma_f64 v[22:23], -v[6:7], v[10:11], 1.0
	v_fma_f64 v[10:11], v[10:11], v[22:23], v[10:11]
	v_fma_f64 v[22:23], -v[6:7], v[10:11], 1.0
	v_fma_f64 v[10:11], v[10:11], v[22:23], v[10:11]
	v_mul_f64 v[22:23], v[6:7], v[10:11]
	v_fma_f64 v[6:7], -v[6:7], v[22:23], v[6:7]
	v_div_fmas_f64 v[6:7], v[6:7], v[10:11], v[22:23]
	v_mov_b32_e32 v11, v3
	v_mov_b32_e32 v10, v2
	v_div_fixup_f64 v[4:5], v[6:7], v[4:5], v[4:5]
	s_branch .LBB233_144
.LBB233_265:
	s_endpgm
	.section	.rodata,"a",@progbits
	.p2align	6, 0x0
	.amdhsa_kernel _ZN2at6native12_GLOBAL__N_125multi_tensor_apply_kernelINS1_18TensorListMetadataILi1EEENS1_14UnaryOpFunctorIN3c107complexIdEELi1ELi1ELi0EEEJNS0_4SqrtIS8_EEEEEvT_T0_DpT1_
		.amdhsa_group_segment_fixed_size 0
		.amdhsa_private_segment_fixed_size 0
		.amdhsa_kernarg_size 3632
		.amdhsa_user_sgpr_count 6
		.amdhsa_user_sgpr_private_segment_buffer 1
		.amdhsa_user_sgpr_dispatch_ptr 0
		.amdhsa_user_sgpr_queue_ptr 0
		.amdhsa_user_sgpr_kernarg_segment_ptr 1
		.amdhsa_user_sgpr_dispatch_id 0
		.amdhsa_user_sgpr_flat_scratch_init 0
		.amdhsa_user_sgpr_private_segment_size 0
		.amdhsa_uses_dynamic_stack 0
		.amdhsa_system_sgpr_private_segment_wavefront_offset 0
		.amdhsa_system_sgpr_workgroup_id_x 1
		.amdhsa_system_sgpr_workgroup_id_y 0
		.amdhsa_system_sgpr_workgroup_id_z 0
		.amdhsa_system_sgpr_workgroup_info 0
		.amdhsa_system_vgpr_workitem_id 0
		.amdhsa_next_free_vgpr 46
		.amdhsa_next_free_sgpr 56
		.amdhsa_reserve_vcc 1
		.amdhsa_reserve_flat_scratch 0
		.amdhsa_float_round_mode_32 0
		.amdhsa_float_round_mode_16_64 0
		.amdhsa_float_denorm_mode_32 3
		.amdhsa_float_denorm_mode_16_64 3
		.amdhsa_dx10_clamp 1
		.amdhsa_ieee_mode 1
		.amdhsa_fp16_overflow 0
		.amdhsa_exception_fp_ieee_invalid_op 0
		.amdhsa_exception_fp_denorm_src 0
		.amdhsa_exception_fp_ieee_div_zero 0
		.amdhsa_exception_fp_ieee_overflow 0
		.amdhsa_exception_fp_ieee_underflow 0
		.amdhsa_exception_fp_ieee_inexact 0
		.amdhsa_exception_int_div_zero 0
	.end_amdhsa_kernel
	.section	.text._ZN2at6native12_GLOBAL__N_125multi_tensor_apply_kernelINS1_18TensorListMetadataILi1EEENS1_14UnaryOpFunctorIN3c107complexIdEELi1ELi1ELi0EEEJNS0_4SqrtIS8_EEEEEvT_T0_DpT1_,"axG",@progbits,_ZN2at6native12_GLOBAL__N_125multi_tensor_apply_kernelINS1_18TensorListMetadataILi1EEENS1_14UnaryOpFunctorIN3c107complexIdEELi1ELi1ELi0EEEJNS0_4SqrtIS8_EEEEEvT_T0_DpT1_,comdat
.Lfunc_end233:
	.size	_ZN2at6native12_GLOBAL__N_125multi_tensor_apply_kernelINS1_18TensorListMetadataILi1EEENS1_14UnaryOpFunctorIN3c107complexIdEELi1ELi1ELi0EEEJNS0_4SqrtIS8_EEEEEvT_T0_DpT1_, .Lfunc_end233-_ZN2at6native12_GLOBAL__N_125multi_tensor_apply_kernelINS1_18TensorListMetadataILi1EEENS1_14UnaryOpFunctorIN3c107complexIdEELi1ELi1ELi0EEEJNS0_4SqrtIS8_EEEEEvT_T0_DpT1_
                                        ; -- End function
	.set _ZN2at6native12_GLOBAL__N_125multi_tensor_apply_kernelINS1_18TensorListMetadataILi1EEENS1_14UnaryOpFunctorIN3c107complexIdEELi1ELi1ELi0EEEJNS0_4SqrtIS8_EEEEEvT_T0_DpT1_.num_vgpr, 46
	.set _ZN2at6native12_GLOBAL__N_125multi_tensor_apply_kernelINS1_18TensorListMetadataILi1EEENS1_14UnaryOpFunctorIN3c107complexIdEELi1ELi1ELi0EEEJNS0_4SqrtIS8_EEEEEvT_T0_DpT1_.num_agpr, 0
	.set _ZN2at6native12_GLOBAL__N_125multi_tensor_apply_kernelINS1_18TensorListMetadataILi1EEENS1_14UnaryOpFunctorIN3c107complexIdEELi1ELi1ELi0EEEJNS0_4SqrtIS8_EEEEEvT_T0_DpT1_.numbered_sgpr, 56
	.set _ZN2at6native12_GLOBAL__N_125multi_tensor_apply_kernelINS1_18TensorListMetadataILi1EEENS1_14UnaryOpFunctorIN3c107complexIdEELi1ELi1ELi0EEEJNS0_4SqrtIS8_EEEEEvT_T0_DpT1_.num_named_barrier, 0
	.set _ZN2at6native12_GLOBAL__N_125multi_tensor_apply_kernelINS1_18TensorListMetadataILi1EEENS1_14UnaryOpFunctorIN3c107complexIdEELi1ELi1ELi0EEEJNS0_4SqrtIS8_EEEEEvT_T0_DpT1_.private_seg_size, 0
	.set _ZN2at6native12_GLOBAL__N_125multi_tensor_apply_kernelINS1_18TensorListMetadataILi1EEENS1_14UnaryOpFunctorIN3c107complexIdEELi1ELi1ELi0EEEJNS0_4SqrtIS8_EEEEEvT_T0_DpT1_.uses_vcc, 1
	.set _ZN2at6native12_GLOBAL__N_125multi_tensor_apply_kernelINS1_18TensorListMetadataILi1EEENS1_14UnaryOpFunctorIN3c107complexIdEELi1ELi1ELi0EEEJNS0_4SqrtIS8_EEEEEvT_T0_DpT1_.uses_flat_scratch, 0
	.set _ZN2at6native12_GLOBAL__N_125multi_tensor_apply_kernelINS1_18TensorListMetadataILi1EEENS1_14UnaryOpFunctorIN3c107complexIdEELi1ELi1ELi0EEEJNS0_4SqrtIS8_EEEEEvT_T0_DpT1_.has_dyn_sized_stack, 0
	.set _ZN2at6native12_GLOBAL__N_125multi_tensor_apply_kernelINS1_18TensorListMetadataILi1EEENS1_14UnaryOpFunctorIN3c107complexIdEELi1ELi1ELi0EEEJNS0_4SqrtIS8_EEEEEvT_T0_DpT1_.has_recursion, 0
	.set _ZN2at6native12_GLOBAL__N_125multi_tensor_apply_kernelINS1_18TensorListMetadataILi1EEENS1_14UnaryOpFunctorIN3c107complexIdEELi1ELi1ELi0EEEJNS0_4SqrtIS8_EEEEEvT_T0_DpT1_.has_indirect_call, 0
	.section	.AMDGPU.csdata,"",@progbits
; Kernel info:
; codeLenInByte = 11212
; TotalNumSgprs: 60
; NumVgprs: 46
; ScratchSize: 0
; MemoryBound: 1
; FloatMode: 240
; IeeeMode: 1
; LDSByteSize: 0 bytes/workgroup (compile time only)
; SGPRBlocks: 7
; VGPRBlocks: 11
; NumSGPRsForWavesPerEU: 60
; NumVGPRsForWavesPerEU: 46
; Occupancy: 5
; WaveLimiterHint : 0
; COMPUTE_PGM_RSRC2:SCRATCH_EN: 0
; COMPUTE_PGM_RSRC2:USER_SGPR: 6
; COMPUTE_PGM_RSRC2:TRAP_HANDLER: 0
; COMPUTE_PGM_RSRC2:TGID_X_EN: 1
; COMPUTE_PGM_RSRC2:TGID_Y_EN: 0
; COMPUTE_PGM_RSRC2:TGID_Z_EN: 0
; COMPUTE_PGM_RSRC2:TIDIG_COMP_CNT: 0
	.section	.text._ZN2at6native12_GLOBAL__N_125multi_tensor_apply_kernelINS1_18TensorListMetadataILi1EEENS1_14UnaryOpFunctorIN3c107complexIfEELi1ELi1ELi0EEEJNS0_4SqrtIS8_EEEEEvT_T0_DpT1_,"axG",@progbits,_ZN2at6native12_GLOBAL__N_125multi_tensor_apply_kernelINS1_18TensorListMetadataILi1EEENS1_14UnaryOpFunctorIN3c107complexIfEELi1ELi1ELi0EEEJNS0_4SqrtIS8_EEEEEvT_T0_DpT1_,comdat
	.globl	_ZN2at6native12_GLOBAL__N_125multi_tensor_apply_kernelINS1_18TensorListMetadataILi1EEENS1_14UnaryOpFunctorIN3c107complexIfEELi1ELi1ELi0EEEJNS0_4SqrtIS8_EEEEEvT_T0_DpT1_ ; -- Begin function _ZN2at6native12_GLOBAL__N_125multi_tensor_apply_kernelINS1_18TensorListMetadataILi1EEENS1_14UnaryOpFunctorIN3c107complexIfEELi1ELi1ELi0EEEJNS0_4SqrtIS8_EEEEEvT_T0_DpT1_
	.p2align	8
	.type	_ZN2at6native12_GLOBAL__N_125multi_tensor_apply_kernelINS1_18TensorListMetadataILi1EEENS1_14UnaryOpFunctorIN3c107complexIfEELi1ELi1ELi0EEEJNS0_4SqrtIS8_EEEEEvT_T0_DpT1_,@function
_ZN2at6native12_GLOBAL__N_125multi_tensor_apply_kernelINS1_18TensorListMetadataILi1EEENS1_14UnaryOpFunctorIN3c107complexIfEELi1ELi1ELi0EEEJNS0_4SqrtIS8_EEEEEvT_T0_DpT1_: ; @_ZN2at6native12_GLOBAL__N_125multi_tensor_apply_kernelINS1_18TensorListMetadataILi1EEENS1_14UnaryOpFunctorIN3c107complexIfEELi1ELi1ELi0EEEJNS0_4SqrtIS8_EEEEEvT_T0_DpT1_
; %bb.0:
	v_mov_b32_e32 v1, s6
	global_load_ubyte v1, v1, s[4:5] offset:1760
	s_add_u32 s0, s4, s6
	s_mul_hi_u32 s1, s6, 3
	s_mul_i32 s6, s6, 3
	s_addc_u32 s2, s5, 0
	s_add_u32 s0, s0, s6
	s_addc_u32 s1, s2, s1
	s_load_dword s0, s[0:1], 0x820
	s_mov_b32 s7, 0
	s_waitcnt vmcnt(0)
	v_readfirstlane_b32 s1, v1
	s_lshl_b32 s1, s1, 3
	s_load_dwordx2 s[14:15], s[4:5], s1 offset:0x0
	s_load_dwordx2 s[2:3], s[4:5], s1 offset:0x370
	s_waitcnt lgkmcnt(0)
	s_ashr_i32 s1, s0, 31
	s_lshl_b64 s[16:17], s[0:1], 19
	s_add_u32 s33, s14, s16
	s_addc_u32 s40, s15, s17
	s_lshl_b64 s[0:1], s[0:1], 16
	s_and_b32 s6, s33, 31
	s_sub_u32 s18, s2, s0
	s_subb_u32 s19, s3, s1
	s_and_b32 s0, s2, 3
	s_mov_b32 s1, s7
	s_or_b64 s[0:1], s[6:7], s[0:1]
	s_cmp_eq_u64 s[0:1], 0
	s_cbranch_scc1 .LBB234_141
; %bb.1:
	v_cmp_lt_i64_e64 s[0:1], s[18:19], 1
	s_and_b64 vcc, exec, s[0:1]
	s_cbranch_vccnz .LBB234_140
; %bb.2:
	v_mov_b32_e32 v3, 0x10000
	s_load_dword s2, s[4:5], 0xd3c
	v_mov_b32_e32 v4, 0
	v_cmp_lt_i64_e32 vcc, s[18:19], v[3:4]
	v_mov_b32_e32 v2, 0
	s_and_b64 s[0:1], vcc, exec
	v_cmp_lt_u64_e32 vcc, s[18:19], v[3:4]
	s_cselect_b32 s21, s19, 0
	s_cselect_b32 s20, s18, 0x10000
	s_waitcnt lgkmcnt(0)
	s_and_b32 s2, s2, 0xffff
	s_and_b64 s[0:1], vcc, exec
	s_mul_i32 s6, s2, 3
	v_add_co_u32_e32 v16, vcc, s2, v0
	v_lshlrev_b32_e32 v1, 3, v0
	v_addc_co_u32_e64 v17, s[0:1], 0, 0, vcc
	v_add_co_u32_e32 v18, vcc, s6, v0
	v_mad_u64_u32 v[2:3], s[0:1], s2, 24, v[1:2]
	v_addc_co_u32_e64 v19, s[0:1], 0, 0, vcc
	s_cselect_b32 s23, s19, 0
	s_cselect_b32 s22, s18, 0x10000
	s_lshl_b32 s0, s2, 4
	s_lshl_b32 s3, s2, 1
	v_add_co_u32_e32 v4, vcc, s0, v1
	v_addc_co_u32_e64 v21, s[0:1], 0, 0, vcc
	v_add_co_u32_e32 v23, vcc, s3, v0
	s_lshl_b32 s41, s2, 2
	s_lshl_b32 s42, s2, 5
	v_or_b32_e32 v2, 4, v2
	v_lshlrev_b32_e32 v20, 3, v16
	v_or_b32_e32 v22, 4, v4
	v_addc_co_u32_e64 v24, s[0:1], 0, 0, vcc
	s_mov_b64 s[24:25], 0
	s_mov_b32 s43, 0x7f800000
	s_mov_b32 s44, 0x7ed413cb
	;; [unrolled: 1-line block ×4, first 2 shown]
	v_mov_b32_e32 v25, 0x260
	s_brev_b32 s47, -2
	v_mov_b32_e32 v26, 0x7f800000
	s_branch .LBB234_4
.LBB234_3:                              ;   in Loop: Header=BB234_4 Depth=1
	s_or_b64 exec, exec, s[0:1]
	s_add_u32 s24, s24, s41
	v_mov_b32_e32 v4, s20
	s_addc_u32 s25, s25, 0
	v_mov_b32_e32 v5, s21
	v_cmp_ge_i64_e32 vcc, s[24:25], v[4:5]
	s_add_u32 s33, s33, s42
	s_addc_u32 s40, s40, 0
	s_cbranch_vccnz .LBB234_140
.LBB234_4:                              ; =>This Inner Loop Header: Depth=1
	v_mov_b32_e32 v5, s25
	v_add_co_u32_e32 v4, vcc, s24, v0
	v_addc_co_u32_e32 v5, vcc, 0, v5, vcc
	v_cmp_gt_u64_e64 s[0:1], s[22:23], v[4:5]
	v_mov_b32_e32 v7, 0
	v_mov_b32_e32 v6, 0
	s_and_saveexec_b64 s[2:3], s[0:1]
	s_cbranch_execz .LBB234_6
; %bb.5:                                ;   in Loop: Header=BB234_4 Depth=1
	v_mov_b32_e32 v5, s40
	v_add_co_u32_e32 v4, vcc, s33, v1
	v_addc_co_u32_e32 v5, vcc, 0, v5, vcc
	global_load_dwordx2 v[6:7], v[4:5], off
.LBB234_6:                              ;   in Loop: Header=BB234_4 Depth=1
	s_or_b64 exec, exec, s[2:3]
	v_mov_b32_e32 v5, s25
	v_add_co_u32_e32 v4, vcc, s24, v16
	v_addc_co_u32_e32 v5, vcc, v17, v5, vcc
	v_cmp_gt_u64_e64 s[2:3], s[22:23], v[4:5]
	v_mov_b32_e32 v5, 0
	v_mov_b32_e32 v9, 0
	;; [unrolled: 1-line block ×3, first 2 shown]
	s_and_saveexec_b64 s[6:7], s[2:3]
	s_cbranch_execz .LBB234_8
; %bb.7:                                ;   in Loop: Header=BB234_4 Depth=1
	v_mov_b32_e32 v4, s40
	v_add_co_u32_e32 v8, vcc, s33, v20
	v_addc_co_u32_e32 v9, vcc, 0, v4, vcc
	global_load_dwordx2 v[8:9], v[8:9], off
.LBB234_8:                              ;   in Loop: Header=BB234_4 Depth=1
	s_or_b64 exec, exec, s[6:7]
	v_mov_b32_e32 v4, s25
	v_add_co_u32_e32 v10, vcc, s24, v23
	v_addc_co_u32_e32 v11, vcc, v24, v4, vcc
	v_cmp_gt_u64_e64 s[6:7], s[22:23], v[10:11]
	v_mov_b32_e32 v4, 0
	s_and_saveexec_b64 s[8:9], s[6:7]
	s_cbranch_execz .LBB234_10
; %bb.9:                                ;   in Loop: Header=BB234_4 Depth=1
	v_mov_b32_e32 v5, s40
	v_add_co_u32_e32 v4, vcc, s33, v22
	v_addc_co_u32_e32 v5, vcc, v5, v21, vcc
	global_load_dwordx2 v[4:5], v[4:5], off offset:-4
.LBB234_10:                             ;   in Loop: Header=BB234_4 Depth=1
	s_or_b64 exec, exec, s[8:9]
	v_mov_b32_e32 v11, s25
	v_add_co_u32_e32 v10, vcc, s24, v18
	v_addc_co_u32_e32 v11, vcc, v19, v11, vcc
	v_cmp_gt_u64_e64 s[8:9], s[22:23], v[10:11]
	v_mov_b32_e32 v12, 0
	v_mov_b32_e32 v11, 0
	;; [unrolled: 1-line block ×3, first 2 shown]
	s_and_saveexec_b64 s[10:11], s[8:9]
	s_cbranch_execz .LBB234_12
; %bb.11:                               ;   in Loop: Header=BB234_4 Depth=1
	v_mov_b32_e32 v11, s40
	v_add_co_u32_e32 v10, vcc, s33, v2
	v_addc_co_u32_e32 v11, vcc, v11, v3, vcc
	global_load_dwordx2 v[10:11], v[10:11], off offset:-4
.LBB234_12:                             ;   in Loop: Header=BB234_4 Depth=1
	s_or_b64 exec, exec, s[10:11]
	s_waitcnt vmcnt(0)
	v_cmp_neq_f32_e32 vcc, 0, v6
	v_cmp_neq_f32_e64 s[10:11], 0, v7
	s_or_b64 s[10:11], vcc, s[10:11]
	s_and_saveexec_b64 s[26:27], s[10:11]
	s_cbranch_execz .LBB234_41
; %bb.13:                               ;   in Loop: Header=BB234_4 Depth=1
	v_mov_b32_e32 v12, 0x7f800000
	v_cmp_neq_f32_e64 s[10:11], |v7|, v12
	s_and_saveexec_b64 s[28:29], s[10:11]
	s_cbranch_execz .LBB234_40
; %bb.14:                               ;   in Loop: Header=BB234_4 Depth=1
	v_cmp_o_f32_e32 vcc, v6, v6
                                        ; implicit-def: $vgpr12
	s_and_saveexec_b64 s[10:11], vcc
	s_xor_b64 s[30:31], exec, s[10:11]
	s_cbranch_execz .LBB234_37
; %bb.15:                               ;   in Loop: Header=BB234_4 Depth=1
	v_cmp_neq_f32_e64 s[10:11], |v6|, s43
                                        ; implicit-def: $vgpr12
	s_and_saveexec_b64 s[12:13], s[10:11]
	s_xor_b64 s[34:35], exec, s[12:13]
	s_cbranch_execz .LBB234_31
; %bb.16:                               ;   in Loop: Header=BB234_4 Depth=1
	v_max_f32_e64 v12, |v6|, |v6|
	v_max_f32_e64 v13, |v7|, |v7|
	v_max_f32_e32 v12, v13, v12
	v_cmp_nle_f32_e64 s[10:11], s44, v12
                                        ; implicit-def: $sgpr36_sgpr37
	s_and_saveexec_b64 s[12:13], s[10:11]
	s_xor_b64 s[12:13], exec, s[12:13]
	s_cbranch_execz .LBB234_20
; %bb.17:                               ;   in Loop: Header=BB234_4 Depth=1
	v_cmp_le_f32_e64 s[36:37], |v6|, s45
	v_cmp_le_f32_e64 s[38:39], |v7|, s45
	s_and_b64 s[48:49], s[38:39], s[36:37]
	s_mov_b64 s[36:37], 0
	s_and_saveexec_b64 s[38:39], s[48:49]
; %bb.18:                               ;   in Loop: Header=BB234_4 Depth=1
	s_mov_b64 s[36:37], exec
	v_mul_f32_e32 v6, 4.0, v6
	v_mul_f32_e32 v7, 4.0, v7
; %bb.19:                               ;   in Loop: Header=BB234_4 Depth=1
	s_or_b64 exec, exec, s[38:39]
.LBB234_20:                             ;   in Loop: Header=BB234_4 Depth=1
	s_andn2_saveexec_b64 s[12:13], s[12:13]
; %bb.21:                               ;   in Loop: Header=BB234_4 Depth=1
	v_mul_f32_e32 v6, 0x3e800000, v6
	v_mul_f32_e32 v7, 0x3e800000, v7
	s_andn2_b64 s[36:37], s[36:37], exec
; %bb.22:                               ;   in Loop: Header=BB234_4 Depth=1
	s_or_b64 exec, exec, s[12:13]
	v_max_f32_e64 v12, |v7|, |v7|
	v_max_f32_e64 v13, |v6|, |v6|
	v_max_f32_e32 v14, v13, v12
	v_cvt_f64_f32_e32 v[12:13], v14
	v_cmp_neq_f32_e64 s[12:13], s43, v14
	v_cmp_le_f32_e32 vcc, 0, v6
                                        ; implicit-def: $vgpr14
	v_frexp_exp_i32_f64_e32 v12, v[12:13]
	v_sub_u32_e32 v13, 0, v12
	v_ldexp_f32 v15, |v6|, v13
	v_ldexp_f32 v13, |v7|, v13
	v_mul_f32_e32 v13, v13, v13
	v_fmac_f32_e32 v13, v15, v15
	v_sqrt_f32_e32 v13, v13
	v_ldexp_f32 v12, v13, v12
	v_cndmask_b32_e64 v12, v26, v12, s[12:13]
                                        ; implicit-def: $vgpr13
	s_and_saveexec_b64 s[12:13], vcc
	s_xor_b64 s[38:39], exec, s[12:13]
	s_cbranch_execz .LBB234_24
; %bb.23:                               ;   in Loop: Header=BB234_4 Depth=1
	v_add_f32_e32 v6, v6, v12
	v_mul_f32_e32 v6, 0.5, v6
	v_mul_f32_e32 v12, 0x4f800000, v6
	v_cmp_gt_f32_e32 vcc, s46, v6
	v_cndmask_b32_e32 v6, v6, v12, vcc
	v_sqrt_f32_e32 v12, v6
	v_add_u32_e32 v13, -1, v12
	v_fma_f32 v15, -v13, v12, v6
	v_add_u32_e32 v14, 1, v12
	v_cmp_ge_f32_e64 s[12:13], 0, v15
	v_cndmask_b32_e64 v13, v12, v13, s[12:13]
	v_fma_f32 v12, -v14, v12, v6
	v_cmp_lt_f32_e64 s[12:13], 0, v12
	v_cndmask_b32_e64 v12, v13, v14, s[12:13]
	v_mul_f32_e32 v13, 0x37800000, v12
	v_cndmask_b32_e32 v12, v12, v13, vcc
	v_cmp_class_f32_e32 vcc, v6, v25
	v_cndmask_b32_e32 v13, v12, v6, vcc
	v_add_f32_e32 v6, v13, v13
	v_div_scale_f32 v12, s[12:13], v6, v6, v7
	v_div_scale_f32 v14, vcc, v7, v6, v7
	v_rcp_f32_e32 v15, v12
	v_fma_f32 v27, -v12, v15, 1.0
	v_fmac_f32_e32 v15, v27, v15
	v_mul_f32_e32 v27, v14, v15
	v_fma_f32 v28, -v12, v27, v14
	v_fmac_f32_e32 v27, v28, v15
	v_fma_f32 v12, -v12, v27, v14
	v_div_fmas_f32 v12, v12, v15, v27
	v_div_fixup_f32 v14, v12, v6, v7
                                        ; implicit-def: $vgpr12
                                        ; implicit-def: $vgpr6
	s_andn2_saveexec_b64 s[38:39], s[38:39]
	s_cbranch_execz .LBB234_26
	s_branch .LBB234_25
.LBB234_24:                             ;   in Loop: Header=BB234_4 Depth=1
	s_andn2_saveexec_b64 s[38:39], s[38:39]
	s_cbranch_execz .LBB234_26
.LBB234_25:                             ;   in Loop: Header=BB234_4 Depth=1
	v_sub_f32_e32 v6, v12, v6
	v_mul_f32_e32 v6, 0.5, v6
	v_mul_f32_e32 v12, 0x4f800000, v6
	v_cmp_gt_f32_e32 vcc, s46, v6
	v_cndmask_b32_e32 v6, v6, v12, vcc
	v_sqrt_f32_e32 v12, v6
	v_add_u32_e32 v13, -1, v12
	v_fma_f32 v15, -v13, v12, v6
	v_add_u32_e32 v14, 1, v12
	v_cmp_ge_f32_e64 s[12:13], 0, v15
	v_cndmask_b32_e64 v13, v12, v13, s[12:13]
	v_fma_f32 v12, -v14, v12, v6
	v_cmp_lt_f32_e64 s[12:13], 0, v12
	v_cndmask_b32_e64 v12, v13, v14, s[12:13]
	v_mul_f32_e32 v13, 0x37800000, v12
	v_cndmask_b32_e32 v12, v12, v13, vcc
	v_cmp_class_f32_e32 vcc, v6, v25
	v_cndmask_b32_e32 v6, v12, v6, vcc
	v_add_f32_e32 v12, v6, v6
	v_and_b32_e32 v13, 0x7fffffff, v7
	v_div_scale_f32 v14, s[12:13], v12, v12, v13
	v_div_scale_f32 v13, vcc, v13, v12, v13
	v_rcp_f32_e32 v15, v14
	v_fma_f32 v27, -v14, v15, 1.0
	v_fmac_f32_e32 v15, v27, v15
	v_mul_f32_e32 v27, v13, v15
	v_fma_f32 v28, -v14, v27, v13
	v_fmac_f32_e32 v27, v28, v15
	v_fma_f32 v13, -v14, v27, v13
	v_div_fmas_f32 v13, v13, v15, v27
	v_bfi_b32 v14, s47, v6, v7
	v_div_fixup_f32 v13, v13, v12, |v7|
.LBB234_26:                             ;   in Loop: Header=BB234_4 Depth=1
	s_or_b64 exec, exec, s[38:39]
                                        ; implicit-def: $vgpr7
                                        ; implicit-def: $vgpr12
	s_and_saveexec_b64 s[12:13], s[10:11]
	s_xor_b64 s[10:11], exec, s[12:13]
	s_cbranch_execz .LBB234_28
; %bb.27:                               ;   in Loop: Header=BB234_4 Depth=1
	v_mul_f32_e32 v6, 0.5, v13
	v_mul_f32_e32 v7, 0.5, v14
	v_cndmask_b32_e64 v12, v13, v6, s[36:37]
	v_cndmask_b32_e64 v7, v14, v7, s[36:37]
                                        ; implicit-def: $vgpr13
                                        ; implicit-def: $vgpr14
	s_andn2_saveexec_b64 s[10:11], s[10:11]
	s_cbranch_execnz .LBB234_29
	s_branch .LBB234_30
.LBB234_28:                             ;   in Loop: Header=BB234_4 Depth=1
	s_andn2_saveexec_b64 s[10:11], s[10:11]
.LBB234_29:                             ;   in Loop: Header=BB234_4 Depth=1
	v_add_f32_e32 v12, v13, v13
	v_add_f32_e32 v7, v14, v14
.LBB234_30:                             ;   in Loop: Header=BB234_4 Depth=1
	s_or_b64 exec, exec, s[10:11]
.LBB234_31:                             ;   in Loop: Header=BB234_4 Depth=1
	s_andn2_saveexec_b64 s[10:11], s[34:35]
	s_cbranch_execz .LBB234_53
; %bb.32:                               ;   in Loop: Header=BB234_4 Depth=1
	v_sub_f32_e32 v13, v7, v7
	v_cmp_lt_i32_e32 vcc, -1, v6
	v_and_b32_e32 v12, 0x7fffffff, v13
	s_and_saveexec_b64 s[12:13], vcc
	s_xor_b64 s[12:13], exec, s[12:13]
; %bb.33:                               ;   in Loop: Header=BB234_4 Depth=1
	v_bfi_b32 v7, s47, v13, v7
	v_mov_b32_e32 v12, v6
; %bb.34:                               ;   in Loop: Header=BB234_4 Depth=1
	s_andn2_saveexec_b64 s[12:13], s[12:13]
; %bb.35:                               ;   in Loop: Header=BB234_4 Depth=1
	v_bfi_b32 v7, s47, v6, v7
; %bb.36:                               ;   in Loop: Header=BB234_4 Depth=1
	s_or_b64 exec, exec, s[12:13]
	s_or_b64 exec, exec, s[10:11]
.LBB234_37:                             ;   in Loop: Header=BB234_4 Depth=1
	s_andn2_saveexec_b64 s[10:11], s[30:31]
	s_cbranch_execz .LBB234_39
.LBB234_38:                             ;   in Loop: Header=BB234_4 Depth=1
	v_sub_f32_e32 v7, v7, v7
	v_div_scale_f32 v12, vcc, v7, v7, v7
	v_rcp_f32_e32 v13, v12
	v_fma_f32 v14, -v12, v13, 1.0
	v_fmac_f32_e32 v13, v14, v13
	v_mul_f32_e32 v14, v12, v13
	v_fma_f32 v15, -v12, v14, v12
	v_fmac_f32_e32 v14, v15, v13
	v_fma_f32 v12, -v12, v14, v12
	v_div_fmas_f32 v12, v12, v13, v14
	v_div_fixup_f32 v7, v12, v7, v7
	v_mov_b32_e32 v12, v6
.LBB234_39:                             ;   in Loop: Header=BB234_4 Depth=1
	s_or_b64 exec, exec, s[10:11]
.LBB234_40:                             ;   in Loop: Header=BB234_4 Depth=1
	s_or_b64 exec, exec, s[28:29]
.LBB234_41:                             ;   in Loop: Header=BB234_4 Depth=1
	s_or_b64 exec, exec, s[26:27]
	v_cmp_neq_f32_e32 vcc, 0, v8
	v_cmp_neq_f32_e64 s[10:11], 0, v9
	v_mov_b32_e32 v6, 0
	s_or_b64 s[10:11], vcc, s[10:11]
	v_mov_b32_e32 v14, 0
	s_and_saveexec_b64 s[26:27], s[10:11]
	s_cbranch_execz .LBB234_72
; %bb.42:                               ;   in Loop: Header=BB234_4 Depth=1
	v_mov_b32_e32 v14, 0x7f800000
	v_cmp_neq_f32_e64 s[10:11], |v9|, v14
	s_and_saveexec_b64 s[28:29], s[10:11]
	s_cbranch_execz .LBB234_71
; %bb.43:                               ;   in Loop: Header=BB234_4 Depth=1
	v_cmp_o_f32_e32 vcc, v8, v8
                                        ; implicit-def: $vgpr14
	s_and_saveexec_b64 s[10:11], vcc
	s_xor_b64 s[30:31], exec, s[10:11]
	s_cbranch_execz .LBB234_68
; %bb.44:                               ;   in Loop: Header=BB234_4 Depth=1
	v_cmp_neq_f32_e64 s[10:11], |v8|, s43
                                        ; implicit-def: $vgpr14
	s_and_saveexec_b64 s[12:13], s[10:11]
	s_xor_b64 s[34:35], exec, s[12:13]
	s_cbranch_execz .LBB234_61
; %bb.45:                               ;   in Loop: Header=BB234_4 Depth=1
	v_max_f32_e64 v13, |v8|, |v8|
	v_max_f32_e64 v14, |v9|, |v9|
	v_max_f32_e32 v13, v14, v13
	v_cmp_nle_f32_e64 s[10:11], s44, v13
                                        ; implicit-def: $sgpr36_sgpr37
	s_and_saveexec_b64 s[12:13], s[10:11]
	s_xor_b64 s[12:13], exec, s[12:13]
	s_cbranch_execz .LBB234_49
; %bb.46:                               ;   in Loop: Header=BB234_4 Depth=1
	v_cmp_le_f32_e64 s[36:37], |v8|, s45
	v_cmp_le_f32_e64 s[38:39], |v9|, s45
	s_and_b64 s[48:49], s[38:39], s[36:37]
	s_mov_b64 s[36:37], 0
	s_and_saveexec_b64 s[38:39], s[48:49]
; %bb.47:                               ;   in Loop: Header=BB234_4 Depth=1
	s_mov_b64 s[36:37], exec
	v_mul_f32_e32 v8, 4.0, v8
	v_mul_f32_e32 v9, 4.0, v9
; %bb.48:                               ;   in Loop: Header=BB234_4 Depth=1
	s_or_b64 exec, exec, s[38:39]
.LBB234_49:                             ;   in Loop: Header=BB234_4 Depth=1
	s_andn2_saveexec_b64 s[12:13], s[12:13]
; %bb.50:                               ;   in Loop: Header=BB234_4 Depth=1
	v_mul_f32_e32 v8, 0x3e800000, v8
	v_mul_f32_e32 v9, 0x3e800000, v9
	s_andn2_b64 s[36:37], s[36:37], exec
; %bb.51:                               ;   in Loop: Header=BB234_4 Depth=1
	s_or_b64 exec, exec, s[12:13]
	v_max_f32_e64 v13, |v9|, |v9|
	v_max_f32_e64 v14, |v8|, |v8|
	v_max_f32_e32 v15, v14, v13
	v_cvt_f64_f32_e32 v[13:14], v15
	v_cmp_neq_f32_e64 s[12:13], s43, v15
	v_cmp_le_f32_e32 vcc, 0, v8
                                        ; implicit-def: $vgpr15
	v_frexp_exp_i32_f64_e32 v13, v[13:14]
	v_sub_u32_e32 v14, 0, v13
	v_ldexp_f32 v27, |v8|, v14
	v_ldexp_f32 v14, |v9|, v14
	v_mul_f32_e32 v14, v14, v14
	v_fmac_f32_e32 v14, v27, v27
	v_sqrt_f32_e32 v14, v14
	v_ldexp_f32 v13, v14, v13
	v_cndmask_b32_e64 v14, v26, v13, s[12:13]
                                        ; implicit-def: $vgpr13
	s_and_saveexec_b64 s[12:13], vcc
	s_xor_b64 s[38:39], exec, s[12:13]
	s_cbranch_execz .LBB234_54
; %bb.52:                               ;   in Loop: Header=BB234_4 Depth=1
	v_add_f32_e32 v8, v8, v14
	v_mul_f32_e32 v8, 0.5, v8
	v_mul_f32_e32 v13, 0x4f800000, v8
	v_cmp_gt_f32_e32 vcc, s46, v8
	v_cndmask_b32_e32 v8, v8, v13, vcc
	v_sqrt_f32_e32 v13, v8
	v_add_u32_e32 v14, -1, v13
	v_fma_f32 v27, -v14, v13, v8
	v_add_u32_e32 v15, 1, v13
	v_cmp_ge_f32_e64 s[12:13], 0, v27
	v_cndmask_b32_e64 v14, v13, v14, s[12:13]
	v_fma_f32 v13, -v15, v13, v8
	v_cmp_lt_f32_e64 s[12:13], 0, v13
	v_cndmask_b32_e64 v13, v14, v15, s[12:13]
	v_mul_f32_e32 v14, 0x37800000, v13
	v_cndmask_b32_e32 v13, v13, v14, vcc
	v_cmp_class_f32_e32 vcc, v8, v25
	v_cndmask_b32_e32 v13, v13, v8, vcc
	v_add_f32_e32 v8, v13, v13
	v_div_scale_f32 v14, s[12:13], v8, v8, v9
	v_div_scale_f32 v15, vcc, v9, v8, v9
	v_rcp_f32_e32 v27, v14
	v_fma_f32 v28, -v14, v27, 1.0
	v_fmac_f32_e32 v27, v28, v27
	v_mul_f32_e32 v28, v15, v27
	v_fma_f32 v29, -v14, v28, v15
	v_fmac_f32_e32 v28, v29, v27
	v_fma_f32 v14, -v14, v28, v15
	v_div_fmas_f32 v14, v14, v27, v28
	v_div_fixup_f32 v15, v14, v8, v9
                                        ; implicit-def: $vgpr14
                                        ; implicit-def: $vgpr8
	s_andn2_saveexec_b64 s[38:39], s[38:39]
	s_cbranch_execz .LBB234_56
	s_branch .LBB234_55
.LBB234_53:                             ;   in Loop: Header=BB234_4 Depth=1
	s_or_b64 exec, exec, s[10:11]
	s_andn2_saveexec_b64 s[10:11], s[30:31]
	s_cbranch_execnz .LBB234_38
	s_branch .LBB234_39
.LBB234_54:                             ;   in Loop: Header=BB234_4 Depth=1
	s_andn2_saveexec_b64 s[38:39], s[38:39]
	s_cbranch_execz .LBB234_56
.LBB234_55:                             ;   in Loop: Header=BB234_4 Depth=1
	v_sub_f32_e32 v8, v14, v8
	v_mul_f32_e32 v8, 0.5, v8
	v_mul_f32_e32 v13, 0x4f800000, v8
	v_cmp_gt_f32_e32 vcc, s46, v8
	v_cndmask_b32_e32 v8, v8, v13, vcc
	v_sqrt_f32_e32 v13, v8
	v_add_u32_e32 v14, -1, v13
	v_fma_f32 v27, -v14, v13, v8
	v_add_u32_e32 v15, 1, v13
	v_cmp_ge_f32_e64 s[12:13], 0, v27
	v_cndmask_b32_e64 v14, v13, v14, s[12:13]
	v_fma_f32 v13, -v15, v13, v8
	v_cmp_lt_f32_e64 s[12:13], 0, v13
	v_cndmask_b32_e64 v13, v14, v15, s[12:13]
	v_mul_f32_e32 v14, 0x37800000, v13
	v_cndmask_b32_e32 v13, v13, v14, vcc
	v_cmp_class_f32_e32 vcc, v8, v25
	v_cndmask_b32_e32 v8, v13, v8, vcc
	v_add_f32_e32 v13, v8, v8
	v_and_b32_e32 v14, 0x7fffffff, v9
	v_div_scale_f32 v15, s[12:13], v13, v13, v14
	v_div_scale_f32 v14, vcc, v14, v13, v14
	v_rcp_f32_e32 v27, v15
	v_fma_f32 v28, -v15, v27, 1.0
	v_fmac_f32_e32 v27, v28, v27
	v_mul_f32_e32 v28, v14, v27
	v_fma_f32 v29, -v15, v28, v14
	v_fmac_f32_e32 v28, v29, v27
	v_fma_f32 v14, -v15, v28, v14
	v_div_fmas_f32 v14, v14, v27, v28
	v_bfi_b32 v15, s47, v8, v9
	v_div_fixup_f32 v13, v14, v13, |v9|
.LBB234_56:                             ;   in Loop: Header=BB234_4 Depth=1
	s_or_b64 exec, exec, s[38:39]
                                        ; implicit-def: $vgpr9
                                        ; implicit-def: $vgpr14
	s_and_saveexec_b64 s[12:13], s[10:11]
	s_xor_b64 s[10:11], exec, s[12:13]
	s_cbranch_execz .LBB234_58
; %bb.57:                               ;   in Loop: Header=BB234_4 Depth=1
	v_mul_f32_e32 v8, 0.5, v13
	v_mul_f32_e32 v9, 0.5, v15
	v_cndmask_b32_e64 v14, v13, v8, s[36:37]
	v_cndmask_b32_e64 v9, v15, v9, s[36:37]
                                        ; implicit-def: $vgpr13
                                        ; implicit-def: $vgpr15
	s_andn2_saveexec_b64 s[10:11], s[10:11]
	s_cbranch_execnz .LBB234_59
	s_branch .LBB234_60
.LBB234_58:                             ;   in Loop: Header=BB234_4 Depth=1
	s_andn2_saveexec_b64 s[10:11], s[10:11]
.LBB234_59:                             ;   in Loop: Header=BB234_4 Depth=1
	v_add_f32_e32 v14, v13, v13
	v_add_f32_e32 v9, v15, v15
.LBB234_60:                             ;   in Loop: Header=BB234_4 Depth=1
	s_or_b64 exec, exec, s[10:11]
.LBB234_61:                             ;   in Loop: Header=BB234_4 Depth=1
	s_andn2_saveexec_b64 s[10:11], s[34:35]
	s_cbranch_execz .LBB234_67
; %bb.62:                               ;   in Loop: Header=BB234_4 Depth=1
	v_sub_f32_e32 v13, v9, v9
	v_cmp_lt_i32_e32 vcc, -1, v8
	v_and_b32_e32 v14, 0x7fffffff, v13
	s_and_saveexec_b64 s[12:13], vcc
	s_xor_b64 s[12:13], exec, s[12:13]
; %bb.63:                               ;   in Loop: Header=BB234_4 Depth=1
	v_bfi_b32 v9, s47, v13, v9
	v_mov_b32_e32 v14, v8
; %bb.64:                               ;   in Loop: Header=BB234_4 Depth=1
	s_andn2_saveexec_b64 s[12:13], s[12:13]
; %bb.65:                               ;   in Loop: Header=BB234_4 Depth=1
	v_bfi_b32 v9, s47, v8, v9
; %bb.66:                               ;   in Loop: Header=BB234_4 Depth=1
	s_or_b64 exec, exec, s[12:13]
.LBB234_67:                             ;   in Loop: Header=BB234_4 Depth=1
	s_or_b64 exec, exec, s[10:11]
.LBB234_68:                             ;   in Loop: Header=BB234_4 Depth=1
	s_andn2_saveexec_b64 s[10:11], s[30:31]
	s_cbranch_execz .LBB234_70
; %bb.69:                               ;   in Loop: Header=BB234_4 Depth=1
	v_sub_f32_e32 v9, v9, v9
	v_div_scale_f32 v13, vcc, v9, v9, v9
	v_rcp_f32_e32 v14, v13
	v_fma_f32 v15, -v13, v14, 1.0
	v_fmac_f32_e32 v14, v15, v14
	v_mul_f32_e32 v15, v13, v14
	v_fma_f32 v27, -v13, v15, v13
	v_fmac_f32_e32 v15, v27, v14
	v_fma_f32 v13, -v13, v15, v13
	v_div_fmas_f32 v13, v13, v14, v15
	v_mov_b32_e32 v14, v8
	v_div_fixup_f32 v9, v13, v9, v9
.LBB234_70:                             ;   in Loop: Header=BB234_4 Depth=1
	s_or_b64 exec, exec, s[10:11]
.LBB234_71:                             ;   in Loop: Header=BB234_4 Depth=1
	s_or_b64 exec, exec, s[28:29]
.LBB234_72:                             ;   in Loop: Header=BB234_4 Depth=1
	s_or_b64 exec, exec, s[26:27]
	v_cmp_neq_f32_e32 vcc, 0, v4
	v_cmp_neq_f32_e64 s[10:11], 0, v5
	s_or_b64 s[10:11], vcc, s[10:11]
	s_and_saveexec_b64 s[26:27], s[10:11]
	s_cbranch_execz .LBB234_102
; %bb.73:                               ;   in Loop: Header=BB234_4 Depth=1
	v_mov_b32_e32 v6, 0x7f800000
	v_cmp_neq_f32_e64 s[10:11], |v5|, v6
	s_and_saveexec_b64 s[28:29], s[10:11]
	s_cbranch_execz .LBB234_101
; %bb.74:                               ;   in Loop: Header=BB234_4 Depth=1
	v_cmp_o_f32_e32 vcc, v4, v4
                                        ; implicit-def: $vgpr6
	s_and_saveexec_b64 s[10:11], vcc
	s_xor_b64 s[30:31], exec, s[10:11]
	s_cbranch_execz .LBB234_98
; %bb.75:                               ;   in Loop: Header=BB234_4 Depth=1
	v_cmp_neq_f32_e64 s[10:11], |v4|, s43
                                        ; implicit-def: $vgpr6
	s_and_saveexec_b64 s[12:13], s[10:11]
	s_xor_b64 s[34:35], exec, s[12:13]
	s_cbranch_execz .LBB234_91
; %bb.76:                               ;   in Loop: Header=BB234_4 Depth=1
	v_max_f32_e64 v6, |v4|, |v4|
	v_max_f32_e64 v8, |v5|, |v5|
	v_max_f32_e32 v6, v8, v6
	v_cmp_nle_f32_e64 s[10:11], s44, v6
                                        ; implicit-def: $sgpr36_sgpr37
	s_and_saveexec_b64 s[12:13], s[10:11]
	s_xor_b64 s[12:13], exec, s[12:13]
	s_cbranch_execz .LBB234_80
; %bb.77:                               ;   in Loop: Header=BB234_4 Depth=1
	v_cmp_le_f32_e64 s[36:37], |v4|, s45
	v_cmp_le_f32_e64 s[38:39], |v5|, s45
	s_and_b64 s[48:49], s[38:39], s[36:37]
	s_mov_b64 s[36:37], 0
	s_and_saveexec_b64 s[38:39], s[48:49]
; %bb.78:                               ;   in Loop: Header=BB234_4 Depth=1
	s_mov_b64 s[36:37], exec
	v_mul_f32_e32 v4, 4.0, v4
	v_mul_f32_e32 v5, 4.0, v5
; %bb.79:                               ;   in Loop: Header=BB234_4 Depth=1
	s_or_b64 exec, exec, s[38:39]
.LBB234_80:                             ;   in Loop: Header=BB234_4 Depth=1
	s_andn2_saveexec_b64 s[12:13], s[12:13]
; %bb.81:                               ;   in Loop: Header=BB234_4 Depth=1
	v_mul_f32_e32 v4, 0x3e800000, v4
	v_mul_f32_e32 v5, 0x3e800000, v5
	s_andn2_b64 s[36:37], s[36:37], exec
; %bb.82:                               ;   in Loop: Header=BB234_4 Depth=1
	s_or_b64 exec, exec, s[12:13]
	v_max_f32_e64 v6, |v5|, |v5|
	v_max_f32_e64 v8, |v4|, |v4|
	v_max_f32_e32 v6, v8, v6
	v_cvt_f64_f32_e32 v[27:28], v6
	v_cmp_neq_f32_e64 s[12:13], s43, v6
	v_cmp_le_f32_e32 vcc, 0, v4
	v_frexp_exp_i32_f64_e32 v8, v[27:28]
	v_sub_u32_e32 v13, 0, v8
	v_ldexp_f32 v15, |v4|, v13
	v_ldexp_f32 v13, |v5|, v13
	v_mul_f32_e32 v13, v13, v13
	v_fmac_f32_e32 v13, v15, v15
	v_sqrt_f32_e32 v13, v13
	v_ldexp_f32 v8, v13, v8
	v_cndmask_b32_e64 v6, v26, v8, s[12:13]
                                        ; implicit-def: $vgpr13
                                        ; implicit-def: $vgpr8
	s_and_saveexec_b64 s[12:13], vcc
	s_xor_b64 s[38:39], exec, s[12:13]
	s_cbranch_execz .LBB234_84
; %bb.83:                               ;   in Loop: Header=BB234_4 Depth=1
	v_add_f32_e32 v4, v4, v6
	v_mul_f32_e32 v4, 0.5, v4
	v_mul_f32_e32 v6, 0x4f800000, v4
	v_cmp_gt_f32_e32 vcc, s46, v4
	v_cndmask_b32_e32 v4, v4, v6, vcc
	v_sqrt_f32_e32 v6, v4
	v_add_u32_e32 v8, -1, v6
	v_fma_f32 v15, -v8, v6, v4
	v_add_u32_e32 v13, 1, v6
	v_cmp_ge_f32_e64 s[12:13], 0, v15
	v_cndmask_b32_e64 v8, v6, v8, s[12:13]
	v_fma_f32 v6, -v13, v6, v4
	v_cmp_lt_f32_e64 s[12:13], 0, v6
	v_cndmask_b32_e64 v6, v8, v13, s[12:13]
	v_mul_f32_e32 v8, 0x37800000, v6
	v_cndmask_b32_e32 v6, v6, v8, vcc
	v_cmp_class_f32_e32 vcc, v4, v25
	v_cndmask_b32_e32 v8, v6, v4, vcc
	v_add_f32_e32 v4, v8, v8
	v_div_scale_f32 v6, s[12:13], v4, v4, v5
	v_div_scale_f32 v13, vcc, v5, v4, v5
	v_rcp_f32_e32 v15, v6
	v_fma_f32 v27, -v6, v15, 1.0
	v_fmac_f32_e32 v15, v27, v15
	v_mul_f32_e32 v27, v13, v15
	v_fma_f32 v28, -v6, v27, v13
	v_fmac_f32_e32 v27, v28, v15
	v_fma_f32 v6, -v6, v27, v13
	v_div_fmas_f32 v6, v6, v15, v27
	v_div_fixup_f32 v13, v6, v4, v5
                                        ; implicit-def: $vgpr6
                                        ; implicit-def: $vgpr4
	s_andn2_saveexec_b64 s[38:39], s[38:39]
	s_cbranch_execz .LBB234_86
	s_branch .LBB234_85
.LBB234_84:                             ;   in Loop: Header=BB234_4 Depth=1
	s_andn2_saveexec_b64 s[38:39], s[38:39]
	s_cbranch_execz .LBB234_86
.LBB234_85:                             ;   in Loop: Header=BB234_4 Depth=1
	v_sub_f32_e32 v4, v6, v4
	v_mul_f32_e32 v4, 0.5, v4
	v_mul_f32_e32 v6, 0x4f800000, v4
	v_cmp_gt_f32_e32 vcc, s46, v4
	v_cndmask_b32_e32 v4, v4, v6, vcc
	v_sqrt_f32_e32 v6, v4
	v_add_u32_e32 v8, -1, v6
	v_fma_f32 v15, -v8, v6, v4
	v_add_u32_e32 v13, 1, v6
	v_cmp_ge_f32_e64 s[12:13], 0, v15
	v_cndmask_b32_e64 v8, v6, v8, s[12:13]
	v_fma_f32 v6, -v13, v6, v4
	v_cmp_lt_f32_e64 s[12:13], 0, v6
	v_cndmask_b32_e64 v6, v8, v13, s[12:13]
	v_mul_f32_e32 v8, 0x37800000, v6
	v_cndmask_b32_e32 v6, v6, v8, vcc
	v_cmp_class_f32_e32 vcc, v4, v25
	v_cndmask_b32_e32 v4, v6, v4, vcc
	v_add_f32_e32 v6, v4, v4
	v_and_b32_e32 v8, 0x7fffffff, v5
	v_div_scale_f32 v13, s[12:13], v6, v6, v8
	v_div_scale_f32 v8, vcc, v8, v6, v8
	v_rcp_f32_e32 v15, v13
	v_fma_f32 v27, -v13, v15, 1.0
	v_fmac_f32_e32 v15, v27, v15
	v_mul_f32_e32 v27, v8, v15
	v_fma_f32 v28, -v13, v27, v8
	v_fmac_f32_e32 v27, v28, v15
	v_fma_f32 v8, -v13, v27, v8
	v_div_fmas_f32 v8, v8, v15, v27
	v_bfi_b32 v13, s47, v4, v5
	v_div_fixup_f32 v8, v8, v6, |v5|
.LBB234_86:                             ;   in Loop: Header=BB234_4 Depth=1
	s_or_b64 exec, exec, s[38:39]
                                        ; implicit-def: $vgpr5
                                        ; implicit-def: $vgpr6
	s_and_saveexec_b64 s[12:13], s[10:11]
	s_xor_b64 s[10:11], exec, s[12:13]
	s_cbranch_execz .LBB234_88
; %bb.87:                               ;   in Loop: Header=BB234_4 Depth=1
	v_mul_f32_e32 v4, 0.5, v8
	v_mul_f32_e32 v5, 0.5, v13
	v_cndmask_b32_e64 v6, v8, v4, s[36:37]
	v_cndmask_b32_e64 v5, v13, v5, s[36:37]
                                        ; implicit-def: $vgpr8
                                        ; implicit-def: $vgpr13
	s_andn2_saveexec_b64 s[10:11], s[10:11]
	s_cbranch_execnz .LBB234_89
	s_branch .LBB234_90
.LBB234_88:                             ;   in Loop: Header=BB234_4 Depth=1
	s_andn2_saveexec_b64 s[10:11], s[10:11]
.LBB234_89:                             ;   in Loop: Header=BB234_4 Depth=1
	v_add_f32_e32 v6, v8, v8
	v_add_f32_e32 v5, v13, v13
.LBB234_90:                             ;   in Loop: Header=BB234_4 Depth=1
	s_or_b64 exec, exec, s[10:11]
.LBB234_91:                             ;   in Loop: Header=BB234_4 Depth=1
	s_andn2_saveexec_b64 s[10:11], s[34:35]
	s_cbranch_execz .LBB234_97
; %bb.92:                               ;   in Loop: Header=BB234_4 Depth=1
	v_sub_f32_e32 v8, v5, v5
	v_cmp_lt_i32_e32 vcc, -1, v4
	v_and_b32_e32 v6, 0x7fffffff, v8
	s_and_saveexec_b64 s[12:13], vcc
	s_xor_b64 s[12:13], exec, s[12:13]
; %bb.93:                               ;   in Loop: Header=BB234_4 Depth=1
	v_bfi_b32 v5, s47, v8, v5
	v_mov_b32_e32 v6, v4
; %bb.94:                               ;   in Loop: Header=BB234_4 Depth=1
	s_andn2_saveexec_b64 s[12:13], s[12:13]
; %bb.95:                               ;   in Loop: Header=BB234_4 Depth=1
	v_bfi_b32 v5, s47, v4, v5
; %bb.96:                               ;   in Loop: Header=BB234_4 Depth=1
	s_or_b64 exec, exec, s[12:13]
.LBB234_97:                             ;   in Loop: Header=BB234_4 Depth=1
	s_or_b64 exec, exec, s[10:11]
.LBB234_98:                             ;   in Loop: Header=BB234_4 Depth=1
	s_andn2_saveexec_b64 s[10:11], s[30:31]
	s_cbranch_execz .LBB234_100
; %bb.99:                               ;   in Loop: Header=BB234_4 Depth=1
	v_sub_f32_e32 v5, v5, v5
	v_div_scale_f32 v6, vcc, v5, v5, v5
	v_rcp_f32_e32 v8, v6
	v_fma_f32 v13, -v6, v8, 1.0
	v_fmac_f32_e32 v8, v13, v8
	v_mul_f32_e32 v13, v6, v8
	v_fma_f32 v15, -v6, v13, v6
	v_fmac_f32_e32 v13, v15, v8
	v_fma_f32 v6, -v6, v13, v6
	v_div_fmas_f32 v6, v6, v8, v13
	v_div_fixup_f32 v5, v6, v5, v5
	v_mov_b32_e32 v6, v4
.LBB234_100:                            ;   in Loop: Header=BB234_4 Depth=1
	s_or_b64 exec, exec, s[10:11]
.LBB234_101:                            ;   in Loop: Header=BB234_4 Depth=1
	s_or_b64 exec, exec, s[28:29]
.LBB234_102:                            ;   in Loop: Header=BB234_4 Depth=1
	s_or_b64 exec, exec, s[26:27]
	v_cmp_neq_f32_e32 vcc, 0, v10
	v_cmp_neq_f32_e64 s[10:11], 0, v11
	v_mov_b32_e32 v4, 0
	s_or_b64 s[10:11], vcc, s[10:11]
	s_and_saveexec_b64 s[26:27], s[10:11]
	s_cbranch_execz .LBB234_114
; %bb.103:                              ;   in Loop: Header=BB234_4 Depth=1
	v_mov_b32_e32 v4, 0x7f800000
	v_cmp_neq_f32_e64 s[10:11], |v11|, v4
	s_and_saveexec_b64 s[28:29], s[10:11]
	s_cbranch_execz .LBB234_135
; %bb.104:                              ;   in Loop: Header=BB234_4 Depth=1
	v_cmp_o_f32_e32 vcc, v10, v10
                                        ; implicit-def: $vgpr4
	s_and_saveexec_b64 s[10:11], vcc
	s_xor_b64 s[30:31], exec, s[10:11]
	s_cbranch_execz .LBB234_132
; %bb.105:                              ;   in Loop: Header=BB234_4 Depth=1
	v_cmp_neq_f32_e64 s[10:11], |v10|, s43
                                        ; implicit-def: $vgpr4
	s_and_saveexec_b64 s[12:13], s[10:11]
	s_xor_b64 s[34:35], exec, s[12:13]
	s_cbranch_execz .LBB234_125
; %bb.106:                              ;   in Loop: Header=BB234_4 Depth=1
	v_max_f32_e64 v4, |v10|, |v10|
	v_max_f32_e64 v8, |v11|, |v11|
	v_max_f32_e32 v4, v8, v4
	v_cmp_nle_f32_e64 s[10:11], s44, v4
                                        ; implicit-def: $sgpr36_sgpr37
	s_and_saveexec_b64 s[12:13], s[10:11]
	s_xor_b64 s[12:13], exec, s[12:13]
	s_cbranch_execz .LBB234_110
; %bb.107:                              ;   in Loop: Header=BB234_4 Depth=1
	v_cmp_le_f32_e64 s[36:37], |v10|, s45
	v_cmp_le_f32_e64 s[38:39], |v11|, s45
	s_and_b64 s[48:49], s[38:39], s[36:37]
	s_mov_b64 s[36:37], 0
	s_and_saveexec_b64 s[38:39], s[48:49]
; %bb.108:                              ;   in Loop: Header=BB234_4 Depth=1
	s_mov_b64 s[36:37], exec
	v_mul_f32_e32 v10, 4.0, v10
	v_mul_f32_e32 v11, 4.0, v11
; %bb.109:                              ;   in Loop: Header=BB234_4 Depth=1
	s_or_b64 exec, exec, s[38:39]
.LBB234_110:                            ;   in Loop: Header=BB234_4 Depth=1
	s_andn2_saveexec_b64 s[12:13], s[12:13]
; %bb.111:                              ;   in Loop: Header=BB234_4 Depth=1
	v_mul_f32_e32 v10, 0x3e800000, v10
	v_mul_f32_e32 v11, 0x3e800000, v11
	s_andn2_b64 s[36:37], s[36:37], exec
; %bb.112:                              ;   in Loop: Header=BB234_4 Depth=1
	s_or_b64 exec, exec, s[12:13]
	v_max_f32_e64 v4, |v11|, |v11|
	v_max_f32_e64 v8, |v10|, |v10|
	v_max_f32_e32 v4, v8, v4
	v_cvt_f64_f32_e32 v[27:28], v4
	v_cmp_neq_f32_e64 s[12:13], s43, v4
	v_cmp_le_f32_e32 vcc, 0, v10
	v_frexp_exp_i32_f64_e32 v8, v[27:28]
	v_sub_u32_e32 v13, 0, v8
	v_ldexp_f32 v15, |v10|, v13
	v_ldexp_f32 v13, |v11|, v13
	v_mul_f32_e32 v13, v13, v13
	v_fmac_f32_e32 v13, v15, v15
	v_sqrt_f32_e32 v13, v13
	v_ldexp_f32 v8, v13, v8
	v_cndmask_b32_e64 v4, v26, v8, s[12:13]
                                        ; implicit-def: $vgpr13
                                        ; implicit-def: $vgpr8
	s_and_saveexec_b64 s[12:13], vcc
	s_xor_b64 s[38:39], exec, s[12:13]
	s_cbranch_execz .LBB234_118
; %bb.113:                              ;   in Loop: Header=BB234_4 Depth=1
	v_add_f32_e32 v4, v10, v4
	v_mul_f32_e32 v4, 0.5, v4
	v_mul_f32_e32 v8, 0x4f800000, v4
	v_cmp_gt_f32_e32 vcc, s46, v4
	v_cndmask_b32_e32 v4, v4, v8, vcc
	v_sqrt_f32_e32 v8, v4
	v_add_u32_e32 v10, -1, v8
	v_fma_f32 v15, -v10, v8, v4
	v_add_u32_e32 v13, 1, v8
	v_cmp_ge_f32_e64 s[12:13], 0, v15
	v_cndmask_b32_e64 v10, v8, v10, s[12:13]
	v_fma_f32 v8, -v13, v8, v4
	v_cmp_lt_f32_e64 s[12:13], 0, v8
	v_cndmask_b32_e64 v8, v10, v13, s[12:13]
	v_mul_f32_e32 v10, 0x37800000, v8
	v_cndmask_b32_e32 v8, v8, v10, vcc
	v_cmp_class_f32_e32 vcc, v4, v25
	v_cndmask_b32_e32 v8, v8, v4, vcc
	v_add_f32_e32 v4, v8, v8
	v_div_scale_f32 v10, s[12:13], v4, v4, v11
	v_div_scale_f32 v13, vcc, v11, v4, v11
	v_rcp_f32_e32 v15, v10
	v_fma_f32 v27, -v10, v15, 1.0
	v_fmac_f32_e32 v15, v27, v15
	v_mul_f32_e32 v27, v13, v15
	v_fma_f32 v28, -v10, v27, v13
	v_fmac_f32_e32 v27, v28, v15
	v_fma_f32 v10, -v10, v27, v13
	v_div_fmas_f32 v10, v10, v15, v27
	v_div_fixup_f32 v13, v10, v4, v11
                                        ; implicit-def: $vgpr4
                                        ; implicit-def: $vgpr10
	s_andn2_saveexec_b64 s[38:39], s[38:39]
	s_cbranch_execz .LBB234_120
	s_branch .LBB234_119
.LBB234_114:                            ;   in Loop: Header=BB234_4 Depth=1
	s_or_b64 exec, exec, s[26:27]
	s_and_saveexec_b64 s[10:11], s[0:1]
	s_xor_b64 s[0:1], exec, s[10:11]
	s_cbranch_execz .LBB234_136
.LBB234_115:                            ;   in Loop: Header=BB234_4 Depth=1
	v_mov_b32_e32 v8, s40
	v_add_co_u32_e32 v27, vcc, s33, v1
	v_addc_co_u32_e32 v28, vcc, 0, v8, vcc
	v_mov_b32_e32 v13, v7
	global_store_dwordx2 v[27:28], v[12:13], off
	s_or_b64 exec, exec, s[0:1]
	s_and_saveexec_b64 s[0:1], s[2:3]
	s_cbranch_execnz .LBB234_137
.LBB234_116:                            ;   in Loop: Header=BB234_4 Depth=1
	s_or_b64 exec, exec, s[0:1]
	s_and_saveexec_b64 s[0:1], s[6:7]
	s_cbranch_execz .LBB234_138
.LBB234_117:                            ;   in Loop: Header=BB234_4 Depth=1
	v_mov_b32_e32 v7, s40
	v_add_co_u32_e32 v8, vcc, s33, v22
	v_addc_co_u32_e32 v9, vcc, v7, v21, vcc
	v_mov_b32_e32 v7, v5
	global_store_dwordx2 v[8:9], v[6:7], off offset:-4
	s_or_b64 exec, exec, s[0:1]
	s_and_saveexec_b64 s[0:1], s[8:9]
	s_cbranch_execz .LBB234_3
	s_branch .LBB234_139
.LBB234_118:                            ;   in Loop: Header=BB234_4 Depth=1
	s_andn2_saveexec_b64 s[38:39], s[38:39]
	s_cbranch_execz .LBB234_120
.LBB234_119:                            ;   in Loop: Header=BB234_4 Depth=1
	v_sub_f32_e32 v4, v4, v10
	v_mul_f32_e32 v4, 0.5, v4
	v_mul_f32_e32 v8, 0x4f800000, v4
	v_cmp_gt_f32_e32 vcc, s46, v4
	v_cndmask_b32_e32 v4, v4, v8, vcc
	v_sqrt_f32_e32 v8, v4
	v_add_u32_e32 v10, -1, v8
	v_fma_f32 v15, -v10, v8, v4
	v_add_u32_e32 v13, 1, v8
	v_cmp_ge_f32_e64 s[12:13], 0, v15
	v_cndmask_b32_e64 v10, v8, v10, s[12:13]
	v_fma_f32 v8, -v13, v8, v4
	v_cmp_lt_f32_e64 s[12:13], 0, v8
	v_cndmask_b32_e64 v8, v10, v13, s[12:13]
	v_mul_f32_e32 v10, 0x37800000, v8
	v_cndmask_b32_e32 v8, v8, v10, vcc
	v_cmp_class_f32_e32 vcc, v4, v25
	v_cndmask_b32_e32 v4, v8, v4, vcc
	v_add_f32_e32 v8, v4, v4
	v_and_b32_e32 v10, 0x7fffffff, v11
	v_div_scale_f32 v13, s[12:13], v8, v8, v10
	v_div_scale_f32 v10, vcc, v10, v8, v10
	v_rcp_f32_e32 v15, v13
	v_fma_f32 v27, -v13, v15, 1.0
	v_fmac_f32_e32 v15, v27, v15
	v_mul_f32_e32 v27, v10, v15
	v_fma_f32 v28, -v13, v27, v10
	v_fmac_f32_e32 v27, v28, v15
	v_fma_f32 v10, -v13, v27, v10
	v_div_fmas_f32 v10, v10, v15, v27
	v_bfi_b32 v13, s47, v4, v11
	v_div_fixup_f32 v8, v10, v8, |v11|
.LBB234_120:                            ;   in Loop: Header=BB234_4 Depth=1
	s_or_b64 exec, exec, s[38:39]
                                        ; implicit-def: $vgpr11
                                        ; implicit-def: $vgpr4
	s_and_saveexec_b64 s[12:13], s[10:11]
	s_xor_b64 s[10:11], exec, s[12:13]
	s_cbranch_execz .LBB234_122
; %bb.121:                              ;   in Loop: Header=BB234_4 Depth=1
	v_mul_f32_e32 v4, 0.5, v8
	v_mul_f32_e32 v10, 0.5, v13
	v_cndmask_b32_e64 v4, v8, v4, s[36:37]
	v_cndmask_b32_e64 v11, v13, v10, s[36:37]
                                        ; implicit-def: $vgpr8
                                        ; implicit-def: $vgpr13
	s_andn2_saveexec_b64 s[10:11], s[10:11]
	s_cbranch_execnz .LBB234_123
	s_branch .LBB234_124
.LBB234_122:                            ;   in Loop: Header=BB234_4 Depth=1
	s_andn2_saveexec_b64 s[10:11], s[10:11]
.LBB234_123:                            ;   in Loop: Header=BB234_4 Depth=1
	v_add_f32_e32 v4, v8, v8
	v_add_f32_e32 v11, v13, v13
.LBB234_124:                            ;   in Loop: Header=BB234_4 Depth=1
	s_or_b64 exec, exec, s[10:11]
.LBB234_125:                            ;   in Loop: Header=BB234_4 Depth=1
	s_andn2_saveexec_b64 s[10:11], s[34:35]
	s_cbranch_execz .LBB234_131
; %bb.126:                              ;   in Loop: Header=BB234_4 Depth=1
	v_sub_f32_e32 v8, v11, v11
	v_cmp_lt_i32_e32 vcc, -1, v10
	v_and_b32_e32 v4, 0x7fffffff, v8
	s_and_saveexec_b64 s[12:13], vcc
	s_xor_b64 s[12:13], exec, s[12:13]
; %bb.127:                              ;   in Loop: Header=BB234_4 Depth=1
	v_bfi_b32 v11, s47, v8, v11
	v_mov_b32_e32 v4, v10
; %bb.128:                              ;   in Loop: Header=BB234_4 Depth=1
	s_andn2_saveexec_b64 s[12:13], s[12:13]
; %bb.129:                              ;   in Loop: Header=BB234_4 Depth=1
	v_bfi_b32 v11, s47, v10, v11
; %bb.130:                              ;   in Loop: Header=BB234_4 Depth=1
	s_or_b64 exec, exec, s[12:13]
.LBB234_131:                            ;   in Loop: Header=BB234_4 Depth=1
	s_or_b64 exec, exec, s[10:11]
.LBB234_132:                            ;   in Loop: Header=BB234_4 Depth=1
	s_andn2_saveexec_b64 s[10:11], s[30:31]
	s_cbranch_execz .LBB234_134
; %bb.133:                              ;   in Loop: Header=BB234_4 Depth=1
	v_sub_f32_e32 v4, v11, v11
	v_div_scale_f32 v8, vcc, v4, v4, v4
	v_rcp_f32_e32 v11, v8
	v_fma_f32 v13, -v8, v11, 1.0
	v_fmac_f32_e32 v11, v13, v11
	v_mul_f32_e32 v13, v8, v11
	v_fma_f32 v15, -v8, v13, v8
	v_fmac_f32_e32 v13, v15, v11
	v_fma_f32 v8, -v8, v13, v8
	v_div_fmas_f32 v8, v8, v11, v13
	v_div_fixup_f32 v11, v8, v4, v4
	v_mov_b32_e32 v4, v10
.LBB234_134:                            ;   in Loop: Header=BB234_4 Depth=1
	s_or_b64 exec, exec, s[10:11]
.LBB234_135:                            ;   in Loop: Header=BB234_4 Depth=1
	s_or_b64 exec, exec, s[28:29]
	s_or_b64 exec, exec, s[26:27]
	s_and_saveexec_b64 s[10:11], s[0:1]
	s_xor_b64 s[0:1], exec, s[10:11]
	s_cbranch_execnz .LBB234_115
.LBB234_136:                            ;   in Loop: Header=BB234_4 Depth=1
	s_or_b64 exec, exec, s[0:1]
	s_and_saveexec_b64 s[0:1], s[2:3]
	s_cbranch_execz .LBB234_116
.LBB234_137:                            ;   in Loop: Header=BB234_4 Depth=1
	v_mov_b32_e32 v8, s40
	v_add_co_u32_e32 v7, vcc, s33, v20
	v_addc_co_u32_e32 v8, vcc, 0, v8, vcc
	v_mov_b32_e32 v15, v9
	global_store_dwordx2 v[7:8], v[14:15], off
	s_or_b64 exec, exec, s[0:1]
	s_and_saveexec_b64 s[0:1], s[6:7]
	s_cbranch_execnz .LBB234_117
.LBB234_138:                            ;   in Loop: Header=BB234_4 Depth=1
	s_or_b64 exec, exec, s[0:1]
	s_and_saveexec_b64 s[0:1], s[8:9]
	s_cbranch_execz .LBB234_3
.LBB234_139:                            ;   in Loop: Header=BB234_4 Depth=1
	v_mov_b32_e32 v5, s40
	v_add_co_u32_e32 v6, vcc, s33, v2
	v_addc_co_u32_e32 v7, vcc, v5, v3, vcc
	v_mov_b32_e32 v5, v11
	global_store_dwordx2 v[6:7], v[4:5], off offset:-4
	s_branch .LBB234_3
.LBB234_140:
	s_cbranch_execz .LBB234_142
	s_branch .LBB234_265
.LBB234_141:
.LBB234_142:
	v_mov_b32_e32 v1, 0x10000
	v_mov_b32_e32 v2, 0
	v_cmp_lt_i64_e32 vcc, s[18:19], v[1:2]
	v_mov_b32_e32 v2, 0
	s_and_b64 s[0:1], vcc, exec
	s_cselect_b32 s7, s19, 0
	s_cselect_b32 s6, s18, 0x10000
	v_lshlrev_b32_e32 v1, 2, v0
	v_cmp_gt_i64_e32 vcc, s[6:7], v[1:2]
	s_and_saveexec_b64 s[0:1], vcc
	s_cbranch_execz .LBB234_265
; %bb.143:
	s_load_dword s0, s[4:5], 0xd3c
	v_mov_b32_e32 v1, v2
	v_lshlrev_b32_e32 v2, 5, v0
	s_mov_b64 s[4:5], 0
	s_mov_b32 s22, 0x7f800000
	s_waitcnt lgkmcnt(0)
	s_and_b32 s20, s0, 0xffff
	s_add_u32 s0, s14, s16
	s_addc_u32 s1, s15, s17
	v_mov_b32_e32 v3, s1
	v_add_co_u32_e32 v13, vcc, s0, v2
	v_addc_co_u32_e32 v14, vcc, 0, v3, vcc
	s_lshl_b32 s21, s20, 5
	s_mov_b32 s23, 0x7ed413cb
	s_mov_b32 s24, 0x1000000
	;; [unrolled: 1-line block ×3, first 2 shown]
	v_mov_b32_e32 v15, 0x260
	s_brev_b32 s26, -2
	v_mov_b32_e32 v16, 0x7f800000
	s_branch .LBB234_147
.LBB234_144:                            ;   in Loop: Header=BB234_147 Depth=1
	s_or_b64 exec, exec, s[0:1]
.LBB234_145:                            ;   in Loop: Header=BB234_147 Depth=1
	s_or_b64 exec, exec, s[10:11]
.LBB234_146:                            ;   in Loop: Header=BB234_147 Depth=1
	s_or_b64 exec, exec, s[8:9]
	v_add_co_u32_e32 v0, vcc, s20, v0
	v_mov_b32_e32 v5, v12
	v_addc_co_u32_e32 v1, vcc, 0, v1, vcc
	global_store_dwordx4 v[13:14], v[2:5], off
	v_mov_b32_e32 v12, v8
	v_lshlrev_b64 v[2:3], 2, v[0:1]
	global_store_dwordx4 v[13:14], v[9:12], off offset:16
	v_cmp_le_i64_e32 vcc, s[6:7], v[2:3]
	s_or_b64 s[4:5], vcc, s[4:5]
	v_add_co_u32_e32 v13, vcc, s21, v13
	v_addc_co_u32_e32 v14, vcc, 0, v14, vcc
	s_andn2_b64 exec, exec, s[4:5]
	s_cbranch_execz .LBB234_265
.LBB234_147:                            ; =>This Inner Loop Header: Depth=1
	global_load_dwordx4 v[9:12], v[13:14], off
	global_load_dwordx4 v[5:8], v[13:14], off offset:16
	v_mov_b32_e32 v4, 0
	v_mov_b32_e32 v2, 0
	s_waitcnt vmcnt(1)
	v_cmp_neq_f32_e32 vcc, 0, v9
	v_cmp_neq_f32_e64 s[0:1], 0, v10
	s_or_b64 s[0:1], vcc, s[0:1]
	v_mov_b32_e32 v3, v10
	s_and_saveexec_b64 s[8:9], s[0:1]
	s_cbranch_execz .LBB234_176
; %bb.148:                              ;   in Loop: Header=BB234_147 Depth=1
	v_mov_b32_e32 v2, 0x7f800000
	v_cmp_neq_f32_e64 s[0:1], |v10|, v2
	v_mov_b32_e32 v3, v10
	s_and_saveexec_b64 s[10:11], s[0:1]
	s_cbranch_execz .LBB234_175
; %bb.149:                              ;   in Loop: Header=BB234_147 Depth=1
	v_cmp_o_f32_e32 vcc, v9, v9
	s_and_saveexec_b64 s[0:1], vcc
	s_xor_b64 s[12:13], exec, s[0:1]
	s_cbranch_execz .LBB234_172
; %bb.150:                              ;   in Loop: Header=BB234_147 Depth=1
	v_cmp_neq_f32_e64 s[0:1], |v9|, s22
	s_and_saveexec_b64 s[2:3], s[0:1]
	s_xor_b64 s[14:15], exec, s[2:3]
	s_cbranch_execz .LBB234_166
; %bb.151:                              ;   in Loop: Header=BB234_147 Depth=1
	v_max_f32_e64 v2, |v10|, |v10|
	v_max_f32_e64 v3, |v9|, |v9|
	v_max_f32_e32 v2, v3, v2
	v_cmp_nle_f32_e64 s[0:1], s23, v2
                                        ; implicit-def: $sgpr16_sgpr17
                                        ; implicit-def: $vgpr3
                                        ; implicit-def: $vgpr2
	s_and_saveexec_b64 s[2:3], s[0:1]
	s_xor_b64 s[2:3], exec, s[2:3]
	s_cbranch_execz .LBB234_155
; %bb.152:                              ;   in Loop: Header=BB234_147 Depth=1
	v_cmp_le_f32_e64 s[16:17], |v9|, s24
	v_cmp_le_f32_e64 s[18:19], |v10|, s24
	s_and_b64 s[28:29], s[16:17], s[18:19]
	s_mov_b64 s[16:17], 0
	v_mov_b32_e32 v3, v9
	v_mov_b32_e32 v2, v10
	s_and_saveexec_b64 s[18:19], s[28:29]
; %bb.153:                              ;   in Loop: Header=BB234_147 Depth=1
	s_mov_b64 s[16:17], exec
	v_mul_f32_e32 v3, 4.0, v9
	v_mul_f32_e32 v2, 4.0, v10
; %bb.154:                              ;   in Loop: Header=BB234_147 Depth=1
	s_or_b64 exec, exec, s[18:19]
.LBB234_155:                            ;   in Loop: Header=BB234_147 Depth=1
	s_andn2_saveexec_b64 s[2:3], s[2:3]
; %bb.156:                              ;   in Loop: Header=BB234_147 Depth=1
	v_mul_f32_e32 v3, 0x3e800000, v9
	v_mul_f32_e32 v2, 0x3e800000, v10
	s_andn2_b64 s[16:17], s[16:17], exec
; %bb.157:                              ;   in Loop: Header=BB234_147 Depth=1
	s_or_b64 exec, exec, s[2:3]
	v_max_f32_e64 v17, |v2|, |v2|
	v_max_f32_e64 v18, |v3|, |v3|
	v_max_f32_e32 v19, v18, v17
	v_cvt_f64_f32_e32 v[17:18], v19
	v_cmp_neq_f32_e64 s[2:3], s22, v19
	v_cmp_le_f32_e32 vcc, 0, v3
	v_frexp_exp_i32_f64_e32 v17, v[17:18]
	v_sub_u32_e32 v18, 0, v17
	v_ldexp_f32 v20, |v3|, v18
	v_ldexp_f32 v18, |v2|, v18
	v_mul_f32_e32 v18, v18, v18
	v_fmac_f32_e32 v18, v20, v20
	v_sqrt_f32_e32 v18, v18
	v_ldexp_f32 v17, v18, v17
	v_cndmask_b32_e64 v19, v16, v17, s[2:3]
                                        ; implicit-def: $vgpr18
                                        ; implicit-def: $vgpr17
	s_and_saveexec_b64 s[2:3], vcc
	s_xor_b64 s[18:19], exec, s[2:3]
	s_cbranch_execz .LBB234_161
; %bb.158:                              ;   in Loop: Header=BB234_147 Depth=1
	v_add_f32_e32 v3, v3, v19
	v_mul_f32_e32 v3, 0.5, v3
	v_mul_f32_e32 v17, 0x4f800000, v3
	v_cmp_gt_f32_e32 vcc, s25, v3
	v_cndmask_b32_e32 v3, v3, v17, vcc
	v_sqrt_f32_e32 v17, v3
	v_add_u32_e32 v18, -1, v17
	v_fma_f32 v20, -v18, v17, v3
	v_add_u32_e32 v19, 1, v17
	v_cmp_ge_f32_e64 s[2:3], 0, v20
	v_cndmask_b32_e64 v18, v17, v18, s[2:3]
	v_fma_f32 v17, -v19, v17, v3
	v_cmp_lt_f32_e64 s[2:3], 0, v17
	v_cndmask_b32_e64 v17, v18, v19, s[2:3]
	v_mul_f32_e32 v18, 0x37800000, v17
	v_cndmask_b32_e32 v17, v17, v18, vcc
	v_cmp_class_f32_e32 vcc, v3, v15
	v_cndmask_b32_e32 v17, v17, v3, vcc
	v_add_f32_e32 v3, v17, v17
	v_div_scale_f32 v18, s[2:3], v3, v3, v2
	v_div_scale_f32 v19, vcc, v2, v3, v2
	v_rcp_f32_e32 v20, v18
	v_fma_f32 v21, -v18, v20, 1.0
	v_fmac_f32_e32 v20, v21, v20
	v_mul_f32_e32 v21, v19, v20
	v_fma_f32 v22, -v18, v21, v19
	v_fmac_f32_e32 v21, v22, v20
	v_fma_f32 v18, -v18, v21, v19
	v_div_fmas_f32 v18, v18, v20, v21
                                        ; implicit-def: $vgpr19
	v_div_fixup_f32 v18, v18, v3, v2
                                        ; implicit-def: $vgpr3
                                        ; implicit-def: $vgpr2
	s_andn2_saveexec_b64 s[18:19], s[18:19]
	s_cbranch_execnz .LBB234_162
.LBB234_159:                            ;   in Loop: Header=BB234_147 Depth=1
	s_or_b64 exec, exec, s[18:19]
	s_and_saveexec_b64 s[2:3], s[0:1]
	s_xor_b64 s[0:1], exec, s[2:3]
	s_cbranch_execz .LBB234_163
.LBB234_160:                            ;   in Loop: Header=BB234_147 Depth=1
	v_mul_f32_e32 v2, 0.5, v17
	v_mul_f32_e32 v3, 0.5, v18
	v_cndmask_b32_e64 v2, v17, v2, s[16:17]
	v_cndmask_b32_e64 v3, v18, v3, s[16:17]
                                        ; implicit-def: $vgpr17
                                        ; implicit-def: $vgpr18
	s_andn2_saveexec_b64 s[0:1], s[0:1]
	s_cbranch_execnz .LBB234_164
	s_branch .LBB234_165
.LBB234_161:                            ;   in Loop: Header=BB234_147 Depth=1
	s_andn2_saveexec_b64 s[18:19], s[18:19]
	s_cbranch_execz .LBB234_159
.LBB234_162:                            ;   in Loop: Header=BB234_147 Depth=1
	v_sub_f32_e32 v3, v19, v3
	v_mul_f32_e32 v3, 0.5, v3
	v_mul_f32_e32 v17, 0x4f800000, v3
	v_cmp_gt_f32_e32 vcc, s25, v3
	v_cndmask_b32_e32 v3, v3, v17, vcc
	v_sqrt_f32_e32 v17, v3
	v_add_u32_e32 v18, -1, v17
	v_fma_f32 v20, -v18, v17, v3
	v_add_u32_e32 v19, 1, v17
	v_cmp_ge_f32_e64 s[2:3], 0, v20
	v_cndmask_b32_e64 v18, v17, v18, s[2:3]
	v_fma_f32 v17, -v19, v17, v3
	v_cmp_lt_f32_e64 s[2:3], 0, v17
	v_cndmask_b32_e64 v17, v18, v19, s[2:3]
	v_mul_f32_e32 v18, 0x37800000, v17
	v_cndmask_b32_e32 v17, v17, v18, vcc
	v_cmp_class_f32_e32 vcc, v3, v15
	v_cndmask_b32_e32 v3, v17, v3, vcc
	v_add_f32_e32 v17, v3, v3
	v_and_b32_e32 v18, 0x7fffffff, v2
	v_div_scale_f32 v19, s[2:3], v17, v17, v18
	v_div_scale_f32 v18, vcc, v18, v17, v18
	v_rcp_f32_e32 v20, v19
	v_fma_f32 v21, -v19, v20, 1.0
	v_fmac_f32_e32 v20, v21, v20
	v_mul_f32_e32 v21, v18, v20
	v_fma_f32 v22, -v19, v21, v18
	v_fmac_f32_e32 v21, v22, v20
	v_fma_f32 v18, -v19, v21, v18
	v_div_fmas_f32 v18, v18, v20, v21
	v_div_fixup_f32 v17, v18, v17, |v2|
	v_bfi_b32 v18, s26, v3, v2
	s_or_b64 exec, exec, s[18:19]
	s_and_saveexec_b64 s[2:3], s[0:1]
	s_xor_b64 s[0:1], exec, s[2:3]
	s_cbranch_execnz .LBB234_160
.LBB234_163:                            ;   in Loop: Header=BB234_147 Depth=1
	s_andn2_saveexec_b64 s[0:1], s[0:1]
.LBB234_164:                            ;   in Loop: Header=BB234_147 Depth=1
	v_add_f32_e32 v2, v17, v17
	v_add_f32_e32 v3, v18, v18
.LBB234_165:                            ;   in Loop: Header=BB234_147 Depth=1
	s_or_b64 exec, exec, s[0:1]
.LBB234_166:                            ;   in Loop: Header=BB234_147 Depth=1
	s_andn2_saveexec_b64 s[0:1], s[14:15]
	s_cbranch_execz .LBB234_188
; %bb.167:                              ;   in Loop: Header=BB234_147 Depth=1
	v_sub_f32_e32 v3, v10, v10
	v_cmp_lt_i32_e32 vcc, -1, v9
	v_and_b32_e32 v2, 0x7fffffff, v3
	s_and_saveexec_b64 s[2:3], vcc
	s_xor_b64 s[2:3], exec, s[2:3]
; %bb.168:                              ;   in Loop: Header=BB234_147 Depth=1
	v_bfi_b32 v3, s26, v3, v10
	v_mov_b32_e32 v2, v9
; %bb.169:                              ;   in Loop: Header=BB234_147 Depth=1
	s_andn2_saveexec_b64 s[2:3], s[2:3]
; %bb.170:                              ;   in Loop: Header=BB234_147 Depth=1
	v_bfi_b32 v3, s26, v9, v10
; %bb.171:                              ;   in Loop: Header=BB234_147 Depth=1
	s_or_b64 exec, exec, s[2:3]
	s_or_b64 exec, exec, s[0:1]
.LBB234_172:                            ;   in Loop: Header=BB234_147 Depth=1
	s_andn2_saveexec_b64 s[0:1], s[12:13]
	s_cbranch_execz .LBB234_174
.LBB234_173:                            ;   in Loop: Header=BB234_147 Depth=1
	v_sub_f32_e32 v2, v10, v10
	v_div_scale_f32 v3, vcc, v2, v2, v2
	v_rcp_f32_e32 v10, v3
	v_fma_f32 v17, -v3, v10, 1.0
	v_fmac_f32_e32 v10, v17, v10
	v_mul_f32_e32 v17, v3, v10
	v_fma_f32 v18, -v3, v17, v3
	v_fmac_f32_e32 v17, v18, v10
	v_fma_f32 v3, -v3, v17, v3
	v_div_fmas_f32 v3, v3, v10, v17
	v_div_fixup_f32 v3, v3, v2, v2
	v_mov_b32_e32 v2, v9
.LBB234_174:                            ;   in Loop: Header=BB234_147 Depth=1
	s_or_b64 exec, exec, s[0:1]
.LBB234_175:                            ;   in Loop: Header=BB234_147 Depth=1
	s_or_b64 exec, exec, s[10:11]
.LBB234_176:                            ;   in Loop: Header=BB234_147 Depth=1
	s_or_b64 exec, exec, s[8:9]
	v_cmp_neq_f32_e32 vcc, 0, v11
	v_cmp_neq_f32_e64 s[0:1], 0, v12
	s_or_b64 s[0:1], vcc, s[0:1]
	s_and_saveexec_b64 s[8:9], s[0:1]
	s_cbranch_execz .LBB234_207
; %bb.177:                              ;   in Loop: Header=BB234_147 Depth=1
	v_mov_b32_e32 v4, 0x7f800000
	v_cmp_neq_f32_e64 s[0:1], |v12|, v4
	s_and_saveexec_b64 s[10:11], s[0:1]
	s_cbranch_execz .LBB234_206
; %bb.178:                              ;   in Loop: Header=BB234_147 Depth=1
	v_cmp_o_f32_e32 vcc, v11, v11
	s_and_saveexec_b64 s[0:1], vcc
	s_xor_b64 s[12:13], exec, s[0:1]
	s_cbranch_execz .LBB234_203
; %bb.179:                              ;   in Loop: Header=BB234_147 Depth=1
	v_cmp_neq_f32_e64 s[0:1], |v11|, s22
	s_and_saveexec_b64 s[2:3], s[0:1]
	s_xor_b64 s[14:15], exec, s[2:3]
	s_cbranch_execz .LBB234_196
; %bb.180:                              ;   in Loop: Header=BB234_147 Depth=1
	v_max_f32_e64 v4, |v12|, |v12|
	v_max_f32_e64 v9, |v11|, |v11|
	v_max_f32_e32 v4, v9, v4
	v_cmp_nle_f32_e64 s[0:1], s23, v4
                                        ; implicit-def: $sgpr16_sgpr17
	s_and_saveexec_b64 s[2:3], s[0:1]
	s_xor_b64 s[2:3], exec, s[2:3]
	s_cbranch_execz .LBB234_184
; %bb.181:                              ;   in Loop: Header=BB234_147 Depth=1
	v_cmp_le_f32_e64 s[16:17], |v11|, s24
	v_cmp_le_f32_e64 s[18:19], |v12|, s24
	s_and_b64 s[28:29], s[16:17], s[18:19]
	s_mov_b64 s[16:17], 0
	s_and_saveexec_b64 s[18:19], s[28:29]
; %bb.182:                              ;   in Loop: Header=BB234_147 Depth=1
	s_mov_b64 s[16:17], exec
	v_mul_f32_e32 v11, 4.0, v11
	v_mul_f32_e32 v12, 4.0, v12
; %bb.183:                              ;   in Loop: Header=BB234_147 Depth=1
	s_or_b64 exec, exec, s[18:19]
.LBB234_184:                            ;   in Loop: Header=BB234_147 Depth=1
	s_andn2_saveexec_b64 s[2:3], s[2:3]
; %bb.185:                              ;   in Loop: Header=BB234_147 Depth=1
	v_mul_f32_e32 v11, 0x3e800000, v11
	v_mul_f32_e32 v12, 0x3e800000, v12
	s_andn2_b64 s[16:17], s[16:17], exec
; %bb.186:                              ;   in Loop: Header=BB234_147 Depth=1
	s_or_b64 exec, exec, s[2:3]
	v_max_f32_e64 v4, |v12|, |v12|
	v_max_f32_e64 v9, |v11|, |v11|
	v_max_f32_e32 v4, v9, v4
	v_cvt_f64_f32_e32 v[9:10], v4
	v_cmp_neq_f32_e64 s[2:3], s22, v4
	v_cmp_le_f32_e32 vcc, 0, v11
	v_frexp_exp_i32_f64_e32 v9, v[9:10]
	v_sub_u32_e32 v10, 0, v9
	v_ldexp_f32 v17, |v11|, v10
	v_ldexp_f32 v10, |v12|, v10
	v_mul_f32_e32 v10, v10, v10
	v_fmac_f32_e32 v10, v17, v17
	v_sqrt_f32_e32 v10, v10
	v_ldexp_f32 v9, v10, v9
	v_cndmask_b32_e64 v4, v16, v9, s[2:3]
                                        ; implicit-def: $vgpr10
                                        ; implicit-def: $vgpr9
	s_and_saveexec_b64 s[2:3], vcc
	s_xor_b64 s[18:19], exec, s[2:3]
	s_cbranch_execz .LBB234_189
; %bb.187:                              ;   in Loop: Header=BB234_147 Depth=1
	v_add_f32_e32 v4, v11, v4
	v_mul_f32_e32 v4, 0.5, v4
	v_mul_f32_e32 v9, 0x4f800000, v4
	v_cmp_gt_f32_e32 vcc, s25, v4
	v_cndmask_b32_e32 v4, v4, v9, vcc
	v_sqrt_f32_e32 v9, v4
	v_add_u32_e32 v10, -1, v9
	v_fma_f32 v17, -v10, v9, v4
	v_add_u32_e32 v11, 1, v9
	v_cmp_ge_f32_e64 s[2:3], 0, v17
	v_cndmask_b32_e64 v10, v9, v10, s[2:3]
	v_fma_f32 v9, -v11, v9, v4
	v_cmp_lt_f32_e64 s[2:3], 0, v9
	v_cndmask_b32_e64 v9, v10, v11, s[2:3]
	v_mul_f32_e32 v10, 0x37800000, v9
	v_cndmask_b32_e32 v9, v9, v10, vcc
	v_cmp_class_f32_e32 vcc, v4, v15
	v_cndmask_b32_e32 v9, v9, v4, vcc
	v_add_f32_e32 v4, v9, v9
	v_div_scale_f32 v10, s[2:3], v4, v4, v12
	v_div_scale_f32 v11, vcc, v12, v4, v12
	v_rcp_f32_e32 v17, v10
	v_fma_f32 v18, -v10, v17, 1.0
	v_fmac_f32_e32 v17, v18, v17
	v_mul_f32_e32 v18, v11, v17
	v_fma_f32 v19, -v10, v18, v11
	v_fmac_f32_e32 v18, v19, v17
	v_fma_f32 v10, -v10, v18, v11
	v_div_fmas_f32 v10, v10, v17, v18
	v_div_fixup_f32 v10, v10, v4, v12
                                        ; implicit-def: $vgpr4
                                        ; implicit-def: $vgpr11
	s_andn2_saveexec_b64 s[18:19], s[18:19]
	s_cbranch_execz .LBB234_191
	s_branch .LBB234_190
.LBB234_188:                            ;   in Loop: Header=BB234_147 Depth=1
	s_or_b64 exec, exec, s[0:1]
	s_andn2_saveexec_b64 s[0:1], s[12:13]
	s_cbranch_execnz .LBB234_173
	s_branch .LBB234_174
.LBB234_189:                            ;   in Loop: Header=BB234_147 Depth=1
	s_andn2_saveexec_b64 s[18:19], s[18:19]
	s_cbranch_execz .LBB234_191
.LBB234_190:                            ;   in Loop: Header=BB234_147 Depth=1
	v_sub_f32_e32 v4, v4, v11
	v_mul_f32_e32 v4, 0.5, v4
	v_mul_f32_e32 v9, 0x4f800000, v4
	v_cmp_gt_f32_e32 vcc, s25, v4
	v_cndmask_b32_e32 v4, v4, v9, vcc
	v_sqrt_f32_e32 v9, v4
	v_add_u32_e32 v10, -1, v9
	v_fma_f32 v17, -v10, v9, v4
	v_add_u32_e32 v11, 1, v9
	v_cmp_ge_f32_e64 s[2:3], 0, v17
	v_cndmask_b32_e64 v10, v9, v10, s[2:3]
	v_fma_f32 v9, -v11, v9, v4
	v_cmp_lt_f32_e64 s[2:3], 0, v9
	v_cndmask_b32_e64 v9, v10, v11, s[2:3]
	v_mul_f32_e32 v10, 0x37800000, v9
	v_cndmask_b32_e32 v9, v9, v10, vcc
	v_cmp_class_f32_e32 vcc, v4, v15
	v_cndmask_b32_e32 v4, v9, v4, vcc
	v_add_f32_e32 v9, v4, v4
	v_and_b32_e32 v10, 0x7fffffff, v12
	v_div_scale_f32 v11, s[2:3], v9, v9, v10
	v_div_scale_f32 v10, vcc, v10, v9, v10
	v_rcp_f32_e32 v17, v11
	v_fma_f32 v18, -v11, v17, 1.0
	v_fmac_f32_e32 v17, v18, v17
	v_mul_f32_e32 v18, v10, v17
	v_fma_f32 v19, -v11, v18, v10
	v_fmac_f32_e32 v18, v19, v17
	v_fma_f32 v10, -v11, v18, v10
	v_div_fmas_f32 v10, v10, v17, v18
	v_div_fixup_f32 v9, v10, v9, |v12|
	v_bfi_b32 v10, s26, v4, v12
.LBB234_191:                            ;   in Loop: Header=BB234_147 Depth=1
	s_or_b64 exec, exec, s[18:19]
                                        ; implicit-def: $vgpr12
	s_and_saveexec_b64 s[2:3], s[0:1]
	s_xor_b64 s[0:1], exec, s[2:3]
	s_cbranch_execz .LBB234_193
; %bb.192:                              ;   in Loop: Header=BB234_147 Depth=1
	v_mul_f32_e32 v4, 0.5, v9
	v_mul_f32_e32 v11, 0.5, v10
	v_cndmask_b32_e64 v4, v9, v4, s[16:17]
	v_cndmask_b32_e64 v12, v10, v11, s[16:17]
                                        ; implicit-def: $vgpr9
                                        ; implicit-def: $vgpr10
	s_andn2_saveexec_b64 s[0:1], s[0:1]
	s_cbranch_execnz .LBB234_194
	s_branch .LBB234_195
.LBB234_193:                            ;   in Loop: Header=BB234_147 Depth=1
	s_andn2_saveexec_b64 s[0:1], s[0:1]
.LBB234_194:                            ;   in Loop: Header=BB234_147 Depth=1
	v_add_f32_e32 v4, v9, v9
	v_add_f32_e32 v12, v10, v10
.LBB234_195:                            ;   in Loop: Header=BB234_147 Depth=1
	s_or_b64 exec, exec, s[0:1]
.LBB234_196:                            ;   in Loop: Header=BB234_147 Depth=1
	s_andn2_saveexec_b64 s[0:1], s[14:15]
	s_cbranch_execz .LBB234_202
; %bb.197:                              ;   in Loop: Header=BB234_147 Depth=1
	v_sub_f32_e32 v9, v12, v12
	v_cmp_lt_i32_e32 vcc, -1, v11
	v_and_b32_e32 v4, 0x7fffffff, v9
	s_and_saveexec_b64 s[2:3], vcc
	s_xor_b64 s[2:3], exec, s[2:3]
; %bb.198:                              ;   in Loop: Header=BB234_147 Depth=1
	v_bfi_b32 v12, s26, v9, v12
	v_mov_b32_e32 v4, v11
; %bb.199:                              ;   in Loop: Header=BB234_147 Depth=1
	s_andn2_saveexec_b64 s[2:3], s[2:3]
; %bb.200:                              ;   in Loop: Header=BB234_147 Depth=1
	v_bfi_b32 v12, s26, v11, v12
; %bb.201:                              ;   in Loop: Header=BB234_147 Depth=1
	s_or_b64 exec, exec, s[2:3]
.LBB234_202:                            ;   in Loop: Header=BB234_147 Depth=1
	s_or_b64 exec, exec, s[0:1]
.LBB234_203:                            ;   in Loop: Header=BB234_147 Depth=1
	s_andn2_saveexec_b64 s[0:1], s[12:13]
	s_cbranch_execz .LBB234_205
; %bb.204:                              ;   in Loop: Header=BB234_147 Depth=1
	v_sub_f32_e32 v4, v12, v12
	v_div_scale_f32 v9, vcc, v4, v4, v4
	v_rcp_f32_e32 v10, v9
	v_fma_f32 v12, -v9, v10, 1.0
	v_fmac_f32_e32 v10, v12, v10
	v_mul_f32_e32 v12, v9, v10
	v_fma_f32 v17, -v9, v12, v9
	v_fmac_f32_e32 v12, v17, v10
	v_fma_f32 v9, -v9, v12, v9
	v_div_fmas_f32 v9, v9, v10, v12
	v_div_fixup_f32 v12, v9, v4, v4
	v_mov_b32_e32 v4, v11
.LBB234_205:                            ;   in Loop: Header=BB234_147 Depth=1
	s_or_b64 exec, exec, s[0:1]
.LBB234_206:                            ;   in Loop: Header=BB234_147 Depth=1
	s_or_b64 exec, exec, s[10:11]
.LBB234_207:                            ;   in Loop: Header=BB234_147 Depth=1
	s_or_b64 exec, exec, s[8:9]
	s_waitcnt vmcnt(0)
	v_cmp_neq_f32_e32 vcc, 0, v5
	v_cmp_neq_f32_e64 s[0:1], 0, v6
	v_mov_b32_e32 v11, 0
	s_or_b64 s[0:1], vcc, s[0:1]
	v_mov_b32_e32 v9, 0
	v_mov_b32_e32 v10, v6
	s_and_saveexec_b64 s[8:9], s[0:1]
	s_cbranch_execz .LBB234_237
; %bb.208:                              ;   in Loop: Header=BB234_147 Depth=1
	v_mov_b32_e32 v9, 0x7f800000
	v_cmp_neq_f32_e64 s[0:1], |v6|, v9
	v_mov_b32_e32 v10, v6
	s_and_saveexec_b64 s[10:11], s[0:1]
	s_cbranch_execz .LBB234_236
; %bb.209:                              ;   in Loop: Header=BB234_147 Depth=1
	v_cmp_o_f32_e32 vcc, v5, v5
	s_and_saveexec_b64 s[0:1], vcc
	s_xor_b64 s[12:13], exec, s[0:1]
	s_cbranch_execz .LBB234_233
; %bb.210:                              ;   in Loop: Header=BB234_147 Depth=1
	v_cmp_neq_f32_e64 s[0:1], |v5|, s22
	s_and_saveexec_b64 s[2:3], s[0:1]
	s_xor_b64 s[14:15], exec, s[2:3]
	s_cbranch_execz .LBB234_226
; %bb.211:                              ;   in Loop: Header=BB234_147 Depth=1
	v_max_f32_e64 v9, |v6|, |v6|
	v_max_f32_e64 v10, |v5|, |v5|
	v_max_f32_e32 v9, v10, v9
	v_cmp_nle_f32_e64 s[0:1], s23, v9
                                        ; implicit-def: $sgpr16_sgpr17
                                        ; implicit-def: $vgpr10
                                        ; implicit-def: $vgpr9
	s_and_saveexec_b64 s[2:3], s[0:1]
	s_xor_b64 s[2:3], exec, s[2:3]
	s_cbranch_execz .LBB234_215
; %bb.212:                              ;   in Loop: Header=BB234_147 Depth=1
	v_cmp_le_f32_e64 s[16:17], |v5|, s24
	v_cmp_le_f32_e64 s[18:19], |v6|, s24
	s_and_b64 s[28:29], s[16:17], s[18:19]
	s_mov_b64 s[16:17], 0
	v_mov_b32_e32 v10, v5
	v_mov_b32_e32 v9, v6
	s_and_saveexec_b64 s[18:19], s[28:29]
; %bb.213:                              ;   in Loop: Header=BB234_147 Depth=1
	s_mov_b64 s[16:17], exec
	v_mul_f32_e32 v10, 4.0, v5
	v_mul_f32_e32 v9, 4.0, v6
; %bb.214:                              ;   in Loop: Header=BB234_147 Depth=1
	s_or_b64 exec, exec, s[18:19]
.LBB234_215:                            ;   in Loop: Header=BB234_147 Depth=1
	s_andn2_saveexec_b64 s[2:3], s[2:3]
; %bb.216:                              ;   in Loop: Header=BB234_147 Depth=1
	v_mul_f32_e32 v10, 0x3e800000, v5
	v_mul_f32_e32 v9, 0x3e800000, v6
	s_andn2_b64 s[16:17], s[16:17], exec
; %bb.217:                              ;   in Loop: Header=BB234_147 Depth=1
	s_or_b64 exec, exec, s[2:3]
	v_max_f32_e64 v17, |v9|, |v9|
	v_max_f32_e64 v18, |v10|, |v10|
	v_max_f32_e32 v19, v18, v17
	v_cvt_f64_f32_e32 v[17:18], v19
	v_cmp_neq_f32_e64 s[2:3], s22, v19
	v_cmp_le_f32_e32 vcc, 0, v10
	v_frexp_exp_i32_f64_e32 v17, v[17:18]
	v_sub_u32_e32 v18, 0, v17
	v_ldexp_f32 v20, |v10|, v18
	v_ldexp_f32 v18, |v9|, v18
	v_mul_f32_e32 v18, v18, v18
	v_fmac_f32_e32 v18, v20, v20
	v_sqrt_f32_e32 v18, v18
	v_ldexp_f32 v17, v18, v17
	v_cndmask_b32_e64 v19, v16, v17, s[2:3]
                                        ; implicit-def: $vgpr18
                                        ; implicit-def: $vgpr17
	s_and_saveexec_b64 s[2:3], vcc
	s_xor_b64 s[18:19], exec, s[2:3]
	s_cbranch_execz .LBB234_221
; %bb.218:                              ;   in Loop: Header=BB234_147 Depth=1
	v_add_f32_e32 v10, v10, v19
	v_mul_f32_e32 v10, 0.5, v10
	v_mul_f32_e32 v17, 0x4f800000, v10
	v_cmp_gt_f32_e32 vcc, s25, v10
	v_cndmask_b32_e32 v10, v10, v17, vcc
	v_sqrt_f32_e32 v17, v10
	v_add_u32_e32 v18, -1, v17
	v_fma_f32 v20, -v18, v17, v10
	v_add_u32_e32 v19, 1, v17
	v_cmp_ge_f32_e64 s[2:3], 0, v20
	v_cndmask_b32_e64 v18, v17, v18, s[2:3]
	v_fma_f32 v17, -v19, v17, v10
	v_cmp_lt_f32_e64 s[2:3], 0, v17
	v_cndmask_b32_e64 v17, v18, v19, s[2:3]
	v_mul_f32_e32 v18, 0x37800000, v17
	v_cndmask_b32_e32 v17, v17, v18, vcc
	v_cmp_class_f32_e32 vcc, v10, v15
	v_cndmask_b32_e32 v17, v17, v10, vcc
	v_add_f32_e32 v10, v17, v17
	v_div_scale_f32 v18, s[2:3], v10, v10, v9
	v_div_scale_f32 v19, vcc, v9, v10, v9
	v_rcp_f32_e32 v20, v18
	v_fma_f32 v21, -v18, v20, 1.0
	v_fmac_f32_e32 v20, v21, v20
	v_mul_f32_e32 v21, v19, v20
	v_fma_f32 v22, -v18, v21, v19
	v_fmac_f32_e32 v21, v22, v20
	v_fma_f32 v18, -v18, v21, v19
	v_div_fmas_f32 v18, v18, v20, v21
                                        ; implicit-def: $vgpr19
	v_div_fixup_f32 v18, v18, v10, v9
                                        ; implicit-def: $vgpr10
                                        ; implicit-def: $vgpr9
	s_andn2_saveexec_b64 s[18:19], s[18:19]
	s_cbranch_execnz .LBB234_222
.LBB234_219:                            ;   in Loop: Header=BB234_147 Depth=1
	s_or_b64 exec, exec, s[18:19]
	s_and_saveexec_b64 s[2:3], s[0:1]
	s_xor_b64 s[0:1], exec, s[2:3]
	s_cbranch_execz .LBB234_223
.LBB234_220:                            ;   in Loop: Header=BB234_147 Depth=1
	v_mul_f32_e32 v9, 0.5, v17
	v_mul_f32_e32 v10, 0.5, v18
	v_cndmask_b32_e64 v9, v17, v9, s[16:17]
	v_cndmask_b32_e64 v10, v18, v10, s[16:17]
                                        ; implicit-def: $vgpr17
                                        ; implicit-def: $vgpr18
	s_andn2_saveexec_b64 s[0:1], s[0:1]
	s_cbranch_execnz .LBB234_224
	s_branch .LBB234_225
.LBB234_221:                            ;   in Loop: Header=BB234_147 Depth=1
	s_andn2_saveexec_b64 s[18:19], s[18:19]
	s_cbranch_execz .LBB234_219
.LBB234_222:                            ;   in Loop: Header=BB234_147 Depth=1
	v_sub_f32_e32 v10, v19, v10
	v_mul_f32_e32 v10, 0.5, v10
	v_mul_f32_e32 v17, 0x4f800000, v10
	v_cmp_gt_f32_e32 vcc, s25, v10
	v_cndmask_b32_e32 v10, v10, v17, vcc
	v_sqrt_f32_e32 v17, v10
	v_add_u32_e32 v18, -1, v17
	v_fma_f32 v20, -v18, v17, v10
	v_add_u32_e32 v19, 1, v17
	v_cmp_ge_f32_e64 s[2:3], 0, v20
	v_cndmask_b32_e64 v18, v17, v18, s[2:3]
	v_fma_f32 v17, -v19, v17, v10
	v_cmp_lt_f32_e64 s[2:3], 0, v17
	v_cndmask_b32_e64 v17, v18, v19, s[2:3]
	v_mul_f32_e32 v18, 0x37800000, v17
	v_cndmask_b32_e32 v17, v17, v18, vcc
	v_cmp_class_f32_e32 vcc, v10, v15
	v_cndmask_b32_e32 v10, v17, v10, vcc
	v_add_f32_e32 v17, v10, v10
	v_and_b32_e32 v18, 0x7fffffff, v9
	v_div_scale_f32 v19, s[2:3], v17, v17, v18
	v_div_scale_f32 v18, vcc, v18, v17, v18
	v_rcp_f32_e32 v20, v19
	v_fma_f32 v21, -v19, v20, 1.0
	v_fmac_f32_e32 v20, v21, v20
	v_mul_f32_e32 v21, v18, v20
	v_fma_f32 v22, -v19, v21, v18
	v_fmac_f32_e32 v21, v22, v20
	v_fma_f32 v18, -v19, v21, v18
	v_div_fmas_f32 v18, v18, v20, v21
	v_div_fixup_f32 v17, v18, v17, |v9|
	v_bfi_b32 v18, s26, v10, v9
	s_or_b64 exec, exec, s[18:19]
	s_and_saveexec_b64 s[2:3], s[0:1]
	s_xor_b64 s[0:1], exec, s[2:3]
	s_cbranch_execnz .LBB234_220
.LBB234_223:                            ;   in Loop: Header=BB234_147 Depth=1
	s_andn2_saveexec_b64 s[0:1], s[0:1]
.LBB234_224:                            ;   in Loop: Header=BB234_147 Depth=1
	v_add_f32_e32 v9, v17, v17
	v_add_f32_e32 v10, v18, v18
.LBB234_225:                            ;   in Loop: Header=BB234_147 Depth=1
	s_or_b64 exec, exec, s[0:1]
.LBB234_226:                            ;   in Loop: Header=BB234_147 Depth=1
	s_andn2_saveexec_b64 s[0:1], s[14:15]
	s_cbranch_execz .LBB234_232
; %bb.227:                              ;   in Loop: Header=BB234_147 Depth=1
	v_sub_f32_e32 v10, v6, v6
	v_cmp_lt_i32_e32 vcc, -1, v5
	v_and_b32_e32 v9, 0x7fffffff, v10
	s_and_saveexec_b64 s[2:3], vcc
	s_xor_b64 s[2:3], exec, s[2:3]
; %bb.228:                              ;   in Loop: Header=BB234_147 Depth=1
	v_bfi_b32 v10, s26, v10, v6
	v_mov_b32_e32 v9, v5
; %bb.229:                              ;   in Loop: Header=BB234_147 Depth=1
	s_andn2_saveexec_b64 s[2:3], s[2:3]
; %bb.230:                              ;   in Loop: Header=BB234_147 Depth=1
	v_bfi_b32 v10, s26, v5, v6
; %bb.231:                              ;   in Loop: Header=BB234_147 Depth=1
	s_or_b64 exec, exec, s[2:3]
.LBB234_232:                            ;   in Loop: Header=BB234_147 Depth=1
	s_or_b64 exec, exec, s[0:1]
.LBB234_233:                            ;   in Loop: Header=BB234_147 Depth=1
	s_andn2_saveexec_b64 s[0:1], s[12:13]
	s_cbranch_execz .LBB234_235
; %bb.234:                              ;   in Loop: Header=BB234_147 Depth=1
	v_sub_f32_e32 v6, v6, v6
	v_div_scale_f32 v9, vcc, v6, v6, v6
	v_rcp_f32_e32 v10, v9
	v_fma_f32 v17, -v9, v10, 1.0
	v_fmac_f32_e32 v10, v17, v10
	v_mul_f32_e32 v17, v9, v10
	v_fma_f32 v18, -v9, v17, v9
	v_fmac_f32_e32 v17, v18, v10
	v_fma_f32 v9, -v9, v17, v9
	v_div_fmas_f32 v9, v9, v10, v17
	v_div_fixup_f32 v10, v9, v6, v6
	v_mov_b32_e32 v9, v5
.LBB234_235:                            ;   in Loop: Header=BB234_147 Depth=1
	s_or_b64 exec, exec, s[0:1]
.LBB234_236:                            ;   in Loop: Header=BB234_147 Depth=1
	s_or_b64 exec, exec, s[10:11]
.LBB234_237:                            ;   in Loop: Header=BB234_147 Depth=1
	s_or_b64 exec, exec, s[8:9]
	v_cmp_neq_f32_e32 vcc, 0, v7
	v_cmp_neq_f32_e64 s[0:1], 0, v8
	s_or_b64 s[0:1], vcc, s[0:1]
	s_and_saveexec_b64 s[8:9], s[0:1]
	s_cbranch_execz .LBB234_146
; %bb.238:                              ;   in Loop: Header=BB234_147 Depth=1
	v_mov_b32_e32 v11, 0x7f800000
	v_cmp_neq_f32_e64 s[0:1], |v8|, v11
	s_and_saveexec_b64 s[10:11], s[0:1]
	s_cbranch_execz .LBB234_145
; %bb.239:                              ;   in Loop: Header=BB234_147 Depth=1
	v_cmp_o_f32_e32 vcc, v7, v7
	s_and_saveexec_b64 s[0:1], vcc
	s_xor_b64 s[12:13], exec, s[0:1]
	s_cbranch_execz .LBB234_263
; %bb.240:                              ;   in Loop: Header=BB234_147 Depth=1
	v_cmp_neq_f32_e64 s[0:1], |v7|, s22
	s_and_saveexec_b64 s[2:3], s[0:1]
	s_xor_b64 s[14:15], exec, s[2:3]
	s_cbranch_execz .LBB234_256
; %bb.241:                              ;   in Loop: Header=BB234_147 Depth=1
	v_max_f32_e64 v5, |v8|, |v8|
	v_max_f32_e64 v6, |v7|, |v7|
	v_max_f32_e32 v5, v6, v5
	v_cmp_nle_f32_e64 s[0:1], s23, v5
                                        ; implicit-def: $sgpr16_sgpr17
	s_and_saveexec_b64 s[2:3], s[0:1]
	s_xor_b64 s[2:3], exec, s[2:3]
	s_cbranch_execz .LBB234_245
; %bb.242:                              ;   in Loop: Header=BB234_147 Depth=1
	v_cmp_le_f32_e64 s[16:17], |v7|, s24
	v_cmp_le_f32_e64 s[18:19], |v8|, s24
	s_and_b64 s[28:29], s[16:17], s[18:19]
	s_mov_b64 s[16:17], 0
	s_and_saveexec_b64 s[18:19], s[28:29]
; %bb.243:                              ;   in Loop: Header=BB234_147 Depth=1
	s_mov_b64 s[16:17], exec
	v_mul_f32_e32 v7, 4.0, v7
	v_mul_f32_e32 v8, 4.0, v8
; %bb.244:                              ;   in Loop: Header=BB234_147 Depth=1
	s_or_b64 exec, exec, s[18:19]
.LBB234_245:                            ;   in Loop: Header=BB234_147 Depth=1
	s_andn2_saveexec_b64 s[2:3], s[2:3]
; %bb.246:                              ;   in Loop: Header=BB234_147 Depth=1
	v_mul_f32_e32 v7, 0x3e800000, v7
	v_mul_f32_e32 v8, 0x3e800000, v8
	s_andn2_b64 s[16:17], s[16:17], exec
; %bb.247:                              ;   in Loop: Header=BB234_147 Depth=1
	s_or_b64 exec, exec, s[2:3]
	v_max_f32_e64 v5, |v8|, |v8|
	v_max_f32_e64 v6, |v7|, |v7|
	v_max_f32_e32 v11, v6, v5
	v_cvt_f64_f32_e32 v[5:6], v11
	v_cmp_neq_f32_e64 s[2:3], s22, v11
	v_cmp_le_f32_e32 vcc, 0, v7
	v_frexp_exp_i32_f64_e32 v5, v[5:6]
	v_sub_u32_e32 v6, 0, v5
	v_ldexp_f32 v17, |v7|, v6
	v_ldexp_f32 v6, |v8|, v6
	v_mul_f32_e32 v6, v6, v6
	v_fmac_f32_e32 v6, v17, v17
	v_sqrt_f32_e32 v6, v6
	v_ldexp_f32 v5, v6, v5
	v_cndmask_b32_e64 v11, v16, v5, s[2:3]
                                        ; implicit-def: $vgpr6
                                        ; implicit-def: $vgpr5
	s_and_saveexec_b64 s[2:3], vcc
	s_xor_b64 s[18:19], exec, s[2:3]
	s_cbranch_execz .LBB234_249
; %bb.248:                              ;   in Loop: Header=BB234_147 Depth=1
	v_add_f32_e32 v5, v7, v11
	v_mul_f32_e32 v5, 0.5, v5
	v_mul_f32_e32 v6, 0x4f800000, v5
	v_cmp_gt_f32_e32 vcc, s25, v5
	v_cndmask_b32_e32 v5, v5, v6, vcc
	v_sqrt_f32_e32 v6, v5
	v_add_u32_e32 v7, -1, v6
	v_fma_f32 v17, -v7, v6, v5
	v_add_u32_e32 v11, 1, v6
	v_cmp_ge_f32_e64 s[2:3], 0, v17
	v_cndmask_b32_e64 v7, v6, v7, s[2:3]
	v_fma_f32 v6, -v11, v6, v5
	v_cmp_lt_f32_e64 s[2:3], 0, v6
	v_cndmask_b32_e64 v6, v7, v11, s[2:3]
	v_mul_f32_e32 v7, 0x37800000, v6
	v_cndmask_b32_e32 v6, v6, v7, vcc
	v_cmp_class_f32_e32 vcc, v5, v15
	v_cndmask_b32_e32 v5, v6, v5, vcc
	v_add_f32_e32 v6, v5, v5
	v_div_scale_f32 v7, s[2:3], v6, v6, v8
	v_div_scale_f32 v11, vcc, v8, v6, v8
	v_rcp_f32_e32 v17, v7
	v_fma_f32 v18, -v7, v17, 1.0
	v_fmac_f32_e32 v17, v18, v17
	v_mul_f32_e32 v18, v11, v17
	v_fma_f32 v19, -v7, v18, v11
	v_fmac_f32_e32 v18, v19, v17
	v_fma_f32 v7, -v7, v18, v11
	v_div_fmas_f32 v7, v7, v17, v18
                                        ; implicit-def: $vgpr11
	v_div_fixup_f32 v6, v7, v6, v8
                                        ; implicit-def: $vgpr7
	s_andn2_saveexec_b64 s[18:19], s[18:19]
	s_cbranch_execz .LBB234_251
	s_branch .LBB234_250
.LBB234_249:                            ;   in Loop: Header=BB234_147 Depth=1
	s_andn2_saveexec_b64 s[18:19], s[18:19]
	s_cbranch_execz .LBB234_251
.LBB234_250:                            ;   in Loop: Header=BB234_147 Depth=1
	v_sub_f32_e32 v5, v11, v7
	v_mul_f32_e32 v5, 0.5, v5
	v_mul_f32_e32 v6, 0x4f800000, v5
	v_cmp_gt_f32_e32 vcc, s25, v5
	v_cndmask_b32_e32 v5, v5, v6, vcc
	v_sqrt_f32_e32 v6, v5
	v_add_u32_e32 v7, -1, v6
	v_fma_f32 v17, -v7, v6, v5
	v_add_u32_e32 v11, 1, v6
	v_cmp_ge_f32_e64 s[2:3], 0, v17
	v_cndmask_b32_e64 v7, v6, v7, s[2:3]
	v_fma_f32 v6, -v11, v6, v5
	v_cmp_lt_f32_e64 s[2:3], 0, v6
	v_cndmask_b32_e64 v6, v7, v11, s[2:3]
	v_mul_f32_e32 v7, 0x37800000, v6
	v_cndmask_b32_e32 v6, v6, v7, vcc
	v_cmp_class_f32_e32 vcc, v5, v15
	v_cndmask_b32_e32 v6, v6, v5, vcc
	v_add_f32_e32 v5, v6, v6
	v_and_b32_e32 v7, 0x7fffffff, v8
	v_div_scale_f32 v11, s[2:3], v5, v5, v7
	v_div_scale_f32 v7, vcc, v7, v5, v7
	v_bfi_b32 v6, s26, v6, v8
	v_rcp_f32_e32 v17, v11
	v_fma_f32 v18, -v11, v17, 1.0
	v_fmac_f32_e32 v17, v18, v17
	v_mul_f32_e32 v18, v7, v17
	v_fma_f32 v19, -v11, v18, v7
	v_fmac_f32_e32 v18, v19, v17
	v_fma_f32 v7, -v11, v18, v7
	v_div_fmas_f32 v7, v7, v17, v18
	v_div_fixup_f32 v5, v7, v5, |v8|
.LBB234_251:                            ;   in Loop: Header=BB234_147 Depth=1
	s_or_b64 exec, exec, s[18:19]
                                        ; implicit-def: $vgpr8
	s_and_saveexec_b64 s[2:3], s[0:1]
	s_xor_b64 s[0:1], exec, s[2:3]
	s_cbranch_execz .LBB234_253
; %bb.252:                              ;   in Loop: Header=BB234_147 Depth=1
	v_mul_f32_e32 v7, 0.5, v5
	v_mul_f32_e32 v8, 0.5, v6
	v_cndmask_b32_e64 v11, v5, v7, s[16:17]
	v_cndmask_b32_e64 v8, v6, v8, s[16:17]
                                        ; implicit-def: $vgpr5
                                        ; implicit-def: $vgpr6
	s_andn2_saveexec_b64 s[0:1], s[0:1]
	s_cbranch_execnz .LBB234_254
	s_branch .LBB234_255
.LBB234_253:                            ;   in Loop: Header=BB234_147 Depth=1
	s_andn2_saveexec_b64 s[0:1], s[0:1]
.LBB234_254:                            ;   in Loop: Header=BB234_147 Depth=1
	v_add_f32_e32 v11, v5, v5
	v_add_f32_e32 v8, v6, v6
.LBB234_255:                            ;   in Loop: Header=BB234_147 Depth=1
	s_or_b64 exec, exec, s[0:1]
.LBB234_256:                            ;   in Loop: Header=BB234_147 Depth=1
	s_andn2_saveexec_b64 s[0:1], s[14:15]
	s_cbranch_execz .LBB234_262
; %bb.257:                              ;   in Loop: Header=BB234_147 Depth=1
	v_sub_f32_e32 v5, v8, v8
	v_cmp_lt_i32_e32 vcc, -1, v7
	v_and_b32_e32 v11, 0x7fffffff, v5
	s_and_saveexec_b64 s[2:3], vcc
	s_xor_b64 s[2:3], exec, s[2:3]
; %bb.258:                              ;   in Loop: Header=BB234_147 Depth=1
	v_bfi_b32 v8, s26, v5, v8
	v_mov_b32_e32 v11, v7
; %bb.259:                              ;   in Loop: Header=BB234_147 Depth=1
	s_andn2_saveexec_b64 s[2:3], s[2:3]
; %bb.260:                              ;   in Loop: Header=BB234_147 Depth=1
	v_bfi_b32 v8, s26, v7, v8
; %bb.261:                              ;   in Loop: Header=BB234_147 Depth=1
	s_or_b64 exec, exec, s[2:3]
.LBB234_262:                            ;   in Loop: Header=BB234_147 Depth=1
	s_or_b64 exec, exec, s[0:1]
.LBB234_263:                            ;   in Loop: Header=BB234_147 Depth=1
	s_andn2_saveexec_b64 s[0:1], s[12:13]
	s_cbranch_execz .LBB234_144
; %bb.264:                              ;   in Loop: Header=BB234_147 Depth=1
	v_sub_f32_e32 v5, v8, v8
	v_div_scale_f32 v6, vcc, v5, v5, v5
	v_rcp_f32_e32 v8, v6
	v_fma_f32 v11, -v6, v8, 1.0
	v_fmac_f32_e32 v8, v11, v8
	v_mul_f32_e32 v11, v6, v8
	v_fma_f32 v17, -v6, v11, v6
	v_fmac_f32_e32 v11, v17, v8
	v_fma_f32 v6, -v6, v11, v6
	v_div_fmas_f32 v6, v6, v8, v11
	v_mov_b32_e32 v11, v7
	v_div_fixup_f32 v8, v6, v5, v5
	s_branch .LBB234_144
.LBB234_265:
	s_endpgm
	.section	.rodata,"a",@progbits
	.p2align	6, 0x0
	.amdhsa_kernel _ZN2at6native12_GLOBAL__N_125multi_tensor_apply_kernelINS1_18TensorListMetadataILi1EEENS1_14UnaryOpFunctorIN3c107complexIfEELi1ELi1ELi0EEEJNS0_4SqrtIS8_EEEEEvT_T0_DpT1_
		.amdhsa_group_segment_fixed_size 0
		.amdhsa_private_segment_fixed_size 0
		.amdhsa_kernarg_size 3632
		.amdhsa_user_sgpr_count 6
		.amdhsa_user_sgpr_private_segment_buffer 1
		.amdhsa_user_sgpr_dispatch_ptr 0
		.amdhsa_user_sgpr_queue_ptr 0
		.amdhsa_user_sgpr_kernarg_segment_ptr 1
		.amdhsa_user_sgpr_dispatch_id 0
		.amdhsa_user_sgpr_flat_scratch_init 0
		.amdhsa_user_sgpr_private_segment_size 0
		.amdhsa_uses_dynamic_stack 0
		.amdhsa_system_sgpr_private_segment_wavefront_offset 0
		.amdhsa_system_sgpr_workgroup_id_x 1
		.amdhsa_system_sgpr_workgroup_id_y 0
		.amdhsa_system_sgpr_workgroup_id_z 0
		.amdhsa_system_sgpr_workgroup_info 0
		.amdhsa_system_vgpr_workitem_id 0
		.amdhsa_next_free_vgpr 30
		.amdhsa_next_free_sgpr 50
		.amdhsa_reserve_vcc 1
		.amdhsa_reserve_flat_scratch 0
		.amdhsa_float_round_mode_32 0
		.amdhsa_float_round_mode_16_64 0
		.amdhsa_float_denorm_mode_32 3
		.amdhsa_float_denorm_mode_16_64 3
		.amdhsa_dx10_clamp 1
		.amdhsa_ieee_mode 1
		.amdhsa_fp16_overflow 0
		.amdhsa_exception_fp_ieee_invalid_op 0
		.amdhsa_exception_fp_denorm_src 0
		.amdhsa_exception_fp_ieee_div_zero 0
		.amdhsa_exception_fp_ieee_overflow 0
		.amdhsa_exception_fp_ieee_underflow 0
		.amdhsa_exception_fp_ieee_inexact 0
		.amdhsa_exception_int_div_zero 0
	.end_amdhsa_kernel
	.section	.text._ZN2at6native12_GLOBAL__N_125multi_tensor_apply_kernelINS1_18TensorListMetadataILi1EEENS1_14UnaryOpFunctorIN3c107complexIfEELi1ELi1ELi0EEEJNS0_4SqrtIS8_EEEEEvT_T0_DpT1_,"axG",@progbits,_ZN2at6native12_GLOBAL__N_125multi_tensor_apply_kernelINS1_18TensorListMetadataILi1EEENS1_14UnaryOpFunctorIN3c107complexIfEELi1ELi1ELi0EEEJNS0_4SqrtIS8_EEEEEvT_T0_DpT1_,comdat
.Lfunc_end234:
	.size	_ZN2at6native12_GLOBAL__N_125multi_tensor_apply_kernelINS1_18TensorListMetadataILi1EEENS1_14UnaryOpFunctorIN3c107complexIfEELi1ELi1ELi0EEEJNS0_4SqrtIS8_EEEEEvT_T0_DpT1_, .Lfunc_end234-_ZN2at6native12_GLOBAL__N_125multi_tensor_apply_kernelINS1_18TensorListMetadataILi1EEENS1_14UnaryOpFunctorIN3c107complexIfEELi1ELi1ELi0EEEJNS0_4SqrtIS8_EEEEEvT_T0_DpT1_
                                        ; -- End function
	.set _ZN2at6native12_GLOBAL__N_125multi_tensor_apply_kernelINS1_18TensorListMetadataILi1EEENS1_14UnaryOpFunctorIN3c107complexIfEELi1ELi1ELi0EEEJNS0_4SqrtIS8_EEEEEvT_T0_DpT1_.num_vgpr, 30
	.set _ZN2at6native12_GLOBAL__N_125multi_tensor_apply_kernelINS1_18TensorListMetadataILi1EEENS1_14UnaryOpFunctorIN3c107complexIfEELi1ELi1ELi0EEEJNS0_4SqrtIS8_EEEEEvT_T0_DpT1_.num_agpr, 0
	.set _ZN2at6native12_GLOBAL__N_125multi_tensor_apply_kernelINS1_18TensorListMetadataILi1EEENS1_14UnaryOpFunctorIN3c107complexIfEELi1ELi1ELi0EEEJNS0_4SqrtIS8_EEEEEvT_T0_DpT1_.numbered_sgpr, 50
	.set _ZN2at6native12_GLOBAL__N_125multi_tensor_apply_kernelINS1_18TensorListMetadataILi1EEENS1_14UnaryOpFunctorIN3c107complexIfEELi1ELi1ELi0EEEJNS0_4SqrtIS8_EEEEEvT_T0_DpT1_.num_named_barrier, 0
	.set _ZN2at6native12_GLOBAL__N_125multi_tensor_apply_kernelINS1_18TensorListMetadataILi1EEENS1_14UnaryOpFunctorIN3c107complexIfEELi1ELi1ELi0EEEJNS0_4SqrtIS8_EEEEEvT_T0_DpT1_.private_seg_size, 0
	.set _ZN2at6native12_GLOBAL__N_125multi_tensor_apply_kernelINS1_18TensorListMetadataILi1EEENS1_14UnaryOpFunctorIN3c107complexIfEELi1ELi1ELi0EEEJNS0_4SqrtIS8_EEEEEvT_T0_DpT1_.uses_vcc, 1
	.set _ZN2at6native12_GLOBAL__N_125multi_tensor_apply_kernelINS1_18TensorListMetadataILi1EEENS1_14UnaryOpFunctorIN3c107complexIfEELi1ELi1ELi0EEEJNS0_4SqrtIS8_EEEEEvT_T0_DpT1_.uses_flat_scratch, 0
	.set _ZN2at6native12_GLOBAL__N_125multi_tensor_apply_kernelINS1_18TensorListMetadataILi1EEENS1_14UnaryOpFunctorIN3c107complexIfEELi1ELi1ELi0EEEJNS0_4SqrtIS8_EEEEEvT_T0_DpT1_.has_dyn_sized_stack, 0
	.set _ZN2at6native12_GLOBAL__N_125multi_tensor_apply_kernelINS1_18TensorListMetadataILi1EEENS1_14UnaryOpFunctorIN3c107complexIfEELi1ELi1ELi0EEEJNS0_4SqrtIS8_EEEEEvT_T0_DpT1_.has_recursion, 0
	.set _ZN2at6native12_GLOBAL__N_125multi_tensor_apply_kernelINS1_18TensorListMetadataILi1EEENS1_14UnaryOpFunctorIN3c107complexIfEELi1ELi1ELi0EEEJNS0_4SqrtIS8_EEEEEvT_T0_DpT1_.has_indirect_call, 0
	.section	.AMDGPU.csdata,"",@progbits
; Kernel info:
; codeLenInByte = 8576
; TotalNumSgprs: 54
; NumVgprs: 30
; ScratchSize: 0
; MemoryBound: 1
; FloatMode: 240
; IeeeMode: 1
; LDSByteSize: 0 bytes/workgroup (compile time only)
; SGPRBlocks: 6
; VGPRBlocks: 7
; NumSGPRsForWavesPerEU: 54
; NumVGPRsForWavesPerEU: 30
; Occupancy: 8
; WaveLimiterHint : 0
; COMPUTE_PGM_RSRC2:SCRATCH_EN: 0
; COMPUTE_PGM_RSRC2:USER_SGPR: 6
; COMPUTE_PGM_RSRC2:TRAP_HANDLER: 0
; COMPUTE_PGM_RSRC2:TGID_X_EN: 1
; COMPUTE_PGM_RSRC2:TGID_Y_EN: 0
; COMPUTE_PGM_RSRC2:TGID_Z_EN: 0
; COMPUTE_PGM_RSRC2:TIDIG_COMP_CNT: 0
	.section	.text._ZN2at6native12_GLOBAL__N_125multi_tensor_apply_kernelINS1_18TensorListMetadataILi1EEENS1_14UnaryOpFunctorIN3c104HalfELi1ELi1ELi0EEEJNS0_4SqrtIfEEEEEvT_T0_DpT1_,"axG",@progbits,_ZN2at6native12_GLOBAL__N_125multi_tensor_apply_kernelINS1_18TensorListMetadataILi1EEENS1_14UnaryOpFunctorIN3c104HalfELi1ELi1ELi0EEEJNS0_4SqrtIfEEEEEvT_T0_DpT1_,comdat
	.globl	_ZN2at6native12_GLOBAL__N_125multi_tensor_apply_kernelINS1_18TensorListMetadataILi1EEENS1_14UnaryOpFunctorIN3c104HalfELi1ELi1ELi0EEEJNS0_4SqrtIfEEEEEvT_T0_DpT1_ ; -- Begin function _ZN2at6native12_GLOBAL__N_125multi_tensor_apply_kernelINS1_18TensorListMetadataILi1EEENS1_14UnaryOpFunctorIN3c104HalfELi1ELi1ELi0EEEJNS0_4SqrtIfEEEEEvT_T0_DpT1_
	.p2align	8
	.type	_ZN2at6native12_GLOBAL__N_125multi_tensor_apply_kernelINS1_18TensorListMetadataILi1EEENS1_14UnaryOpFunctorIN3c104HalfELi1ELi1ELi0EEEJNS0_4SqrtIfEEEEEvT_T0_DpT1_,@function
_ZN2at6native12_GLOBAL__N_125multi_tensor_apply_kernelINS1_18TensorListMetadataILi1EEENS1_14UnaryOpFunctorIN3c104HalfELi1ELi1ELi0EEEJNS0_4SqrtIfEEEEEvT_T0_DpT1_: ; @_ZN2at6native12_GLOBAL__N_125multi_tensor_apply_kernelINS1_18TensorListMetadataILi1EEENS1_14UnaryOpFunctorIN3c104HalfELi1ELi1ELi0EEEJNS0_4SqrtIfEEEEEvT_T0_DpT1_
; %bb.0:
	v_mov_b32_e32 v1, s6
	global_load_ubyte v1, v1, s[4:5] offset:1760
	s_add_u32 s0, s4, s6
	s_mul_hi_u32 s1, s6, 3
	s_mul_i32 s6, s6, 3
	s_addc_u32 s2, s5, 0
	s_add_u32 s0, s0, s6
	s_addc_u32 s1, s2, s1
	s_load_dword s0, s[0:1], 0x820
	s_mov_b32 s7, 0
	s_waitcnt vmcnt(0)
	v_readfirstlane_b32 s1, v1
	s_lshl_b32 s1, s1, 3
	s_load_dwordx2 s[2:3], s[4:5], s1 offset:0x370
	s_load_dwordx2 s[10:11], s[4:5], s1 offset:0x0
	s_waitcnt lgkmcnt(0)
	s_ashr_i32 s1, s0, 31
	s_lshl_b64 s[12:13], s[0:1], 17
	s_lshl_b64 s[0:1], s[0:1], 16
	s_and_b32 s6, s10, 7
	s_sub_u32 s14, s2, s0
	s_subb_u32 s15, s3, s1
	s_and_b32 s0, s2, 3
	s_mov_b32 s1, s7
	s_or_b64 s[0:1], s[6:7], s[0:1]
	s_cmp_eq_u64 s[0:1], 0
	s_cbranch_scc1 .LBB235_21
; %bb.1:
	v_cmp_lt_i64_e64 s[0:1], s[14:15], 1
	s_and_b64 vcc, exec, s[0:1]
	s_cbranch_vccnz .LBB235_20
; %bb.2:
	v_mov_b32_e32 v1, 0x10000
	s_load_dword s2, s[4:5], 0xd3c
	v_mov_b32_e32 v2, 0
	v_cmp_lt_i64_e32 vcc, s[14:15], v[1:2]
	s_mov_b64 s[20:21], 0
	s_and_b64 s[0:1], vcc, exec
	v_cmp_lt_u64_e32 vcc, s[14:15], v[1:2]
	s_cselect_b32 s17, s15, 0
	s_cselect_b32 s16, s14, 0x10000
	s_waitcnt lgkmcnt(0)
	s_and_b32 s2, s2, 0xffff
	s_and_b64 s[0:1], vcc, exec
	s_cselect_b32 s19, s15, 0
	s_cselect_b32 s18, s14, 0x10000
	s_lshl_b32 s3, s2, 1
	s_lshl_b32 s24, s2, 2
	s_add_u32 s6, s10, s12
	v_lshlrev_b32_e32 v1, 1, v0
	s_addc_u32 s7, s11, s13
	v_mov_b32_e32 v2, s7
	v_add_co_u32_e32 v1, vcc, s6, v1
	s_mul_i32 s0, s2, 3
	v_addc_co_u32_e32 v2, vcc, 0, v2, vcc
	v_add_co_u32_e32 v5, vcc, s0, v0
	v_addc_co_u32_e64 v6, s[0:1], 0, 0, vcc
	v_add_co_u32_e32 v7, vcc, s3, v0
	v_addc_co_u32_e64 v8, s[0:1], 0, 0, vcc
	v_add_co_u32_e32 v9, vcc, s2, v0
	v_lshlrev_b32_e32 v3, 1, v9
	v_addc_co_u32_e64 v10, s[0:1], 0, 0, vcc
	v_mov_b32_e32 v4, s7
	v_add_co_u32_e32 v3, vcc, s6, v3
	s_lshl_b32 s25, s2, 3
	s_mul_i32 s26, s2, 6
	v_addc_co_u32_e32 v4, vcc, 0, v4, vcc
	s_mov_b32 s27, 0xf800000
	v_mov_b32_e32 v11, 0x260
	s_branch .LBB235_4
.LBB235_3:                              ;   in Loop: Header=BB235_4 Depth=1
	s_or_b64 exec, exec, s[0:1]
	s_add_u32 s20, s20, s24
	v_add_co_u32_e32 v1, vcc, s25, v1
	v_mov_b32_e32 v12, s16
	s_addc_u32 s21, s21, 0
	v_addc_co_u32_e32 v2, vcc, 0, v2, vcc
	v_mov_b32_e32 v13, s17
	v_cmp_lt_i64_e32 vcc, s[20:21], v[12:13]
	v_add_co_u32_e64 v3, s[0:1], s25, v3
	v_addc_co_u32_e64 v4, s[0:1], 0, v4, s[0:1]
	s_cbranch_vccz .LBB235_20
.LBB235_4:                              ; =>This Inner Loop Header: Depth=1
	v_mov_b32_e32 v13, s21
	v_add_co_u32_e32 v12, vcc, s20, v0
	v_addc_co_u32_e32 v13, vcc, 0, v13, vcc
	v_cmp_gt_u64_e32 vcc, s[18:19], v[12:13]
	v_mov_b32_e32 v12, 0
	s_and_saveexec_b64 s[2:3], vcc
	s_cbranch_execz .LBB235_6
; %bb.5:                                ;   in Loop: Header=BB235_4 Depth=1
	global_load_ushort v12, v[1:2], off
	s_waitcnt vmcnt(0)
	v_cvt_f32_f16_e32 v12, v12
	v_mul_f32_e32 v13, 0x4f800000, v12
	v_cmp_gt_f32_e64 s[0:1], s27, v12
	v_cndmask_b32_e64 v12, v12, v13, s[0:1]
	v_rsq_f32_e32 v13, v12
	v_mul_f32_e32 v14, v12, v13
	v_mul_f32_e32 v13, 0.5, v13
	v_fma_f32 v15, -v13, v14, 0.5
	v_fmac_f32_e32 v14, v14, v15
	v_fmac_f32_e32 v13, v13, v15
	v_fma_f32 v15, -v14, v14, v12
	v_fmac_f32_e32 v14, v15, v13
	v_mul_f32_e32 v13, 0x37800000, v14
	v_cndmask_b32_e64 v13, v14, v13, s[0:1]
	v_cmp_class_f32_e64 s[0:1], v12, v11
	v_cndmask_b32_e64 v12, v13, v12, s[0:1]
	v_cvt_f16_f32_e32 v12, v12
.LBB235_6:                              ;   in Loop: Header=BB235_4 Depth=1
	s_or_b64 exec, exec, s[2:3]
	v_mov_b32_e32 v14, s21
	v_add_co_u32_e64 v13, s[0:1], s20, v9
	v_addc_co_u32_e64 v14, s[0:1], v10, v14, s[0:1]
	v_cmp_gt_u64_e64 s[0:1], s[18:19], v[13:14]
	v_mov_b32_e32 v13, 0
	v_mov_b32_e32 v14, 0
	s_and_saveexec_b64 s[6:7], s[0:1]
	s_cbranch_execz .LBB235_8
; %bb.7:                                ;   in Loop: Header=BB235_4 Depth=1
	global_load_ushort v14, v[3:4], off
	s_waitcnt vmcnt(0)
	v_cvt_f32_f16_e32 v14, v14
	v_mul_f32_e32 v15, 0x4f800000, v14
	v_cmp_gt_f32_e64 s[2:3], s27, v14
	v_cndmask_b32_e64 v14, v14, v15, s[2:3]
	v_rsq_f32_e32 v15, v14
	v_mul_f32_e32 v16, v14, v15
	v_mul_f32_e32 v15, 0.5, v15
	v_fma_f32 v17, -v15, v16, 0.5
	v_fmac_f32_e32 v16, v16, v17
	v_fmac_f32_e32 v15, v15, v17
	v_fma_f32 v17, -v16, v16, v14
	v_fmac_f32_e32 v16, v17, v15
	v_mul_f32_e32 v15, 0x37800000, v16
	v_cndmask_b32_e64 v15, v16, v15, s[2:3]
	v_cmp_class_f32_e64 s[2:3], v14, v11
	v_cndmask_b32_e64 v14, v15, v14, s[2:3]
	v_cvt_f16_f32_e32 v14, v14
.LBB235_8:                              ;   in Loop: Header=BB235_4 Depth=1
	s_or_b64 exec, exec, s[6:7]
	v_mov_b32_e32 v16, s21
	v_add_co_u32_e64 v15, s[2:3], s20, v7
	v_addc_co_u32_e64 v16, s[2:3], v8, v16, s[2:3]
	v_cmp_gt_u64_e64 s[2:3], s[18:19], v[15:16]
	s_and_saveexec_b64 s[8:9], s[2:3]
	s_cbranch_execz .LBB235_10
; %bb.9:                                ;   in Loop: Header=BB235_4 Depth=1
	v_add_co_u32_e64 v15, s[6:7], s24, v1
	v_addc_co_u32_e64 v16, s[6:7], 0, v2, s[6:7]
	global_load_ushort v13, v[15:16], off
	s_waitcnt vmcnt(0)
	v_cvt_f32_f16_e32 v13, v13
	v_mul_f32_e32 v15, 0x4f800000, v13
	v_cmp_gt_f32_e64 s[6:7], s27, v13
	v_cndmask_b32_e64 v13, v13, v15, s[6:7]
	v_rsq_f32_e32 v15, v13
	v_mul_f32_e32 v16, v13, v15
	v_mul_f32_e32 v15, 0.5, v15
	v_fma_f32 v17, -v15, v16, 0.5
	v_fmac_f32_e32 v16, v16, v17
	v_fmac_f32_e32 v15, v15, v17
	v_fma_f32 v17, -v16, v16, v13
	v_fmac_f32_e32 v16, v17, v15
	v_mul_f32_e32 v15, 0x37800000, v16
	v_cndmask_b32_e64 v15, v16, v15, s[6:7]
	v_cmp_class_f32_e64 s[6:7], v13, v11
	v_cndmask_b32_e64 v13, v15, v13, s[6:7]
	v_cvt_f16_f32_e32 v13, v13
.LBB235_10:                             ;   in Loop: Header=BB235_4 Depth=1
	s_or_b64 exec, exec, s[8:9]
	v_mov_b32_e32 v16, s21
	v_add_co_u32_e64 v15, s[6:7], s20, v5
	v_addc_co_u32_e64 v16, s[6:7], v6, v16, s[6:7]
	v_cmp_gt_u64_e64 s[6:7], s[18:19], v[15:16]
	v_mov_b32_e32 v15, 0
	s_and_saveexec_b64 s[22:23], s[6:7]
	s_cbranch_execnz .LBB235_15
; %bb.11:                               ;   in Loop: Header=BB235_4 Depth=1
	s_or_b64 exec, exec, s[22:23]
	s_and_saveexec_b64 s[8:9], vcc
	s_cbranch_execnz .LBB235_16
.LBB235_12:                             ;   in Loop: Header=BB235_4 Depth=1
	s_or_b64 exec, exec, s[8:9]
	s_and_saveexec_b64 s[8:9], s[0:1]
	s_cbranch_execnz .LBB235_17
.LBB235_13:                             ;   in Loop: Header=BB235_4 Depth=1
	s_or_b64 exec, exec, s[8:9]
	s_and_saveexec_b64 s[0:1], s[2:3]
	s_cbranch_execnz .LBB235_18
.LBB235_14:                             ;   in Loop: Header=BB235_4 Depth=1
	s_or_b64 exec, exec, s[0:1]
	s_and_saveexec_b64 s[0:1], s[6:7]
	s_cbranch_execz .LBB235_3
	s_branch .LBB235_19
.LBB235_15:                             ;   in Loop: Header=BB235_4 Depth=1
	v_add_co_u32_e64 v15, s[8:9], s26, v1
	v_addc_co_u32_e64 v16, s[8:9], 0, v2, s[8:9]
	global_load_ushort v15, v[15:16], off
	s_waitcnt vmcnt(0)
	v_cvt_f32_f16_e32 v15, v15
	v_mul_f32_e32 v16, 0x4f800000, v15
	v_cmp_gt_f32_e64 s[8:9], s27, v15
	v_cndmask_b32_e64 v15, v15, v16, s[8:9]
	v_rsq_f32_e32 v16, v15
	v_mul_f32_e32 v17, v15, v16
	v_mul_f32_e32 v16, 0.5, v16
	v_fma_f32 v18, -v16, v17, 0.5
	v_fmac_f32_e32 v17, v17, v18
	v_fmac_f32_e32 v16, v16, v18
	v_fma_f32 v18, -v17, v17, v15
	v_fmac_f32_e32 v17, v18, v16
	v_mul_f32_e32 v16, 0x37800000, v17
	v_cndmask_b32_e64 v16, v17, v16, s[8:9]
	v_cmp_class_f32_e64 s[8:9], v15, v11
	v_cndmask_b32_e64 v15, v16, v15, s[8:9]
	v_cvt_f16_f32_e32 v15, v15
	s_or_b64 exec, exec, s[22:23]
	s_and_saveexec_b64 s[8:9], vcc
	s_cbranch_execz .LBB235_12
.LBB235_16:                             ;   in Loop: Header=BB235_4 Depth=1
	global_store_short v[1:2], v12, off
	s_or_b64 exec, exec, s[8:9]
	s_and_saveexec_b64 s[8:9], s[0:1]
	s_cbranch_execz .LBB235_13
.LBB235_17:                             ;   in Loop: Header=BB235_4 Depth=1
	global_store_short v[3:4], v14, off
	s_or_b64 exec, exec, s[8:9]
	s_and_saveexec_b64 s[0:1], s[2:3]
	s_cbranch_execz .LBB235_14
.LBB235_18:                             ;   in Loop: Header=BB235_4 Depth=1
	v_add_co_u32_e32 v16, vcc, s24, v1
	v_addc_co_u32_e32 v17, vcc, 0, v2, vcc
	global_store_short v[16:17], v13, off
	s_or_b64 exec, exec, s[0:1]
	s_and_saveexec_b64 s[0:1], s[6:7]
	s_cbranch_execz .LBB235_3
.LBB235_19:                             ;   in Loop: Header=BB235_4 Depth=1
	v_add_co_u32_e32 v12, vcc, s26, v1
	v_addc_co_u32_e32 v13, vcc, 0, v2, vcc
	global_store_short v[12:13], v15, off
	s_branch .LBB235_3
.LBB235_20:
	s_cbranch_execz .LBB235_22
	s_branch .LBB235_25
.LBB235_21:
.LBB235_22:
	v_mov_b32_e32 v1, 0x10000
	v_mov_b32_e32 v2, 0
	v_cmp_lt_i64_e32 vcc, s[14:15], v[1:2]
	v_mov_b32_e32 v2, 0
	s_and_b64 s[0:1], vcc, exec
	s_cselect_b32 s9, s15, 0
	s_cselect_b32 s8, s14, 0x10000
	v_lshlrev_b32_e32 v1, 2, v0
	v_cmp_gt_i64_e32 vcc, s[8:9], v[1:2]
	s_and_saveexec_b64 s[0:1], vcc
	s_cbranch_execz .LBB235_25
; %bb.23:
	s_load_dword s0, s[4:5], 0xd3c
	v_mov_b32_e32 v1, v2
	v_lshlrev_b32_e32 v2, 3, v0
	v_mov_b32_e32 v4, 0x260
	s_waitcnt lgkmcnt(0)
	s_and_b32 s14, s0, 0xffff
	s_add_u32 s0, s10, s12
	s_addc_u32 s1, s11, s13
	v_mov_b32_e32 v3, s1
	v_add_co_u32_e32 v2, vcc, s0, v2
	v_addc_co_u32_e32 v3, vcc, 0, v3, vcc
	v_add_co_u32_e32 v2, vcc, 4, v2
	v_addc_co_u32_e32 v3, vcc, 0, v3, vcc
	s_lshl_b32 s12, s14, 3
	s_mov_b64 s[10:11], 0
	s_mov_b32 s13, 0xf800000
.LBB235_24:                             ; =>This Inner Loop Header: Depth=1
	global_load_dwordx2 v[5:6], v[2:3], off offset:-4
	v_add_co_u32_e32 v0, vcc, s14, v0
	v_addc_co_u32_e32 v1, vcc, 0, v1, vcc
	v_lshlrev_b64 v[7:8], 2, v[0:1]
	v_cmp_le_i64_e32 vcc, s[8:9], v[7:8]
	s_or_b64 s[10:11], vcc, s[10:11]
	s_waitcnt vmcnt(0)
	v_cvt_f32_f16_e32 v7, v5
	v_cvt_f32_f16_sdwa v5, v5 dst_sel:DWORD dst_unused:UNUSED_PAD src0_sel:WORD_1
	v_cvt_f32_f16_e32 v8, v6
	v_cvt_f32_f16_sdwa v6, v6 dst_sel:DWORD dst_unused:UNUSED_PAD src0_sel:WORD_1
	v_mul_f32_e32 v9, 0x4f800000, v7
	v_cmp_gt_f32_e64 s[0:1], s13, v7
	v_mul_f32_e32 v10, 0x4f800000, v5
	v_mul_f32_e32 v12, 0x4f800000, v6
	v_cndmask_b32_e64 v7, v7, v9, s[0:1]
	v_cmp_gt_f32_e64 s[2:3], s13, v5
	v_cmp_gt_f32_e64 s[6:7], s13, v6
	v_mul_f32_e32 v11, 0x4f800000, v8
	v_cndmask_b32_e64 v5, v5, v10, s[2:3]
	v_cmp_gt_f32_e64 s[4:5], s13, v8
	v_cndmask_b32_e64 v6, v6, v12, s[6:7]
	v_rsq_f32_e32 v9, v7
	v_cndmask_b32_e64 v8, v8, v11, s[4:5]
	v_rsq_f32_e32 v10, v5
	v_rsq_f32_e32 v12, v6
	;; [unrolled: 1-line block ×3, first 2 shown]
	v_mul_f32_e32 v13, v7, v9
	v_mul_f32_e32 v9, 0.5, v9
	v_mul_f32_e32 v14, v5, v10
	v_mul_f32_e32 v10, 0.5, v10
	;; [unrolled: 2-line block ×3, first 2 shown]
	v_fma_f32 v17, -v9, v13, 0.5
	v_mul_f32_e32 v15, v8, v11
	v_mul_f32_e32 v11, 0.5, v11
	v_fma_f32 v18, -v10, v14, 0.5
	v_fmac_f32_e32 v13, v13, v17
	v_fmac_f32_e32 v9, v9, v17
	v_fma_f32 v17, -v12, v16, 0.5
	v_fma_f32 v19, -v11, v15, 0.5
	v_fmac_f32_e32 v14, v14, v18
	v_fmac_f32_e32 v16, v16, v17
	;; [unrolled: 1-line block ×3, first 2 shown]
	v_fma_f32 v17, -v13, v13, v7
	v_fmac_f32_e32 v10, v10, v18
	v_fmac_f32_e32 v15, v15, v19
	v_fma_f32 v18, -v14, v14, v5
	v_fmac_f32_e32 v13, v17, v9
	v_fma_f32 v9, -v16, v16, v6
	;; [unrolled: 2-line block ×3, first 2 shown]
	v_fmac_f32_e32 v14, v18, v10
	v_fmac_f32_e32 v16, v9, v12
	v_mul_f32_e32 v9, 0x37800000, v13
	v_fmac_f32_e32 v15, v19, v11
	v_mul_f32_e32 v10, 0x37800000, v14
	v_cndmask_b32_e64 v9, v13, v9, s[0:1]
	v_cmp_class_f32_e64 s[0:1], v7, v4
	v_mul_f32_e32 v11, 0x37800000, v15
	v_cndmask_b32_e64 v10, v14, v10, s[2:3]
	v_cndmask_b32_e64 v7, v9, v7, s[0:1]
	v_cmp_class_f32_e64 s[0:1], v5, v4
	v_mul_f32_e32 v12, 0x37800000, v16
	v_cndmask_b32_e64 v11, v15, v11, s[4:5]
	v_cndmask_b32_e64 v5, v10, v5, s[0:1]
	v_cmp_class_f32_e64 s[0:1], v8, v4
	v_cndmask_b32_e64 v12, v16, v12, s[6:7]
	v_cndmask_b32_e64 v8, v11, v8, s[0:1]
	v_cmp_class_f32_e64 s[0:1], v6, v4
	v_cndmask_b32_e64 v6, v12, v6, s[0:1]
	v_cvt_f16_f32_e32 v7, v7
	v_cvt_f16_f32_e32 v8, v8
	;; [unrolled: 1-line block ×4, first 2 shown]
	v_pack_b32_f16 v6, v8, v6
	v_pack_b32_f16 v5, v7, v5
	global_store_dwordx2 v[2:3], v[5:6], off offset:-4
	v_add_co_u32_e32 v2, vcc, s12, v2
	v_addc_co_u32_e32 v3, vcc, 0, v3, vcc
	s_andn2_b64 exec, exec, s[10:11]
	s_cbranch_execnz .LBB235_24
.LBB235_25:
	s_endpgm
	.section	.rodata,"a",@progbits
	.p2align	6, 0x0
	.amdhsa_kernel _ZN2at6native12_GLOBAL__N_125multi_tensor_apply_kernelINS1_18TensorListMetadataILi1EEENS1_14UnaryOpFunctorIN3c104HalfELi1ELi1ELi0EEEJNS0_4SqrtIfEEEEEvT_T0_DpT1_
		.amdhsa_group_segment_fixed_size 0
		.amdhsa_private_segment_fixed_size 0
		.amdhsa_kernarg_size 3632
		.amdhsa_user_sgpr_count 6
		.amdhsa_user_sgpr_private_segment_buffer 1
		.amdhsa_user_sgpr_dispatch_ptr 0
		.amdhsa_user_sgpr_queue_ptr 0
		.amdhsa_user_sgpr_kernarg_segment_ptr 1
		.amdhsa_user_sgpr_dispatch_id 0
		.amdhsa_user_sgpr_flat_scratch_init 0
		.amdhsa_user_sgpr_private_segment_size 0
		.amdhsa_uses_dynamic_stack 0
		.amdhsa_system_sgpr_private_segment_wavefront_offset 0
		.amdhsa_system_sgpr_workgroup_id_x 1
		.amdhsa_system_sgpr_workgroup_id_y 0
		.amdhsa_system_sgpr_workgroup_id_z 0
		.amdhsa_system_sgpr_workgroup_info 0
		.amdhsa_system_vgpr_workitem_id 0
		.amdhsa_next_free_vgpr 20
		.amdhsa_next_free_sgpr 28
		.amdhsa_reserve_vcc 1
		.amdhsa_reserve_flat_scratch 0
		.amdhsa_float_round_mode_32 0
		.amdhsa_float_round_mode_16_64 0
		.amdhsa_float_denorm_mode_32 3
		.amdhsa_float_denorm_mode_16_64 3
		.amdhsa_dx10_clamp 1
		.amdhsa_ieee_mode 1
		.amdhsa_fp16_overflow 0
		.amdhsa_exception_fp_ieee_invalid_op 0
		.amdhsa_exception_fp_denorm_src 0
		.amdhsa_exception_fp_ieee_div_zero 0
		.amdhsa_exception_fp_ieee_overflow 0
		.amdhsa_exception_fp_ieee_underflow 0
		.amdhsa_exception_fp_ieee_inexact 0
		.amdhsa_exception_int_div_zero 0
	.end_amdhsa_kernel
	.section	.text._ZN2at6native12_GLOBAL__N_125multi_tensor_apply_kernelINS1_18TensorListMetadataILi1EEENS1_14UnaryOpFunctorIN3c104HalfELi1ELi1ELi0EEEJNS0_4SqrtIfEEEEEvT_T0_DpT1_,"axG",@progbits,_ZN2at6native12_GLOBAL__N_125multi_tensor_apply_kernelINS1_18TensorListMetadataILi1EEENS1_14UnaryOpFunctorIN3c104HalfELi1ELi1ELi0EEEJNS0_4SqrtIfEEEEEvT_T0_DpT1_,comdat
.Lfunc_end235:
	.size	_ZN2at6native12_GLOBAL__N_125multi_tensor_apply_kernelINS1_18TensorListMetadataILi1EEENS1_14UnaryOpFunctorIN3c104HalfELi1ELi1ELi0EEEJNS0_4SqrtIfEEEEEvT_T0_DpT1_, .Lfunc_end235-_ZN2at6native12_GLOBAL__N_125multi_tensor_apply_kernelINS1_18TensorListMetadataILi1EEENS1_14UnaryOpFunctorIN3c104HalfELi1ELi1ELi0EEEJNS0_4SqrtIfEEEEEvT_T0_DpT1_
                                        ; -- End function
	.set _ZN2at6native12_GLOBAL__N_125multi_tensor_apply_kernelINS1_18TensorListMetadataILi1EEENS1_14UnaryOpFunctorIN3c104HalfELi1ELi1ELi0EEEJNS0_4SqrtIfEEEEEvT_T0_DpT1_.num_vgpr, 20
	.set _ZN2at6native12_GLOBAL__N_125multi_tensor_apply_kernelINS1_18TensorListMetadataILi1EEENS1_14UnaryOpFunctorIN3c104HalfELi1ELi1ELi0EEEJNS0_4SqrtIfEEEEEvT_T0_DpT1_.num_agpr, 0
	.set _ZN2at6native12_GLOBAL__N_125multi_tensor_apply_kernelINS1_18TensorListMetadataILi1EEENS1_14UnaryOpFunctorIN3c104HalfELi1ELi1ELi0EEEJNS0_4SqrtIfEEEEEvT_T0_DpT1_.numbered_sgpr, 28
	.set _ZN2at6native12_GLOBAL__N_125multi_tensor_apply_kernelINS1_18TensorListMetadataILi1EEENS1_14UnaryOpFunctorIN3c104HalfELi1ELi1ELi0EEEJNS0_4SqrtIfEEEEEvT_T0_DpT1_.num_named_barrier, 0
	.set _ZN2at6native12_GLOBAL__N_125multi_tensor_apply_kernelINS1_18TensorListMetadataILi1EEENS1_14UnaryOpFunctorIN3c104HalfELi1ELi1ELi0EEEJNS0_4SqrtIfEEEEEvT_T0_DpT1_.private_seg_size, 0
	.set _ZN2at6native12_GLOBAL__N_125multi_tensor_apply_kernelINS1_18TensorListMetadataILi1EEENS1_14UnaryOpFunctorIN3c104HalfELi1ELi1ELi0EEEJNS0_4SqrtIfEEEEEvT_T0_DpT1_.uses_vcc, 1
	.set _ZN2at6native12_GLOBAL__N_125multi_tensor_apply_kernelINS1_18TensorListMetadataILi1EEENS1_14UnaryOpFunctorIN3c104HalfELi1ELi1ELi0EEEJNS0_4SqrtIfEEEEEvT_T0_DpT1_.uses_flat_scratch, 0
	.set _ZN2at6native12_GLOBAL__N_125multi_tensor_apply_kernelINS1_18TensorListMetadataILi1EEENS1_14UnaryOpFunctorIN3c104HalfELi1ELi1ELi0EEEJNS0_4SqrtIfEEEEEvT_T0_DpT1_.has_dyn_sized_stack, 0
	.set _ZN2at6native12_GLOBAL__N_125multi_tensor_apply_kernelINS1_18TensorListMetadataILi1EEENS1_14UnaryOpFunctorIN3c104HalfELi1ELi1ELi0EEEJNS0_4SqrtIfEEEEEvT_T0_DpT1_.has_recursion, 0
	.set _ZN2at6native12_GLOBAL__N_125multi_tensor_apply_kernelINS1_18TensorListMetadataILi1EEENS1_14UnaryOpFunctorIN3c104HalfELi1ELi1ELi0EEEJNS0_4SqrtIfEEEEEvT_T0_DpT1_.has_indirect_call, 0
	.section	.AMDGPU.csdata,"",@progbits
; Kernel info:
; codeLenInByte = 1836
; TotalNumSgprs: 32
; NumVgprs: 20
; ScratchSize: 0
; MemoryBound: 0
; FloatMode: 240
; IeeeMode: 1
; LDSByteSize: 0 bytes/workgroup (compile time only)
; SGPRBlocks: 3
; VGPRBlocks: 4
; NumSGPRsForWavesPerEU: 32
; NumVGPRsForWavesPerEU: 20
; Occupancy: 10
; WaveLimiterHint : 0
; COMPUTE_PGM_RSRC2:SCRATCH_EN: 0
; COMPUTE_PGM_RSRC2:USER_SGPR: 6
; COMPUTE_PGM_RSRC2:TRAP_HANDLER: 0
; COMPUTE_PGM_RSRC2:TGID_X_EN: 1
; COMPUTE_PGM_RSRC2:TGID_Y_EN: 0
; COMPUTE_PGM_RSRC2:TGID_Z_EN: 0
; COMPUTE_PGM_RSRC2:TIDIG_COMP_CNT: 0
	.section	.text._ZN2at6native12_GLOBAL__N_125multi_tensor_apply_kernelINS1_18TensorListMetadataILi1EEENS1_14UnaryOpFunctorIN3c108BFloat16ELi1ELi1ELi0EEEJNS0_4SqrtIfEEEEEvT_T0_DpT1_,"axG",@progbits,_ZN2at6native12_GLOBAL__N_125multi_tensor_apply_kernelINS1_18TensorListMetadataILi1EEENS1_14UnaryOpFunctorIN3c108BFloat16ELi1ELi1ELi0EEEJNS0_4SqrtIfEEEEEvT_T0_DpT1_,comdat
	.globl	_ZN2at6native12_GLOBAL__N_125multi_tensor_apply_kernelINS1_18TensorListMetadataILi1EEENS1_14UnaryOpFunctorIN3c108BFloat16ELi1ELi1ELi0EEEJNS0_4SqrtIfEEEEEvT_T0_DpT1_ ; -- Begin function _ZN2at6native12_GLOBAL__N_125multi_tensor_apply_kernelINS1_18TensorListMetadataILi1EEENS1_14UnaryOpFunctorIN3c108BFloat16ELi1ELi1ELi0EEEJNS0_4SqrtIfEEEEEvT_T0_DpT1_
	.p2align	8
	.type	_ZN2at6native12_GLOBAL__N_125multi_tensor_apply_kernelINS1_18TensorListMetadataILi1EEENS1_14UnaryOpFunctorIN3c108BFloat16ELi1ELi1ELi0EEEJNS0_4SqrtIfEEEEEvT_T0_DpT1_,@function
_ZN2at6native12_GLOBAL__N_125multi_tensor_apply_kernelINS1_18TensorListMetadataILi1EEENS1_14UnaryOpFunctorIN3c108BFloat16ELi1ELi1ELi0EEEJNS0_4SqrtIfEEEEEvT_T0_DpT1_: ; @_ZN2at6native12_GLOBAL__N_125multi_tensor_apply_kernelINS1_18TensorListMetadataILi1EEENS1_14UnaryOpFunctorIN3c108BFloat16ELi1ELi1ELi0EEEJNS0_4SqrtIfEEEEEvT_T0_DpT1_
; %bb.0:
	v_mov_b32_e32 v1, s6
	global_load_ubyte v1, v1, s[4:5] offset:1760
	s_add_u32 s0, s4, s6
	s_mul_hi_u32 s1, s6, 3
	s_mul_i32 s6, s6, 3
	s_addc_u32 s2, s5, 0
	s_add_u32 s0, s0, s6
	s_addc_u32 s1, s2, s1
	s_load_dword s0, s[0:1], 0x820
	s_mov_b32 s7, 0
	s_waitcnt vmcnt(0)
	v_readfirstlane_b32 s1, v1
	s_lshl_b32 s1, s1, 3
	s_load_dwordx2 s[2:3], s[4:5], s1 offset:0x370
	s_load_dwordx2 s[10:11], s[4:5], s1 offset:0x0
	s_waitcnt lgkmcnt(0)
	s_ashr_i32 s1, s0, 31
	s_lshl_b64 s[12:13], s[0:1], 17
	s_lshl_b64 s[0:1], s[0:1], 16
	s_and_b32 s6, s10, 7
	s_sub_u32 s14, s2, s0
	s_subb_u32 s15, s3, s1
	s_and_b32 s0, s2, 3
	s_mov_b32 s1, s7
	s_or_b64 s[0:1], s[6:7], s[0:1]
	s_cmp_eq_u64 s[0:1], 0
	s_cbranch_scc1 .LBB236_21
; %bb.1:
	v_cmp_lt_i64_e64 s[0:1], s[14:15], 1
	s_and_b64 vcc, exec, s[0:1]
	s_cbranch_vccnz .LBB236_20
; %bb.2:
	v_mov_b32_e32 v1, 0x10000
	s_load_dword s2, s[4:5], 0xd3c
	v_mov_b32_e32 v2, 0
	v_cmp_lt_i64_e32 vcc, s[14:15], v[1:2]
	s_mov_b64 s[20:21], 0
	s_and_b64 s[0:1], vcc, exec
	v_cmp_lt_u64_e32 vcc, s[14:15], v[1:2]
	s_cselect_b32 s17, s15, 0
	s_cselect_b32 s16, s14, 0x10000
	s_waitcnt lgkmcnt(0)
	s_and_b32 s2, s2, 0xffff
	s_and_b64 s[0:1], vcc, exec
	s_cselect_b32 s19, s15, 0
	s_cselect_b32 s18, s14, 0x10000
	s_lshl_b32 s3, s2, 1
	s_lshl_b32 s24, s2, 2
	s_add_u32 s6, s10, s12
	v_lshlrev_b32_e32 v1, 1, v0
	s_addc_u32 s7, s11, s13
	v_mov_b32_e32 v2, s7
	v_add_co_u32_e32 v1, vcc, s6, v1
	s_mul_i32 s0, s2, 3
	v_addc_co_u32_e32 v2, vcc, 0, v2, vcc
	v_add_co_u32_e32 v5, vcc, s0, v0
	v_addc_co_u32_e64 v6, s[0:1], 0, 0, vcc
	v_add_co_u32_e32 v7, vcc, s3, v0
	v_addc_co_u32_e64 v8, s[0:1], 0, 0, vcc
	v_add_co_u32_e32 v9, vcc, s2, v0
	v_lshlrev_b32_e32 v3, 1, v9
	v_addc_co_u32_e64 v10, s[0:1], 0, 0, vcc
	v_mov_b32_e32 v4, s7
	v_add_co_u32_e32 v3, vcc, s6, v3
	s_lshl_b32 s25, s2, 3
	s_mul_i32 s26, s2, 6
	v_addc_co_u32_e32 v4, vcc, 0, v4, vcc
	s_mov_b32 s27, 0xf800000
	v_mov_b32_e32 v11, 0x260
	s_movk_i32 s28, 0x7fff
	v_mov_b32_e32 v12, 0x7fc0
	s_branch .LBB236_4
.LBB236_3:                              ;   in Loop: Header=BB236_4 Depth=1
	s_or_b64 exec, exec, s[2:3]
	s_add_u32 s20, s20, s24
	v_add_co_u32_e32 v1, vcc, s25, v1
	v_mov_b32_e32 v13, s16
	s_addc_u32 s21, s21, 0
	v_addc_co_u32_e32 v2, vcc, 0, v2, vcc
	v_mov_b32_e32 v14, s17
	v_cmp_lt_i64_e32 vcc, s[20:21], v[13:14]
	v_add_co_u32_e64 v3, s[0:1], s25, v3
	v_addc_co_u32_e64 v4, s[0:1], 0, v4, s[0:1]
	s_cbranch_vccz .LBB236_20
.LBB236_4:                              ; =>This Inner Loop Header: Depth=1
	v_mov_b32_e32 v14, s21
	v_add_co_u32_e32 v13, vcc, s20, v0
	v_addc_co_u32_e32 v14, vcc, 0, v14, vcc
	v_cmp_gt_u64_e32 vcc, s[18:19], v[13:14]
	v_mov_b32_e32 v16, 0
	s_and_saveexec_b64 s[0:1], vcc
	s_cbranch_execz .LBB236_6
; %bb.5:                                ;   in Loop: Header=BB236_4 Depth=1
	global_load_ushort v13, v[1:2], off
	s_waitcnt vmcnt(0)
	v_lshlrev_b32_e32 v16, 16, v13
.LBB236_6:                              ;   in Loop: Header=BB236_4 Depth=1
	s_or_b64 exec, exec, s[0:1]
	v_mov_b32_e32 v14, s21
	v_add_co_u32_e64 v13, s[0:1], s20, v9
	v_addc_co_u32_e64 v14, s[0:1], v10, v14, s[0:1]
	v_cmp_gt_u64_e64 s[6:7], s[18:19], v[13:14]
	v_mov_b32_e32 v13, 0
	v_mov_b32_e32 v15, 0
	s_and_saveexec_b64 s[0:1], s[6:7]
	s_cbranch_execz .LBB236_8
; %bb.7:                                ;   in Loop: Header=BB236_4 Depth=1
	global_load_ushort v14, v[3:4], off
	s_waitcnt vmcnt(0)
	v_lshlrev_b32_e32 v15, 16, v14
.LBB236_8:                              ;   in Loop: Header=BB236_4 Depth=1
	s_or_b64 exec, exec, s[0:1]
	v_mov_b32_e32 v14, s21
	v_add_co_u32_e64 v17, s[0:1], s20, v7
	v_addc_co_u32_e64 v18, s[0:1], v8, v14, s[0:1]
	v_cmp_gt_u64_e64 s[2:3], s[18:19], v[17:18]
	s_and_saveexec_b64 s[8:9], s[2:3]
	s_cbranch_execz .LBB236_10
; %bb.9:                                ;   in Loop: Header=BB236_4 Depth=1
	v_add_co_u32_e64 v13, s[0:1], s24, v1
	v_addc_co_u32_e64 v14, s[0:1], 0, v2, s[0:1]
	global_load_ushort v13, v[13:14], off
	s_waitcnt vmcnt(0)
	v_lshlrev_b32_e32 v13, 16, v13
.LBB236_10:                             ;   in Loop: Header=BB236_4 Depth=1
	s_or_b64 exec, exec, s[8:9]
	v_mov_b32_e32 v14, s21
	v_add_co_u32_e64 v17, s[0:1], s20, v5
	v_addc_co_u32_e64 v18, s[0:1], v6, v14, s[0:1]
	v_cmp_gt_u64_e64 s[0:1], s[18:19], v[17:18]
	v_mov_b32_e32 v14, 0
	s_and_saveexec_b64 s[22:23], s[0:1]
	s_cbranch_execnz .LBB236_15
; %bb.11:                               ;   in Loop: Header=BB236_4 Depth=1
	s_or_b64 exec, exec, s[22:23]
	s_and_saveexec_b64 s[22:23], vcc
	s_cbranch_execnz .LBB236_16
.LBB236_12:                             ;   in Loop: Header=BB236_4 Depth=1
	s_or_b64 exec, exec, s[22:23]
	s_and_saveexec_b64 s[8:9], s[6:7]
	s_cbranch_execnz .LBB236_17
.LBB236_13:                             ;   in Loop: Header=BB236_4 Depth=1
	s_or_b64 exec, exec, s[8:9]
	s_and_saveexec_b64 s[6:7], s[2:3]
	s_cbranch_execnz .LBB236_18
.LBB236_14:                             ;   in Loop: Header=BB236_4 Depth=1
	s_or_b64 exec, exec, s[6:7]
	s_and_saveexec_b64 s[2:3], s[0:1]
	s_cbranch_execz .LBB236_3
	s_branch .LBB236_19
.LBB236_15:                             ;   in Loop: Header=BB236_4 Depth=1
	v_add_co_u32_e64 v17, s[8:9], s26, v1
	v_addc_co_u32_e64 v18, s[8:9], 0, v2, s[8:9]
	global_load_ushort v14, v[17:18], off
	s_waitcnt vmcnt(0)
	v_lshlrev_b32_e32 v14, 16, v14
	s_or_b64 exec, exec, s[22:23]
	s_and_saveexec_b64 s[22:23], vcc
	s_cbranch_execz .LBB236_12
.LBB236_16:                             ;   in Loop: Header=BB236_4 Depth=1
	v_mul_f32_e32 v17, 0x4f800000, v16
	v_cmp_gt_f32_e32 vcc, s27, v16
	v_cndmask_b32_e32 v17, v16, v17, vcc
	v_sqrt_f32_e32 v18, v17
	v_add_u32_e32 v19, -1, v18
	v_fma_f32 v21, -v19, v18, v17
	v_add_u32_e32 v20, 1, v18
	v_cmp_ge_f32_e64 s[8:9], 0, v21
	v_cndmask_b32_e64 v19, v18, v19, s[8:9]
	v_fma_f32 v18, -v20, v18, v17
	v_cmp_lt_f32_e64 s[8:9], 0, v18
	v_cndmask_b32_e64 v18, v19, v20, s[8:9]
	v_mul_f32_e32 v19, 0x37800000, v18
	v_cndmask_b32_e32 v18, v18, v19, vcc
	v_cmp_class_f32_e32 vcc, v17, v11
	v_cndmask_b32_e32 v17, v18, v17, vcc
	v_bfe_u32 v18, v17, 16, 1
	v_add3_u32 v17, v17, v18, s28
	v_cmp_le_f32_e32 vcc, 0, v16
	v_cndmask_b32_sdwa v16, v12, v17, vcc dst_sel:DWORD dst_unused:UNUSED_PAD src0_sel:DWORD src1_sel:WORD_1
	global_store_short v[1:2], v16, off
	s_or_b64 exec, exec, s[22:23]
	s_and_saveexec_b64 s[8:9], s[6:7]
	s_cbranch_execz .LBB236_13
.LBB236_17:                             ;   in Loop: Header=BB236_4 Depth=1
	v_mul_f32_e32 v16, 0x4f800000, v15
	v_cmp_gt_f32_e32 vcc, s27, v15
	v_cndmask_b32_e32 v16, v15, v16, vcc
	v_sqrt_f32_e32 v17, v16
	v_add_u32_e32 v18, -1, v17
	v_fma_f32 v20, -v18, v17, v16
	v_add_u32_e32 v19, 1, v17
	v_cmp_ge_f32_e64 s[6:7], 0, v20
	v_cndmask_b32_e64 v18, v17, v18, s[6:7]
	v_fma_f32 v17, -v19, v17, v16
	v_cmp_lt_f32_e64 s[6:7], 0, v17
	v_cndmask_b32_e64 v17, v18, v19, s[6:7]
	v_mul_f32_e32 v18, 0x37800000, v17
	v_cndmask_b32_e32 v17, v17, v18, vcc
	v_cmp_class_f32_e32 vcc, v16, v11
	v_cndmask_b32_e32 v16, v17, v16, vcc
	v_bfe_u32 v17, v16, 16, 1
	v_add3_u32 v16, v16, v17, s28
	v_cmp_le_f32_e32 vcc, 0, v15
	v_cndmask_b32_sdwa v15, v12, v16, vcc dst_sel:DWORD dst_unused:UNUSED_PAD src0_sel:DWORD src1_sel:WORD_1
	global_store_short v[3:4], v15, off
	s_or_b64 exec, exec, s[8:9]
	s_and_saveexec_b64 s[6:7], s[2:3]
	s_cbranch_execz .LBB236_14
.LBB236_18:                             ;   in Loop: Header=BB236_4 Depth=1
	v_mul_f32_e32 v15, 0x4f800000, v13
	v_cmp_gt_f32_e32 vcc, s27, v13
	v_cndmask_b32_e32 v15, v13, v15, vcc
	v_sqrt_f32_e32 v16, v15
	v_add_u32_e32 v17, -1, v16
	v_fma_f32 v19, -v17, v16, v15
	v_add_u32_e32 v18, 1, v16
	v_cmp_ge_f32_e64 s[2:3], 0, v19
	v_cndmask_b32_e64 v17, v16, v17, s[2:3]
	v_fma_f32 v16, -v18, v16, v15
	v_cmp_lt_f32_e64 s[2:3], 0, v16
	v_cndmask_b32_e64 v16, v17, v18, s[2:3]
	v_mul_f32_e32 v17, 0x37800000, v16
	v_cndmask_b32_e32 v16, v16, v17, vcc
	v_cmp_class_f32_e32 vcc, v15, v11
	v_cndmask_b32_e32 v15, v16, v15, vcc
	v_bfe_u32 v16, v15, 16, 1
	v_add3_u32 v15, v15, v16, s28
	v_cmp_le_f32_e32 vcc, 0, v13
	v_cndmask_b32_sdwa v13, v12, v15, vcc dst_sel:DWORD dst_unused:UNUSED_PAD src0_sel:DWORD src1_sel:WORD_1
	v_add_co_u32_e32 v15, vcc, s24, v1
	v_addc_co_u32_e32 v16, vcc, 0, v2, vcc
	global_store_short v[15:16], v13, off
	s_or_b64 exec, exec, s[6:7]
	s_and_saveexec_b64 s[2:3], s[0:1]
	s_cbranch_execz .LBB236_3
.LBB236_19:                             ;   in Loop: Header=BB236_4 Depth=1
	v_mul_f32_e32 v13, 0x4f800000, v14
	v_cmp_gt_f32_e32 vcc, s27, v14
	v_cndmask_b32_e32 v13, v14, v13, vcc
	v_sqrt_f32_e32 v15, v13
	v_add_u32_e32 v16, -1, v15
	v_fma_f32 v18, -v16, v15, v13
	v_add_u32_e32 v17, 1, v15
	v_cmp_ge_f32_e64 s[0:1], 0, v18
	v_cndmask_b32_e64 v16, v15, v16, s[0:1]
	v_fma_f32 v15, -v17, v15, v13
	v_cmp_lt_f32_e64 s[0:1], 0, v15
	v_cndmask_b32_e64 v15, v16, v17, s[0:1]
	v_mul_f32_e32 v16, 0x37800000, v15
	v_cndmask_b32_e32 v15, v15, v16, vcc
	v_cmp_class_f32_e32 vcc, v13, v11
	v_cndmask_b32_e32 v13, v15, v13, vcc
	v_bfe_u32 v15, v13, 16, 1
	v_add3_u32 v13, v13, v15, s28
	v_cmp_le_f32_e32 vcc, 0, v14
	v_cndmask_b32_sdwa v15, v12, v13, vcc dst_sel:DWORD dst_unused:UNUSED_PAD src0_sel:DWORD src1_sel:WORD_1
	v_add_co_u32_e32 v13, vcc, s26, v1
	v_addc_co_u32_e32 v14, vcc, 0, v2, vcc
	global_store_short v[13:14], v15, off
	s_branch .LBB236_3
.LBB236_20:
	s_cbranch_execz .LBB236_22
	s_branch .LBB236_25
.LBB236_21:
.LBB236_22:
	v_mov_b32_e32 v1, 0x10000
	v_mov_b32_e32 v2, 0
	v_cmp_lt_i64_e32 vcc, s[14:15], v[1:2]
	v_mov_b32_e32 v2, 0
	s_and_b64 s[0:1], vcc, exec
	s_cselect_b32 s15, s15, 0
	s_cselect_b32 s14, s14, 0x10000
	v_lshlrev_b32_e32 v1, 2, v0
	v_cmp_gt_i64_e32 vcc, s[14:15], v[1:2]
	s_and_saveexec_b64 s[0:1], vcc
	s_cbranch_execz .LBB236_25
; %bb.23:
	s_load_dword s0, s[4:5], 0xd3c
	v_mov_b32_e32 v1, v2
	v_lshlrev_b32_e32 v2, 3, v0
	s_mov_b32 s18, 0xf800000
	v_mov_b32_e32 v4, 0x260
	s_waitcnt lgkmcnt(0)
	s_and_b32 s16, s0, 0xffff
	s_add_u32 s0, s10, s12
	s_addc_u32 s1, s11, s13
	v_mov_b32_e32 v3, s1
	v_add_co_u32_e32 v2, vcc, s0, v2
	v_addc_co_u32_e32 v3, vcc, 0, v3, vcc
	s_lshl_b32 s17, s16, 3
	s_mov_b64 s[12:13], 0
	s_movk_i32 s19, 0x7fff
	v_mov_b32_e32 v5, 0x7fc00000
	v_mov_b32_e32 v6, 0x7fc0
.LBB236_24:                             ; =>This Inner Loop Header: Depth=1
	global_load_dwordx2 v[7:8], v[2:3], off
	v_add_co_u32_e32 v0, vcc, s16, v0
	v_addc_co_u32_e32 v1, vcc, 0, v1, vcc
	v_lshlrev_b64 v[9:10], 2, v[0:1]
	v_cmp_le_i64_e32 vcc, s[14:15], v[9:10]
	s_or_b64 s[12:13], vcc, s[12:13]
	s_waitcnt vmcnt(0)
	v_lshlrev_b32_e32 v10, 16, v7
	v_mul_f32_e32 v11, 0x4f800000, v10
	v_cmp_gt_f32_e64 s[0:1], s18, v10
	v_cndmask_b32_e64 v11, v10, v11, s[0:1]
	v_and_b32_e32 v9, 0xffff0000, v7
	v_sqrt_f32_e32 v15, v11
	v_mul_f32_e32 v12, 0x4f800000, v9
	v_cmp_gt_f32_e64 s[2:3], s18, v9
	v_cndmask_b32_e64 v12, v9, v12, s[2:3]
	v_sqrt_f32_e32 v16, v12
	v_add_u32_e32 v17, -1, v15
	v_fma_f32 v19, -v17, v15, v11
	v_add_u32_e32 v18, 1, v15
	v_cmp_ge_f32_e64 s[6:7], 0, v19
	v_alignbit_b32 v7, v8, v7, 16
	v_add_u32_e32 v19, -1, v16
	v_cndmask_b32_e64 v17, v15, v17, s[6:7]
	v_fma_f32 v15, -v18, v15, v11
	v_and_b32_e32 v7, 0xffff0000, v7
	v_cmp_lt_f32_e64 s[6:7], 0, v15
	v_fma_f32 v15, -v19, v16, v12
	v_mul_f32_e32 v14, 0x4f800000, v7
	v_cmp_gt_f32_e64 s[4:5], s18, v7
	v_cmp_ge_f32_e64 s[8:9], 0, v15
	v_add_u32_e32 v15, 1, v16
	v_cndmask_b32_e64 v14, v7, v14, s[4:5]
	v_cndmask_b32_e64 v19, v16, v19, s[8:9]
	v_fma_f32 v16, -v15, v16, v12
	v_cmp_lt_f32_e64 s[8:9], 0, v16
	v_sqrt_f32_e32 v16, v14
	v_cndmask_b32_e64 v17, v17, v18, s[6:7]
	v_and_b32_e32 v8, 0xffff0000, v8
	v_cndmask_b32_e64 v15, v19, v15, s[8:9]
	v_add_u32_e32 v18, -1, v16
	v_fma_f32 v19, -v18, v16, v14
	v_mul_f32_e32 v13, 0x4f800000, v8
	v_cmp_gt_f32_e64 s[10:11], s18, v8
	v_cmp_ge_f32_e64 s[6:7], 0, v19
	v_add_u32_e32 v19, 1, v16
	v_cndmask_b32_e64 v13, v8, v13, s[10:11]
	v_cndmask_b32_e64 v18, v16, v18, s[6:7]
	v_fma_f32 v16, -v19, v16, v14
	v_cmp_lt_f32_e64 s[6:7], 0, v16
	v_sqrt_f32_e32 v16, v13
	v_cndmask_b32_e64 v18, v18, v19, s[6:7]
	v_mul_f32_e32 v19, 0x37800000, v17
	v_cndmask_b32_e64 v17, v17, v19, s[0:1]
	v_add_u32_e32 v20, -1, v16
	v_fma_f32 v21, -v20, v16, v13
	v_cmp_ge_f32_e64 s[8:9], 0, v21
	v_add_u32_e32 v21, 1, v16
	v_cndmask_b32_e64 v20, v16, v20, s[8:9]
	v_fma_f32 v16, -v21, v16, v13
	v_cmp_lt_f32_e64 s[8:9], 0, v16
	v_cndmask_b32_e64 v16, v20, v21, s[8:9]
	v_mul_f32_e32 v19, 0x37800000, v15
	v_cmp_class_f32_e32 vcc, v11, v4
	v_cndmask_b32_e64 v15, v15, v19, s[2:3]
	v_mul_f32_e32 v19, 0x37800000, v16
	v_cndmask_b32_e32 v11, v17, v11, vcc
	v_cmp_class_f32_e32 vcc, v12, v4
	v_cndmask_b32_e64 v16, v16, v19, s[10:11]
	v_mul_f32_e32 v19, 0x37800000, v18
	v_cndmask_b32_e32 v12, v15, v12, vcc
	v_cmp_class_f32_e32 vcc, v13, v4
	v_cndmask_b32_e64 v15, v18, v19, s[4:5]
	v_cndmask_b32_e32 v13, v16, v13, vcc
	v_cmp_class_f32_e32 vcc, v14, v4
	v_cndmask_b32_e32 v14, v15, v14, vcc
	v_bfe_u32 v15, v13, 16, 1
	v_bfe_u32 v17, v12, 16, 1
	v_add3_u32 v13, v13, v15, s19
	v_bfe_u32 v16, v11, 16, 1
	v_add3_u32 v12, v12, v17, s19
	v_and_b32_e32 v13, 0xffff0000, v13
	v_cmp_le_f32_e32 vcc, 0, v8
	v_add3_u32 v11, v11, v16, s19
	v_bfe_u32 v16, v14, 16, 1
	v_and_b32_e32 v12, 0xffff0000, v12
	v_cndmask_b32_e32 v8, v5, v13, vcc
	v_cmp_le_f32_e32 vcc, 0, v9
	v_lshrrev_b32_e32 v11, 16, v11
	v_add3_u32 v14, v14, v16, s19
	v_cndmask_b32_e32 v9, v5, v12, vcc
	v_cmp_le_f32_e32 vcc, 0, v10
	v_lshrrev_b32_e32 v14, 16, v14
	v_cndmask_b32_e32 v10, v6, v11, vcc
	v_cmp_le_f32_e32 vcc, 0, v7
	v_cndmask_b32_e32 v7, v6, v14, vcc
	v_or_b32_e32 v9, v10, v9
	v_or3_b32 v8, 0, v7, v8
	v_or3_b32 v7, v9, 0, 0
	global_store_dwordx2 v[2:3], v[7:8], off
	v_add_co_u32_e32 v2, vcc, s17, v2
	v_addc_co_u32_e32 v3, vcc, 0, v3, vcc
	s_andn2_b64 exec, exec, s[12:13]
	s_cbranch_execnz .LBB236_24
.LBB236_25:
	s_endpgm
	.section	.rodata,"a",@progbits
	.p2align	6, 0x0
	.amdhsa_kernel _ZN2at6native12_GLOBAL__N_125multi_tensor_apply_kernelINS1_18TensorListMetadataILi1EEENS1_14UnaryOpFunctorIN3c108BFloat16ELi1ELi1ELi0EEEJNS0_4SqrtIfEEEEEvT_T0_DpT1_
		.amdhsa_group_segment_fixed_size 0
		.amdhsa_private_segment_fixed_size 0
		.amdhsa_kernarg_size 3632
		.amdhsa_user_sgpr_count 6
		.amdhsa_user_sgpr_private_segment_buffer 1
		.amdhsa_user_sgpr_dispatch_ptr 0
		.amdhsa_user_sgpr_queue_ptr 0
		.amdhsa_user_sgpr_kernarg_segment_ptr 1
		.amdhsa_user_sgpr_dispatch_id 0
		.amdhsa_user_sgpr_flat_scratch_init 0
		.amdhsa_user_sgpr_private_segment_size 0
		.amdhsa_uses_dynamic_stack 0
		.amdhsa_system_sgpr_private_segment_wavefront_offset 0
		.amdhsa_system_sgpr_workgroup_id_x 1
		.amdhsa_system_sgpr_workgroup_id_y 0
		.amdhsa_system_sgpr_workgroup_id_z 0
		.amdhsa_system_sgpr_workgroup_info 0
		.amdhsa_system_vgpr_workitem_id 0
		.amdhsa_next_free_vgpr 22
		.amdhsa_next_free_sgpr 29
		.amdhsa_reserve_vcc 1
		.amdhsa_reserve_flat_scratch 0
		.amdhsa_float_round_mode_32 0
		.amdhsa_float_round_mode_16_64 0
		.amdhsa_float_denorm_mode_32 3
		.amdhsa_float_denorm_mode_16_64 3
		.amdhsa_dx10_clamp 1
		.amdhsa_ieee_mode 1
		.amdhsa_fp16_overflow 0
		.amdhsa_exception_fp_ieee_invalid_op 0
		.amdhsa_exception_fp_denorm_src 0
		.amdhsa_exception_fp_ieee_div_zero 0
		.amdhsa_exception_fp_ieee_overflow 0
		.amdhsa_exception_fp_ieee_underflow 0
		.amdhsa_exception_fp_ieee_inexact 0
		.amdhsa_exception_int_div_zero 0
	.end_amdhsa_kernel
	.section	.text._ZN2at6native12_GLOBAL__N_125multi_tensor_apply_kernelINS1_18TensorListMetadataILi1EEENS1_14UnaryOpFunctorIN3c108BFloat16ELi1ELi1ELi0EEEJNS0_4SqrtIfEEEEEvT_T0_DpT1_,"axG",@progbits,_ZN2at6native12_GLOBAL__N_125multi_tensor_apply_kernelINS1_18TensorListMetadataILi1EEENS1_14UnaryOpFunctorIN3c108BFloat16ELi1ELi1ELi0EEEJNS0_4SqrtIfEEEEEvT_T0_DpT1_,comdat
.Lfunc_end236:
	.size	_ZN2at6native12_GLOBAL__N_125multi_tensor_apply_kernelINS1_18TensorListMetadataILi1EEENS1_14UnaryOpFunctorIN3c108BFloat16ELi1ELi1ELi0EEEJNS0_4SqrtIfEEEEEvT_T0_DpT1_, .Lfunc_end236-_ZN2at6native12_GLOBAL__N_125multi_tensor_apply_kernelINS1_18TensorListMetadataILi1EEENS1_14UnaryOpFunctorIN3c108BFloat16ELi1ELi1ELi0EEEJNS0_4SqrtIfEEEEEvT_T0_DpT1_
                                        ; -- End function
	.set _ZN2at6native12_GLOBAL__N_125multi_tensor_apply_kernelINS1_18TensorListMetadataILi1EEENS1_14UnaryOpFunctorIN3c108BFloat16ELi1ELi1ELi0EEEJNS0_4SqrtIfEEEEEvT_T0_DpT1_.num_vgpr, 22
	.set _ZN2at6native12_GLOBAL__N_125multi_tensor_apply_kernelINS1_18TensorListMetadataILi1EEENS1_14UnaryOpFunctorIN3c108BFloat16ELi1ELi1ELi0EEEJNS0_4SqrtIfEEEEEvT_T0_DpT1_.num_agpr, 0
	.set _ZN2at6native12_GLOBAL__N_125multi_tensor_apply_kernelINS1_18TensorListMetadataILi1EEENS1_14UnaryOpFunctorIN3c108BFloat16ELi1ELi1ELi0EEEJNS0_4SqrtIfEEEEEvT_T0_DpT1_.numbered_sgpr, 29
	.set _ZN2at6native12_GLOBAL__N_125multi_tensor_apply_kernelINS1_18TensorListMetadataILi1EEENS1_14UnaryOpFunctorIN3c108BFloat16ELi1ELi1ELi0EEEJNS0_4SqrtIfEEEEEvT_T0_DpT1_.num_named_barrier, 0
	.set _ZN2at6native12_GLOBAL__N_125multi_tensor_apply_kernelINS1_18TensorListMetadataILi1EEENS1_14UnaryOpFunctorIN3c108BFloat16ELi1ELi1ELi0EEEJNS0_4SqrtIfEEEEEvT_T0_DpT1_.private_seg_size, 0
	.set _ZN2at6native12_GLOBAL__N_125multi_tensor_apply_kernelINS1_18TensorListMetadataILi1EEENS1_14UnaryOpFunctorIN3c108BFloat16ELi1ELi1ELi0EEEJNS0_4SqrtIfEEEEEvT_T0_DpT1_.uses_vcc, 1
	.set _ZN2at6native12_GLOBAL__N_125multi_tensor_apply_kernelINS1_18TensorListMetadataILi1EEENS1_14UnaryOpFunctorIN3c108BFloat16ELi1ELi1ELi0EEEJNS0_4SqrtIfEEEEEvT_T0_DpT1_.uses_flat_scratch, 0
	.set _ZN2at6native12_GLOBAL__N_125multi_tensor_apply_kernelINS1_18TensorListMetadataILi1EEENS1_14UnaryOpFunctorIN3c108BFloat16ELi1ELi1ELi0EEEJNS0_4SqrtIfEEEEEvT_T0_DpT1_.has_dyn_sized_stack, 0
	.set _ZN2at6native12_GLOBAL__N_125multi_tensor_apply_kernelINS1_18TensorListMetadataILi1EEENS1_14UnaryOpFunctorIN3c108BFloat16ELi1ELi1ELi0EEEJNS0_4SqrtIfEEEEEvT_T0_DpT1_.has_recursion, 0
	.set _ZN2at6native12_GLOBAL__N_125multi_tensor_apply_kernelINS1_18TensorListMetadataILi1EEENS1_14UnaryOpFunctorIN3c108BFloat16ELi1ELi1ELi0EEEJNS0_4SqrtIfEEEEEvT_T0_DpT1_.has_indirect_call, 0
	.section	.AMDGPU.csdata,"",@progbits
; Kernel info:
; codeLenInByte = 2124
; TotalNumSgprs: 33
; NumVgprs: 22
; ScratchSize: 0
; MemoryBound: 0
; FloatMode: 240
; IeeeMode: 1
; LDSByteSize: 0 bytes/workgroup (compile time only)
; SGPRBlocks: 4
; VGPRBlocks: 5
; NumSGPRsForWavesPerEU: 33
; NumVGPRsForWavesPerEU: 22
; Occupancy: 10
; WaveLimiterHint : 0
; COMPUTE_PGM_RSRC2:SCRATCH_EN: 0
; COMPUTE_PGM_RSRC2:USER_SGPR: 6
; COMPUTE_PGM_RSRC2:TRAP_HANDLER: 0
; COMPUTE_PGM_RSRC2:TGID_X_EN: 1
; COMPUTE_PGM_RSRC2:TGID_Y_EN: 0
; COMPUTE_PGM_RSRC2:TGID_Z_EN: 0
; COMPUTE_PGM_RSRC2:TIDIG_COMP_CNT: 0
	.section	.text._ZN2at6native12_GLOBAL__N_125multi_tensor_apply_kernelINS1_18TensorListMetadataILi2EEENS1_14UnaryOpFunctorIdLi2ELi1ELi1EEEJNS0_3ErfIdEEEEEvT_T0_DpT1_,"axG",@progbits,_ZN2at6native12_GLOBAL__N_125multi_tensor_apply_kernelINS1_18TensorListMetadataILi2EEENS1_14UnaryOpFunctorIdLi2ELi1ELi1EEEJNS0_3ErfIdEEEEEvT_T0_DpT1_,comdat
	.globl	_ZN2at6native12_GLOBAL__N_125multi_tensor_apply_kernelINS1_18TensorListMetadataILi2EEENS1_14UnaryOpFunctorIdLi2ELi1ELi1EEEJNS0_3ErfIdEEEEEvT_T0_DpT1_ ; -- Begin function _ZN2at6native12_GLOBAL__N_125multi_tensor_apply_kernelINS1_18TensorListMetadataILi2EEENS1_14UnaryOpFunctorIdLi2ELi1ELi1EEEJNS0_3ErfIdEEEEEvT_T0_DpT1_
	.p2align	8
	.type	_ZN2at6native12_GLOBAL__N_125multi_tensor_apply_kernelINS1_18TensorListMetadataILi2EEENS1_14UnaryOpFunctorIdLi2ELi1ELi1EEEJNS0_3ErfIdEEEEEvT_T0_DpT1_,@function
_ZN2at6native12_GLOBAL__N_125multi_tensor_apply_kernelINS1_18TensorListMetadataILi2EEENS1_14UnaryOpFunctorIdLi2ELi1ELi1EEEJNS0_3ErfIdEEEEEvT_T0_DpT1_: ; @_ZN2at6native12_GLOBAL__N_125multi_tensor_apply_kernelINS1_18TensorListMetadataILi2EEENS1_14UnaryOpFunctorIdLi2ELi1ELi1EEEJNS0_3ErfIdEEEEEvT_T0_DpT1_
; %bb.0:
	v_mov_b32_e32 v1, s6
	global_load_ubyte v1, v1, s[4:5] offset:1536
	s_add_u32 s0, s4, s6
	s_mul_hi_u32 s3, s6, 3
	s_mul_i32 s6, s6, 3
	s_addc_u32 s7, s5, 0
	s_add_u32 s2, s0, s6
	s_addc_u32 s3, s7, s3
	s_load_dword s8, s[2:3], 0x740
                                        ; implicit-def: $vgpr53 : SGPR spill to VGPR lane
	s_mov_b32 s1, 0
	s_mov_b32 s15, s1
	s_waitcnt lgkmcnt(0)
	s_ashr_i32 s9, s8, 31
	s_lshl_b64 s[10:11], s[8:9], 19
	s_lshl_b64 s[8:9], s[8:9], 16
	s_waitcnt vmcnt(0)
	v_readfirstlane_b32 s0, v1
	s_lshl_b32 s0, s0, 3
	s_load_dwordx2 s[12:13], s[4:5], s0 offset:0x400
	s_load_dwordx2 s[6:7], s[4:5], s0 offset:0x0
	;; [unrolled: 1-line block ×3, first 2 shown]
	s_waitcnt lgkmcnt(0)
	s_add_u32 s0, s6, s10
	s_and_b32 s14, s2, 31
	s_and_b32 s0, s0, 31
	s_sub_u32 s8, s12, s8
	s_subb_u32 s9, s13, s9
	v_writelane_b32 v53, s8, 0
	v_writelane_b32 v53, s9, 1
	s_and_b32 s8, s12, 3
	s_mov_b32 s9, s1
	s_or_b64 s[8:9], s[14:15], s[8:9]
	s_or_b64 s[0:1], s[8:9], s[0:1]
	s_cmp_eq_u64 s[0:1], 0
	s_mov_b64 s[0:1], -1
	s_cbranch_scc0 .LBB237_21
; %bb.1:
	v_writelane_b32 v53, s4, 2
	v_writelane_b32 v53, s5, 3
	v_mov_b32_e32 v1, 0x10000
	v_readlane_b32 s4, v53, 0
	v_mov_b32_e32 v2, 0
	v_readlane_b32 s5, v53, 1
	v_cmp_lt_i64_e32 vcc, s[4:5], v[1:2]
	v_mov_b32_e32 v2, 0
	s_and_b64 s[0:1], vcc, exec
	s_cselect_b32 s13, s5, 0
	s_cselect_b32 s12, s4, 0x10000
	v_lshlrev_b32_e32 v1, 2, v0
	v_cmp_gt_i64_e32 vcc, s[12:13], v[1:2]
	s_mov_b64 s[0:1], exec
	v_writelane_b32 v53, s0, 4
	v_writelane_b32 v53, s1, 5
	s_and_b64 s[0:1], s[0:1], vcc
	s_mov_b64 exec, s[0:1]
	s_cbranch_execz .LBB237_20
; %bb.2:
	v_readlane_b32 s0, v53, 2
	v_readlane_b32 s1, v53, 3
	s_load_dword s0, s[0:1], 0xc5c
	v_mov_b32_e32 v1, v2
	v_lshlrev_b32_e32 v2, 5, v0
	v_mov_b32_e32 v3, s11
	v_add_co_u32_e32 v25, vcc, s10, v2
	s_waitcnt lgkmcnt(0)
	s_and_b32 s33, s0, 0xffff
	s_mov_b32 s34, 0x6f4c5a9b
	s_mov_b32 s36, 0x7cfd79ae
	;; [unrolled: 1-line block ×37, first 2 shown]
	v_mov_b32_e32 v24, v1
	s_mov_b32 s22, 0
	s_mov_b32 s24, 0
	v_addc_co_u32_e32 v26, vcc, 0, v3, vcc
	v_mov_b32_e32 v27, s7
	s_mov_b32 s35, 0xbea1b010
	s_mov_b32 s37, 0x3ec58c0e
	;; [unrolled: 1-line block ×37, first 2 shown]
	v_mov_b32_e32 v17, 0x502a41cd
	v_mov_b32_e32 v18, 0xbcc145a3
	;; [unrolled: 1-line block ×9, first 2 shown]
	s_lshl_b32 s30, s33, 5
	s_brev_b32 s31, -2
	s_mov_b32 s23, 0xc0900000
	s_mov_b32 s25, 0x4090cc00
	s_mov_b64 s[26:27], 0
	s_branch .LBB237_4
.LBB237_3:                              ;   in Loop: Header=BB237_4 Depth=1
	s_or_b64 exec, exec, s[0:1]
	v_bfi_b32 v14, s31, v14, v2
	v_mov_b32_e32 v2, s3
	v_add_co_u32_e32 v1, vcc, s2, v25
	v_addc_co_u32_e32 v2, vcc, v2, v26, vcc
	v_add_co_u32_e32 v23, vcc, s33, v23
	v_addc_co_u32_e32 v24, vcc, 0, v24, vcc
	v_bfi_b32 v16, s31, v16, v4
	v_lshlrev_b64 v[3:4], 2, v[23:24]
	v_bfi_b32 v12, s31, v12, v8
	v_cmp_le_i64_e32 vcc, s[12:13], v[3:4]
	v_bfi_b32 v10, s31, v10, v6
	s_or_b64 s[26:27], vcc, s[26:27]
	v_add_co_u32_e32 v25, vcc, s30, v25
	v_addc_co_u32_e32 v26, vcc, 0, v26, vcc
	global_store_dwordx4 v[1:2], v[9:12], off
	global_store_dwordx4 v[1:2], v[13:16], off offset:16
	s_andn2_b64 exec, exec, s[26:27]
	s_cbranch_execz .LBB237_20
.LBB237_4:                              ; =>This Inner Loop Header: Depth=1
	v_add_co_u32_e32 v1, vcc, s6, v25
	v_addc_co_u32_e32 v2, vcc, v27, v26, vcc
	global_load_dwordx4 v[5:8], v[1:2], off
	s_nop 0
	global_load_dwordx4 v[1:4], v[1:2], off offset:16
                                        ; implicit-def: $vgpr9_vgpr10
	s_waitcnt vmcnt(1)
	v_cmp_nlt_f64_e64 s[0:1], |v[5:6]|, 1.0
	s_and_saveexec_b64 s[28:29], s[0:1]
	s_xor_b64 s[28:29], exec, s[28:29]
	s_cbranch_execz .LBB237_6
; %bb.5:                                ;   in Loop: Header=BB237_4 Depth=1
	s_mov_b32 s0, 0xc14b24be
	s_mov_b32 s1, 0x3c598d37
	v_fma_f64 v[9:10], |v[5:6]|, s[0:1], v[17:18]
	s_mov_b32 s0, 0xd735f9ec
	s_mov_b32 s1, 0x3d162dee
	v_fma_f64 v[9:10], |v[5:6]|, v[9:10], s[0:1]
	;; [unrolled: 3-line block ×8, first 2 shown]
	v_fma_f64 v[9:10], |v[5:6]|, v[9:10], s[34:35]
	v_fma_f64 v[9:10], |v[5:6]|, v[9:10], s[36:37]
	;; [unrolled: 1-line block ×14, first 2 shown]
	v_fma_f64 v[9:10], |v[5:6]|, v[9:10], |v[5:6]|
	v_mul_f64 v[11:12], v[9:10], s[62:63]
	v_cmp_ngt_f64_e32 vcc, s[22:23], v[9:10]
	v_cmp_nlt_f64_e64 s[0:1], s[24:25], v[9:10]
	v_rndne_f64_e32 v[11:12], v[11:12]
	v_fma_f64 v[13:14], v[11:12], s[64:65], -v[9:10]
	v_fma_f64 v[13:14], v[11:12], s[66:67], v[13:14]
	v_cvt_i32_f64_e32 v11, v[11:12]
	v_fma_f64 v[15:16], v[13:14], s[68:69], v[19:20]
	v_fma_f64 v[15:16], v[13:14], v[15:16], s[70:71]
	;; [unrolled: 1-line block ×9, first 2 shown]
	v_fma_f64 v[15:16], v[13:14], v[15:16], 1.0
	v_fma_f64 v[13:14], v[13:14], v[15:16], 1.0
	v_ldexp_f64 v[11:12], v[13:14], v11
	v_add_f64 v[11:12], -v[11:12], 1.0
	v_cndmask_b32_e32 v12, v28, v12, vcc
	s_and_b64 vcc, s[0:1], vcc
	v_cndmask_b32_e64 v10, v29, v12, s[0:1]
	v_cndmask_b32_e32 v9, 0, v11, vcc
.LBB237_6:                              ;   in Loop: Header=BB237_4 Depth=1
	s_andn2_saveexec_b64 s[0:1], s[28:29]
	s_cbranch_execz .LBB237_8
; %bb.7:                                ;   in Loop: Header=BB237_4 Depth=1
	v_mul_f64 v[9:10], v[5:6], v[5:6]
	v_fma_f64 v[11:12], v[9:10], s[86:87], v[21:22]
	v_fma_f64 v[11:12], v[9:10], v[11:12], s[88:89]
	;; [unrolled: 1-line block ×11, first 2 shown]
	v_fma_f64 v[9:10], |v[5:6]|, v[9:10], |v[5:6]|
.LBB237_8:                              ;   in Loop: Header=BB237_4 Depth=1
	s_or_b64 exec, exec, s[0:1]
	v_cmp_nlt_f64_e64 s[0:1], |v[7:8]|, 1.0
	s_and_saveexec_b64 s[28:29], s[0:1]
	s_xor_b64 s[28:29], exec, s[28:29]
	s_cbranch_execz .LBB237_10
; %bb.9:                                ;   in Loop: Header=BB237_4 Depth=1
	s_mov_b32 s0, 0xc14b24be
	s_mov_b32 s1, 0x3c598d37
	v_fma_f64 v[11:12], |v[7:8]|, s[0:1], v[17:18]
	s_mov_b32 s0, 0xd735f9ec
	s_mov_b32 s1, 0x3d162dee
	v_fma_f64 v[11:12], |v[7:8]|, v[11:12], s[0:1]
	;; [unrolled: 3-line block ×8, first 2 shown]
	v_fma_f64 v[11:12], |v[7:8]|, v[11:12], s[34:35]
	v_fma_f64 v[11:12], |v[7:8]|, v[11:12], s[36:37]
	;; [unrolled: 1-line block ×14, first 2 shown]
	v_fma_f64 v[11:12], |v[7:8]|, v[11:12], |v[7:8]|
	v_mul_f64 v[13:14], v[11:12], s[62:63]
	v_cmp_ngt_f64_e32 vcc, s[22:23], v[11:12]
	v_cmp_nlt_f64_e64 s[0:1], s[24:25], v[11:12]
	v_rndne_f64_e32 v[13:14], v[13:14]
	v_fma_f64 v[15:16], v[13:14], s[64:65], -v[11:12]
	v_cvt_i32_f64_e32 v5, v[13:14]
	v_fma_f64 v[15:16], v[13:14], s[66:67], v[15:16]
	v_fma_f64 v[30:31], v[15:16], s[68:69], v[19:20]
	;; [unrolled: 1-line block ×10, first 2 shown]
	v_fma_f64 v[30:31], v[15:16], v[30:31], 1.0
	v_fma_f64 v[15:16], v[15:16], v[30:31], 1.0
	v_ldexp_f64 v[13:14], v[15:16], v5
	v_add_f64 v[13:14], -v[13:14], 1.0
	v_cndmask_b32_e32 v5, v28, v14, vcc
	s_and_b64 vcc, s[0:1], vcc
	v_cndmask_b32_e64 v12, v29, v5, s[0:1]
	v_cndmask_b32_e32 v11, 0, v13, vcc
.LBB237_10:                             ;   in Loop: Header=BB237_4 Depth=1
	s_andn2_saveexec_b64 s[0:1], s[28:29]
	s_cbranch_execz .LBB237_12
; %bb.11:                               ;   in Loop: Header=BB237_4 Depth=1
	v_mul_f64 v[11:12], v[7:8], v[7:8]
	v_fma_f64 v[13:14], v[11:12], s[86:87], v[21:22]
	v_fma_f64 v[13:14], v[11:12], v[13:14], s[88:89]
	;; [unrolled: 1-line block ×11, first 2 shown]
	v_fma_f64 v[11:12], |v[7:8]|, v[11:12], |v[7:8]|
.LBB237_12:                             ;   in Loop: Header=BB237_4 Depth=1
	s_or_b64 exec, exec, s[0:1]
	s_waitcnt vmcnt(0)
	v_cmp_nlt_f64_e64 s[0:1], |v[1:2]|, 1.0
                                        ; implicit-def: $vgpr13_vgpr14
	s_and_saveexec_b64 s[28:29], s[0:1]
	s_xor_b64 s[28:29], exec, s[28:29]
	s_cbranch_execz .LBB237_14
; %bb.13:                               ;   in Loop: Header=BB237_4 Depth=1
	s_mov_b32 s0, 0xc14b24be
	s_mov_b32 s1, 0x3c598d37
	v_fma_f64 v[13:14], |v[1:2]|, s[0:1], v[17:18]
	s_mov_b32 s0, 0xd735f9ec
	s_mov_b32 s1, 0x3d162dee
	v_fma_f64 v[13:14], |v[1:2]|, v[13:14], s[0:1]
	;; [unrolled: 3-line block ×8, first 2 shown]
	v_fma_f64 v[13:14], |v[1:2]|, v[13:14], s[34:35]
	v_fma_f64 v[13:14], |v[1:2]|, v[13:14], s[36:37]
	v_fma_f64 v[13:14], |v[1:2]|, v[13:14], s[38:39]
	v_fma_f64 v[13:14], |v[1:2]|, v[13:14], s[40:41]
	v_fma_f64 v[13:14], |v[1:2]|, v[13:14], s[42:43]
	v_fma_f64 v[13:14], |v[1:2]|, v[13:14], s[44:45]
	v_fma_f64 v[13:14], |v[1:2]|, v[13:14], s[46:47]
	v_fma_f64 v[13:14], |v[1:2]|, v[13:14], s[48:49]
	v_fma_f64 v[13:14], |v[1:2]|, v[13:14], s[50:51]
	v_fma_f64 v[13:14], |v[1:2]|, v[13:14], s[52:53]
	v_fma_f64 v[13:14], |v[1:2]|, v[13:14], s[54:55]
	v_fma_f64 v[13:14], |v[1:2]|, v[13:14], s[56:57]
	v_fma_f64 v[13:14], |v[1:2]|, v[13:14], s[58:59]
	v_fma_f64 v[13:14], |v[1:2]|, v[13:14], s[60:61]
	v_fma_f64 v[13:14], |v[1:2]|, v[13:14], |v[1:2]|
	v_mul_f64 v[15:16], v[13:14], s[62:63]
	v_cmp_ngt_f64_e32 vcc, s[22:23], v[13:14]
	v_cmp_nlt_f64_e64 s[0:1], s[24:25], v[13:14]
	v_rndne_f64_e32 v[15:16], v[15:16]
	v_fma_f64 v[30:31], v[15:16], s[64:65], -v[13:14]
	v_cvt_i32_f64_e32 v5, v[15:16]
	v_fma_f64 v[30:31], v[15:16], s[66:67], v[30:31]
	v_fma_f64 v[32:33], v[30:31], s[68:69], v[19:20]
	;; [unrolled: 1-line block ×10, first 2 shown]
	v_fma_f64 v[32:33], v[30:31], v[32:33], 1.0
	v_fma_f64 v[30:31], v[30:31], v[32:33], 1.0
	v_ldexp_f64 v[15:16], v[30:31], v5
	v_add_f64 v[15:16], -v[15:16], 1.0
	v_cndmask_b32_e32 v5, v28, v16, vcc
	s_and_b64 vcc, s[0:1], vcc
	v_cndmask_b32_e64 v14, v29, v5, s[0:1]
	v_cndmask_b32_e32 v13, 0, v15, vcc
.LBB237_14:                             ;   in Loop: Header=BB237_4 Depth=1
	s_andn2_saveexec_b64 s[0:1], s[28:29]
	s_cbranch_execz .LBB237_16
; %bb.15:                               ;   in Loop: Header=BB237_4 Depth=1
	v_mul_f64 v[13:14], v[1:2], v[1:2]
	v_fma_f64 v[15:16], v[13:14], s[86:87], v[21:22]
	v_fma_f64 v[15:16], v[13:14], v[15:16], s[88:89]
	;; [unrolled: 1-line block ×11, first 2 shown]
	v_fma_f64 v[13:14], |v[1:2]|, v[13:14], |v[1:2]|
.LBB237_16:                             ;   in Loop: Header=BB237_4 Depth=1
	s_or_b64 exec, exec, s[0:1]
	v_cmp_nlt_f64_e64 s[0:1], |v[3:4]|, 1.0
	s_and_saveexec_b64 s[28:29], s[0:1]
	s_xor_b64 s[28:29], exec, s[28:29]
	s_cbranch_execz .LBB237_18
; %bb.17:                               ;   in Loop: Header=BB237_4 Depth=1
	s_mov_b32 s0, 0xc14b24be
	s_mov_b32 s1, 0x3c598d37
	v_fma_f64 v[15:16], |v[3:4]|, s[0:1], v[17:18]
	s_mov_b32 s0, 0xd735f9ec
	s_mov_b32 s1, 0x3d162dee
	v_fma_f64 v[15:16], |v[3:4]|, v[15:16], s[0:1]
	;; [unrolled: 3-line block ×8, first 2 shown]
	v_fma_f64 v[15:16], |v[3:4]|, v[15:16], s[34:35]
	v_fma_f64 v[15:16], |v[3:4]|, v[15:16], s[36:37]
	;; [unrolled: 1-line block ×14, first 2 shown]
	v_fma_f64 v[15:16], |v[3:4]|, v[15:16], |v[3:4]|
	v_mul_f64 v[30:31], v[15:16], s[62:63]
	v_cmp_ngt_f64_e32 vcc, s[22:23], v[15:16]
	v_cmp_nlt_f64_e64 s[0:1], s[24:25], v[15:16]
	v_rndne_f64_e32 v[30:31], v[30:31]
	v_fma_f64 v[32:33], v[30:31], s[64:65], -v[15:16]
	v_cvt_i32_f64_e32 v1, v[30:31]
	v_fma_f64 v[32:33], v[30:31], s[66:67], v[32:33]
	v_fma_f64 v[34:35], v[32:33], s[68:69], v[19:20]
	;; [unrolled: 1-line block ×10, first 2 shown]
	v_fma_f64 v[34:35], v[32:33], v[34:35], 1.0
	v_fma_f64 v[32:33], v[32:33], v[34:35], 1.0
	v_ldexp_f64 v[30:31], v[32:33], v1
	v_add_f64 v[30:31], -v[30:31], 1.0
	v_cndmask_b32_e32 v1, v28, v31, vcc
	s_and_b64 vcc, s[0:1], vcc
	v_cndmask_b32_e64 v16, v29, v1, s[0:1]
	v_cndmask_b32_e32 v15, 0, v30, vcc
.LBB237_18:                             ;   in Loop: Header=BB237_4 Depth=1
	s_andn2_saveexec_b64 s[0:1], s[28:29]
	s_cbranch_execz .LBB237_3
; %bb.19:                               ;   in Loop: Header=BB237_4 Depth=1
	v_mul_f64 v[15:16], v[3:4], v[3:4]
	v_fma_f64 v[30:31], v[15:16], s[86:87], v[21:22]
	v_fma_f64 v[30:31], v[15:16], v[30:31], s[88:89]
	;; [unrolled: 1-line block ×11, first 2 shown]
	v_fma_f64 v[15:16], |v[3:4]|, v[15:16], |v[3:4]|
	s_branch .LBB237_3
.LBB237_20:
	v_readlane_b32 s0, v53, 4
	v_readlane_b32 s1, v53, 5
	s_or_b64 exec, exec, s[0:1]
	v_readlane_b32 s4, v53, 2
	s_mov_b64 s[0:1], 0
	v_readlane_b32 s5, v53, 3
.LBB237_21:
	s_andn2_b64 vcc, exec, s[0:1]
	s_cbranch_vccnz .LBB237_57
; %bb.22:
	v_readlane_b32 s0, v53, 0
	v_readlane_b32 s1, v53, 1
	v_cmp_lt_i64_e64 s[0:1], s[0:1], 1
	s_and_b64 vcc, exec, s[0:1]
	s_cbranch_vccnz .LBB237_57
; %bb.23:
	v_mov_b32_e32 v1, 0x10000
	v_readlane_b32 s8, v53, 0
	s_load_dword s4, s[4:5], 0xc5c
	v_mov_b32_e32 v2, 0
	v_readlane_b32 s9, v53, 1
	v_cmp_lt_i64_e32 vcc, s[8:9], v[1:2]
	v_mov_b32_e32 v3, 0
	s_and_b64 s[0:1], vcc, exec
	v_cmp_lt_u64_e32 vcc, s[8:9], v[1:2]
	s_cselect_b32 s13, s9, 0
	s_cselect_b32 s12, s8, 0x10000
	s_waitcnt lgkmcnt(0)
	s_and_b32 s4, s4, 0xffff
	v_lshlrev_b32_e32 v2, 3, v0
	s_and_b64 s[0:1], vcc, exec
	v_mov_b32_e32 v1, s7
	v_add_co_u32_e32 v23, vcc, s6, v2
	v_mad_u64_u32 v[3:4], s[0:1], s4, 24, v[2:3]
	v_addc_co_u32_e32 v24, vcc, 0, v1, vcc
	v_mov_b32_e32 v1, s3
	v_add_co_u32_e32 v25, vcc, s2, v2
	v_addc_co_u32_e32 v26, vcc, 0, v1, vcc
	v_mov_b32_e32 v1, s7
	v_add_co_u32_e32 v27, vcc, s6, v3
	;; [unrolled: 3-line block ×3, first 2 shown]
	s_cselect_b32 s15, s9, 0
	s_cselect_b32 s14, s8, 0x10000
	v_addc_co_u32_e32 v30, vcc, v1, v4, vcc
	s_lshl_b32 s0, s4, 4
	v_add_co_u32_e32 v1, vcc, s0, v2
	v_addc_co_u32_e64 v2, s[0:1], 0, 0, vcc
	v_mov_b32_e32 v3, s7
	v_add_co_u32_e32 v31, vcc, s6, v1
	v_addc_co_u32_e32 v32, vcc, v3, v2, vcc
	v_mov_b32_e32 v3, s3
	v_add_co_u32_e32 v33, vcc, s2, v1
	v_addc_co_u32_e32 v34, vcc, v3, v2, vcc
	v_add_co_u32_e32 v35, vcc, s4, v0
	v_lshlrev_b32_e32 v1, 3, v35
	v_addc_co_u32_e64 v36, s[0:1], 0, 0, vcc
	v_mov_b32_e32 v2, s7
	v_add_co_u32_e32 v37, vcc, s6, v1
	v_addc_co_u32_e32 v38, vcc, 0, v2, vcc
	v_mov_b32_e32 v2, s3
	v_add_co_u32_e32 v39, vcc, s2, v1
	s_mul_i32 s8, s4, 3
	v_addc_co_u32_e32 v40, vcc, 0, v2, vcc
	s_lshl_b32 s5, s4, 1
	v_add_co_u32_e32 v41, vcc, s8, v0
	s_mov_b32 s40, 0x1f9b1786
	s_mov_b32 s42, 0xf4634b2e
	;; [unrolled: 1-line block ×15, first 2 shown]
	v_addc_co_u32_e64 v42, s[0:1], 0, 0, vcc
	s_mov_b32 s70, 0x623fde64
	v_add_co_u32_e32 v43, vcc, s5, v0
	s_mov_b32 s72, 0x7c89e6b0
	s_mov_b32 s74, 0x14761f6e
	;; [unrolled: 1-line block ×20, first 2 shown]
	s_lshl_b32 s39, s4, 2
	s_lshl_b32 s33, s4, 5
	s_mov_b32 s41, 0x3f0192fc
	s_mov_b32 s43, 0xbf162cf3
	;; [unrolled: 1-line block ×16, first 2 shown]
	v_addc_co_u32_e64 v44, s[0:1], 0, 0, vcc
	s_mov_b32 s73, 0x3efa0199
	s_mov_b32 s75, 0x3f2a01a0
	;; [unrolled: 1-line block ×18, first 2 shown]
	v_mov_b32_e32 v1, 0x502a41cd
	v_mov_b32_e32 v2, 0xbcc145a3
	v_mov_b32_e32 v3, 0xfca7ab0c
	v_mov_b32_e32 v4, 0x3e928af3
	v_mov_b32_e32 v45, 0xfff00000
	v_mov_b32_e32 v46, 0x3ff00000
	v_mov_b32_e32 v5, 0xdfeb1f49
	v_mov_b32_e32 v6, 0x3e4d6e3d
	s_brev_b32 s38, -2
	s_mov_b32 s29, 0xc0900000
	s_mov_b32 s31, 0x4090cc00
	s_mov_b64 s[34:35], 0
	s_branch .LBB237_25
.LBB237_24:                             ;   in Loop: Header=BB237_25 Depth=1
	s_or_b64 exec, exec, s[0:1]
	v_add_co_u32_e32 v23, vcc, s33, v23
	v_addc_co_u32_e32 v24, vcc, 0, v24, vcc
	v_add_co_u32_e32 v25, vcc, s33, v25
	v_addc_co_u32_e32 v26, vcc, 0, v26, vcc
	;; [unrolled: 2-line block ×6, first 2 shown]
	s_add_u32 s34, s34, s39
	v_add_co_u32_e32 v37, vcc, s33, v37
	v_mov_b32_e32 v7, s12
	s_addc_u32 s35, s35, 0
	v_addc_co_u32_e32 v38, vcc, 0, v38, vcc
	v_mov_b32_e32 v8, s13
	v_cmp_ge_i64_e32 vcc, s[34:35], v[7:8]
	v_add_co_u32_e64 v39, s[0:1], s33, v39
	v_addc_co_u32_e64 v40, s[0:1], 0, v40, s[0:1]
	s_cbranch_vccnz .LBB237_57
.LBB237_25:                             ; =>This Inner Loop Header: Depth=1
	v_mov_b32_e32 v8, s35
	v_add_co_u32_e32 v7, vcc, s34, v0
	v_addc_co_u32_e32 v8, vcc, 0, v8, vcc
	v_cmp_gt_u64_e32 vcc, s[14:15], v[7:8]
	v_mov_b32_e32 v7, 0
	v_mov_b32_e32 v11, 0
	;; [unrolled: 1-line block ×4, first 2 shown]
	s_and_saveexec_b64 s[2:3], vcc
	s_cbranch_execz .LBB237_27
; %bb.26:                               ;   in Loop: Header=BB237_25 Depth=1
	v_mov_b32_e32 v10, s11
	v_add_co_u32_e64 v9, s[0:1], s10, v23
	v_addc_co_u32_e64 v10, s[0:1], v24, v10, s[0:1]
	global_load_dwordx2 v[11:12], v[9:10], off
.LBB237_27:                             ;   in Loop: Header=BB237_25 Depth=1
	s_or_b64 exec, exec, s[2:3]
	v_mov_b32_e32 v10, s35
	v_add_co_u32_e64 v9, s[0:1], s34, v35
	v_addc_co_u32_e64 v10, s[0:1], v36, v10, s[0:1]
	v_cmp_gt_u64_e64 s[0:1], s[14:15], v[9:10]
	s_and_saveexec_b64 s[4:5], s[0:1]
	s_cbranch_execz .LBB237_29
; %bb.28:                               ;   in Loop: Header=BB237_25 Depth=1
	v_mov_b32_e32 v8, s11
	v_add_co_u32_e64 v7, s[2:3], s10, v37
	v_addc_co_u32_e64 v8, s[2:3], v38, v8, s[2:3]
	global_load_dwordx2 v[7:8], v[7:8], off
.LBB237_29:                             ;   in Loop: Header=BB237_25 Depth=1
	s_or_b64 exec, exec, s[4:5]
	v_mov_b32_e32 v10, s35
	v_add_co_u32_e64 v9, s[2:3], s34, v43
	v_addc_co_u32_e64 v10, s[2:3], v44, v10, s[2:3]
	v_cmp_gt_u64_e64 s[2:3], s[14:15], v[9:10]
	v_mov_b32_e32 v9, 0
	v_mov_b32_e32 v13, 0
	;; [unrolled: 1-line block ×4, first 2 shown]
	s_and_saveexec_b64 s[6:7], s[2:3]
	s_cbranch_execz .LBB237_31
; %bb.30:                               ;   in Loop: Header=BB237_25 Depth=1
	v_mov_b32_e32 v14, s11
	v_add_co_u32_e64 v13, s[4:5], s10, v31
	v_addc_co_u32_e64 v14, s[4:5], v32, v14, s[4:5]
	global_load_dwordx2 v[13:14], v[13:14], off
.LBB237_31:                             ;   in Loop: Header=BB237_25 Depth=1
	s_or_b64 exec, exec, s[6:7]
	v_mov_b32_e32 v16, s35
	v_add_co_u32_e64 v15, s[4:5], s34, v41
	v_addc_co_u32_e64 v16, s[4:5], v42, v16, s[4:5]
	v_cmp_gt_u64_e64 s[4:5], s[14:15], v[15:16]
	s_and_saveexec_b64 s[8:9], s[4:5]
	s_cbranch_execz .LBB237_33
; %bb.32:                               ;   in Loop: Header=BB237_25 Depth=1
	v_mov_b32_e32 v10, s11
	v_add_co_u32_e64 v9, s[6:7], s10, v27
	v_addc_co_u32_e64 v10, s[6:7], v28, v10, s[6:7]
	global_load_dwordx2 v[9:10], v[9:10], off
.LBB237_33:                             ;   in Loop: Header=BB237_25 Depth=1
	s_or_b64 exec, exec, s[8:9]
	s_waitcnt vmcnt(0)
	v_cmp_nlt_f64_e64 s[6:7], |v[11:12]|, 1.0
                                        ; implicit-def: $vgpr15_vgpr16
	s_and_saveexec_b64 s[8:9], s[6:7]
	s_xor_b64 s[36:37], exec, s[8:9]
	s_cbranch_execz .LBB237_35
; %bb.34:                               ;   in Loop: Header=BB237_25 Depth=1
	s_mov_b32 s6, 0xc14b24be
	s_mov_b32 s7, 0x3c598d37
	v_fma_f64 v[15:16], |v[11:12]|, s[6:7], v[1:2]
	s_mov_b32 s6, 0xd735f9ec
	s_mov_b32 s7, 0x3d162dee
	v_fma_f64 v[15:16], |v[11:12]|, v[15:16], s[6:7]
	;; [unrolled: 3-line block ×11, first 2 shown]
	v_fma_f64 v[15:16], |v[11:12]|, v[15:16], s[40:41]
	v_fma_f64 v[15:16], |v[11:12]|, v[15:16], s[42:43]
	;; [unrolled: 1-line block ×11, first 2 shown]
	v_fma_f64 v[15:16], |v[11:12]|, v[15:16], |v[11:12]|
	v_mul_f64 v[17:18], v[15:16], s[62:63]
	v_cmp_ngt_f64_e64 s[6:7], s[28:29], v[15:16]
	v_cmp_nlt_f64_e64 s[8:9], s[30:31], v[15:16]
	v_rndne_f64_e32 v[17:18], v[17:18]
	v_fma_f64 v[19:20], v[17:18], s[64:65], -v[15:16]
	v_fma_f64 v[19:20], v[17:18], s[66:67], v[19:20]
	v_cvt_i32_f64_e32 v17, v[17:18]
	v_fma_f64 v[21:22], v[19:20], s[68:69], v[3:4]
	v_fma_f64 v[21:22], v[19:20], v[21:22], s[70:71]
	;; [unrolled: 1-line block ×9, first 2 shown]
	v_fma_f64 v[21:22], v[19:20], v[21:22], 1.0
	v_fma_f64 v[19:20], v[19:20], v[21:22], 1.0
	v_ldexp_f64 v[17:18], v[19:20], v17
	v_add_f64 v[17:18], -v[17:18], 1.0
	v_cndmask_b32_e64 v18, v45, v18, s[6:7]
	s_and_b64 s[6:7], s[8:9], s[6:7]
	v_cndmask_b32_e64 v16, v46, v18, s[8:9]
	v_cndmask_b32_e64 v15, 0, v17, s[6:7]
.LBB237_35:                             ;   in Loop: Header=BB237_25 Depth=1
	s_andn2_saveexec_b64 s[6:7], s[36:37]
	s_cbranch_execz .LBB237_37
; %bb.36:                               ;   in Loop: Header=BB237_25 Depth=1
	v_mul_f64 v[15:16], v[11:12], v[11:12]
	v_fma_f64 v[17:18], v[15:16], s[86:87], v[5:6]
	v_fma_f64 v[17:18], v[15:16], v[17:18], s[88:89]
	;; [unrolled: 1-line block ×11, first 2 shown]
	v_fma_f64 v[15:16], |v[11:12]|, v[15:16], |v[11:12]|
.LBB237_37:                             ;   in Loop: Header=BB237_25 Depth=1
	s_or_b64 exec, exec, s[6:7]
	v_cmp_nlt_f64_e64 s[6:7], |v[7:8]|, 1.0
                                        ; implicit-def: $vgpr17_vgpr18
	s_and_saveexec_b64 s[8:9], s[6:7]
	s_xor_b64 s[36:37], exec, s[8:9]
	s_cbranch_execz .LBB237_39
; %bb.38:                               ;   in Loop: Header=BB237_25 Depth=1
	s_mov_b32 s6, 0xc14b24be
	s_mov_b32 s7, 0x3c598d37
	v_fma_f64 v[17:18], |v[7:8]|, s[6:7], v[1:2]
	s_mov_b32 s6, 0xd735f9ec
	s_mov_b32 s7, 0x3d162dee
	v_fma_f64 v[17:18], |v[7:8]|, v[17:18], s[6:7]
	;; [unrolled: 3-line block ×11, first 2 shown]
	v_fma_f64 v[17:18], |v[7:8]|, v[17:18], s[40:41]
	v_fma_f64 v[17:18], |v[7:8]|, v[17:18], s[42:43]
	;; [unrolled: 1-line block ×11, first 2 shown]
	v_fma_f64 v[17:18], |v[7:8]|, v[17:18], |v[7:8]|
	v_mul_f64 v[19:20], v[17:18], s[62:63]
	v_cmp_ngt_f64_e64 s[6:7], s[28:29], v[17:18]
	v_cmp_nlt_f64_e64 s[8:9], s[30:31], v[17:18]
	v_rndne_f64_e32 v[19:20], v[19:20]
	v_fma_f64 v[21:22], v[19:20], s[64:65], -v[17:18]
	v_cvt_i32_f64_e32 v11, v[19:20]
	v_fma_f64 v[21:22], v[19:20], s[66:67], v[21:22]
	v_fma_f64 v[47:48], v[21:22], s[68:69], v[3:4]
	;; [unrolled: 1-line block ×10, first 2 shown]
	v_fma_f64 v[47:48], v[21:22], v[47:48], 1.0
	v_fma_f64 v[21:22], v[21:22], v[47:48], 1.0
	v_ldexp_f64 v[19:20], v[21:22], v11
	v_add_f64 v[19:20], -v[19:20], 1.0
	v_cndmask_b32_e64 v11, v45, v20, s[6:7]
	s_and_b64 s[6:7], s[8:9], s[6:7]
	v_cndmask_b32_e64 v18, v46, v11, s[8:9]
	v_cndmask_b32_e64 v17, 0, v19, s[6:7]
.LBB237_39:                             ;   in Loop: Header=BB237_25 Depth=1
	s_andn2_saveexec_b64 s[6:7], s[36:37]
	s_cbranch_execz .LBB237_41
; %bb.40:                               ;   in Loop: Header=BB237_25 Depth=1
	v_mul_f64 v[17:18], v[7:8], v[7:8]
	v_fma_f64 v[19:20], v[17:18], s[86:87], v[5:6]
	v_fma_f64 v[19:20], v[17:18], v[19:20], s[88:89]
	;; [unrolled: 1-line block ×11, first 2 shown]
	v_fma_f64 v[17:18], |v[7:8]|, v[17:18], |v[7:8]|
.LBB237_41:                             ;   in Loop: Header=BB237_25 Depth=1
	s_or_b64 exec, exec, s[6:7]
	v_cmp_nlt_f64_e64 s[6:7], |v[13:14]|, 1.0
                                        ; implicit-def: $vgpr19_vgpr20
	s_and_saveexec_b64 s[8:9], s[6:7]
	s_xor_b64 s[36:37], exec, s[8:9]
	s_cbranch_execz .LBB237_43
; %bb.42:                               ;   in Loop: Header=BB237_25 Depth=1
	s_mov_b32 s6, 0xc14b24be
	s_mov_b32 s7, 0x3c598d37
	v_fma_f64 v[19:20], |v[13:14]|, s[6:7], v[1:2]
	s_mov_b32 s6, 0xd735f9ec
	s_mov_b32 s7, 0x3d162dee
	v_fma_f64 v[19:20], |v[13:14]|, v[19:20], s[6:7]
	;; [unrolled: 3-line block ×11, first 2 shown]
	v_fma_f64 v[19:20], |v[13:14]|, v[19:20], s[40:41]
	v_fma_f64 v[19:20], |v[13:14]|, v[19:20], s[42:43]
	;; [unrolled: 1-line block ×11, first 2 shown]
	v_fma_f64 v[19:20], |v[13:14]|, v[19:20], |v[13:14]|
	v_mul_f64 v[21:22], v[19:20], s[62:63]
	v_cmp_ngt_f64_e64 s[6:7], s[28:29], v[19:20]
	v_cmp_nlt_f64_e64 s[8:9], s[30:31], v[19:20]
	v_rndne_f64_e32 v[21:22], v[21:22]
	v_fma_f64 v[47:48], v[21:22], s[64:65], -v[19:20]
	v_cvt_i32_f64_e32 v7, v[21:22]
	v_fma_f64 v[47:48], v[21:22], s[66:67], v[47:48]
	v_fma_f64 v[49:50], v[47:48], s[68:69], v[3:4]
	;; [unrolled: 1-line block ×10, first 2 shown]
	v_fma_f64 v[49:50], v[47:48], v[49:50], 1.0
	v_fma_f64 v[47:48], v[47:48], v[49:50], 1.0
	v_ldexp_f64 v[21:22], v[47:48], v7
	v_add_f64 v[21:22], -v[21:22], 1.0
	v_cndmask_b32_e64 v7, v45, v22, s[6:7]
	s_and_b64 s[6:7], s[8:9], s[6:7]
	v_cndmask_b32_e64 v20, v46, v7, s[8:9]
	v_cndmask_b32_e64 v19, 0, v21, s[6:7]
.LBB237_43:                             ;   in Loop: Header=BB237_25 Depth=1
	s_andn2_saveexec_b64 s[6:7], s[36:37]
	s_cbranch_execz .LBB237_45
; %bb.44:                               ;   in Loop: Header=BB237_25 Depth=1
	v_mul_f64 v[19:20], v[13:14], v[13:14]
	v_fma_f64 v[21:22], v[19:20], s[86:87], v[5:6]
	v_fma_f64 v[21:22], v[19:20], v[21:22], s[88:89]
	;; [unrolled: 1-line block ×11, first 2 shown]
	v_fma_f64 v[19:20], |v[13:14]|, v[19:20], |v[13:14]|
.LBB237_45:                             ;   in Loop: Header=BB237_25 Depth=1
	s_or_b64 exec, exec, s[6:7]
	v_cmp_nlt_f64_e64 s[6:7], |v[9:10]|, 1.0
                                        ; implicit-def: $vgpr21_vgpr22
	s_and_saveexec_b64 s[8:9], s[6:7]
	s_xor_b64 s[36:37], exec, s[8:9]
	s_cbranch_execnz .LBB237_51
; %bb.46:                               ;   in Loop: Header=BB237_25 Depth=1
	s_andn2_saveexec_b64 s[6:7], s[36:37]
	s_cbranch_execnz .LBB237_52
.LBB237_47:                             ;   in Loop: Header=BB237_25 Depth=1
	s_or_b64 exec, exec, s[6:7]
	s_and_saveexec_b64 s[6:7], vcc
	s_xor_b64 s[6:7], exec, s[6:7]
	s_cbranch_execnz .LBB237_53
.LBB237_48:                             ;   in Loop: Header=BB237_25 Depth=1
	s_or_b64 exec, exec, s[6:7]
	s_and_saveexec_b64 s[6:7], s[0:1]
	s_cbranch_execnz .LBB237_54
.LBB237_49:                             ;   in Loop: Header=BB237_25 Depth=1
	s_or_b64 exec, exec, s[6:7]
	s_and_saveexec_b64 s[0:1], s[2:3]
	s_cbranch_execnz .LBB237_55
.LBB237_50:                             ;   in Loop: Header=BB237_25 Depth=1
	s_or_b64 exec, exec, s[0:1]
	s_and_saveexec_b64 s[0:1], s[4:5]
	s_cbranch_execz .LBB237_24
	s_branch .LBB237_56
.LBB237_51:                             ;   in Loop: Header=BB237_25 Depth=1
	s_mov_b32 s6, 0xc14b24be
	s_mov_b32 s7, 0x3c598d37
	v_fma_f64 v[21:22], |v[9:10]|, s[6:7], v[1:2]
	s_mov_b32 s6, 0xd735f9ec
	s_mov_b32 s7, 0x3d162dee
	v_fma_f64 v[21:22], |v[9:10]|, v[21:22], s[6:7]
	;; [unrolled: 3-line block ×11, first 2 shown]
	v_fma_f64 v[21:22], |v[9:10]|, v[21:22], s[40:41]
	v_fma_f64 v[21:22], |v[9:10]|, v[21:22], s[42:43]
	;; [unrolled: 1-line block ×11, first 2 shown]
	v_fma_f64 v[21:22], |v[9:10]|, v[21:22], |v[9:10]|
	v_mul_f64 v[47:48], v[21:22], s[62:63]
	v_cmp_ngt_f64_e64 s[6:7], s[28:29], v[21:22]
	v_cmp_nlt_f64_e64 s[8:9], s[30:31], v[21:22]
	v_rndne_f64_e32 v[47:48], v[47:48]
	v_fma_f64 v[49:50], v[47:48], s[64:65], -v[21:22]
	v_cvt_i32_f64_e32 v7, v[47:48]
	v_fma_f64 v[49:50], v[47:48], s[66:67], v[49:50]
	v_fma_f64 v[51:52], v[49:50], s[68:69], v[3:4]
	;; [unrolled: 1-line block ×10, first 2 shown]
	v_fma_f64 v[51:52], v[49:50], v[51:52], 1.0
	v_fma_f64 v[49:50], v[49:50], v[51:52], 1.0
	v_ldexp_f64 v[47:48], v[49:50], v7
	v_add_f64 v[47:48], -v[47:48], 1.0
	v_cndmask_b32_e64 v7, v45, v48, s[6:7]
	s_and_b64 s[6:7], s[8:9], s[6:7]
	v_cndmask_b32_e64 v22, v46, v7, s[8:9]
	v_cndmask_b32_e64 v21, 0, v47, s[6:7]
	s_andn2_saveexec_b64 s[6:7], s[36:37]
	s_cbranch_execz .LBB237_47
.LBB237_52:                             ;   in Loop: Header=BB237_25 Depth=1
	v_mul_f64 v[21:22], v[9:10], v[9:10]
	v_fma_f64 v[47:48], v[21:22], s[86:87], v[5:6]
	v_fma_f64 v[47:48], v[21:22], v[47:48], s[88:89]
	;; [unrolled: 1-line block ×11, first 2 shown]
	v_fma_f64 v[21:22], |v[9:10]|, v[21:22], |v[9:10]|
	s_or_b64 exec, exec, s[6:7]
	s_and_saveexec_b64 s[6:7], vcc
	s_xor_b64 s[6:7], exec, s[6:7]
	s_cbranch_execz .LBB237_48
.LBB237_53:                             ;   in Loop: Header=BB237_25 Depth=1
	v_mov_b32_e32 v7, s11
	v_add_co_u32_e32 v11, vcc, s10, v25
	v_bfi_b32 v16, s38, v16, v12
	v_addc_co_u32_e32 v12, vcc, v26, v7, vcc
	global_store_dwordx2 v[11:12], v[15:16], off
	s_or_b64 exec, exec, s[6:7]
	s_and_saveexec_b64 s[6:7], s[0:1]
	s_cbranch_execz .LBB237_49
.LBB237_54:                             ;   in Loop: Header=BB237_25 Depth=1
	v_bfi_b32 v18, s38, v18, v8
	v_mov_b32_e32 v8, s11
	v_add_co_u32_e32 v7, vcc, s10, v39
	v_addc_co_u32_e32 v8, vcc, v40, v8, vcc
	global_store_dwordx2 v[7:8], v[17:18], off
	s_or_b64 exec, exec, s[6:7]
	s_and_saveexec_b64 s[0:1], s[2:3]
	s_cbranch_execz .LBB237_50
.LBB237_55:                             ;   in Loop: Header=BB237_25 Depth=1
	v_mov_b32_e32 v8, s11
	v_add_co_u32_e32 v7, vcc, s10, v33
	v_bfi_b32 v20, s38, v20, v14
	v_addc_co_u32_e32 v8, vcc, v34, v8, vcc
	global_store_dwordx2 v[7:8], v[19:20], off
	s_or_b64 exec, exec, s[0:1]
	s_and_saveexec_b64 s[0:1], s[4:5]
	s_cbranch_execz .LBB237_24
.LBB237_56:                             ;   in Loop: Header=BB237_25 Depth=1
	v_mov_b32_e32 v8, s11
	v_add_co_u32_e32 v7, vcc, s10, v29
	v_bfi_b32 v22, s38, v22, v10
	v_addc_co_u32_e32 v8, vcc, v30, v8, vcc
	global_store_dwordx2 v[7:8], v[21:22], off
	s_branch .LBB237_24
.LBB237_57:
	s_endpgm
	.section	.rodata,"a",@progbits
	.p2align	6, 0x0
	.amdhsa_kernel _ZN2at6native12_GLOBAL__N_125multi_tensor_apply_kernelINS1_18TensorListMetadataILi2EEENS1_14UnaryOpFunctorIdLi2ELi1ELi1EEEJNS0_3ErfIdEEEEEvT_T0_DpT1_
		.amdhsa_group_segment_fixed_size 0
		.amdhsa_private_segment_fixed_size 0
		.amdhsa_kernarg_size 3408
		.amdhsa_user_sgpr_count 6
		.amdhsa_user_sgpr_private_segment_buffer 1
		.amdhsa_user_sgpr_dispatch_ptr 0
		.amdhsa_user_sgpr_queue_ptr 0
		.amdhsa_user_sgpr_kernarg_segment_ptr 1
		.amdhsa_user_sgpr_dispatch_id 0
		.amdhsa_user_sgpr_flat_scratch_init 0
		.amdhsa_user_sgpr_private_segment_size 0
		.amdhsa_uses_dynamic_stack 0
		.amdhsa_system_sgpr_private_segment_wavefront_offset 0
		.amdhsa_system_sgpr_workgroup_id_x 1
		.amdhsa_system_sgpr_workgroup_id_y 0
		.amdhsa_system_sgpr_workgroup_id_z 0
		.amdhsa_system_sgpr_workgroup_info 0
		.amdhsa_system_vgpr_workitem_id 0
		.amdhsa_next_free_vgpr 54
		.amdhsa_next_free_sgpr 96
		.amdhsa_reserve_vcc 1
		.amdhsa_reserve_flat_scratch 0
		.amdhsa_float_round_mode_32 0
		.amdhsa_float_round_mode_16_64 0
		.amdhsa_float_denorm_mode_32 3
		.amdhsa_float_denorm_mode_16_64 3
		.amdhsa_dx10_clamp 1
		.amdhsa_ieee_mode 1
		.amdhsa_fp16_overflow 0
		.amdhsa_exception_fp_ieee_invalid_op 0
		.amdhsa_exception_fp_denorm_src 0
		.amdhsa_exception_fp_ieee_div_zero 0
		.amdhsa_exception_fp_ieee_overflow 0
		.amdhsa_exception_fp_ieee_underflow 0
		.amdhsa_exception_fp_ieee_inexact 0
		.amdhsa_exception_int_div_zero 0
	.end_amdhsa_kernel
	.section	.text._ZN2at6native12_GLOBAL__N_125multi_tensor_apply_kernelINS1_18TensorListMetadataILi2EEENS1_14UnaryOpFunctorIdLi2ELi1ELi1EEEJNS0_3ErfIdEEEEEvT_T0_DpT1_,"axG",@progbits,_ZN2at6native12_GLOBAL__N_125multi_tensor_apply_kernelINS1_18TensorListMetadataILi2EEENS1_14UnaryOpFunctorIdLi2ELi1ELi1EEEJNS0_3ErfIdEEEEEvT_T0_DpT1_,comdat
.Lfunc_end237:
	.size	_ZN2at6native12_GLOBAL__N_125multi_tensor_apply_kernelINS1_18TensorListMetadataILi2EEENS1_14UnaryOpFunctorIdLi2ELi1ELi1EEEJNS0_3ErfIdEEEEEvT_T0_DpT1_, .Lfunc_end237-_ZN2at6native12_GLOBAL__N_125multi_tensor_apply_kernelINS1_18TensorListMetadataILi2EEENS1_14UnaryOpFunctorIdLi2ELi1ELi1EEEJNS0_3ErfIdEEEEEvT_T0_DpT1_
                                        ; -- End function
	.set _ZN2at6native12_GLOBAL__N_125multi_tensor_apply_kernelINS1_18TensorListMetadataILi2EEENS1_14UnaryOpFunctorIdLi2ELi1ELi1EEEJNS0_3ErfIdEEEEEvT_T0_DpT1_.num_vgpr, 54
	.set _ZN2at6native12_GLOBAL__N_125multi_tensor_apply_kernelINS1_18TensorListMetadataILi2EEENS1_14UnaryOpFunctorIdLi2ELi1ELi1EEEJNS0_3ErfIdEEEEEvT_T0_DpT1_.num_agpr, 0
	.set _ZN2at6native12_GLOBAL__N_125multi_tensor_apply_kernelINS1_18TensorListMetadataILi2EEENS1_14UnaryOpFunctorIdLi2ELi1ELi1EEEJNS0_3ErfIdEEEEEvT_T0_DpT1_.numbered_sgpr, 96
	.set _ZN2at6native12_GLOBAL__N_125multi_tensor_apply_kernelINS1_18TensorListMetadataILi2EEENS1_14UnaryOpFunctorIdLi2ELi1ELi1EEEJNS0_3ErfIdEEEEEvT_T0_DpT1_.num_named_barrier, 0
	.set _ZN2at6native12_GLOBAL__N_125multi_tensor_apply_kernelINS1_18TensorListMetadataILi2EEENS1_14UnaryOpFunctorIdLi2ELi1ELi1EEEJNS0_3ErfIdEEEEEvT_T0_DpT1_.private_seg_size, 0
	.set _ZN2at6native12_GLOBAL__N_125multi_tensor_apply_kernelINS1_18TensorListMetadataILi2EEENS1_14UnaryOpFunctorIdLi2ELi1ELi1EEEJNS0_3ErfIdEEEEEvT_T0_DpT1_.uses_vcc, 1
	.set _ZN2at6native12_GLOBAL__N_125multi_tensor_apply_kernelINS1_18TensorListMetadataILi2EEENS1_14UnaryOpFunctorIdLi2ELi1ELi1EEEJNS0_3ErfIdEEEEEvT_T0_DpT1_.uses_flat_scratch, 0
	.set _ZN2at6native12_GLOBAL__N_125multi_tensor_apply_kernelINS1_18TensorListMetadataILi2EEENS1_14UnaryOpFunctorIdLi2ELi1ELi1EEEJNS0_3ErfIdEEEEEvT_T0_DpT1_.has_dyn_sized_stack, 0
	.set _ZN2at6native12_GLOBAL__N_125multi_tensor_apply_kernelINS1_18TensorListMetadataILi2EEENS1_14UnaryOpFunctorIdLi2ELi1ELi1EEEJNS0_3ErfIdEEEEEvT_T0_DpT1_.has_recursion, 0
	.set _ZN2at6native12_GLOBAL__N_125multi_tensor_apply_kernelINS1_18TensorListMetadataILi2EEENS1_14UnaryOpFunctorIdLi2ELi1ELi1EEEJNS0_3ErfIdEEEEEvT_T0_DpT1_.has_indirect_call, 0
	.section	.AMDGPU.csdata,"",@progbits
; Kernel info:
; codeLenInByte = 7968
; TotalNumSgprs: 100
; NumVgprs: 54
; ScratchSize: 0
; MemoryBound: 1
; FloatMode: 240
; IeeeMode: 1
; LDSByteSize: 0 bytes/workgroup (compile time only)
; SGPRBlocks: 12
; VGPRBlocks: 13
; NumSGPRsForWavesPerEU: 100
; NumVGPRsForWavesPerEU: 54
; Occupancy: 4
; WaveLimiterHint : 0
; COMPUTE_PGM_RSRC2:SCRATCH_EN: 0
; COMPUTE_PGM_RSRC2:USER_SGPR: 6
; COMPUTE_PGM_RSRC2:TRAP_HANDLER: 0
; COMPUTE_PGM_RSRC2:TGID_X_EN: 1
; COMPUTE_PGM_RSRC2:TGID_Y_EN: 0
; COMPUTE_PGM_RSRC2:TGID_Z_EN: 0
; COMPUTE_PGM_RSRC2:TIDIG_COMP_CNT: 0
	.section	.text._ZN2at6native12_GLOBAL__N_125multi_tensor_apply_kernelINS1_18TensorListMetadataILi2EEENS1_14UnaryOpFunctorIfLi2ELi1ELi1EEEJNS0_3ErfIfEEEEEvT_T0_DpT1_,"axG",@progbits,_ZN2at6native12_GLOBAL__N_125multi_tensor_apply_kernelINS1_18TensorListMetadataILi2EEENS1_14UnaryOpFunctorIfLi2ELi1ELi1EEEJNS0_3ErfIfEEEEEvT_T0_DpT1_,comdat
	.globl	_ZN2at6native12_GLOBAL__N_125multi_tensor_apply_kernelINS1_18TensorListMetadataILi2EEENS1_14UnaryOpFunctorIfLi2ELi1ELi1EEEJNS0_3ErfIfEEEEEvT_T0_DpT1_ ; -- Begin function _ZN2at6native12_GLOBAL__N_125multi_tensor_apply_kernelINS1_18TensorListMetadataILi2EEENS1_14UnaryOpFunctorIfLi2ELi1ELi1EEEJNS0_3ErfIfEEEEEvT_T0_DpT1_
	.p2align	8
	.type	_ZN2at6native12_GLOBAL__N_125multi_tensor_apply_kernelINS1_18TensorListMetadataILi2EEENS1_14UnaryOpFunctorIfLi2ELi1ELi1EEEJNS0_3ErfIfEEEEEvT_T0_DpT1_,@function
_ZN2at6native12_GLOBAL__N_125multi_tensor_apply_kernelINS1_18TensorListMetadataILi2EEENS1_14UnaryOpFunctorIfLi2ELi1ELi1EEEJNS0_3ErfIfEEEEEvT_T0_DpT1_: ; @_ZN2at6native12_GLOBAL__N_125multi_tensor_apply_kernelINS1_18TensorListMetadataILi2EEENS1_14UnaryOpFunctorIfLi2ELi1ELi1EEEJNS0_3ErfIfEEEEEvT_T0_DpT1_
; %bb.0:
	v_mov_b32_e32 v1, s6
	global_load_ubyte v1, v1, s[4:5] offset:1536
	s_add_u32 s0, s4, s6
	s_mul_hi_u32 s1, s6, 3
	s_mul_i32 s6, s6, 3
	s_addc_u32 s2, s5, 0
	s_add_u32 s0, s0, s6
	s_addc_u32 s1, s2, s1
	s_load_dword s6, s[0:1], 0x740
	s_mov_b32 s11, 0
	s_mov_b32 s13, s11
	s_waitcnt vmcnt(0)
	v_readfirstlane_b32 s0, v1
	s_lshl_b32 s7, s0, 3
	s_load_dwordx2 s[14:15], s[4:5], s7 offset:0x400
	s_load_dwordx2 s[2:3], s[4:5], s7 offset:0x0
	;; [unrolled: 1-line block ×3, first 2 shown]
	s_waitcnt lgkmcnt(0)
	s_ashr_i32 s7, s6, 31
	s_lshl_b64 s[8:9], s[6:7], 18
	s_lshl_b64 s[6:7], s[6:7], 16
	s_add_u32 s10, s2, s8
	s_and_b32 s12, s0, 15
	s_and_b32 s10, s10, 15
	s_sub_u32 s6, s14, s6
	s_subb_u32 s7, s15, s7
	s_and_b32 s14, s14, 3
	s_mov_b32 s15, s11
	s_or_b64 s[12:13], s[12:13], s[14:15]
	s_or_b64 s[10:11], s[12:13], s[10:11]
	s_cmp_eq_u64 s[10:11], 0
	s_mov_b64 s[10:11], -1
	s_cbranch_scc0 .LBB238_21
; %bb.1:
	v_mov_b32_e32 v1, 0x10000
	v_mov_b32_e32 v2, 0
	v_cmp_lt_i64_e32 vcc, s[6:7], v[1:2]
	v_mov_b32_e32 v2, 0
	s_and_b64 s[10:11], vcc, exec
	s_cselect_b32 s11, s7, 0
	s_cselect_b32 s10, s6, 0x10000
	v_lshlrev_b32_e32 v1, 2, v0
	v_cmp_gt_i64_e32 vcc, s[10:11], v[1:2]
	s_and_saveexec_b64 s[12:13], vcc
	s_cbranch_execz .LBB238_20
; %bb.2:
	s_load_dword s14, s[4:5], 0xc5c
	v_mov_b32_e32 v1, v2
	v_lshlrev_b32_e32 v2, 4, v0
	v_mov_b32_e32 v3, s9
	v_add_co_u32_e32 v7, vcc, s8, v2
	s_waitcnt lgkmcnt(0)
	s_and_b32 s18, s14, 0xffff
	v_mov_b32_e32 v6, v1
	v_addc_co_u32_e32 v8, vcc, 0, v3, vcc
	s_lshl_b32 s19, s18, 4
	s_mov_b64 s[14:15], 0
	v_mov_b32_e32 v9, s3
	s_mov_b32 s20, 0x378e98ab
	s_mov_b32 s21, 0x3b7cd369
	;; [unrolled: 1-line block ×9, first 2 shown]
	v_mov_b32_e32 v10, 0xbcdac9b8
	v_mov_b32_e32 v11, 0x3de703be
	;; [unrolled: 1-line block ×4, first 2 shown]
	s_brev_b32 s29, -2
	v_mov_b32_e32 v14, 0xb9c68948
	v_mov_b32_e32 v15, 0x7f800000
	;; [unrolled: 1-line block ×3, first 2 shown]
	s_branch .LBB238_4
.LBB238_3:                              ;   in Loop: Header=BB238_4 Depth=1
	s_or_b64 exec, exec, s[16:17]
	v_add_co_u32_e32 v5, vcc, s18, v5
	v_addc_co_u32_e32 v6, vcc, 0, v6, vcc
	v_bfi_b32 v3, s29, v18, v3
	v_bfi_b32 v2, s29, v17, v2
	;; [unrolled: 1-line block ×4, first 2 shown]
	v_mov_b32_e32 v19, s1
	v_lshlrev_b64 v[16:17], 2, v[5:6]
	v_add_co_u32_e32 v18, vcc, s0, v7
	v_addc_co_u32_e32 v19, vcc, v19, v8, vcc
	v_cmp_le_i64_e32 vcc, s[10:11], v[16:17]
	global_store_dwordx4 v[18:19], v[1:4], off
	s_or_b64 s[14:15], vcc, s[14:15]
	v_add_co_u32_e32 v7, vcc, s19, v7
	v_addc_co_u32_e32 v8, vcc, 0, v8, vcc
	s_andn2_b64 exec, exec, s[14:15]
	s_cbranch_execz .LBB238_20
.LBB238_4:                              ; =>This Inner Loop Header: Depth=1
	v_add_co_u32_e32 v1, vcc, s2, v7
	v_addc_co_u32_e32 v2, vcc, v9, v8, vcc
	global_load_dwordx4 v[1:4], v[1:2], off
                                        ; implicit-def: $vgpr16
	s_waitcnt vmcnt(0)
	v_cmp_nlt_f32_e64 s[16:17], |v1|, 1.0
	s_and_saveexec_b64 s[30:31], s[16:17]
	s_xor_b64 s[16:17], exec, s[30:31]
	s_cbranch_execz .LBB238_6
; %bb.5:                                ;   in Loop: Header=BB238_4 Depth=1
	v_fma_f32 v16, |v1|, s20, v14
	v_fma_f32 v16, |v1|, v16, s21
	;; [unrolled: 1-line block ×6, first 2 shown]
	v_fma_f32 v16, |v1|, v16, |v1|
	v_mul_f32_e32 v17, 0xbfb8aa3b, v16
	v_fma_f32 v18, v16, s26, -v17
	v_rndne_f32_e32 v19, v17
	v_fmac_f32_e32 v18, 0xb2a5705f, v16
	v_sub_f32_e32 v17, v17, v19
	v_add_f32_e32 v17, v17, v18
	v_cvt_i32_f32_e32 v18, v19
	v_exp_f32_e32 v17, v17
	v_cmp_nlt_f32_e32 vcc, s27, v16
	v_ldexp_f32 v17, v17, v18
	v_cndmask_b32_e32 v17, 0, v17, vcc
	v_cmp_ngt_f32_e32 vcc, s28, v16
	v_cndmask_b32_e32 v16, v15, v17, vcc
	v_sub_f32_e32 v16, 1.0, v16
.LBB238_6:                              ;   in Loop: Header=BB238_4 Depth=1
	s_andn2_saveexec_b64 s[16:17], s[16:17]
; %bb.7:                                ;   in Loop: Header=BB238_4 Depth=1
	v_mul_f32_e32 v16, v1, v1
	v_mov_b32_e32 v17, 0x3ba10414
	v_fmac_f32_e32 v17, 0xba1345e1, v16
	v_fma_f32 v17, v16, v17, v10
	v_fma_f32 v17, v16, v17, v11
	;; [unrolled: 1-line block ×4, first 2 shown]
	v_fma_f32 v16, |v1|, v16, |v1|
; %bb.8:                                ;   in Loop: Header=BB238_4 Depth=1
	s_or_b64 exec, exec, s[16:17]
	v_cmp_nlt_f32_e64 s[16:17], |v2|, 1.0
                                        ; implicit-def: $vgpr17
	s_and_saveexec_b64 s[30:31], s[16:17]
	s_xor_b64 s[16:17], exec, s[30:31]
	s_cbranch_execz .LBB238_10
; %bb.9:                                ;   in Loop: Header=BB238_4 Depth=1
	v_fma_f32 v17, |v2|, s20, v14
	v_fma_f32 v17, |v2|, v17, s21
	;; [unrolled: 1-line block ×6, first 2 shown]
	v_fma_f32 v17, |v2|, v17, |v2|
	v_mul_f32_e32 v18, 0xbfb8aa3b, v17
	v_fma_f32 v19, v17, s26, -v18
	v_rndne_f32_e32 v20, v18
	v_fmac_f32_e32 v19, 0xb2a5705f, v17
	v_sub_f32_e32 v18, v18, v20
	v_add_f32_e32 v18, v18, v19
	v_cvt_i32_f32_e32 v19, v20
	v_exp_f32_e32 v18, v18
	v_cmp_nlt_f32_e32 vcc, s27, v17
	v_ldexp_f32 v18, v18, v19
	v_cndmask_b32_e32 v18, 0, v18, vcc
	v_cmp_ngt_f32_e32 vcc, s28, v17
	v_cndmask_b32_e32 v17, v15, v18, vcc
	v_sub_f32_e32 v17, 1.0, v17
.LBB238_10:                             ;   in Loop: Header=BB238_4 Depth=1
	s_andn2_saveexec_b64 s[16:17], s[16:17]
; %bb.11:                               ;   in Loop: Header=BB238_4 Depth=1
	v_mul_f32_e32 v17, v2, v2
	v_mov_b32_e32 v18, 0x3ba10414
	v_fmac_f32_e32 v18, 0xba1345e1, v17
	v_fma_f32 v18, v17, v18, v10
	v_fma_f32 v18, v17, v18, v11
	;; [unrolled: 1-line block ×4, first 2 shown]
	v_fma_f32 v17, |v2|, v17, |v2|
; %bb.12:                               ;   in Loop: Header=BB238_4 Depth=1
	s_or_b64 exec, exec, s[16:17]
	v_cmp_nlt_f32_e64 s[16:17], |v3|, 1.0
                                        ; implicit-def: $vgpr18
	s_and_saveexec_b64 s[30:31], s[16:17]
	s_xor_b64 s[16:17], exec, s[30:31]
	s_cbranch_execz .LBB238_14
; %bb.13:                               ;   in Loop: Header=BB238_4 Depth=1
	v_fma_f32 v18, |v3|, s20, v14
	v_fma_f32 v18, |v3|, v18, s21
	;; [unrolled: 1-line block ×6, first 2 shown]
	v_fma_f32 v18, |v3|, v18, |v3|
	v_mul_f32_e32 v19, 0xbfb8aa3b, v18
	v_fma_f32 v20, v18, s26, -v19
	v_rndne_f32_e32 v21, v19
	v_fmac_f32_e32 v20, 0xb2a5705f, v18
	v_sub_f32_e32 v19, v19, v21
	v_add_f32_e32 v19, v19, v20
	v_cvt_i32_f32_e32 v20, v21
	v_exp_f32_e32 v19, v19
	v_cmp_nlt_f32_e32 vcc, s27, v18
	v_ldexp_f32 v19, v19, v20
	v_cndmask_b32_e32 v19, 0, v19, vcc
	v_cmp_ngt_f32_e32 vcc, s28, v18
	v_cndmask_b32_e32 v18, v15, v19, vcc
	v_sub_f32_e32 v18, 1.0, v18
.LBB238_14:                             ;   in Loop: Header=BB238_4 Depth=1
	s_andn2_saveexec_b64 s[16:17], s[16:17]
; %bb.15:                               ;   in Loop: Header=BB238_4 Depth=1
	v_mul_f32_e32 v18, v3, v3
	v_mov_b32_e32 v19, 0x3ba10414
	v_fmac_f32_e32 v19, 0xba1345e1, v18
	v_fma_f32 v19, v18, v19, v10
	v_fma_f32 v19, v18, v19, v11
	;; [unrolled: 1-line block ×4, first 2 shown]
	v_fma_f32 v18, |v3|, v18, |v3|
; %bb.16:                               ;   in Loop: Header=BB238_4 Depth=1
	s_or_b64 exec, exec, s[16:17]
	v_cmp_nlt_f32_e64 s[16:17], |v4|, 1.0
                                        ; implicit-def: $vgpr19
	s_and_saveexec_b64 s[30:31], s[16:17]
	s_xor_b64 s[16:17], exec, s[30:31]
	s_cbranch_execz .LBB238_18
; %bb.17:                               ;   in Loop: Header=BB238_4 Depth=1
	v_fma_f32 v19, |v4|, s20, v14
	v_fma_f32 v19, |v4|, v19, s21
	;; [unrolled: 1-line block ×6, first 2 shown]
	v_fma_f32 v19, |v4|, v19, |v4|
	v_mul_f32_e32 v20, 0xbfb8aa3b, v19
	v_fma_f32 v21, v19, s26, -v20
	v_rndne_f32_e32 v22, v20
	v_fmac_f32_e32 v21, 0xb2a5705f, v19
	v_sub_f32_e32 v20, v20, v22
	v_add_f32_e32 v20, v20, v21
	v_cvt_i32_f32_e32 v21, v22
	v_exp_f32_e32 v20, v20
	v_cmp_nlt_f32_e32 vcc, s27, v19
	v_ldexp_f32 v20, v20, v21
	v_cndmask_b32_e32 v20, 0, v20, vcc
	v_cmp_ngt_f32_e32 vcc, s28, v19
	v_cndmask_b32_e32 v19, v15, v20, vcc
	v_sub_f32_e32 v19, 1.0, v19
.LBB238_18:                             ;   in Loop: Header=BB238_4 Depth=1
	s_andn2_saveexec_b64 s[16:17], s[16:17]
	s_cbranch_execz .LBB238_3
; %bb.19:                               ;   in Loop: Header=BB238_4 Depth=1
	v_mul_f32_e32 v19, v4, v4
	v_mov_b32_e32 v20, 0x3ba10414
	v_fmac_f32_e32 v20, 0xba1345e1, v19
	v_fma_f32 v20, v19, v20, v10
	v_fma_f32 v20, v19, v20, v11
	;; [unrolled: 1-line block ×4, first 2 shown]
	v_fma_f32 v19, |v4|, v19, |v4|
	s_branch .LBB238_3
.LBB238_20:
	s_or_b64 exec, exec, s[12:13]
	s_mov_b64 s[10:11], 0
.LBB238_21:
	s_andn2_b64 vcc, exec, s[10:11]
	s_cbranch_vccnz .LBB238_57
; %bb.22:
	v_cmp_lt_i64_e64 s[10:11], s[6:7], 1
	s_and_b64 vcc, exec, s[10:11]
	s_cbranch_vccnz .LBB238_57
; %bb.23:
	v_mov_b32_e32 v1, 0x10000
	s_load_dword s12, s[4:5], 0xc5c
	v_mov_b32_e32 v2, 0
	v_cmp_lt_i64_e32 vcc, s[6:7], v[1:2]
	v_mov_b32_e32 v10, 0
	s_and_b64 s[4:5], vcc, exec
	v_cmp_lt_u64_e32 vcc, s[6:7], v[1:2]
	s_cselect_b32 s11, s7, 0
	s_cselect_b32 s10, s6, 0x10000
	s_waitcnt lgkmcnt(0)
	s_and_b32 s14, s12, 0xffff
	v_lshlrev_b32_e32 v9, 2, v0
	s_and_b64 s[4:5], vcc, exec
	v_mov_b32_e32 v2, s3
	v_add_co_u32_e32 v1, vcc, s2, v9
	v_mad_u64_u32 v[7:8], s[4:5], s14, 12, v[9:10]
	v_addc_co_u32_e32 v2, vcc, 0, v2, vcc
	v_mov_b32_e32 v4, s1
	v_add_co_u32_e32 v3, vcc, s0, v9
	v_addc_co_u32_e32 v4, vcc, 0, v4, vcc
	v_mov_b32_e32 v6, s3
	v_add_co_u32_e32 v5, vcc, s2, v7
	;; [unrolled: 3-line block ×3, first 2 shown]
	s_cselect_b32 s13, s7, 0
	s_cselect_b32 s12, s6, 0x10000
	v_addc_co_u32_e32 v8, vcc, v10, v8, vcc
	s_lshl_b32 s4, s14, 3
	v_add_co_u32_e32 v11, vcc, s4, v9
	v_addc_co_u32_e64 v12, s[4:5], 0, 0, vcc
	v_mov_b32_e32 v10, s3
	v_add_co_u32_e32 v9, vcc, s2, v11
	v_addc_co_u32_e32 v10, vcc, v10, v12, vcc
	v_mov_b32_e32 v13, s1
	v_add_co_u32_e32 v11, vcc, s0, v11
	v_addc_co_u32_e32 v12, vcc, v13, v12, vcc
	v_add_co_u32_e32 v13, vcc, s14, v0
	v_lshlrev_b32_e32 v17, 2, v13
	v_addc_co_u32_e64 v14, s[4:5], 0, 0, vcc
	v_mov_b32_e32 v16, s3
	v_add_co_u32_e32 v15, vcc, s2, v17
	v_addc_co_u32_e32 v16, vcc, 0, v16, vcc
	v_mov_b32_e32 v18, s1
	v_add_co_u32_e32 v17, vcc, s0, v17
	s_mul_i32 s7, s14, 3
	v_addc_co_u32_e32 v18, vcc, 0, v18, vcc
	s_lshl_b32 s6, s14, 1
	v_add_co_u32_e32 v19, vcc, s7, v0
	v_addc_co_u32_e64 v20, s[0:1], 0, 0, vcc
	v_add_co_u32_e32 v21, vcc, s6, v0
	s_lshl_b32 s18, s14, 2
	s_lshl_b32 s19, s14, 4
	s_mov_b64 s[14:15], 0
	s_mov_b32 s20, 0x378e98ab
	s_mov_b32 s21, 0x3b7cd369
	;; [unrolled: 1-line block ×9, first 2 shown]
	s_brev_b32 s29, -2
	v_addc_co_u32_e64 v22, s[0:1], 0, 0, vcc
	v_mov_b32_e32 v23, 0xbcdac9b8
	v_mov_b32_e32 v24, 0x3de703be
	;; [unrolled: 1-line block ×6, first 2 shown]
	s_branch .LBB238_25
.LBB238_24:                             ;   in Loop: Header=BB238_25 Depth=1
	s_or_b64 exec, exec, s[0:1]
	v_add_co_u32_e32 v1, vcc, s19, v1
	v_addc_co_u32_e32 v2, vcc, 0, v2, vcc
	v_add_co_u32_e32 v3, vcc, s19, v3
	v_addc_co_u32_e32 v4, vcc, 0, v4, vcc
	;; [unrolled: 2-line block ×6, first 2 shown]
	s_add_u32 s14, s14, s18
	v_add_co_u32_e32 v15, vcc, s19, v15
	v_mov_b32_e32 v30, s11
	s_addc_u32 s15, s15, 0
	v_addc_co_u32_e32 v16, vcc, 0, v16, vcc
	v_mov_b32_e32 v29, s10
	v_cmp_ge_i64_e32 vcc, s[14:15], v[29:30]
	v_add_co_u32_e64 v17, s[0:1], s19, v17
	v_addc_co_u32_e64 v18, s[0:1], 0, v18, s[0:1]
	s_cbranch_vccnz .LBB238_57
.LBB238_25:                             ; =>This Inner Loop Header: Depth=1
	v_mov_b32_e32 v30, s15
	v_add_co_u32_e32 v29, vcc, s14, v0
	v_addc_co_u32_e32 v30, vcc, 0, v30, vcc
	v_cmp_gt_u64_e32 vcc, s[12:13], v[29:30]
	v_mov_b32_e32 v30, 0
	s_and_saveexec_b64 s[2:3], vcc
	s_cbranch_execz .LBB238_27
; %bb.26:                               ;   in Loop: Header=BB238_25 Depth=1
	v_mov_b32_e32 v30, s9
	v_add_co_u32_e64 v29, s[0:1], s8, v1
	v_addc_co_u32_e64 v30, s[0:1], v2, v30, s[0:1]
	global_load_dword v30, v[29:30], off
.LBB238_27:                             ;   in Loop: Header=BB238_25 Depth=1
	s_or_b64 exec, exec, s[2:3]
	v_mov_b32_e32 v29, s15
	v_add_co_u32_e64 v31, s[0:1], s14, v13
	v_addc_co_u32_e64 v32, s[0:1], v14, v29, s[0:1]
	v_cmp_gt_u64_e64 s[0:1], s[12:13], v[31:32]
	v_mov_b32_e32 v29, 0
	v_mov_b32_e32 v31, 0
	s_and_saveexec_b64 s[4:5], s[0:1]
	s_cbranch_execz .LBB238_29
; %bb.28:                               ;   in Loop: Header=BB238_25 Depth=1
	v_mov_b32_e32 v32, s9
	v_add_co_u32_e64 v31, s[2:3], s8, v15
	v_addc_co_u32_e64 v32, s[2:3], v16, v32, s[2:3]
	global_load_dword v31, v[31:32], off
.LBB238_29:                             ;   in Loop: Header=BB238_25 Depth=1
	s_or_b64 exec, exec, s[4:5]
	v_mov_b32_e32 v33, s15
	v_add_co_u32_e64 v32, s[2:3], s14, v21
	v_addc_co_u32_e64 v33, s[2:3], v22, v33, s[2:3]
	v_cmp_gt_u64_e64 s[2:3], s[12:13], v[32:33]
	s_and_saveexec_b64 s[6:7], s[2:3]
	s_cbranch_execz .LBB238_31
; %bb.30:                               ;   in Loop: Header=BB238_25 Depth=1
	v_mov_b32_e32 v29, s9
	v_add_co_u32_e64 v32, s[4:5], s8, v9
	v_addc_co_u32_e64 v33, s[4:5], v10, v29, s[4:5]
	global_load_dword v29, v[32:33], off
.LBB238_31:                             ;   in Loop: Header=BB238_25 Depth=1
	s_or_b64 exec, exec, s[6:7]
	v_mov_b32_e32 v33, s15
	v_add_co_u32_e64 v32, s[4:5], s14, v19
	v_addc_co_u32_e64 v33, s[4:5], v20, v33, s[4:5]
	v_cmp_gt_u64_e64 s[4:5], s[12:13], v[32:33]
	v_mov_b32_e32 v32, 0
	s_and_saveexec_b64 s[16:17], s[4:5]
	s_cbranch_execz .LBB238_33
; %bb.32:                               ;   in Loop: Header=BB238_25 Depth=1
	v_mov_b32_e32 v33, s9
	v_add_co_u32_e64 v32, s[6:7], s8, v5
	v_addc_co_u32_e64 v33, s[6:7], v6, v33, s[6:7]
	global_load_dword v32, v[32:33], off
.LBB238_33:                             ;   in Loop: Header=BB238_25 Depth=1
	s_or_b64 exec, exec, s[16:17]
	s_waitcnt vmcnt(0)
	v_cmp_nlt_f32_e64 s[6:7], |v30|, 1.0
                                        ; implicit-def: $vgpr33
	s_and_saveexec_b64 s[16:17], s[6:7]
	s_xor_b64 s[16:17], exec, s[16:17]
	s_cbranch_execz .LBB238_35
; %bb.34:                               ;   in Loop: Header=BB238_25 Depth=1
	v_fma_f32 v33, |v30|, s20, v27
	v_fma_f32 v33, |v30|, v33, s21
	;; [unrolled: 1-line block ×6, first 2 shown]
	v_fma_f32 v33, |v30|, v33, |v30|
	v_mul_f32_e32 v34, 0xbfb8aa3b, v33
	v_fma_f32 v35, v33, s26, -v34
	v_rndne_f32_e32 v36, v34
	v_fmac_f32_e32 v35, 0xb2a5705f, v33
	v_sub_f32_e32 v34, v34, v36
	v_add_f32_e32 v34, v34, v35
	v_cvt_i32_f32_e32 v35, v36
	v_exp_f32_e32 v34, v34
	v_cmp_nlt_f32_e64 s[6:7], s27, v33
	v_ldexp_f32 v34, v34, v35
	v_cndmask_b32_e64 v34, 0, v34, s[6:7]
	v_cmp_ngt_f32_e64 s[6:7], s28, v33
	v_cndmask_b32_e64 v33, v28, v34, s[6:7]
	v_sub_f32_e32 v33, 1.0, v33
.LBB238_35:                             ;   in Loop: Header=BB238_25 Depth=1
	s_andn2_saveexec_b64 s[6:7], s[16:17]
; %bb.36:                               ;   in Loop: Header=BB238_25 Depth=1
	v_mul_f32_e32 v33, v30, v30
	v_mov_b32_e32 v34, 0x3ba10414
	v_fmac_f32_e32 v34, 0xba1345e1, v33
	v_fma_f32 v34, v33, v34, v23
	v_fma_f32 v34, v33, v34, v24
	;; [unrolled: 1-line block ×4, first 2 shown]
	v_fma_f32 v33, |v30|, v33, |v30|
; %bb.37:                               ;   in Loop: Header=BB238_25 Depth=1
	s_or_b64 exec, exec, s[6:7]
	v_cmp_nlt_f32_e64 s[6:7], |v31|, 1.0
                                        ; implicit-def: $vgpr34
	s_and_saveexec_b64 s[16:17], s[6:7]
	s_xor_b64 s[16:17], exec, s[16:17]
	s_cbranch_execz .LBB238_39
; %bb.38:                               ;   in Loop: Header=BB238_25 Depth=1
	v_fma_f32 v34, |v31|, s20, v27
	v_fma_f32 v34, |v31|, v34, s21
	;; [unrolled: 1-line block ×6, first 2 shown]
	v_fma_f32 v34, |v31|, v34, |v31|
	v_mul_f32_e32 v35, 0xbfb8aa3b, v34
	v_fma_f32 v36, v34, s26, -v35
	v_rndne_f32_e32 v37, v35
	v_fmac_f32_e32 v36, 0xb2a5705f, v34
	v_sub_f32_e32 v35, v35, v37
	v_add_f32_e32 v35, v35, v36
	v_cvt_i32_f32_e32 v36, v37
	v_exp_f32_e32 v35, v35
	v_cmp_nlt_f32_e64 s[6:7], s27, v34
	v_ldexp_f32 v35, v35, v36
	v_cndmask_b32_e64 v35, 0, v35, s[6:7]
	v_cmp_ngt_f32_e64 s[6:7], s28, v34
	v_cndmask_b32_e64 v34, v28, v35, s[6:7]
	v_sub_f32_e32 v34, 1.0, v34
.LBB238_39:                             ;   in Loop: Header=BB238_25 Depth=1
	s_andn2_saveexec_b64 s[6:7], s[16:17]
; %bb.40:                               ;   in Loop: Header=BB238_25 Depth=1
	v_mul_f32_e32 v34, v31, v31
	v_mov_b32_e32 v35, 0x3ba10414
	v_fmac_f32_e32 v35, 0xba1345e1, v34
	v_fma_f32 v35, v34, v35, v23
	v_fma_f32 v35, v34, v35, v24
	;; [unrolled: 1-line block ×4, first 2 shown]
	v_fma_f32 v34, |v31|, v34, |v31|
; %bb.41:                               ;   in Loop: Header=BB238_25 Depth=1
	s_or_b64 exec, exec, s[6:7]
	v_cmp_nlt_f32_e64 s[6:7], |v29|, 1.0
                                        ; implicit-def: $vgpr35
	s_and_saveexec_b64 s[16:17], s[6:7]
	s_xor_b64 s[16:17], exec, s[16:17]
	s_cbranch_execz .LBB238_43
; %bb.42:                               ;   in Loop: Header=BB238_25 Depth=1
	v_fma_f32 v35, |v29|, s20, v27
	v_fma_f32 v35, |v29|, v35, s21
	;; [unrolled: 1-line block ×6, first 2 shown]
	v_fma_f32 v35, |v29|, v35, |v29|
	v_mul_f32_e32 v36, 0xbfb8aa3b, v35
	v_fma_f32 v37, v35, s26, -v36
	v_rndne_f32_e32 v38, v36
	v_fmac_f32_e32 v37, 0xb2a5705f, v35
	v_sub_f32_e32 v36, v36, v38
	v_add_f32_e32 v36, v36, v37
	v_cvt_i32_f32_e32 v37, v38
	v_exp_f32_e32 v36, v36
	v_cmp_nlt_f32_e64 s[6:7], s27, v35
	v_ldexp_f32 v36, v36, v37
	v_cndmask_b32_e64 v36, 0, v36, s[6:7]
	v_cmp_ngt_f32_e64 s[6:7], s28, v35
	v_cndmask_b32_e64 v35, v28, v36, s[6:7]
	v_sub_f32_e32 v35, 1.0, v35
.LBB238_43:                             ;   in Loop: Header=BB238_25 Depth=1
	s_andn2_saveexec_b64 s[6:7], s[16:17]
; %bb.44:                               ;   in Loop: Header=BB238_25 Depth=1
	v_mul_f32_e32 v35, v29, v29
	v_mov_b32_e32 v36, 0x3ba10414
	v_fmac_f32_e32 v36, 0xba1345e1, v35
	v_fma_f32 v36, v35, v36, v23
	v_fma_f32 v36, v35, v36, v24
	;; [unrolled: 1-line block ×4, first 2 shown]
	v_fma_f32 v35, |v29|, v35, |v29|
; %bb.45:                               ;   in Loop: Header=BB238_25 Depth=1
	s_or_b64 exec, exec, s[6:7]
	v_cmp_nlt_f32_e64 s[6:7], |v32|, 1.0
                                        ; implicit-def: $vgpr36
	s_and_saveexec_b64 s[16:17], s[6:7]
	s_xor_b64 s[16:17], exec, s[16:17]
	s_cbranch_execnz .LBB238_51
; %bb.46:                               ;   in Loop: Header=BB238_25 Depth=1
	s_andn2_saveexec_b64 s[6:7], s[16:17]
	s_cbranch_execnz .LBB238_52
.LBB238_47:                             ;   in Loop: Header=BB238_25 Depth=1
	s_or_b64 exec, exec, s[6:7]
	s_and_saveexec_b64 s[6:7], vcc
	s_xor_b64 s[6:7], exec, s[6:7]
	s_cbranch_execnz .LBB238_53
.LBB238_48:                             ;   in Loop: Header=BB238_25 Depth=1
	s_or_b64 exec, exec, s[6:7]
	s_and_saveexec_b64 s[6:7], s[0:1]
	s_cbranch_execnz .LBB238_54
.LBB238_49:                             ;   in Loop: Header=BB238_25 Depth=1
	s_or_b64 exec, exec, s[6:7]
	s_and_saveexec_b64 s[0:1], s[2:3]
	s_cbranch_execnz .LBB238_55
.LBB238_50:                             ;   in Loop: Header=BB238_25 Depth=1
	s_or_b64 exec, exec, s[0:1]
	s_and_saveexec_b64 s[0:1], s[4:5]
	s_cbranch_execz .LBB238_24
	s_branch .LBB238_56
.LBB238_51:                             ;   in Loop: Header=BB238_25 Depth=1
	v_fma_f32 v36, |v32|, s20, v27
	v_fma_f32 v36, |v32|, v36, s21
	;; [unrolled: 1-line block ×6, first 2 shown]
	v_fma_f32 v36, |v32|, v36, |v32|
	v_mul_f32_e32 v37, 0xbfb8aa3b, v36
	v_fma_f32 v38, v36, s26, -v37
	v_rndne_f32_e32 v39, v37
	v_fmac_f32_e32 v38, 0xb2a5705f, v36
	v_sub_f32_e32 v37, v37, v39
	v_add_f32_e32 v37, v37, v38
	v_cvt_i32_f32_e32 v38, v39
	v_exp_f32_e32 v37, v37
	v_cmp_nlt_f32_e64 s[6:7], s27, v36
	v_ldexp_f32 v37, v37, v38
	v_cndmask_b32_e64 v37, 0, v37, s[6:7]
	v_cmp_ngt_f32_e64 s[6:7], s28, v36
	v_cndmask_b32_e64 v36, v28, v37, s[6:7]
	v_sub_f32_e32 v36, 1.0, v36
	s_andn2_saveexec_b64 s[6:7], s[16:17]
	s_cbranch_execz .LBB238_47
.LBB238_52:                             ;   in Loop: Header=BB238_25 Depth=1
	v_mul_f32_e32 v36, v32, v32
	v_mov_b32_e32 v37, 0x3ba10414
	v_fmac_f32_e32 v37, 0xba1345e1, v36
	v_fma_f32 v37, v36, v37, v23
	v_fma_f32 v37, v36, v37, v24
	;; [unrolled: 1-line block ×4, first 2 shown]
	v_fma_f32 v36, |v32|, v36, |v32|
	s_or_b64 exec, exec, s[6:7]
	s_and_saveexec_b64 s[6:7], vcc
	s_xor_b64 s[6:7], exec, s[6:7]
	s_cbranch_execz .LBB238_48
.LBB238_53:                             ;   in Loop: Header=BB238_25 Depth=1
	v_bfi_b32 v30, s29, v33, v30
	v_mov_b32_e32 v33, s9
	v_add_co_u32_e32 v37, vcc, s8, v3
	v_addc_co_u32_e32 v38, vcc, v4, v33, vcc
	global_store_dword v[37:38], v30, off
	s_or_b64 exec, exec, s[6:7]
	s_and_saveexec_b64 s[6:7], s[0:1]
	s_cbranch_execz .LBB238_49
.LBB238_54:                             ;   in Loop: Header=BB238_25 Depth=1
	v_bfi_b32 v33, s29, v34, v31
	v_mov_b32_e32 v31, s9
	v_add_co_u32_e32 v30, vcc, s8, v17
	v_addc_co_u32_e32 v31, vcc, v18, v31, vcc
	global_store_dword v[30:31], v33, off
	s_or_b64 exec, exec, s[6:7]
	s_and_saveexec_b64 s[0:1], s[2:3]
	s_cbranch_execz .LBB238_50
.LBB238_55:                             ;   in Loop: Header=BB238_25 Depth=1
	v_bfi_b32 v31, s29, v35, v29
	v_mov_b32_e32 v30, s9
	v_add_co_u32_e32 v29, vcc, s8, v11
	v_addc_co_u32_e32 v30, vcc, v12, v30, vcc
	global_store_dword v[29:30], v31, off
	s_or_b64 exec, exec, s[0:1]
	s_and_saveexec_b64 s[0:1], s[4:5]
	s_cbranch_execz .LBB238_24
.LBB238_56:                             ;   in Loop: Header=BB238_25 Depth=1
	v_mov_b32_e32 v30, s9
	v_add_co_u32_e32 v29, vcc, s8, v7
	v_bfi_b32 v31, s29, v36, v32
	v_addc_co_u32_e32 v30, vcc, v8, v30, vcc
	global_store_dword v[29:30], v31, off
	s_branch .LBB238_24
.LBB238_57:
	s_endpgm
	.section	.rodata,"a",@progbits
	.p2align	6, 0x0
	.amdhsa_kernel _ZN2at6native12_GLOBAL__N_125multi_tensor_apply_kernelINS1_18TensorListMetadataILi2EEENS1_14UnaryOpFunctorIfLi2ELi1ELi1EEEJNS0_3ErfIfEEEEEvT_T0_DpT1_
		.amdhsa_group_segment_fixed_size 0
		.amdhsa_private_segment_fixed_size 0
		.amdhsa_kernarg_size 3408
		.amdhsa_user_sgpr_count 6
		.amdhsa_user_sgpr_private_segment_buffer 1
		.amdhsa_user_sgpr_dispatch_ptr 0
		.amdhsa_user_sgpr_queue_ptr 0
		.amdhsa_user_sgpr_kernarg_segment_ptr 1
		.amdhsa_user_sgpr_dispatch_id 0
		.amdhsa_user_sgpr_flat_scratch_init 0
		.amdhsa_user_sgpr_private_segment_size 0
		.amdhsa_uses_dynamic_stack 0
		.amdhsa_system_sgpr_private_segment_wavefront_offset 0
		.amdhsa_system_sgpr_workgroup_id_x 1
		.amdhsa_system_sgpr_workgroup_id_y 0
		.amdhsa_system_sgpr_workgroup_id_z 0
		.amdhsa_system_sgpr_workgroup_info 0
		.amdhsa_system_vgpr_workitem_id 0
		.amdhsa_next_free_vgpr 40
		.amdhsa_next_free_sgpr 32
		.amdhsa_reserve_vcc 1
		.amdhsa_reserve_flat_scratch 0
		.amdhsa_float_round_mode_32 0
		.amdhsa_float_round_mode_16_64 0
		.amdhsa_float_denorm_mode_32 3
		.amdhsa_float_denorm_mode_16_64 3
		.amdhsa_dx10_clamp 1
		.amdhsa_ieee_mode 1
		.amdhsa_fp16_overflow 0
		.amdhsa_exception_fp_ieee_invalid_op 0
		.amdhsa_exception_fp_denorm_src 0
		.amdhsa_exception_fp_ieee_div_zero 0
		.amdhsa_exception_fp_ieee_overflow 0
		.amdhsa_exception_fp_ieee_underflow 0
		.amdhsa_exception_fp_ieee_inexact 0
		.amdhsa_exception_int_div_zero 0
	.end_amdhsa_kernel
	.section	.text._ZN2at6native12_GLOBAL__N_125multi_tensor_apply_kernelINS1_18TensorListMetadataILi2EEENS1_14UnaryOpFunctorIfLi2ELi1ELi1EEEJNS0_3ErfIfEEEEEvT_T0_DpT1_,"axG",@progbits,_ZN2at6native12_GLOBAL__N_125multi_tensor_apply_kernelINS1_18TensorListMetadataILi2EEENS1_14UnaryOpFunctorIfLi2ELi1ELi1EEEJNS0_3ErfIfEEEEEvT_T0_DpT1_,comdat
.Lfunc_end238:
	.size	_ZN2at6native12_GLOBAL__N_125multi_tensor_apply_kernelINS1_18TensorListMetadataILi2EEENS1_14UnaryOpFunctorIfLi2ELi1ELi1EEEJNS0_3ErfIfEEEEEvT_T0_DpT1_, .Lfunc_end238-_ZN2at6native12_GLOBAL__N_125multi_tensor_apply_kernelINS1_18TensorListMetadataILi2EEENS1_14UnaryOpFunctorIfLi2ELi1ELi1EEEJNS0_3ErfIfEEEEEvT_T0_DpT1_
                                        ; -- End function
	.set _ZN2at6native12_GLOBAL__N_125multi_tensor_apply_kernelINS1_18TensorListMetadataILi2EEENS1_14UnaryOpFunctorIfLi2ELi1ELi1EEEJNS0_3ErfIfEEEEEvT_T0_DpT1_.num_vgpr, 40
	.set _ZN2at6native12_GLOBAL__N_125multi_tensor_apply_kernelINS1_18TensorListMetadataILi2EEENS1_14UnaryOpFunctorIfLi2ELi1ELi1EEEJNS0_3ErfIfEEEEEvT_T0_DpT1_.num_agpr, 0
	.set _ZN2at6native12_GLOBAL__N_125multi_tensor_apply_kernelINS1_18TensorListMetadataILi2EEENS1_14UnaryOpFunctorIfLi2ELi1ELi1EEEJNS0_3ErfIfEEEEEvT_T0_DpT1_.numbered_sgpr, 32
	.set _ZN2at6native12_GLOBAL__N_125multi_tensor_apply_kernelINS1_18TensorListMetadataILi2EEENS1_14UnaryOpFunctorIfLi2ELi1ELi1EEEJNS0_3ErfIfEEEEEvT_T0_DpT1_.num_named_barrier, 0
	.set _ZN2at6native12_GLOBAL__N_125multi_tensor_apply_kernelINS1_18TensorListMetadataILi2EEENS1_14UnaryOpFunctorIfLi2ELi1ELi1EEEJNS0_3ErfIfEEEEEvT_T0_DpT1_.private_seg_size, 0
	.set _ZN2at6native12_GLOBAL__N_125multi_tensor_apply_kernelINS1_18TensorListMetadataILi2EEENS1_14UnaryOpFunctorIfLi2ELi1ELi1EEEJNS0_3ErfIfEEEEEvT_T0_DpT1_.uses_vcc, 1
	.set _ZN2at6native12_GLOBAL__N_125multi_tensor_apply_kernelINS1_18TensorListMetadataILi2EEENS1_14UnaryOpFunctorIfLi2ELi1ELi1EEEJNS0_3ErfIfEEEEEvT_T0_DpT1_.uses_flat_scratch, 0
	.set _ZN2at6native12_GLOBAL__N_125multi_tensor_apply_kernelINS1_18TensorListMetadataILi2EEENS1_14UnaryOpFunctorIfLi2ELi1ELi1EEEJNS0_3ErfIfEEEEEvT_T0_DpT1_.has_dyn_sized_stack, 0
	.set _ZN2at6native12_GLOBAL__N_125multi_tensor_apply_kernelINS1_18TensorListMetadataILi2EEENS1_14UnaryOpFunctorIfLi2ELi1ELi1EEEJNS0_3ErfIfEEEEEvT_T0_DpT1_.has_recursion, 0
	.set _ZN2at6native12_GLOBAL__N_125multi_tensor_apply_kernelINS1_18TensorListMetadataILi2EEENS1_14UnaryOpFunctorIfLi2ELi1ELi1EEEJNS0_3ErfIfEEEEEvT_T0_DpT1_.has_indirect_call, 0
	.section	.AMDGPU.csdata,"",@progbits
; Kernel info:
; codeLenInByte = 3340
; TotalNumSgprs: 36
; NumVgprs: 40
; ScratchSize: 0
; MemoryBound: 0
; FloatMode: 240
; IeeeMode: 1
; LDSByteSize: 0 bytes/workgroup (compile time only)
; SGPRBlocks: 4
; VGPRBlocks: 9
; NumSGPRsForWavesPerEU: 36
; NumVGPRsForWavesPerEU: 40
; Occupancy: 6
; WaveLimiterHint : 0
; COMPUTE_PGM_RSRC2:SCRATCH_EN: 0
; COMPUTE_PGM_RSRC2:USER_SGPR: 6
; COMPUTE_PGM_RSRC2:TRAP_HANDLER: 0
; COMPUTE_PGM_RSRC2:TGID_X_EN: 1
; COMPUTE_PGM_RSRC2:TGID_Y_EN: 0
; COMPUTE_PGM_RSRC2:TGID_Z_EN: 0
; COMPUTE_PGM_RSRC2:TIDIG_COMP_CNT: 0
	.section	.text._ZN2at6native12_GLOBAL__N_125multi_tensor_apply_kernelINS1_18TensorListMetadataILi2EEENS1_14UnaryOpFunctorIN3c104HalfELi2ELi1ELi1EEEJNS0_3ErfIfEEEEEvT_T0_DpT1_,"axG",@progbits,_ZN2at6native12_GLOBAL__N_125multi_tensor_apply_kernelINS1_18TensorListMetadataILi2EEENS1_14UnaryOpFunctorIN3c104HalfELi2ELi1ELi1EEEJNS0_3ErfIfEEEEEvT_T0_DpT1_,comdat
	.globl	_ZN2at6native12_GLOBAL__N_125multi_tensor_apply_kernelINS1_18TensorListMetadataILi2EEENS1_14UnaryOpFunctorIN3c104HalfELi2ELi1ELi1EEEJNS0_3ErfIfEEEEEvT_T0_DpT1_ ; -- Begin function _ZN2at6native12_GLOBAL__N_125multi_tensor_apply_kernelINS1_18TensorListMetadataILi2EEENS1_14UnaryOpFunctorIN3c104HalfELi2ELi1ELi1EEEJNS0_3ErfIfEEEEEvT_T0_DpT1_
	.p2align	8
	.type	_ZN2at6native12_GLOBAL__N_125multi_tensor_apply_kernelINS1_18TensorListMetadataILi2EEENS1_14UnaryOpFunctorIN3c104HalfELi2ELi1ELi1EEEJNS0_3ErfIfEEEEEvT_T0_DpT1_,@function
_ZN2at6native12_GLOBAL__N_125multi_tensor_apply_kernelINS1_18TensorListMetadataILi2EEENS1_14UnaryOpFunctorIN3c104HalfELi2ELi1ELi1EEEJNS0_3ErfIfEEEEEvT_T0_DpT1_: ; @_ZN2at6native12_GLOBAL__N_125multi_tensor_apply_kernelINS1_18TensorListMetadataILi2EEENS1_14UnaryOpFunctorIN3c104HalfELi2ELi1ELi1EEEJNS0_3ErfIfEEEEEvT_T0_DpT1_
; %bb.0:
	v_mov_b32_e32 v1, s6
	global_load_ubyte v1, v1, s[4:5] offset:1536
	s_add_u32 s0, s4, s6
	s_mul_hi_u32 s1, s6, 3
	s_mul_i32 s6, s6, 3
	s_addc_u32 s2, s5, 0
	s_add_u32 s0, s0, s6
	s_addc_u32 s1, s2, s1
	s_load_dword s6, s[0:1], 0x740
	s_mov_b32 s11, 0
	s_mov_b32 s13, s11
	s_waitcnt vmcnt(0)
	v_readfirstlane_b32 s0, v1
	s_lshl_b32 s7, s0, 3
	s_load_dwordx2 s[14:15], s[4:5], s7 offset:0x400
	s_load_dwordx2 s[2:3], s[4:5], s7 offset:0x0
	;; [unrolled: 1-line block ×3, first 2 shown]
	s_waitcnt lgkmcnt(0)
	s_ashr_i32 s7, s6, 31
	s_lshl_b64 s[8:9], s[6:7], 17
	s_lshl_b64 s[6:7], s[6:7], 16
	s_add_u32 s10, s2, s8
	s_and_b32 s12, s0, 7
	s_and_b32 s10, s10, 7
	s_sub_u32 s6, s14, s6
	s_subb_u32 s7, s15, s7
	s_and_b32 s14, s14, 3
	s_mov_b32 s15, s11
	s_or_b64 s[12:13], s[12:13], s[14:15]
	s_or_b64 s[10:11], s[12:13], s[10:11]
	s_cmp_eq_u64 s[10:11], 0
	s_mov_b64 s[10:11], -1
	s_cbranch_scc0 .LBB239_21
; %bb.1:
	v_mov_b32_e32 v1, 0x10000
	v_mov_b32_e32 v2, 0
	v_cmp_lt_i64_e32 vcc, s[6:7], v[1:2]
	v_mov_b32_e32 v2, 0
	s_and_b64 s[10:11], vcc, exec
	s_cselect_b32 s11, s7, 0
	s_cselect_b32 s10, s6, 0x10000
	v_lshlrev_b32_e32 v1, 2, v0
	v_cmp_gt_i64_e32 vcc, s[10:11], v[1:2]
	s_and_saveexec_b64 s[12:13], vcc
	s_cbranch_execz .LBB239_20
; %bb.2:
	s_load_dword s14, s[4:5], 0xc5c
	v_mov_b32_e32 v1, v2
	v_lshlrev_b32_e32 v2, 3, v0
	v_mov_b32_e32 v3, s9
	v_add_co_u32_e32 v5, vcc, s8, v2
	s_waitcnt lgkmcnt(0)
	s_and_b32 s18, s14, 0xffff
	v_mov_b32_e32 v2, v1
	v_addc_co_u32_e32 v6, vcc, 0, v3, vcc
	s_lshl_b32 s19, s18, 3
	s_mov_b64 s[14:15], 0
	v_mov_b32_e32 v7, s3
	s_mov_b32 s20, 0x378e98ab
	s_mov_b32 s21, 0x3b7cd369
	s_mov_b32 s22, 0xbcc618b2
	s_mov_b32 s23, 0x3dda74e4
	s_mov_b32 s24, 0x3f228afd
	s_mov_b32 s25, 0x3e03c728
	s_mov_b32 s26, 0xbfb8aa3b
	s_mov_b32 s27, 0x42ce8ed0
	s_mov_b32 s28, 0xc2b17218
	v_mov_b32_e32 v8, 0xbcdac9b8
	v_mov_b32_e32 v9, 0x3de703be
	;; [unrolled: 1-line block ×4, first 2 shown]
	s_movk_i32 s29, 0x7fff
	v_mov_b32_e32 v12, 0xb9c68948
	v_mov_b32_e32 v13, 0x7f800000
	;; [unrolled: 1-line block ×3, first 2 shown]
	s_branch .LBB239_4
.LBB239_3:                              ;   in Loop: Header=BB239_4 Depth=1
	s_or_b64 exec, exec, s[16:17]
	v_cvt_f16_f32_e32 v18, v18
	v_cvt_f16_f32_e32 v16, v16
	v_lshrrev_b32_e32 v17, 16, v17
	v_lshrrev_b32_e32 v3, 16, v3
	v_bfi_b32 v17, s29, v18, v17
	v_cvt_f16_f32_e32 v15, v15
	v_bfi_b32 v18, s29, v16, v3
	v_cvt_f16_f32_e32 v3, v19
	v_lshrrev_b32_e32 v14, 16, v14
	v_lshrrev_b32_e32 v4, 16, v4
	v_bfi_b32 v14, s29, v15, v14
	v_bfi_b32 v15, s29, v3, v4
	v_mov_b32_e32 v4, s1
	v_add_co_u32_e32 v3, vcc, s0, v5
	v_addc_co_u32_e32 v4, vcc, v4, v6, vcc
	v_add_co_u32_e32 v1, vcc, s18, v1
	v_addc_co_u32_e32 v2, vcc, 0, v2, vcc
	v_pack_b32_f16 v15, v17, v15
	v_lshlrev_b64 v[16:17], 2, v[1:2]
	v_pack_b32_f16 v14, v14, v18
	v_cmp_le_i64_e32 vcc, s[10:11], v[16:17]
	global_store_dwordx2 v[3:4], v[14:15], off
	s_or_b64 s[14:15], vcc, s[14:15]
	v_add_co_u32_e32 v5, vcc, s19, v5
	v_addc_co_u32_e32 v6, vcc, 0, v6, vcc
	s_andn2_b64 exec, exec, s[14:15]
	s_cbranch_execz .LBB239_20
.LBB239_4:                              ; =>This Inner Loop Header: Depth=1
	v_add_co_u32_e32 v3, vcc, s2, v5
	v_addc_co_u32_e32 v4, vcc, v7, v6, vcc
	global_load_dwordx2 v[3:4], v[3:4], off
                                        ; implicit-def: $vgpr15
	s_waitcnt vmcnt(0)
	v_cvt_f32_f16_e32 v14, v3
	v_cmp_nlt_f32_e64 s[16:17], |v14|, 1.0
	s_and_saveexec_b64 s[30:31], s[16:17]
	s_xor_b64 s[16:17], exec, s[30:31]
	s_cbranch_execz .LBB239_6
; %bb.5:                                ;   in Loop: Header=BB239_4 Depth=1
	v_fma_f32 v15, |v14|, s20, v12
	v_fma_f32 v15, |v14|, v15, s21
	;; [unrolled: 1-line block ×6, first 2 shown]
	v_fma_f32 v15, |v14|, v15, |v14|
	v_mul_f32_e32 v16, 0xbfb8aa3b, v15
	v_fma_f32 v17, v15, s26, -v16
	v_rndne_f32_e32 v18, v16
	v_fmac_f32_e32 v17, 0xb2a5705f, v15
	v_sub_f32_e32 v16, v16, v18
	v_add_f32_e32 v16, v16, v17
	v_cvt_i32_f32_e32 v17, v18
	v_exp_f32_e32 v16, v16
	v_cmp_nlt_f32_e32 vcc, s27, v15
	v_ldexp_f32 v16, v16, v17
	v_cndmask_b32_e32 v16, 0, v16, vcc
	v_cmp_ngt_f32_e32 vcc, s28, v15
	v_cndmask_b32_e32 v15, v13, v16, vcc
	v_sub_f32_e32 v15, 1.0, v15
.LBB239_6:                              ;   in Loop: Header=BB239_4 Depth=1
	s_andn2_saveexec_b64 s[16:17], s[16:17]
; %bb.7:                                ;   in Loop: Header=BB239_4 Depth=1
	v_mul_f32_e32 v15, v14, v14
	v_mov_b32_e32 v16, 0x3ba10414
	v_fmac_f32_e32 v16, 0xba1345e1, v15
	v_fma_f32 v16, v15, v16, v8
	v_fma_f32 v16, v15, v16, v9
	;; [unrolled: 1-line block ×4, first 2 shown]
	v_fma_f32 v15, |v14|, v15, |v14|
; %bb.8:                                ;   in Loop: Header=BB239_4 Depth=1
	s_or_b64 exec, exec, s[16:17]
	v_cvt_f32_f16_sdwa v3, v3 dst_sel:DWORD dst_unused:UNUSED_PAD src0_sel:WORD_1
                                        ; implicit-def: $vgpr16
	v_cmp_nlt_f32_e64 s[16:17], |v3|, 1.0
	s_and_saveexec_b64 s[30:31], s[16:17]
	s_xor_b64 s[16:17], exec, s[30:31]
	s_cbranch_execz .LBB239_10
; %bb.9:                                ;   in Loop: Header=BB239_4 Depth=1
	v_fma_f32 v16, |v3|, s20, v12
	v_fma_f32 v16, |v3|, v16, s21
	;; [unrolled: 1-line block ×6, first 2 shown]
	v_fma_f32 v16, |v3|, v16, |v3|
	v_mul_f32_e32 v17, 0xbfb8aa3b, v16
	v_fma_f32 v18, v16, s26, -v17
	v_rndne_f32_e32 v19, v17
	v_fmac_f32_e32 v18, 0xb2a5705f, v16
	v_sub_f32_e32 v17, v17, v19
	v_add_f32_e32 v17, v17, v18
	v_cvt_i32_f32_e32 v18, v19
	v_exp_f32_e32 v17, v17
	v_cmp_nlt_f32_e32 vcc, s27, v16
	v_ldexp_f32 v17, v17, v18
	v_cndmask_b32_e32 v17, 0, v17, vcc
	v_cmp_ngt_f32_e32 vcc, s28, v16
	v_cndmask_b32_e32 v16, v13, v17, vcc
	v_sub_f32_e32 v16, 1.0, v16
.LBB239_10:                             ;   in Loop: Header=BB239_4 Depth=1
	s_andn2_saveexec_b64 s[16:17], s[16:17]
; %bb.11:                               ;   in Loop: Header=BB239_4 Depth=1
	v_mul_f32_e32 v16, v3, v3
	v_mov_b32_e32 v17, 0x3ba10414
	v_fmac_f32_e32 v17, 0xba1345e1, v16
	v_fma_f32 v17, v16, v17, v8
	v_fma_f32 v17, v16, v17, v9
	;; [unrolled: 1-line block ×4, first 2 shown]
	v_fma_f32 v16, |v3|, v16, |v3|
; %bb.12:                               ;   in Loop: Header=BB239_4 Depth=1
	s_or_b64 exec, exec, s[16:17]
	v_cvt_f32_f16_e32 v17, v4
                                        ; implicit-def: $vgpr18
	v_cmp_nlt_f32_e64 s[16:17], |v17|, 1.0
	s_and_saveexec_b64 s[30:31], s[16:17]
	s_xor_b64 s[16:17], exec, s[30:31]
	s_cbranch_execz .LBB239_14
; %bb.13:                               ;   in Loop: Header=BB239_4 Depth=1
	v_fma_f32 v18, |v17|, s20, v12
	v_fma_f32 v18, |v17|, v18, s21
	;; [unrolled: 1-line block ×6, first 2 shown]
	v_fma_f32 v18, |v17|, v18, |v17|
	v_mul_f32_e32 v19, 0xbfb8aa3b, v18
	v_fma_f32 v20, v18, s26, -v19
	v_rndne_f32_e32 v21, v19
	v_fmac_f32_e32 v20, 0xb2a5705f, v18
	v_sub_f32_e32 v19, v19, v21
	v_add_f32_e32 v19, v19, v20
	v_cvt_i32_f32_e32 v20, v21
	v_exp_f32_e32 v19, v19
	v_cmp_nlt_f32_e32 vcc, s27, v18
	v_ldexp_f32 v19, v19, v20
	v_cndmask_b32_e32 v19, 0, v19, vcc
	v_cmp_ngt_f32_e32 vcc, s28, v18
	v_cndmask_b32_e32 v18, v13, v19, vcc
	v_sub_f32_e32 v18, 1.0, v18
.LBB239_14:                             ;   in Loop: Header=BB239_4 Depth=1
	s_andn2_saveexec_b64 s[16:17], s[16:17]
; %bb.15:                               ;   in Loop: Header=BB239_4 Depth=1
	v_mul_f32_e32 v18, v17, v17
	v_mov_b32_e32 v19, 0x3ba10414
	v_fmac_f32_e32 v19, 0xba1345e1, v18
	v_fma_f32 v19, v18, v19, v8
	v_fma_f32 v19, v18, v19, v9
	v_fma_f32 v19, v18, v19, v10
	v_fma_f32 v18, v18, v19, v11
	v_fma_f32 v18, |v17|, v18, |v17|
; %bb.16:                               ;   in Loop: Header=BB239_4 Depth=1
	s_or_b64 exec, exec, s[16:17]
	v_cvt_f32_f16_sdwa v4, v4 dst_sel:DWORD dst_unused:UNUSED_PAD src0_sel:WORD_1
                                        ; implicit-def: $vgpr19
	v_cmp_nlt_f32_e64 s[16:17], |v4|, 1.0
	s_and_saveexec_b64 s[30:31], s[16:17]
	s_xor_b64 s[16:17], exec, s[30:31]
	s_cbranch_execz .LBB239_18
; %bb.17:                               ;   in Loop: Header=BB239_4 Depth=1
	v_fma_f32 v19, |v4|, s20, v12
	v_fma_f32 v19, |v4|, v19, s21
	;; [unrolled: 1-line block ×6, first 2 shown]
	v_fma_f32 v19, |v4|, v19, |v4|
	v_mul_f32_e32 v20, 0xbfb8aa3b, v19
	v_fma_f32 v21, v19, s26, -v20
	v_rndne_f32_e32 v22, v20
	v_fmac_f32_e32 v21, 0xb2a5705f, v19
	v_sub_f32_e32 v20, v20, v22
	v_add_f32_e32 v20, v20, v21
	v_cvt_i32_f32_e32 v21, v22
	v_exp_f32_e32 v20, v20
	v_cmp_nlt_f32_e32 vcc, s27, v19
	v_ldexp_f32 v20, v20, v21
	v_cndmask_b32_e32 v20, 0, v20, vcc
	v_cmp_ngt_f32_e32 vcc, s28, v19
	v_cndmask_b32_e32 v19, v13, v20, vcc
	v_sub_f32_e32 v19, 1.0, v19
.LBB239_18:                             ;   in Loop: Header=BB239_4 Depth=1
	s_andn2_saveexec_b64 s[16:17], s[16:17]
	s_cbranch_execz .LBB239_3
; %bb.19:                               ;   in Loop: Header=BB239_4 Depth=1
	v_mul_f32_e32 v19, v4, v4
	v_mov_b32_e32 v20, 0x3ba10414
	v_fmac_f32_e32 v20, 0xba1345e1, v19
	v_fma_f32 v20, v19, v20, v8
	v_fma_f32 v20, v19, v20, v9
	;; [unrolled: 1-line block ×4, first 2 shown]
	v_fma_f32 v19, |v4|, v19, |v4|
	s_branch .LBB239_3
.LBB239_20:
	s_or_b64 exec, exec, s[12:13]
	s_mov_b64 s[10:11], 0
.LBB239_21:
	s_andn2_b64 vcc, exec, s[10:11]
	s_cbranch_vccnz .LBB239_57
; %bb.22:
	v_cmp_lt_i64_e64 s[10:11], s[6:7], 1
	s_and_b64 vcc, exec, s[10:11]
	s_cbranch_vccnz .LBB239_57
; %bb.23:
	v_mov_b32_e32 v1, 0x10000
	s_load_dword s12, s[4:5], 0xc5c
	v_mov_b32_e32 v2, 0
	v_cmp_lt_i64_e32 vcc, s[6:7], v[1:2]
	v_mov_b32_e32 v10, 0
	s_and_b64 s[4:5], vcc, exec
	v_cmp_lt_u64_e32 vcc, s[6:7], v[1:2]
	s_cselect_b32 s11, s7, 0
	s_cselect_b32 s10, s6, 0x10000
	s_waitcnt lgkmcnt(0)
	s_and_b32 s14, s12, 0xffff
	v_lshlrev_b32_e32 v9, 1, v0
	s_and_b64 s[4:5], vcc, exec
	v_mov_b32_e32 v2, s3
	v_add_co_u32_e32 v1, vcc, s2, v9
	v_mad_u64_u32 v[7:8], s[4:5], s14, 6, v[9:10]
	v_addc_co_u32_e32 v2, vcc, 0, v2, vcc
	v_mov_b32_e32 v4, s1
	v_add_co_u32_e32 v3, vcc, s0, v9
	v_addc_co_u32_e32 v4, vcc, 0, v4, vcc
	v_mov_b32_e32 v6, s3
	v_add_co_u32_e32 v5, vcc, s2, v7
	;; [unrolled: 3-line block ×3, first 2 shown]
	s_cselect_b32 s13, s7, 0
	s_cselect_b32 s12, s6, 0x10000
	s_lshl_b32 s18, s14, 2
	v_addc_co_u32_e32 v8, vcc, v10, v8, vcc
	v_add_co_u32_e32 v11, vcc, s18, v9
	v_addc_co_u32_e64 v12, s[4:5], 0, 0, vcc
	v_mov_b32_e32 v10, s3
	v_add_co_u32_e32 v9, vcc, s2, v11
	v_addc_co_u32_e32 v10, vcc, v10, v12, vcc
	v_mov_b32_e32 v13, s1
	v_add_co_u32_e32 v11, vcc, s0, v11
	v_addc_co_u32_e32 v12, vcc, v13, v12, vcc
	v_add_co_u32_e32 v13, vcc, s14, v0
	v_lshlrev_b32_e32 v17, 1, v13
	v_addc_co_u32_e64 v14, s[4:5], 0, 0, vcc
	v_mov_b32_e32 v16, s3
	v_add_co_u32_e32 v15, vcc, s2, v17
	v_addc_co_u32_e32 v16, vcc, 0, v16, vcc
	v_mov_b32_e32 v18, s1
	v_add_co_u32_e32 v17, vcc, s0, v17
	s_mul_i32 s7, s14, 3
	v_addc_co_u32_e32 v18, vcc, 0, v18, vcc
	s_lshl_b32 s6, s14, 1
	v_add_co_u32_e32 v19, vcc, s7, v0
	v_addc_co_u32_e64 v20, s[0:1], 0, 0, vcc
	v_add_co_u32_e32 v21, vcc, s6, v0
	s_lshl_b32 s19, s14, 3
	s_mov_b64 s[14:15], 0
	s_mov_b32 s20, 0x378e98ab
	s_mov_b32 s21, 0x3b7cd369
	;; [unrolled: 1-line block ×9, first 2 shown]
	s_movk_i32 s29, 0x7fff
	v_addc_co_u32_e64 v22, s[0:1], 0, 0, vcc
	v_mov_b32_e32 v23, 0xbcdac9b8
	v_mov_b32_e32 v24, 0x3de703be
	v_mov_b32_e32 v25, 0xbec09330
	v_mov_b32_e32 v26, 0x3e0375d0
	v_mov_b32_e32 v27, 0xb9c68948
	v_mov_b32_e32 v28, 0x7f800000
	s_branch .LBB239_25
.LBB239_24:                             ;   in Loop: Header=BB239_25 Depth=1
	s_or_b64 exec, exec, s[0:1]
	v_add_co_u32_e32 v1, vcc, s19, v1
	v_addc_co_u32_e32 v2, vcc, 0, v2, vcc
	v_add_co_u32_e32 v3, vcc, s19, v3
	v_addc_co_u32_e32 v4, vcc, 0, v4, vcc
	;; [unrolled: 2-line block ×6, first 2 shown]
	s_add_u32 s14, s14, s18
	v_add_co_u32_e32 v15, vcc, s19, v15
	v_mov_b32_e32 v30, s11
	s_addc_u32 s15, s15, 0
	v_addc_co_u32_e32 v16, vcc, 0, v16, vcc
	v_mov_b32_e32 v29, s10
	v_cmp_ge_i64_e32 vcc, s[14:15], v[29:30]
	v_add_co_u32_e64 v17, s[0:1], s19, v17
	v_addc_co_u32_e64 v18, s[0:1], 0, v18, s[0:1]
	s_cbranch_vccnz .LBB239_57
.LBB239_25:                             ; =>This Inner Loop Header: Depth=1
	v_mov_b32_e32 v30, s15
	v_add_co_u32_e32 v29, vcc, s14, v0
	v_addc_co_u32_e32 v30, vcc, 0, v30, vcc
	v_cmp_gt_u64_e32 vcc, s[12:13], v[29:30]
	v_mov_b32_e32 v30, 0
	s_and_saveexec_b64 s[2:3], vcc
	s_cbranch_execz .LBB239_27
; %bb.26:                               ;   in Loop: Header=BB239_25 Depth=1
	v_mov_b32_e32 v30, s9
	v_add_co_u32_e64 v29, s[0:1], s8, v1
	v_addc_co_u32_e64 v30, s[0:1], v2, v30, s[0:1]
	global_load_ushort v29, v[29:30], off
	s_waitcnt vmcnt(0)
	v_cvt_f32_f16_e32 v30, v29
.LBB239_27:                             ;   in Loop: Header=BB239_25 Depth=1
	s_or_b64 exec, exec, s[2:3]
	v_mov_b32_e32 v29, s15
	v_add_co_u32_e64 v31, s[0:1], s14, v13
	v_addc_co_u32_e64 v32, s[0:1], v14, v29, s[0:1]
	v_cmp_gt_u64_e64 s[0:1], s[12:13], v[31:32]
	v_mov_b32_e32 v29, 0
	v_mov_b32_e32 v31, 0
	s_and_saveexec_b64 s[4:5], s[0:1]
	s_cbranch_execz .LBB239_29
; %bb.28:                               ;   in Loop: Header=BB239_25 Depth=1
	v_mov_b32_e32 v32, s9
	v_add_co_u32_e64 v31, s[2:3], s8, v15
	v_addc_co_u32_e64 v32, s[2:3], v16, v32, s[2:3]
	global_load_ushort v31, v[31:32], off
	s_waitcnt vmcnt(0)
	v_cvt_f32_f16_e32 v31, v31
.LBB239_29:                             ;   in Loop: Header=BB239_25 Depth=1
	s_or_b64 exec, exec, s[4:5]
	v_mov_b32_e32 v33, s15
	v_add_co_u32_e64 v32, s[2:3], s14, v21
	v_addc_co_u32_e64 v33, s[2:3], v22, v33, s[2:3]
	v_cmp_gt_u64_e64 s[2:3], s[12:13], v[32:33]
	s_and_saveexec_b64 s[6:7], s[2:3]
	s_cbranch_execz .LBB239_31
; %bb.30:                               ;   in Loop: Header=BB239_25 Depth=1
	v_mov_b32_e32 v29, s9
	v_add_co_u32_e64 v32, s[4:5], s8, v9
	v_addc_co_u32_e64 v33, s[4:5], v10, v29, s[4:5]
	global_load_ushort v29, v[32:33], off
	s_waitcnt vmcnt(0)
	v_cvt_f32_f16_e32 v29, v29
.LBB239_31:                             ;   in Loop: Header=BB239_25 Depth=1
	s_or_b64 exec, exec, s[6:7]
	v_mov_b32_e32 v33, s15
	v_add_co_u32_e64 v32, s[4:5], s14, v19
	v_addc_co_u32_e64 v33, s[4:5], v20, v33, s[4:5]
	v_cmp_gt_u64_e64 s[4:5], s[12:13], v[32:33]
	v_mov_b32_e32 v32, 0
	s_and_saveexec_b64 s[16:17], s[4:5]
	s_cbranch_execz .LBB239_33
; %bb.32:                               ;   in Loop: Header=BB239_25 Depth=1
	v_mov_b32_e32 v33, s9
	v_add_co_u32_e64 v32, s[6:7], s8, v5
	v_addc_co_u32_e64 v33, s[6:7], v6, v33, s[6:7]
	global_load_ushort v32, v[32:33], off
	s_waitcnt vmcnt(0)
	v_cvt_f32_f16_e32 v32, v32
.LBB239_33:                             ;   in Loop: Header=BB239_25 Depth=1
	s_or_b64 exec, exec, s[16:17]
	v_cmp_nlt_f32_e64 s[6:7], |v30|, 1.0
                                        ; implicit-def: $vgpr33
	s_and_saveexec_b64 s[16:17], s[6:7]
	s_xor_b64 s[16:17], exec, s[16:17]
	s_cbranch_execz .LBB239_35
; %bb.34:                               ;   in Loop: Header=BB239_25 Depth=1
	v_fma_f32 v33, |v30|, s20, v27
	v_fma_f32 v33, |v30|, v33, s21
	;; [unrolled: 1-line block ×6, first 2 shown]
	v_fma_f32 v33, |v30|, v33, |v30|
	v_mul_f32_e32 v34, 0xbfb8aa3b, v33
	v_fma_f32 v35, v33, s26, -v34
	v_rndne_f32_e32 v36, v34
	v_fmac_f32_e32 v35, 0xb2a5705f, v33
	v_sub_f32_e32 v34, v34, v36
	v_add_f32_e32 v34, v34, v35
	v_cvt_i32_f32_e32 v35, v36
	v_exp_f32_e32 v34, v34
	v_cmp_nlt_f32_e64 s[6:7], s27, v33
	v_ldexp_f32 v34, v34, v35
	v_cndmask_b32_e64 v34, 0, v34, s[6:7]
	v_cmp_ngt_f32_e64 s[6:7], s28, v33
	v_cndmask_b32_e64 v33, v28, v34, s[6:7]
	v_sub_f32_e32 v33, 1.0, v33
.LBB239_35:                             ;   in Loop: Header=BB239_25 Depth=1
	s_andn2_saveexec_b64 s[6:7], s[16:17]
; %bb.36:                               ;   in Loop: Header=BB239_25 Depth=1
	v_mul_f32_e32 v33, v30, v30
	v_mov_b32_e32 v34, 0x3ba10414
	v_fmac_f32_e32 v34, 0xba1345e1, v33
	v_fma_f32 v34, v33, v34, v23
	v_fma_f32 v34, v33, v34, v24
	;; [unrolled: 1-line block ×4, first 2 shown]
	v_fma_f32 v33, |v30|, v33, |v30|
; %bb.37:                               ;   in Loop: Header=BB239_25 Depth=1
	s_or_b64 exec, exec, s[6:7]
	v_cmp_nlt_f32_e64 s[6:7], |v31|, 1.0
                                        ; implicit-def: $vgpr34
	s_and_saveexec_b64 s[16:17], s[6:7]
	s_xor_b64 s[16:17], exec, s[16:17]
	s_cbranch_execz .LBB239_39
; %bb.38:                               ;   in Loop: Header=BB239_25 Depth=1
	v_fma_f32 v34, |v31|, s20, v27
	v_fma_f32 v34, |v31|, v34, s21
	;; [unrolled: 1-line block ×6, first 2 shown]
	v_fma_f32 v34, |v31|, v34, |v31|
	v_mul_f32_e32 v35, 0xbfb8aa3b, v34
	v_fma_f32 v36, v34, s26, -v35
	v_rndne_f32_e32 v37, v35
	v_fmac_f32_e32 v36, 0xb2a5705f, v34
	v_sub_f32_e32 v35, v35, v37
	v_add_f32_e32 v35, v35, v36
	v_cvt_i32_f32_e32 v36, v37
	v_exp_f32_e32 v35, v35
	v_cmp_nlt_f32_e64 s[6:7], s27, v34
	v_ldexp_f32 v35, v35, v36
	v_cndmask_b32_e64 v35, 0, v35, s[6:7]
	v_cmp_ngt_f32_e64 s[6:7], s28, v34
	v_cndmask_b32_e64 v34, v28, v35, s[6:7]
	v_sub_f32_e32 v34, 1.0, v34
.LBB239_39:                             ;   in Loop: Header=BB239_25 Depth=1
	s_andn2_saveexec_b64 s[6:7], s[16:17]
; %bb.40:                               ;   in Loop: Header=BB239_25 Depth=1
	v_mul_f32_e32 v34, v31, v31
	v_mov_b32_e32 v35, 0x3ba10414
	v_fmac_f32_e32 v35, 0xba1345e1, v34
	v_fma_f32 v35, v34, v35, v23
	v_fma_f32 v35, v34, v35, v24
	;; [unrolled: 1-line block ×4, first 2 shown]
	v_fma_f32 v34, |v31|, v34, |v31|
; %bb.41:                               ;   in Loop: Header=BB239_25 Depth=1
	s_or_b64 exec, exec, s[6:7]
	v_cmp_nlt_f32_e64 s[6:7], |v29|, 1.0
                                        ; implicit-def: $vgpr35
	s_and_saveexec_b64 s[16:17], s[6:7]
	s_xor_b64 s[16:17], exec, s[16:17]
	s_cbranch_execz .LBB239_43
; %bb.42:                               ;   in Loop: Header=BB239_25 Depth=1
	v_fma_f32 v35, |v29|, s20, v27
	v_fma_f32 v35, |v29|, v35, s21
	;; [unrolled: 1-line block ×6, first 2 shown]
	v_fma_f32 v35, |v29|, v35, |v29|
	v_mul_f32_e32 v36, 0xbfb8aa3b, v35
	v_fma_f32 v37, v35, s26, -v36
	v_rndne_f32_e32 v38, v36
	v_fmac_f32_e32 v37, 0xb2a5705f, v35
	v_sub_f32_e32 v36, v36, v38
	v_add_f32_e32 v36, v36, v37
	v_cvt_i32_f32_e32 v37, v38
	v_exp_f32_e32 v36, v36
	v_cmp_nlt_f32_e64 s[6:7], s27, v35
	v_ldexp_f32 v36, v36, v37
	v_cndmask_b32_e64 v36, 0, v36, s[6:7]
	v_cmp_ngt_f32_e64 s[6:7], s28, v35
	v_cndmask_b32_e64 v35, v28, v36, s[6:7]
	v_sub_f32_e32 v35, 1.0, v35
.LBB239_43:                             ;   in Loop: Header=BB239_25 Depth=1
	s_andn2_saveexec_b64 s[6:7], s[16:17]
; %bb.44:                               ;   in Loop: Header=BB239_25 Depth=1
	v_mul_f32_e32 v35, v29, v29
	v_mov_b32_e32 v36, 0x3ba10414
	v_fmac_f32_e32 v36, 0xba1345e1, v35
	v_fma_f32 v36, v35, v36, v23
	v_fma_f32 v36, v35, v36, v24
	;; [unrolled: 1-line block ×4, first 2 shown]
	v_fma_f32 v35, |v29|, v35, |v29|
; %bb.45:                               ;   in Loop: Header=BB239_25 Depth=1
	s_or_b64 exec, exec, s[6:7]
	v_cmp_nlt_f32_e64 s[6:7], |v32|, 1.0
                                        ; implicit-def: $vgpr36
	s_and_saveexec_b64 s[16:17], s[6:7]
	s_xor_b64 s[16:17], exec, s[16:17]
	s_cbranch_execnz .LBB239_51
; %bb.46:                               ;   in Loop: Header=BB239_25 Depth=1
	s_andn2_saveexec_b64 s[6:7], s[16:17]
	s_cbranch_execnz .LBB239_52
.LBB239_47:                             ;   in Loop: Header=BB239_25 Depth=1
	s_or_b64 exec, exec, s[6:7]
	s_and_saveexec_b64 s[6:7], vcc
	s_xor_b64 s[6:7], exec, s[6:7]
	s_cbranch_execnz .LBB239_53
.LBB239_48:                             ;   in Loop: Header=BB239_25 Depth=1
	s_or_b64 exec, exec, s[6:7]
	s_and_saveexec_b64 s[6:7], s[0:1]
	s_cbranch_execnz .LBB239_54
.LBB239_49:                             ;   in Loop: Header=BB239_25 Depth=1
	s_or_b64 exec, exec, s[6:7]
	s_and_saveexec_b64 s[0:1], s[2:3]
	s_cbranch_execnz .LBB239_55
.LBB239_50:                             ;   in Loop: Header=BB239_25 Depth=1
	s_or_b64 exec, exec, s[0:1]
	s_and_saveexec_b64 s[0:1], s[4:5]
	s_cbranch_execz .LBB239_24
	s_branch .LBB239_56
.LBB239_51:                             ;   in Loop: Header=BB239_25 Depth=1
	v_fma_f32 v36, |v32|, s20, v27
	v_fma_f32 v36, |v32|, v36, s21
	;; [unrolled: 1-line block ×6, first 2 shown]
	v_fma_f32 v36, |v32|, v36, |v32|
	v_mul_f32_e32 v37, 0xbfb8aa3b, v36
	v_fma_f32 v38, v36, s26, -v37
	v_rndne_f32_e32 v39, v37
	v_fmac_f32_e32 v38, 0xb2a5705f, v36
	v_sub_f32_e32 v37, v37, v39
	v_add_f32_e32 v37, v37, v38
	v_cvt_i32_f32_e32 v38, v39
	v_exp_f32_e32 v37, v37
	v_cmp_nlt_f32_e64 s[6:7], s27, v36
	v_ldexp_f32 v37, v37, v38
	v_cndmask_b32_e64 v37, 0, v37, s[6:7]
	v_cmp_ngt_f32_e64 s[6:7], s28, v36
	v_cndmask_b32_e64 v36, v28, v37, s[6:7]
	v_sub_f32_e32 v36, 1.0, v36
	s_andn2_saveexec_b64 s[6:7], s[16:17]
	s_cbranch_execz .LBB239_47
.LBB239_52:                             ;   in Loop: Header=BB239_25 Depth=1
	v_mul_f32_e32 v36, v32, v32
	v_mov_b32_e32 v37, 0x3ba10414
	v_fmac_f32_e32 v37, 0xba1345e1, v36
	v_fma_f32 v37, v36, v37, v23
	v_fma_f32 v37, v36, v37, v24
	;; [unrolled: 1-line block ×4, first 2 shown]
	v_fma_f32 v36, |v32|, v36, |v32|
	s_or_b64 exec, exec, s[6:7]
	s_and_saveexec_b64 s[6:7], vcc
	s_xor_b64 s[6:7], exec, s[6:7]
	s_cbranch_execz .LBB239_48
.LBB239_53:                             ;   in Loop: Header=BB239_25 Depth=1
	v_cvt_f16_f32_e32 v33, v33
	v_lshrrev_b32_e32 v30, 16, v30
	v_mov_b32_e32 v38, s9
	v_add_co_u32_e32 v37, vcc, s8, v3
	v_bfi_b32 v30, s29, v33, v30
	v_addc_co_u32_e32 v38, vcc, v4, v38, vcc
	global_store_short v[37:38], v30, off
	s_or_b64 exec, exec, s[6:7]
	s_and_saveexec_b64 s[6:7], s[0:1]
	s_cbranch_execz .LBB239_49
.LBB239_54:                             ;   in Loop: Header=BB239_25 Depth=1
	v_cvt_f16_f32_e32 v30, v34
	v_lshrrev_b32_e32 v31, 16, v31
	v_mov_b32_e32 v33, s9
	v_bfi_b32 v34, s29, v30, v31
	v_add_co_u32_e32 v30, vcc, s8, v17
	v_addc_co_u32_e32 v31, vcc, v18, v33, vcc
	global_store_short v[30:31], v34, off
	s_or_b64 exec, exec, s[6:7]
	s_and_saveexec_b64 s[0:1], s[2:3]
	s_cbranch_execz .LBB239_50
.LBB239_55:                             ;   in Loop: Header=BB239_25 Depth=1
	v_cvt_f16_f32_e32 v30, v35
	v_lshrrev_b32_e32 v29, 16, v29
	v_mov_b32_e32 v31, s9
	v_bfi_b32 v33, s29, v30, v29
	v_add_co_u32_e32 v29, vcc, s8, v11
	v_addc_co_u32_e32 v30, vcc, v12, v31, vcc
	global_store_short v[29:30], v33, off
	s_or_b64 exec, exec, s[0:1]
	s_and_saveexec_b64 s[0:1], s[4:5]
	s_cbranch_execz .LBB239_24
.LBB239_56:                             ;   in Loop: Header=BB239_25 Depth=1
	v_cvt_f16_f32_e32 v29, v36
	v_lshrrev_b32_e32 v30, 16, v32
	v_mov_b32_e32 v31, s9
	v_bfi_b32 v32, s29, v29, v30
	v_add_co_u32_e32 v29, vcc, s8, v7
	v_addc_co_u32_e32 v30, vcc, v8, v31, vcc
	global_store_short v[29:30], v32, off
	s_branch .LBB239_24
.LBB239_57:
	s_endpgm
	.section	.rodata,"a",@progbits
	.p2align	6, 0x0
	.amdhsa_kernel _ZN2at6native12_GLOBAL__N_125multi_tensor_apply_kernelINS1_18TensorListMetadataILi2EEENS1_14UnaryOpFunctorIN3c104HalfELi2ELi1ELi1EEEJNS0_3ErfIfEEEEEvT_T0_DpT1_
		.amdhsa_group_segment_fixed_size 0
		.amdhsa_private_segment_fixed_size 0
		.amdhsa_kernarg_size 3408
		.amdhsa_user_sgpr_count 6
		.amdhsa_user_sgpr_private_segment_buffer 1
		.amdhsa_user_sgpr_dispatch_ptr 0
		.amdhsa_user_sgpr_queue_ptr 0
		.amdhsa_user_sgpr_kernarg_segment_ptr 1
		.amdhsa_user_sgpr_dispatch_id 0
		.amdhsa_user_sgpr_flat_scratch_init 0
		.amdhsa_user_sgpr_private_segment_size 0
		.amdhsa_uses_dynamic_stack 0
		.amdhsa_system_sgpr_private_segment_wavefront_offset 0
		.amdhsa_system_sgpr_workgroup_id_x 1
		.amdhsa_system_sgpr_workgroup_id_y 0
		.amdhsa_system_sgpr_workgroup_id_z 0
		.amdhsa_system_sgpr_workgroup_info 0
		.amdhsa_system_vgpr_workitem_id 0
		.amdhsa_next_free_vgpr 40
		.amdhsa_next_free_sgpr 32
		.amdhsa_reserve_vcc 1
		.amdhsa_reserve_flat_scratch 0
		.amdhsa_float_round_mode_32 0
		.amdhsa_float_round_mode_16_64 0
		.amdhsa_float_denorm_mode_32 3
		.amdhsa_float_denorm_mode_16_64 3
		.amdhsa_dx10_clamp 1
		.amdhsa_ieee_mode 1
		.amdhsa_fp16_overflow 0
		.amdhsa_exception_fp_ieee_invalid_op 0
		.amdhsa_exception_fp_denorm_src 0
		.amdhsa_exception_fp_ieee_div_zero 0
		.amdhsa_exception_fp_ieee_overflow 0
		.amdhsa_exception_fp_ieee_underflow 0
		.amdhsa_exception_fp_ieee_inexact 0
		.amdhsa_exception_int_div_zero 0
	.end_amdhsa_kernel
	.section	.text._ZN2at6native12_GLOBAL__N_125multi_tensor_apply_kernelINS1_18TensorListMetadataILi2EEENS1_14UnaryOpFunctorIN3c104HalfELi2ELi1ELi1EEEJNS0_3ErfIfEEEEEvT_T0_DpT1_,"axG",@progbits,_ZN2at6native12_GLOBAL__N_125multi_tensor_apply_kernelINS1_18TensorListMetadataILi2EEENS1_14UnaryOpFunctorIN3c104HalfELi2ELi1ELi1EEEJNS0_3ErfIfEEEEEvT_T0_DpT1_,comdat
.Lfunc_end239:
	.size	_ZN2at6native12_GLOBAL__N_125multi_tensor_apply_kernelINS1_18TensorListMetadataILi2EEENS1_14UnaryOpFunctorIN3c104HalfELi2ELi1ELi1EEEJNS0_3ErfIfEEEEEvT_T0_DpT1_, .Lfunc_end239-_ZN2at6native12_GLOBAL__N_125multi_tensor_apply_kernelINS1_18TensorListMetadataILi2EEENS1_14UnaryOpFunctorIN3c104HalfELi2ELi1ELi1EEEJNS0_3ErfIfEEEEEvT_T0_DpT1_
                                        ; -- End function
	.set _ZN2at6native12_GLOBAL__N_125multi_tensor_apply_kernelINS1_18TensorListMetadataILi2EEENS1_14UnaryOpFunctorIN3c104HalfELi2ELi1ELi1EEEJNS0_3ErfIfEEEEEvT_T0_DpT1_.num_vgpr, 40
	.set _ZN2at6native12_GLOBAL__N_125multi_tensor_apply_kernelINS1_18TensorListMetadataILi2EEENS1_14UnaryOpFunctorIN3c104HalfELi2ELi1ELi1EEEJNS0_3ErfIfEEEEEvT_T0_DpT1_.num_agpr, 0
	.set _ZN2at6native12_GLOBAL__N_125multi_tensor_apply_kernelINS1_18TensorListMetadataILi2EEENS1_14UnaryOpFunctorIN3c104HalfELi2ELi1ELi1EEEJNS0_3ErfIfEEEEEvT_T0_DpT1_.numbered_sgpr, 32
	.set _ZN2at6native12_GLOBAL__N_125multi_tensor_apply_kernelINS1_18TensorListMetadataILi2EEENS1_14UnaryOpFunctorIN3c104HalfELi2ELi1ELi1EEEJNS0_3ErfIfEEEEEvT_T0_DpT1_.num_named_barrier, 0
	.set _ZN2at6native12_GLOBAL__N_125multi_tensor_apply_kernelINS1_18TensorListMetadataILi2EEENS1_14UnaryOpFunctorIN3c104HalfELi2ELi1ELi1EEEJNS0_3ErfIfEEEEEvT_T0_DpT1_.private_seg_size, 0
	.set _ZN2at6native12_GLOBAL__N_125multi_tensor_apply_kernelINS1_18TensorListMetadataILi2EEENS1_14UnaryOpFunctorIN3c104HalfELi2ELi1ELi1EEEJNS0_3ErfIfEEEEEvT_T0_DpT1_.uses_vcc, 1
	.set _ZN2at6native12_GLOBAL__N_125multi_tensor_apply_kernelINS1_18TensorListMetadataILi2EEENS1_14UnaryOpFunctorIN3c104HalfELi2ELi1ELi1EEEJNS0_3ErfIfEEEEEvT_T0_DpT1_.uses_flat_scratch, 0
	.set _ZN2at6native12_GLOBAL__N_125multi_tensor_apply_kernelINS1_18TensorListMetadataILi2EEENS1_14UnaryOpFunctorIN3c104HalfELi2ELi1ELi1EEEJNS0_3ErfIfEEEEEvT_T0_DpT1_.has_dyn_sized_stack, 0
	.set _ZN2at6native12_GLOBAL__N_125multi_tensor_apply_kernelINS1_18TensorListMetadataILi2EEENS1_14UnaryOpFunctorIN3c104HalfELi2ELi1ELi1EEEJNS0_3ErfIfEEEEEvT_T0_DpT1_.has_recursion, 0
	.set _ZN2at6native12_GLOBAL__N_125multi_tensor_apply_kernelINS1_18TensorListMetadataILi2EEENS1_14UnaryOpFunctorIN3c104HalfELi2ELi1ELi1EEEJNS0_3ErfIfEEEEEvT_T0_DpT1_.has_indirect_call, 0
	.section	.AMDGPU.csdata,"",@progbits
; Kernel info:
; codeLenInByte = 3468
; TotalNumSgprs: 36
; NumVgprs: 40
; ScratchSize: 0
; MemoryBound: 0
; FloatMode: 240
; IeeeMode: 1
; LDSByteSize: 0 bytes/workgroup (compile time only)
; SGPRBlocks: 4
; VGPRBlocks: 9
; NumSGPRsForWavesPerEU: 36
; NumVGPRsForWavesPerEU: 40
; Occupancy: 6
; WaveLimiterHint : 0
; COMPUTE_PGM_RSRC2:SCRATCH_EN: 0
; COMPUTE_PGM_RSRC2:USER_SGPR: 6
; COMPUTE_PGM_RSRC2:TRAP_HANDLER: 0
; COMPUTE_PGM_RSRC2:TGID_X_EN: 1
; COMPUTE_PGM_RSRC2:TGID_Y_EN: 0
; COMPUTE_PGM_RSRC2:TGID_Z_EN: 0
; COMPUTE_PGM_RSRC2:TIDIG_COMP_CNT: 0
	.section	.text._ZN2at6native12_GLOBAL__N_125multi_tensor_apply_kernelINS1_18TensorListMetadataILi2EEENS1_14UnaryOpFunctorIN3c108BFloat16ELi2ELi1ELi1EEEJNS0_3ErfIfEEEEEvT_T0_DpT1_,"axG",@progbits,_ZN2at6native12_GLOBAL__N_125multi_tensor_apply_kernelINS1_18TensorListMetadataILi2EEENS1_14UnaryOpFunctorIN3c108BFloat16ELi2ELi1ELi1EEEJNS0_3ErfIfEEEEEvT_T0_DpT1_,comdat
	.globl	_ZN2at6native12_GLOBAL__N_125multi_tensor_apply_kernelINS1_18TensorListMetadataILi2EEENS1_14UnaryOpFunctorIN3c108BFloat16ELi2ELi1ELi1EEEJNS0_3ErfIfEEEEEvT_T0_DpT1_ ; -- Begin function _ZN2at6native12_GLOBAL__N_125multi_tensor_apply_kernelINS1_18TensorListMetadataILi2EEENS1_14UnaryOpFunctorIN3c108BFloat16ELi2ELi1ELi1EEEJNS0_3ErfIfEEEEEvT_T0_DpT1_
	.p2align	8
	.type	_ZN2at6native12_GLOBAL__N_125multi_tensor_apply_kernelINS1_18TensorListMetadataILi2EEENS1_14UnaryOpFunctorIN3c108BFloat16ELi2ELi1ELi1EEEJNS0_3ErfIfEEEEEvT_T0_DpT1_,@function
_ZN2at6native12_GLOBAL__N_125multi_tensor_apply_kernelINS1_18TensorListMetadataILi2EEENS1_14UnaryOpFunctorIN3c108BFloat16ELi2ELi1ELi1EEEJNS0_3ErfIfEEEEEvT_T0_DpT1_: ; @_ZN2at6native12_GLOBAL__N_125multi_tensor_apply_kernelINS1_18TensorListMetadataILi2EEENS1_14UnaryOpFunctorIN3c108BFloat16ELi2ELi1ELi1EEEJNS0_3ErfIfEEEEEvT_T0_DpT1_
; %bb.0:
	v_mov_b32_e32 v1, s6
	global_load_ubyte v1, v1, s[4:5] offset:1536
	s_add_u32 s0, s4, s6
	s_mul_hi_u32 s1, s6, 3
	s_mul_i32 s6, s6, 3
	s_addc_u32 s2, s5, 0
	s_add_u32 s0, s0, s6
	s_addc_u32 s1, s2, s1
	s_load_dword s6, s[0:1], 0x740
	s_mov_b32 s11, 0
	s_mov_b32 s13, s11
	s_waitcnt vmcnt(0)
	v_readfirstlane_b32 s0, v1
	s_lshl_b32 s7, s0, 3
	s_load_dwordx2 s[14:15], s[4:5], s7 offset:0x400
	s_load_dwordx2 s[2:3], s[4:5], s7 offset:0x0
	;; [unrolled: 1-line block ×3, first 2 shown]
	s_waitcnt lgkmcnt(0)
	s_ashr_i32 s7, s6, 31
	s_lshl_b64 s[8:9], s[6:7], 17
	s_lshl_b64 s[6:7], s[6:7], 16
	s_add_u32 s10, s2, s8
	s_and_b32 s12, s0, 7
	s_and_b32 s10, s10, 7
	s_sub_u32 s6, s14, s6
	s_subb_u32 s7, s15, s7
	s_and_b32 s14, s14, 3
	s_mov_b32 s15, s11
	s_or_b64 s[12:13], s[12:13], s[14:15]
	s_or_b64 s[10:11], s[12:13], s[10:11]
	s_cmp_eq_u64 s[10:11], 0
	s_mov_b64 s[10:11], -1
	s_cbranch_scc0 .LBB240_21
; %bb.1:
	v_mov_b32_e32 v1, 0x10000
	v_mov_b32_e32 v2, 0
	v_cmp_lt_i64_e32 vcc, s[6:7], v[1:2]
	v_mov_b32_e32 v2, 0
	s_and_b64 s[10:11], vcc, exec
	s_cselect_b32 s11, s7, 0
	s_cselect_b32 s10, s6, 0x10000
	v_lshlrev_b32_e32 v1, 2, v0
	v_cmp_gt_i64_e32 vcc, s[10:11], v[1:2]
	s_and_saveexec_b64 s[12:13], vcc
	s_cbranch_execz .LBB240_20
; %bb.2:
	s_load_dword s14, s[4:5], 0xc5c
	v_mov_b32_e32 v1, v2
	v_lshlrev_b32_e32 v2, 3, v0
	v_mov_b32_e32 v3, s9
	v_add_co_u32_e32 v5, vcc, s8, v2
	s_waitcnt lgkmcnt(0)
	s_and_b32 s18, s14, 0xffff
	v_mov_b32_e32 v2, v1
	v_addc_co_u32_e32 v6, vcc, 0, v3, vcc
	s_lshl_b32 s19, s18, 3
	s_mov_b64 s[14:15], 0
	v_mov_b32_e32 v7, s3
	s_mov_b32 s20, 0x378e98ab
	s_mov_b32 s21, 0x3b7cd369
	s_mov_b32 s22, 0xbcc618b2
	s_mov_b32 s23, 0x3dda74e4
	s_mov_b32 s24, 0x3f228afd
	s_mov_b32 s25, 0x3e03c728
	s_mov_b32 s26, 0xbfb8aa3b
	s_mov_b32 s27, 0x42ce8ed0
	s_mov_b32 s28, 0xc2b17218
	v_mov_b32_e32 v8, 0xbcdac9b8
	v_mov_b32_e32 v9, 0x3de703be
	;; [unrolled: 1-line block ×4, first 2 shown]
	s_brev_b32 s29, -2
	s_movk_i32 s30, 0x7fff
	v_mov_b32_e32 v12, 0xb9c68948
	v_mov_b32_e32 v13, 0x7f800000
	;; [unrolled: 1-line block ×5, first 2 shown]
	s_branch .LBB240_4
.LBB240_3:                              ;   in Loop: Header=BB240_4 Depth=1
	s_or_b64 exec, exec, s[16:17]
	v_bfi_b32 v20, s29, v20, v3
	v_bfe_u32 v3, v20, 16, 1
	v_add3_u32 v3, v20, v3, s30
	v_bfi_b32 v18, s29, v19, v18
	v_lshrrev_b32_e32 v22, 16, v3
	v_bfe_u32 v3, v18, 16, 1
	v_add3_u32 v3, v18, v3, s30
	v_bfi_b32 v16, s29, v17, v16
	v_and_b32_e32 v19, 0xffff0000, v3
	v_bfe_u32 v3, v16, 16, 1
	v_add3_u32 v3, v16, v3, s30
	v_bfi_b32 v21, s29, v21, v4
	v_lshrrev_b32_e32 v17, 16, v3
	v_bfe_u32 v3, v21, 16, 1
	v_add3_u32 v23, v21, v3, s30
	v_mov_b32_e32 v4, s1
	v_add_co_u32_e32 v3, vcc, s0, v5
	v_addc_co_u32_e32 v4, vcc, v4, v6, vcc
	v_and_b32_e32 v23, 0xffff0000, v23
	v_cmp_o_f32_e32 vcc, v21, v21
	v_cndmask_b32_e32 v21, v14, v23, vcc
	v_cmp_o_f32_e32 vcc, v20, v20
	v_cndmask_b32_e32 v20, v15, v22, vcc
	;; [unrolled: 2-line block ×4, first 2 shown]
	v_add_co_u32_e32 v1, vcc, s18, v1
	v_addc_co_u32_e32 v2, vcc, 0, v2, vcc
	v_or_b32_e32 v16, v18, v16
	v_lshlrev_b64 v[18:19], 2, v[1:2]
	v_or3_b32 v17, 0, v20, v21
	v_cmp_le_i64_e32 vcc, s[10:11], v[18:19]
	v_or3_b32 v16, v16, 0, 0
	s_or_b64 s[14:15], vcc, s[14:15]
	v_add_co_u32_e32 v5, vcc, s19, v5
	v_addc_co_u32_e32 v6, vcc, 0, v6, vcc
	global_store_dwordx2 v[3:4], v[16:17], off
	s_andn2_b64 exec, exec, s[14:15]
	s_cbranch_execz .LBB240_20
.LBB240_4:                              ; =>This Inner Loop Header: Depth=1
	v_add_co_u32_e32 v3, vcc, s2, v5
	v_addc_co_u32_e32 v4, vcc, v7, v6, vcc
	global_load_dwordx2 v[3:4], v[3:4], off
                                        ; implicit-def: $vgpr17
	s_waitcnt vmcnt(0)
	v_lshlrev_b32_e32 v16, 16, v3
	v_cmp_nlt_f32_e64 s[16:17], |v16|, 1.0
	s_and_saveexec_b64 s[34:35], s[16:17]
	s_xor_b64 s[16:17], exec, s[34:35]
	s_cbranch_execz .LBB240_6
; %bb.5:                                ;   in Loop: Header=BB240_4 Depth=1
	v_fma_f32 v17, |v16|, s20, v12
	v_fma_f32 v17, |v16|, v17, s21
	;; [unrolled: 1-line block ×6, first 2 shown]
	v_fma_f32 v17, |v16|, v17, |v16|
	v_mul_f32_e32 v18, 0xbfb8aa3b, v17
	v_fma_f32 v19, v17, s26, -v18
	v_rndne_f32_e32 v20, v18
	v_fmac_f32_e32 v19, 0xb2a5705f, v17
	v_sub_f32_e32 v18, v18, v20
	v_add_f32_e32 v18, v18, v19
	v_cvt_i32_f32_e32 v19, v20
	v_exp_f32_e32 v18, v18
	v_cmp_nlt_f32_e32 vcc, s27, v17
	v_ldexp_f32 v18, v18, v19
	v_cndmask_b32_e32 v18, 0, v18, vcc
	v_cmp_ngt_f32_e32 vcc, s28, v17
	v_cndmask_b32_e32 v17, v13, v18, vcc
	v_sub_f32_e32 v17, 1.0, v17
.LBB240_6:                              ;   in Loop: Header=BB240_4 Depth=1
	s_andn2_saveexec_b64 s[16:17], s[16:17]
; %bb.7:                                ;   in Loop: Header=BB240_4 Depth=1
	v_mul_f32_e32 v17, v16, v16
	v_mov_b32_e32 v18, 0x3ba10414
	v_fmac_f32_e32 v18, 0xba1345e1, v17
	v_fma_f32 v18, v17, v18, v8
	v_fma_f32 v18, v17, v18, v9
	;; [unrolled: 1-line block ×4, first 2 shown]
	v_fma_f32 v17, |v16|, v17, |v16|
; %bb.8:                                ;   in Loop: Header=BB240_4 Depth=1
	s_or_b64 exec, exec, s[16:17]
	v_and_b32_e32 v18, 0xffff0000, v3
	v_cmp_nlt_f32_e64 s[16:17], |v18|, 1.0
                                        ; implicit-def: $vgpr19
	s_and_saveexec_b64 s[34:35], s[16:17]
	s_xor_b64 s[16:17], exec, s[34:35]
	s_cbranch_execz .LBB240_10
; %bb.9:                                ;   in Loop: Header=BB240_4 Depth=1
	v_fma_f32 v19, |v18|, s20, v12
	v_fma_f32 v19, |v18|, v19, s21
	;; [unrolled: 1-line block ×6, first 2 shown]
	v_fma_f32 v19, |v18|, v19, |v18|
	v_mul_f32_e32 v20, 0xbfb8aa3b, v19
	v_fma_f32 v21, v19, s26, -v20
	v_rndne_f32_e32 v22, v20
	v_fmac_f32_e32 v21, 0xb2a5705f, v19
	v_sub_f32_e32 v20, v20, v22
	v_add_f32_e32 v20, v20, v21
	v_cvt_i32_f32_e32 v21, v22
	v_exp_f32_e32 v20, v20
	v_cmp_nlt_f32_e32 vcc, s27, v19
	v_ldexp_f32 v20, v20, v21
	v_cndmask_b32_e32 v20, 0, v20, vcc
	v_cmp_ngt_f32_e32 vcc, s28, v19
	v_cndmask_b32_e32 v19, v13, v20, vcc
	v_sub_f32_e32 v19, 1.0, v19
.LBB240_10:                             ;   in Loop: Header=BB240_4 Depth=1
	s_andn2_saveexec_b64 s[16:17], s[16:17]
; %bb.11:                               ;   in Loop: Header=BB240_4 Depth=1
	v_mul_f32_e32 v19, v18, v18
	v_mov_b32_e32 v20, 0x3ba10414
	v_fmac_f32_e32 v20, 0xba1345e1, v19
	v_fma_f32 v20, v19, v20, v8
	v_fma_f32 v20, v19, v20, v9
	;; [unrolled: 1-line block ×4, first 2 shown]
	v_fma_f32 v19, |v18|, v19, |v18|
; %bb.12:                               ;   in Loop: Header=BB240_4 Depth=1
	s_or_b64 exec, exec, s[16:17]
	v_alignbit_b32 v3, v4, v3, 16
	v_and_b32_e32 v3, 0xffff0000, v3
	v_cmp_nlt_f32_e64 s[16:17], |v3|, 1.0
                                        ; implicit-def: $vgpr20
	s_and_saveexec_b64 s[34:35], s[16:17]
	s_xor_b64 s[16:17], exec, s[34:35]
	s_cbranch_execz .LBB240_14
; %bb.13:                               ;   in Loop: Header=BB240_4 Depth=1
	v_fma_f32 v20, |v3|, s20, v12
	v_fma_f32 v20, |v3|, v20, s21
	;; [unrolled: 1-line block ×6, first 2 shown]
	v_fma_f32 v20, |v3|, v20, |v3|
	v_mul_f32_e32 v21, 0xbfb8aa3b, v20
	v_fma_f32 v22, v20, s26, -v21
	v_rndne_f32_e32 v23, v21
	v_fmac_f32_e32 v22, 0xb2a5705f, v20
	v_sub_f32_e32 v21, v21, v23
	v_add_f32_e32 v21, v21, v22
	v_cvt_i32_f32_e32 v22, v23
	v_exp_f32_e32 v21, v21
	v_cmp_nlt_f32_e32 vcc, s27, v20
	v_ldexp_f32 v21, v21, v22
	v_cndmask_b32_e32 v21, 0, v21, vcc
	v_cmp_ngt_f32_e32 vcc, s28, v20
	v_cndmask_b32_e32 v20, v13, v21, vcc
	v_sub_f32_e32 v20, 1.0, v20
.LBB240_14:                             ;   in Loop: Header=BB240_4 Depth=1
	s_andn2_saveexec_b64 s[16:17], s[16:17]
; %bb.15:                               ;   in Loop: Header=BB240_4 Depth=1
	v_mul_f32_e32 v20, v3, v3
	v_mov_b32_e32 v21, 0x3ba10414
	v_fmac_f32_e32 v21, 0xba1345e1, v20
	v_fma_f32 v21, v20, v21, v8
	v_fma_f32 v21, v20, v21, v9
	;; [unrolled: 1-line block ×4, first 2 shown]
	v_fma_f32 v20, |v3|, v20, |v3|
; %bb.16:                               ;   in Loop: Header=BB240_4 Depth=1
	s_or_b64 exec, exec, s[16:17]
	v_and_b32_e32 v4, 0xffff0000, v4
	v_cmp_nlt_f32_e64 s[16:17], |v4|, 1.0
                                        ; implicit-def: $vgpr21
	s_and_saveexec_b64 s[34:35], s[16:17]
	s_xor_b64 s[16:17], exec, s[34:35]
	s_cbranch_execz .LBB240_18
; %bb.17:                               ;   in Loop: Header=BB240_4 Depth=1
	v_fma_f32 v21, |v4|, s20, v12
	v_fma_f32 v21, |v4|, v21, s21
	;; [unrolled: 1-line block ×6, first 2 shown]
	v_fma_f32 v21, |v4|, v21, |v4|
	v_mul_f32_e32 v22, 0xbfb8aa3b, v21
	v_fma_f32 v23, v21, s26, -v22
	v_rndne_f32_e32 v24, v22
	v_fmac_f32_e32 v23, 0xb2a5705f, v21
	v_sub_f32_e32 v22, v22, v24
	v_add_f32_e32 v22, v22, v23
	v_cvt_i32_f32_e32 v23, v24
	v_exp_f32_e32 v22, v22
	v_cmp_nlt_f32_e32 vcc, s27, v21
	v_ldexp_f32 v22, v22, v23
	v_cndmask_b32_e32 v22, 0, v22, vcc
	v_cmp_ngt_f32_e32 vcc, s28, v21
	v_cndmask_b32_e32 v21, v13, v22, vcc
	v_sub_f32_e32 v21, 1.0, v21
.LBB240_18:                             ;   in Loop: Header=BB240_4 Depth=1
	s_andn2_saveexec_b64 s[16:17], s[16:17]
	s_cbranch_execz .LBB240_3
; %bb.19:                               ;   in Loop: Header=BB240_4 Depth=1
	v_mul_f32_e32 v21, v4, v4
	v_mov_b32_e32 v22, 0x3ba10414
	v_fmac_f32_e32 v22, 0xba1345e1, v21
	v_fma_f32 v22, v21, v22, v8
	v_fma_f32 v22, v21, v22, v9
	;; [unrolled: 1-line block ×4, first 2 shown]
	v_fma_f32 v21, |v4|, v21, |v4|
	s_branch .LBB240_3
.LBB240_20:
	s_or_b64 exec, exec, s[12:13]
	s_mov_b64 s[10:11], 0
.LBB240_21:
	s_andn2_b64 vcc, exec, s[10:11]
	s_cbranch_vccnz .LBB240_57
; %bb.22:
	v_cmp_lt_i64_e64 s[10:11], s[6:7], 1
	s_and_b64 vcc, exec, s[10:11]
	s_cbranch_vccnz .LBB240_57
; %bb.23:
	v_mov_b32_e32 v1, 0x10000
	s_load_dword s12, s[4:5], 0xc5c
	v_mov_b32_e32 v2, 0
	v_cmp_lt_i64_e32 vcc, s[6:7], v[1:2]
	v_mov_b32_e32 v10, 0
	s_and_b64 s[4:5], vcc, exec
	v_cmp_lt_u64_e32 vcc, s[6:7], v[1:2]
	s_cselect_b32 s11, s7, 0
	s_cselect_b32 s10, s6, 0x10000
	s_waitcnt lgkmcnt(0)
	s_and_b32 s14, s12, 0xffff
	v_lshlrev_b32_e32 v9, 1, v0
	s_and_b64 s[4:5], vcc, exec
	v_mov_b32_e32 v2, s3
	v_add_co_u32_e32 v1, vcc, s2, v9
	v_mad_u64_u32 v[7:8], s[4:5], s14, 6, v[9:10]
	v_addc_co_u32_e32 v2, vcc, 0, v2, vcc
	v_mov_b32_e32 v4, s1
	v_add_co_u32_e32 v3, vcc, s0, v9
	v_addc_co_u32_e32 v4, vcc, 0, v4, vcc
	v_mov_b32_e32 v6, s3
	v_add_co_u32_e32 v5, vcc, s2, v7
	;; [unrolled: 3-line block ×3, first 2 shown]
	s_cselect_b32 s13, s7, 0
	s_cselect_b32 s12, s6, 0x10000
	s_lshl_b32 s18, s14, 2
	v_addc_co_u32_e32 v8, vcc, v10, v8, vcc
	v_add_co_u32_e32 v11, vcc, s18, v9
	v_addc_co_u32_e64 v12, s[4:5], 0, 0, vcc
	v_mov_b32_e32 v10, s3
	v_add_co_u32_e32 v9, vcc, s2, v11
	v_addc_co_u32_e32 v10, vcc, v10, v12, vcc
	v_mov_b32_e32 v13, s1
	v_add_co_u32_e32 v11, vcc, s0, v11
	v_addc_co_u32_e32 v12, vcc, v13, v12, vcc
	v_add_co_u32_e32 v13, vcc, s14, v0
	v_lshlrev_b32_e32 v17, 1, v13
	v_addc_co_u32_e64 v14, s[4:5], 0, 0, vcc
	v_mov_b32_e32 v16, s3
	v_add_co_u32_e32 v15, vcc, s2, v17
	v_addc_co_u32_e32 v16, vcc, 0, v16, vcc
	v_mov_b32_e32 v18, s1
	v_add_co_u32_e32 v17, vcc, s0, v17
	s_mul_i32 s7, s14, 3
	v_addc_co_u32_e32 v18, vcc, 0, v18, vcc
	s_lshl_b32 s6, s14, 1
	v_add_co_u32_e32 v19, vcc, s7, v0
	v_addc_co_u32_e64 v20, s[0:1], 0, 0, vcc
	v_add_co_u32_e32 v21, vcc, s6, v0
	s_lshl_b32 s19, s14, 3
	s_mov_b64 s[14:15], 0
	s_mov_b32 s20, 0x378e98ab
	s_mov_b32 s21, 0x3b7cd369
	;; [unrolled: 1-line block ×9, first 2 shown]
	s_brev_b32 s29, -2
	s_movk_i32 s30, 0x7fff
	v_addc_co_u32_e64 v22, s[0:1], 0, 0, vcc
	v_mov_b32_e32 v23, 0xbcdac9b8
	v_mov_b32_e32 v24, 0x3de703be
	v_mov_b32_e32 v25, 0xbec09330
	v_mov_b32_e32 v26, 0x3e0375d0
	v_mov_b32_e32 v27, 0xb9c68948
	v_mov_b32_e32 v28, 0x7f800000
	v_mov_b32_e32 v29, 0x7fc0
	s_branch .LBB240_25
.LBB240_24:                             ;   in Loop: Header=BB240_25 Depth=1
	s_or_b64 exec, exec, s[0:1]
	v_add_co_u32_e32 v1, vcc, s19, v1
	v_addc_co_u32_e32 v2, vcc, 0, v2, vcc
	v_add_co_u32_e32 v3, vcc, s19, v3
	v_addc_co_u32_e32 v4, vcc, 0, v4, vcc
	v_add_co_u32_e32 v5, vcc, s19, v5
	v_addc_co_u32_e32 v6, vcc, 0, v6, vcc
	v_add_co_u32_e32 v7, vcc, s19, v7
	v_addc_co_u32_e32 v8, vcc, 0, v8, vcc
	v_add_co_u32_e32 v9, vcc, s19, v9
	v_addc_co_u32_e32 v10, vcc, 0, v10, vcc
	v_add_co_u32_e32 v11, vcc, s19, v11
	v_addc_co_u32_e32 v12, vcc, 0, v12, vcc
	s_add_u32 s14, s14, s18
	v_add_co_u32_e32 v15, vcc, s19, v15
	v_mov_b32_e32 v31, s11
	s_addc_u32 s15, s15, 0
	v_addc_co_u32_e32 v16, vcc, 0, v16, vcc
	v_mov_b32_e32 v30, s10
	v_cmp_ge_i64_e32 vcc, s[14:15], v[30:31]
	v_add_co_u32_e64 v17, s[0:1], s19, v17
	v_addc_co_u32_e64 v18, s[0:1], 0, v18, s[0:1]
	s_cbranch_vccnz .LBB240_57
.LBB240_25:                             ; =>This Inner Loop Header: Depth=1
	v_mov_b32_e32 v31, s15
	v_add_co_u32_e32 v30, vcc, s14, v0
	v_addc_co_u32_e32 v31, vcc, 0, v31, vcc
	v_cmp_gt_u64_e32 vcc, s[12:13], v[30:31]
	v_mov_b32_e32 v31, 0
	s_and_saveexec_b64 s[2:3], vcc
	s_cbranch_execz .LBB240_27
; %bb.26:                               ;   in Loop: Header=BB240_25 Depth=1
	v_mov_b32_e32 v31, s9
	v_add_co_u32_e64 v30, s[0:1], s8, v1
	v_addc_co_u32_e64 v31, s[0:1], v2, v31, s[0:1]
	global_load_ushort v30, v[30:31], off
	s_waitcnt vmcnt(0)
	v_lshlrev_b32_e32 v31, 16, v30
.LBB240_27:                             ;   in Loop: Header=BB240_25 Depth=1
	s_or_b64 exec, exec, s[2:3]
	v_mov_b32_e32 v30, s15
	v_add_co_u32_e64 v32, s[0:1], s14, v13
	v_addc_co_u32_e64 v33, s[0:1], v14, v30, s[0:1]
	v_cmp_gt_u64_e64 s[0:1], s[12:13], v[32:33]
	v_mov_b32_e32 v30, 0
	v_mov_b32_e32 v32, 0
	s_and_saveexec_b64 s[4:5], s[0:1]
	s_cbranch_execz .LBB240_29
; %bb.28:                               ;   in Loop: Header=BB240_25 Depth=1
	v_mov_b32_e32 v33, s9
	v_add_co_u32_e64 v32, s[2:3], s8, v15
	v_addc_co_u32_e64 v33, s[2:3], v16, v33, s[2:3]
	global_load_ushort v32, v[32:33], off
	s_waitcnt vmcnt(0)
	v_lshlrev_b32_e32 v32, 16, v32
.LBB240_29:                             ;   in Loop: Header=BB240_25 Depth=1
	s_or_b64 exec, exec, s[4:5]
	v_mov_b32_e32 v34, s15
	v_add_co_u32_e64 v33, s[2:3], s14, v21
	v_addc_co_u32_e64 v34, s[2:3], v22, v34, s[2:3]
	v_cmp_gt_u64_e64 s[2:3], s[12:13], v[33:34]
	s_and_saveexec_b64 s[6:7], s[2:3]
	s_cbranch_execz .LBB240_31
; %bb.30:                               ;   in Loop: Header=BB240_25 Depth=1
	v_mov_b32_e32 v30, s9
	v_add_co_u32_e64 v33, s[4:5], s8, v9
	v_addc_co_u32_e64 v34, s[4:5], v10, v30, s[4:5]
	global_load_ushort v30, v[33:34], off
	s_waitcnt vmcnt(0)
	v_lshlrev_b32_e32 v30, 16, v30
.LBB240_31:                             ;   in Loop: Header=BB240_25 Depth=1
	s_or_b64 exec, exec, s[6:7]
	v_mov_b32_e32 v34, s15
	v_add_co_u32_e64 v33, s[4:5], s14, v19
	v_addc_co_u32_e64 v34, s[4:5], v20, v34, s[4:5]
	v_cmp_gt_u64_e64 s[4:5], s[12:13], v[33:34]
	v_mov_b32_e32 v33, 0
	s_and_saveexec_b64 s[16:17], s[4:5]
	s_cbranch_execz .LBB240_33
; %bb.32:                               ;   in Loop: Header=BB240_25 Depth=1
	v_mov_b32_e32 v34, s9
	v_add_co_u32_e64 v33, s[6:7], s8, v5
	v_addc_co_u32_e64 v34, s[6:7], v6, v34, s[6:7]
	global_load_ushort v33, v[33:34], off
	s_waitcnt vmcnt(0)
	v_lshlrev_b32_e32 v33, 16, v33
.LBB240_33:                             ;   in Loop: Header=BB240_25 Depth=1
	s_or_b64 exec, exec, s[16:17]
	v_cmp_nlt_f32_e64 s[6:7], |v31|, 1.0
                                        ; implicit-def: $vgpr34
	s_and_saveexec_b64 s[16:17], s[6:7]
	s_xor_b64 s[16:17], exec, s[16:17]
	s_cbranch_execz .LBB240_35
; %bb.34:                               ;   in Loop: Header=BB240_25 Depth=1
	v_fma_f32 v34, |v31|, s20, v27
	v_fma_f32 v34, |v31|, v34, s21
	;; [unrolled: 1-line block ×6, first 2 shown]
	v_fma_f32 v34, |v31|, v34, |v31|
	v_mul_f32_e32 v35, 0xbfb8aa3b, v34
	v_fma_f32 v36, v34, s26, -v35
	v_rndne_f32_e32 v37, v35
	v_fmac_f32_e32 v36, 0xb2a5705f, v34
	v_sub_f32_e32 v35, v35, v37
	v_add_f32_e32 v35, v35, v36
	v_cvt_i32_f32_e32 v36, v37
	v_exp_f32_e32 v35, v35
	v_cmp_nlt_f32_e64 s[6:7], s27, v34
	v_ldexp_f32 v35, v35, v36
	v_cndmask_b32_e64 v35, 0, v35, s[6:7]
	v_cmp_ngt_f32_e64 s[6:7], s28, v34
	v_cndmask_b32_e64 v34, v28, v35, s[6:7]
	v_sub_f32_e32 v34, 1.0, v34
.LBB240_35:                             ;   in Loop: Header=BB240_25 Depth=1
	s_andn2_saveexec_b64 s[6:7], s[16:17]
; %bb.36:                               ;   in Loop: Header=BB240_25 Depth=1
	v_mul_f32_e32 v34, v31, v31
	v_mov_b32_e32 v35, 0x3ba10414
	v_fmac_f32_e32 v35, 0xba1345e1, v34
	v_fma_f32 v35, v34, v35, v23
	v_fma_f32 v35, v34, v35, v24
	;; [unrolled: 1-line block ×4, first 2 shown]
	v_fma_f32 v34, |v31|, v34, |v31|
; %bb.37:                               ;   in Loop: Header=BB240_25 Depth=1
	s_or_b64 exec, exec, s[6:7]
	v_cmp_nlt_f32_e64 s[6:7], |v32|, 1.0
                                        ; implicit-def: $vgpr35
	s_and_saveexec_b64 s[16:17], s[6:7]
	s_xor_b64 s[16:17], exec, s[16:17]
	s_cbranch_execz .LBB240_39
; %bb.38:                               ;   in Loop: Header=BB240_25 Depth=1
	v_fma_f32 v35, |v32|, s20, v27
	v_fma_f32 v35, |v32|, v35, s21
	;; [unrolled: 1-line block ×6, first 2 shown]
	v_fma_f32 v35, |v32|, v35, |v32|
	v_mul_f32_e32 v36, 0xbfb8aa3b, v35
	v_fma_f32 v37, v35, s26, -v36
	v_rndne_f32_e32 v38, v36
	v_fmac_f32_e32 v37, 0xb2a5705f, v35
	v_sub_f32_e32 v36, v36, v38
	v_add_f32_e32 v36, v36, v37
	v_cvt_i32_f32_e32 v37, v38
	v_exp_f32_e32 v36, v36
	v_cmp_nlt_f32_e64 s[6:7], s27, v35
	v_ldexp_f32 v36, v36, v37
	v_cndmask_b32_e64 v36, 0, v36, s[6:7]
	v_cmp_ngt_f32_e64 s[6:7], s28, v35
	v_cndmask_b32_e64 v35, v28, v36, s[6:7]
	v_sub_f32_e32 v35, 1.0, v35
.LBB240_39:                             ;   in Loop: Header=BB240_25 Depth=1
	s_andn2_saveexec_b64 s[6:7], s[16:17]
; %bb.40:                               ;   in Loop: Header=BB240_25 Depth=1
	v_mul_f32_e32 v35, v32, v32
	v_mov_b32_e32 v36, 0x3ba10414
	v_fmac_f32_e32 v36, 0xba1345e1, v35
	v_fma_f32 v36, v35, v36, v23
	v_fma_f32 v36, v35, v36, v24
	;; [unrolled: 1-line block ×4, first 2 shown]
	v_fma_f32 v35, |v32|, v35, |v32|
; %bb.41:                               ;   in Loop: Header=BB240_25 Depth=1
	s_or_b64 exec, exec, s[6:7]
	v_cmp_nlt_f32_e64 s[6:7], |v30|, 1.0
                                        ; implicit-def: $vgpr36
	s_and_saveexec_b64 s[16:17], s[6:7]
	s_xor_b64 s[16:17], exec, s[16:17]
	s_cbranch_execz .LBB240_43
; %bb.42:                               ;   in Loop: Header=BB240_25 Depth=1
	v_fma_f32 v36, |v30|, s20, v27
	v_fma_f32 v36, |v30|, v36, s21
	;; [unrolled: 1-line block ×6, first 2 shown]
	v_fma_f32 v36, |v30|, v36, |v30|
	v_mul_f32_e32 v37, 0xbfb8aa3b, v36
	v_fma_f32 v38, v36, s26, -v37
	v_rndne_f32_e32 v39, v37
	v_fmac_f32_e32 v38, 0xb2a5705f, v36
	v_sub_f32_e32 v37, v37, v39
	v_add_f32_e32 v37, v37, v38
	v_cvt_i32_f32_e32 v38, v39
	v_exp_f32_e32 v37, v37
	v_cmp_nlt_f32_e64 s[6:7], s27, v36
	v_ldexp_f32 v37, v37, v38
	v_cndmask_b32_e64 v37, 0, v37, s[6:7]
	v_cmp_ngt_f32_e64 s[6:7], s28, v36
	v_cndmask_b32_e64 v36, v28, v37, s[6:7]
	v_sub_f32_e32 v36, 1.0, v36
.LBB240_43:                             ;   in Loop: Header=BB240_25 Depth=1
	s_andn2_saveexec_b64 s[6:7], s[16:17]
; %bb.44:                               ;   in Loop: Header=BB240_25 Depth=1
	v_mul_f32_e32 v36, v30, v30
	v_mov_b32_e32 v37, 0x3ba10414
	v_fmac_f32_e32 v37, 0xba1345e1, v36
	v_fma_f32 v37, v36, v37, v23
	v_fma_f32 v37, v36, v37, v24
	;; [unrolled: 1-line block ×4, first 2 shown]
	v_fma_f32 v36, |v30|, v36, |v30|
; %bb.45:                               ;   in Loop: Header=BB240_25 Depth=1
	s_or_b64 exec, exec, s[6:7]
	v_cmp_nlt_f32_e64 s[6:7], |v33|, 1.0
                                        ; implicit-def: $vgpr37
	s_and_saveexec_b64 s[16:17], s[6:7]
	s_xor_b64 s[16:17], exec, s[16:17]
	s_cbranch_execnz .LBB240_51
; %bb.46:                               ;   in Loop: Header=BB240_25 Depth=1
	s_andn2_saveexec_b64 s[6:7], s[16:17]
	s_cbranch_execnz .LBB240_52
.LBB240_47:                             ;   in Loop: Header=BB240_25 Depth=1
	s_or_b64 exec, exec, s[6:7]
	s_and_saveexec_b64 s[6:7], vcc
	s_xor_b64 s[6:7], exec, s[6:7]
	s_cbranch_execnz .LBB240_53
.LBB240_48:                             ;   in Loop: Header=BB240_25 Depth=1
	s_or_b64 exec, exec, s[6:7]
	s_and_saveexec_b64 s[6:7], s[0:1]
	s_cbranch_execnz .LBB240_54
.LBB240_49:                             ;   in Loop: Header=BB240_25 Depth=1
	s_or_b64 exec, exec, s[6:7]
	s_and_saveexec_b64 s[0:1], s[2:3]
	s_cbranch_execnz .LBB240_55
.LBB240_50:                             ;   in Loop: Header=BB240_25 Depth=1
	s_or_b64 exec, exec, s[0:1]
	s_and_saveexec_b64 s[0:1], s[4:5]
	s_cbranch_execz .LBB240_24
	s_branch .LBB240_56
.LBB240_51:                             ;   in Loop: Header=BB240_25 Depth=1
	v_fma_f32 v37, |v33|, s20, v27
	v_fma_f32 v37, |v33|, v37, s21
	;; [unrolled: 1-line block ×6, first 2 shown]
	v_fma_f32 v37, |v33|, v37, |v33|
	v_mul_f32_e32 v38, 0xbfb8aa3b, v37
	v_fma_f32 v39, v37, s26, -v38
	v_rndne_f32_e32 v40, v38
	v_fmac_f32_e32 v39, 0xb2a5705f, v37
	v_sub_f32_e32 v38, v38, v40
	v_add_f32_e32 v38, v38, v39
	v_cvt_i32_f32_e32 v39, v40
	v_exp_f32_e32 v38, v38
	v_cmp_nlt_f32_e64 s[6:7], s27, v37
	v_ldexp_f32 v38, v38, v39
	v_cndmask_b32_e64 v38, 0, v38, s[6:7]
	v_cmp_ngt_f32_e64 s[6:7], s28, v37
	v_cndmask_b32_e64 v37, v28, v38, s[6:7]
	v_sub_f32_e32 v37, 1.0, v37
	s_andn2_saveexec_b64 s[6:7], s[16:17]
	s_cbranch_execz .LBB240_47
.LBB240_52:                             ;   in Loop: Header=BB240_25 Depth=1
	v_mul_f32_e32 v37, v33, v33
	v_mov_b32_e32 v38, 0x3ba10414
	v_fmac_f32_e32 v38, 0xba1345e1, v37
	v_fma_f32 v38, v37, v38, v23
	v_fma_f32 v38, v37, v38, v24
	;; [unrolled: 1-line block ×4, first 2 shown]
	v_fma_f32 v37, |v33|, v37, |v33|
	s_or_b64 exec, exec, s[6:7]
	s_and_saveexec_b64 s[6:7], vcc
	s_xor_b64 s[6:7], exec, s[6:7]
	s_cbranch_execz .LBB240_48
.LBB240_53:                             ;   in Loop: Header=BB240_25 Depth=1
	v_bfi_b32 v31, s29, v34, v31
	v_bfe_u32 v34, v31, 16, 1
	v_add3_u32 v34, v31, v34, s30
	v_cmp_o_f32_e32 vcc, v31, v31
	v_cndmask_b32_sdwa v31, v29, v34, vcc dst_sel:DWORD dst_unused:UNUSED_PAD src0_sel:DWORD src1_sel:WORD_1
	v_mov_b32_e32 v34, s9
	v_add_co_u32_e32 v38, vcc, s8, v3
	v_addc_co_u32_e32 v39, vcc, v4, v34, vcc
	global_store_short v[38:39], v31, off
	s_or_b64 exec, exec, s[6:7]
	s_and_saveexec_b64 s[6:7], s[0:1]
	s_cbranch_execz .LBB240_49
.LBB240_54:                             ;   in Loop: Header=BB240_25 Depth=1
	v_bfi_b32 v31, s29, v35, v32
	v_bfe_u32 v32, v31, 16, 1
	v_add3_u32 v32, v31, v32, s30
	v_cmp_o_f32_e32 vcc, v31, v31
	v_cndmask_b32_sdwa v34, v29, v32, vcc dst_sel:DWORD dst_unused:UNUSED_PAD src0_sel:DWORD src1_sel:WORD_1
	v_mov_b32_e32 v32, s9
	v_add_co_u32_e32 v31, vcc, s8, v17
	v_addc_co_u32_e32 v32, vcc, v18, v32, vcc
	global_store_short v[31:32], v34, off
	s_or_b64 exec, exec, s[6:7]
	s_and_saveexec_b64 s[0:1], s[2:3]
	s_cbranch_execz .LBB240_50
.LBB240_55:                             ;   in Loop: Header=BB240_25 Depth=1
	v_bfi_b32 v30, s29, v36, v30
	v_bfe_u32 v31, v30, 16, 1
	v_add3_u32 v31, v30, v31, s30
	v_cmp_o_f32_e32 vcc, v30, v30
	v_cndmask_b32_sdwa v32, v29, v31, vcc dst_sel:DWORD dst_unused:UNUSED_PAD src0_sel:DWORD src1_sel:WORD_1
	v_mov_b32_e32 v31, s9
	v_add_co_u32_e32 v30, vcc, s8, v11
	v_addc_co_u32_e32 v31, vcc, v12, v31, vcc
	global_store_short v[30:31], v32, off
	s_or_b64 exec, exec, s[0:1]
	s_and_saveexec_b64 s[0:1], s[4:5]
	s_cbranch_execz .LBB240_24
.LBB240_56:                             ;   in Loop: Header=BB240_25 Depth=1
	v_bfi_b32 v30, s29, v37, v33
	v_bfe_u32 v31, v30, 16, 1
	v_add3_u32 v31, v30, v31, s30
	v_cmp_o_f32_e32 vcc, v30, v30
	v_cndmask_b32_sdwa v32, v29, v31, vcc dst_sel:DWORD dst_unused:UNUSED_PAD src0_sel:DWORD src1_sel:WORD_1
	v_mov_b32_e32 v31, s9
	v_add_co_u32_e32 v30, vcc, s8, v7
	v_addc_co_u32_e32 v31, vcc, v8, v31, vcc
	global_store_short v[30:31], v32, off
	s_branch .LBB240_24
.LBB240_57:
	s_endpgm
	.section	.rodata,"a",@progbits
	.p2align	6, 0x0
	.amdhsa_kernel _ZN2at6native12_GLOBAL__N_125multi_tensor_apply_kernelINS1_18TensorListMetadataILi2EEENS1_14UnaryOpFunctorIN3c108BFloat16ELi2ELi1ELi1EEEJNS0_3ErfIfEEEEEvT_T0_DpT1_
		.amdhsa_group_segment_fixed_size 0
		.amdhsa_private_segment_fixed_size 0
		.amdhsa_kernarg_size 3408
		.amdhsa_user_sgpr_count 6
		.amdhsa_user_sgpr_private_segment_buffer 1
		.amdhsa_user_sgpr_dispatch_ptr 0
		.amdhsa_user_sgpr_queue_ptr 0
		.amdhsa_user_sgpr_kernarg_segment_ptr 1
		.amdhsa_user_sgpr_dispatch_id 0
		.amdhsa_user_sgpr_flat_scratch_init 0
		.amdhsa_user_sgpr_private_segment_size 0
		.amdhsa_uses_dynamic_stack 0
		.amdhsa_system_sgpr_private_segment_wavefront_offset 0
		.amdhsa_system_sgpr_workgroup_id_x 1
		.amdhsa_system_sgpr_workgroup_id_y 0
		.amdhsa_system_sgpr_workgroup_id_z 0
		.amdhsa_system_sgpr_workgroup_info 0
		.amdhsa_system_vgpr_workitem_id 0
		.amdhsa_next_free_vgpr 41
		.amdhsa_next_free_sgpr 36
		.amdhsa_reserve_vcc 1
		.amdhsa_reserve_flat_scratch 0
		.amdhsa_float_round_mode_32 0
		.amdhsa_float_round_mode_16_64 0
		.amdhsa_float_denorm_mode_32 3
		.amdhsa_float_denorm_mode_16_64 3
		.amdhsa_dx10_clamp 1
		.amdhsa_ieee_mode 1
		.amdhsa_fp16_overflow 0
		.amdhsa_exception_fp_ieee_invalid_op 0
		.amdhsa_exception_fp_denorm_src 0
		.amdhsa_exception_fp_ieee_div_zero 0
		.amdhsa_exception_fp_ieee_overflow 0
		.amdhsa_exception_fp_ieee_underflow 0
		.amdhsa_exception_fp_ieee_inexact 0
		.amdhsa_exception_int_div_zero 0
	.end_amdhsa_kernel
	.section	.text._ZN2at6native12_GLOBAL__N_125multi_tensor_apply_kernelINS1_18TensorListMetadataILi2EEENS1_14UnaryOpFunctorIN3c108BFloat16ELi2ELi1ELi1EEEJNS0_3ErfIfEEEEEvT_T0_DpT1_,"axG",@progbits,_ZN2at6native12_GLOBAL__N_125multi_tensor_apply_kernelINS1_18TensorListMetadataILi2EEENS1_14UnaryOpFunctorIN3c108BFloat16ELi2ELi1ELi1EEEJNS0_3ErfIfEEEEEvT_T0_DpT1_,comdat
.Lfunc_end240:
	.size	_ZN2at6native12_GLOBAL__N_125multi_tensor_apply_kernelINS1_18TensorListMetadataILi2EEENS1_14UnaryOpFunctorIN3c108BFloat16ELi2ELi1ELi1EEEJNS0_3ErfIfEEEEEvT_T0_DpT1_, .Lfunc_end240-_ZN2at6native12_GLOBAL__N_125multi_tensor_apply_kernelINS1_18TensorListMetadataILi2EEENS1_14UnaryOpFunctorIN3c108BFloat16ELi2ELi1ELi1EEEJNS0_3ErfIfEEEEEvT_T0_DpT1_
                                        ; -- End function
	.set _ZN2at6native12_GLOBAL__N_125multi_tensor_apply_kernelINS1_18TensorListMetadataILi2EEENS1_14UnaryOpFunctorIN3c108BFloat16ELi2ELi1ELi1EEEJNS0_3ErfIfEEEEEvT_T0_DpT1_.num_vgpr, 41
	.set _ZN2at6native12_GLOBAL__N_125multi_tensor_apply_kernelINS1_18TensorListMetadataILi2EEENS1_14UnaryOpFunctorIN3c108BFloat16ELi2ELi1ELi1EEEJNS0_3ErfIfEEEEEvT_T0_DpT1_.num_agpr, 0
	.set _ZN2at6native12_GLOBAL__N_125multi_tensor_apply_kernelINS1_18TensorListMetadataILi2EEENS1_14UnaryOpFunctorIN3c108BFloat16ELi2ELi1ELi1EEEJNS0_3ErfIfEEEEEvT_T0_DpT1_.numbered_sgpr, 36
	.set _ZN2at6native12_GLOBAL__N_125multi_tensor_apply_kernelINS1_18TensorListMetadataILi2EEENS1_14UnaryOpFunctorIN3c108BFloat16ELi2ELi1ELi1EEEJNS0_3ErfIfEEEEEvT_T0_DpT1_.num_named_barrier, 0
	.set _ZN2at6native12_GLOBAL__N_125multi_tensor_apply_kernelINS1_18TensorListMetadataILi2EEENS1_14UnaryOpFunctorIN3c108BFloat16ELi2ELi1ELi1EEEJNS0_3ErfIfEEEEEvT_T0_DpT1_.private_seg_size, 0
	.set _ZN2at6native12_GLOBAL__N_125multi_tensor_apply_kernelINS1_18TensorListMetadataILi2EEENS1_14UnaryOpFunctorIN3c108BFloat16ELi2ELi1ELi1EEEJNS0_3ErfIfEEEEEvT_T0_DpT1_.uses_vcc, 1
	.set _ZN2at6native12_GLOBAL__N_125multi_tensor_apply_kernelINS1_18TensorListMetadataILi2EEENS1_14UnaryOpFunctorIN3c108BFloat16ELi2ELi1ELi1EEEJNS0_3ErfIfEEEEEvT_T0_DpT1_.uses_flat_scratch, 0
	.set _ZN2at6native12_GLOBAL__N_125multi_tensor_apply_kernelINS1_18TensorListMetadataILi2EEENS1_14UnaryOpFunctorIN3c108BFloat16ELi2ELi1ELi1EEEJNS0_3ErfIfEEEEEvT_T0_DpT1_.has_dyn_sized_stack, 0
	.set _ZN2at6native12_GLOBAL__N_125multi_tensor_apply_kernelINS1_18TensorListMetadataILi2EEENS1_14UnaryOpFunctorIN3c108BFloat16ELi2ELi1ELi1EEEJNS0_3ErfIfEEEEEvT_T0_DpT1_.has_recursion, 0
	.set _ZN2at6native12_GLOBAL__N_125multi_tensor_apply_kernelINS1_18TensorListMetadataILi2EEENS1_14UnaryOpFunctorIN3c108BFloat16ELi2ELi1ELi1EEEJNS0_3ErfIfEEEEEvT_T0_DpT1_.has_indirect_call, 0
	.section	.AMDGPU.csdata,"",@progbits
; Kernel info:
; codeLenInByte = 3684
; TotalNumSgprs: 40
; NumVgprs: 41
; ScratchSize: 0
; MemoryBound: 0
; FloatMode: 240
; IeeeMode: 1
; LDSByteSize: 0 bytes/workgroup (compile time only)
; SGPRBlocks: 4
; VGPRBlocks: 10
; NumSGPRsForWavesPerEU: 40
; NumVGPRsForWavesPerEU: 41
; Occupancy: 5
; WaveLimiterHint : 0
; COMPUTE_PGM_RSRC2:SCRATCH_EN: 0
; COMPUTE_PGM_RSRC2:USER_SGPR: 6
; COMPUTE_PGM_RSRC2:TRAP_HANDLER: 0
; COMPUTE_PGM_RSRC2:TGID_X_EN: 1
; COMPUTE_PGM_RSRC2:TGID_Y_EN: 0
; COMPUTE_PGM_RSRC2:TGID_Z_EN: 0
; COMPUTE_PGM_RSRC2:TIDIG_COMP_CNT: 0
	.section	.text._ZN2at6native12_GLOBAL__N_125multi_tensor_apply_kernelINS1_18TensorListMetadataILi1EEENS1_14UnaryOpFunctorIdLi1ELi1ELi0EEEJNS0_3ErfIdEEEEEvT_T0_DpT1_,"axG",@progbits,_ZN2at6native12_GLOBAL__N_125multi_tensor_apply_kernelINS1_18TensorListMetadataILi1EEENS1_14UnaryOpFunctorIdLi1ELi1ELi0EEEJNS0_3ErfIdEEEEEvT_T0_DpT1_,comdat
	.globl	_ZN2at6native12_GLOBAL__N_125multi_tensor_apply_kernelINS1_18TensorListMetadataILi1EEENS1_14UnaryOpFunctorIdLi1ELi1ELi0EEEJNS0_3ErfIdEEEEEvT_T0_DpT1_ ; -- Begin function _ZN2at6native12_GLOBAL__N_125multi_tensor_apply_kernelINS1_18TensorListMetadataILi1EEENS1_14UnaryOpFunctorIdLi1ELi1ELi0EEEJNS0_3ErfIdEEEEEvT_T0_DpT1_
	.p2align	8
	.type	_ZN2at6native12_GLOBAL__N_125multi_tensor_apply_kernelINS1_18TensorListMetadataILi1EEENS1_14UnaryOpFunctorIdLi1ELi1ELi0EEEJNS0_3ErfIdEEEEEvT_T0_DpT1_,@function
_ZN2at6native12_GLOBAL__N_125multi_tensor_apply_kernelINS1_18TensorListMetadataILi1EEENS1_14UnaryOpFunctorIdLi1ELi1ELi0EEEJNS0_3ErfIdEEEEEvT_T0_DpT1_: ; @_ZN2at6native12_GLOBAL__N_125multi_tensor_apply_kernelINS1_18TensorListMetadataILi1EEENS1_14UnaryOpFunctorIdLi1ELi1ELi0EEEJNS0_3ErfIdEEEEEvT_T0_DpT1_
; %bb.0:
	v_mov_b32_e32 v1, s6
	global_load_ubyte v1, v1, s[4:5] offset:1760
	s_add_u32 s0, s4, s6
	s_mul_hi_u32 s1, s6, 3
	s_mul_i32 s6, s6, 3
	s_addc_u32 s2, s5, 0
	s_add_u32 s0, s0, s6
	s_addc_u32 s1, s2, s1
	s_load_dword s0, s[0:1], 0x820
                                        ; implicit-def: $vgpr41 : SGPR spill to VGPR lane
	s_waitcnt vmcnt(0)
	v_readfirstlane_b32 s1, v1
	s_lshl_b32 s1, s1, 3
	s_load_dwordx2 s[2:3], s[4:5], s1 offset:0x370
	v_writelane_b32 v41, s4, 0
	s_load_dwordx2 s[6:7], s[4:5], s1 offset:0x0
                                        ; kill: killed $sgpr1
	s_waitcnt lgkmcnt(0)
	s_ashr_i32 s1, s0, 31
	v_writelane_b32 v41, s5, 1
	s_lshl_b64 s[8:9], s[0:1], 19
	v_writelane_b32 v41, s8, 2
	v_writelane_b32 v41, s9, 3
	s_lshl_b64 s[0:1], s[0:1], 16
	v_writelane_b32 v41, s6, 4
	s_and_b32 s4, s6, 31
	s_mov_b32 s5, 0
	v_writelane_b32 v41, s7, 5
	s_sub_u32 s6, s2, s0
	s_subb_u32 s7, s3, s1
	s_and_b32 s0, s2, 3
	s_mov_b32 s1, s5
	s_or_b64 s[0:1], s[4:5], s[0:1]
	s_cmp_eq_u64 s[0:1], 0
	s_cbranch_scc1 .LBB241_37
; %bb.1:
	v_writelane_b32 v41, s6, 6
	v_cmp_lt_i64_e64 s[0:1], s[6:7], 1
	v_writelane_b32 v41, s7, 7
	s_and_b64 vcc, exec, s[0:1]
	s_cbranch_vccnz .LBB241_36
; %bb.2:
	v_readlane_b32 s0, v41, 0
	v_readlane_b32 s1, v41, 1
	v_mov_b32_e32 v1, 0x10000
	v_readlane_b32 s4, v41, 6
	s_load_dword s2, s[0:1], 0xd3c
	v_mov_b32_e32 v2, 0
	v_readlane_b32 s5, v41, 7
	v_cmp_lt_i64_e32 vcc, s[4:5], v[1:2]
	v_readlane_b32 s6, v41, 2
	s_and_b64 s[0:1], vcc, exec
	v_cmp_lt_u64_e32 vcc, s[4:5], v[1:2]
	s_cselect_b32 s19, s5, 0
	s_cselect_b32 s18, s4, 0x10000
	s_waitcnt lgkmcnt(0)
	s_and_b32 s2, s2, 0xffff
	s_and_b64 s[0:1], vcc, exec
	s_cselect_b32 s21, s5, 0
	s_cselect_b32 s20, s4, 0x10000
	s_lshl_b32 s3, s2, 1
	s_lshl_b32 s43, s2, 2
	v_readlane_b32 s4, v41, 4
	v_readlane_b32 s5, v41, 5
	;; [unrolled: 1-line block ×3, first 2 shown]
	s_add_u32 s4, s4, s6
	v_lshlrev_b32_e32 v1, 3, v0
	s_addc_u32 s5, s5, s7
	v_mov_b32_e32 v2, s5
	v_add_co_u32_e32 v1, vcc, s4, v1
	s_mul_i32 s0, s2, 3
	v_addc_co_u32_e32 v2, vcc, 0, v2, vcc
	s_mul_i32 s1, s2, 24
	v_add_co_u32_e32 v27, vcc, s0, v0
	v_writelane_b32 v41, s1, 8
	v_addc_co_u32_e64 v28, s[0:1], 0, 0, vcc
	s_lshl_b32 s0, s2, 4
	v_add_co_u32_e32 v29, vcc, s3, v0
	v_writelane_b32 v41, s0, 9
	v_addc_co_u32_e64 v30, s[0:1], 0, 0, vcc
	v_add_co_u32_e32 v31, vcc, s2, v0
	v_lshlrev_b32_e32 v3, 3, v31
	v_addc_co_u32_e64 v32, s[0:1], 0, 0, vcc
	v_mov_b32_e32 v4, s5
	v_add_co_u32_e32 v3, vcc, s4, v3
	s_mov_b32 s44, 0x6410fdf7
	s_mov_b32 s46, 0x1f9b1786
	;; [unrolled: 1-line block ×37, first 2 shown]
	s_lshl_b32 s33, s2, 5
	v_addc_co_u32_e32 v4, vcc, 0, v4, vcc
	s_mov_b32 s45, 0xbee59e38
	s_mov_b32 s47, 0x3f0192fc
	;; [unrolled: 1-line block ×35, first 2 shown]
	v_mov_b32_e32 v5, 0x502a41cd
	v_mov_b32_e32 v6, 0xbcc145a3
	;; [unrolled: 1-line block ×8, first 2 shown]
	s_brev_b32 s42, -2
	s_mov_b32 s35, 0xc0900000
	s_mov_b32 s37, 0x4090cc00
	s_mov_b64 s[38:39], 0
	s_branch .LBB241_4
.LBB241_3:                              ;   in Loop: Header=BB241_4 Depth=1
	s_or_b64 exec, exec, s[0:1]
	s_add_u32 s38, s38, s43
	v_add_co_u32_e32 v1, vcc, s33, v1
	v_mov_b32_e32 v11, s18
	s_addc_u32 s39, s39, 0
	v_addc_co_u32_e32 v2, vcc, 0, v2, vcc
	v_mov_b32_e32 v12, s19
	v_cmp_ge_i64_e32 vcc, s[38:39], v[11:12]
	v_add_co_u32_e64 v3, s[0:1], s33, v3
	v_addc_co_u32_e64 v4, s[0:1], 0, v4, s[0:1]
	s_cbranch_vccnz .LBB241_36
.LBB241_4:                              ; =>This Inner Loop Header: Depth=1
	v_mov_b32_e32 v12, s39
	v_add_co_u32_e32 v11, vcc, s38, v0
	v_addc_co_u32_e32 v12, vcc, 0, v12, vcc
	v_cmp_gt_u64_e32 vcc, s[20:21], v[11:12]
	v_mov_b32_e32 v11, 0
	v_mov_b32_e32 v13, 0
	;; [unrolled: 1-line block ×4, first 2 shown]
	s_and_saveexec_b64 s[0:1], vcc
	s_cbranch_execz .LBB241_6
; %bb.5:                                ;   in Loop: Header=BB241_4 Depth=1
	global_load_dwordx2 v[13:14], v[1:2], off
.LBB241_6:                              ;   in Loop: Header=BB241_4 Depth=1
	s_or_b64 exec, exec, s[0:1]
	v_mov_b32_e32 v16, s39
	v_add_co_u32_e64 v15, s[0:1], s38, v31
	v_addc_co_u32_e64 v16, s[0:1], v32, v16, s[0:1]
	v_cmp_gt_u64_e64 s[0:1], s[20:21], v[15:16]
	s_and_saveexec_b64 s[2:3], s[0:1]
	s_cbranch_execz .LBB241_8
; %bb.7:                                ;   in Loop: Header=BB241_4 Depth=1
	global_load_dwordx2 v[11:12], v[3:4], off
.LBB241_8:                              ;   in Loop: Header=BB241_4 Depth=1
	s_or_b64 exec, exec, s[2:3]
	v_mov_b32_e32 v16, s39
	v_add_co_u32_e64 v15, s[2:3], s38, v29
	v_addc_co_u32_e64 v16, s[2:3], v30, v16, s[2:3]
	v_cmp_gt_u64_e64 s[2:3], s[20:21], v[15:16]
	v_mov_b32_e32 v15, 0
	v_mov_b32_e32 v17, 0
	v_mov_b32_e32 v16, 0
	v_mov_b32_e32 v18, 0
	s_and_saveexec_b64 s[8:9], s[2:3]
	s_cbranch_execz .LBB241_10
; %bb.9:                                ;   in Loop: Header=BB241_4 Depth=1
	v_readlane_b32 s6, v41, 9
	v_add_co_u32_e64 v17, s[6:7], s6, v1
	v_addc_co_u32_e64 v18, s[6:7], 0, v2, s[6:7]
	global_load_dwordx2 v[17:18], v[17:18], off
.LBB241_10:                             ;   in Loop: Header=BB241_4 Depth=1
	s_or_b64 exec, exec, s[8:9]
	v_mov_b32_e32 v20, s39
	v_add_co_u32_e64 v19, s[6:7], s38, v27
	v_addc_co_u32_e64 v20, s[6:7], v28, v20, s[6:7]
	v_cmp_gt_u64_e64 s[6:7], s[20:21], v[19:20]
	s_and_saveexec_b64 s[10:11], s[6:7]
	s_cbranch_execz .LBB241_12
; %bb.11:                               ;   in Loop: Header=BB241_4 Depth=1
	v_readlane_b32 s8, v41, 8
	v_add_co_u32_e64 v15, s[8:9], s8, v1
	v_addc_co_u32_e64 v16, s[8:9], 0, v2, s[8:9]
	global_load_dwordx2 v[15:16], v[15:16], off
.LBB241_12:                             ;   in Loop: Header=BB241_4 Depth=1
	s_or_b64 exec, exec, s[10:11]
	s_waitcnt vmcnt(0)
	v_cmp_nlt_f64_e64 s[8:9], |v[13:14]|, 1.0
                                        ; implicit-def: $vgpr19_vgpr20
	s_and_saveexec_b64 s[10:11], s[8:9]
	s_xor_b64 s[40:41], exec, s[10:11]
	s_cbranch_execz .LBB241_14
; %bb.13:                               ;   in Loop: Header=BB241_4 Depth=1
	s_mov_b32 s8, 0xc14b24be
	s_mov_b32 s9, 0x3c598d37
	v_fma_f64 v[19:20], |v[13:14]|, s[8:9], v[5:6]
	s_mov_b32 s8, 0xd735f9ec
	s_mov_b32 s9, 0x3d162dee
	v_fma_f64 v[19:20], |v[13:14]|, v[19:20], s[8:9]
	;; [unrolled: 3-line block ×10, first 2 shown]
	v_fma_f64 v[19:20], |v[13:14]|, v[19:20], s[44:45]
	v_fma_f64 v[19:20], |v[13:14]|, v[19:20], s[46:47]
	;; [unrolled: 1-line block ×12, first 2 shown]
	v_fma_f64 v[19:20], |v[13:14]|, v[19:20], |v[13:14]|
	v_mul_f64 v[21:22], v[19:20], s[68:69]
	v_cmp_ngt_f64_e64 s[8:9], s[34:35], v[19:20]
	v_cmp_nlt_f64_e64 s[10:11], s[36:37], v[19:20]
	v_rndne_f64_e32 v[21:22], v[21:22]
	v_fma_f64 v[23:24], v[21:22], s[70:71], -v[19:20]
	v_fma_f64 v[23:24], v[21:22], s[72:73], v[23:24]
	v_cvt_i32_f64_e32 v21, v[21:22]
	v_fma_f64 v[25:26], v[23:24], s[74:75], v[7:8]
	v_fma_f64 v[25:26], v[23:24], v[25:26], s[76:77]
	;; [unrolled: 1-line block ×9, first 2 shown]
	v_fma_f64 v[25:26], v[23:24], v[25:26], 1.0
	v_fma_f64 v[23:24], v[23:24], v[25:26], 1.0
	v_ldexp_f64 v[21:22], v[23:24], v21
	v_add_f64 v[21:22], -v[21:22], 1.0
	v_cndmask_b32_e64 v22, v33, v22, s[8:9]
	s_and_b64 s[8:9], s[10:11], s[8:9]
	v_cndmask_b32_e64 v20, v34, v22, s[10:11]
	v_cndmask_b32_e64 v19, 0, v21, s[8:9]
.LBB241_14:                             ;   in Loop: Header=BB241_4 Depth=1
	s_andn2_saveexec_b64 s[8:9], s[40:41]
	s_cbranch_execz .LBB241_16
; %bb.15:                               ;   in Loop: Header=BB241_4 Depth=1
	v_mul_f64 v[19:20], v[13:14], v[13:14]
	v_fma_f64 v[21:22], v[19:20], s[92:93], v[9:10]
	v_fma_f64 v[21:22], v[19:20], v[21:22], s[94:95]
	;; [unrolled: 1-line block ×11, first 2 shown]
	v_fma_f64 v[19:20], |v[13:14]|, v[19:20], |v[13:14]|
.LBB241_16:                             ;   in Loop: Header=BB241_4 Depth=1
	s_or_b64 exec, exec, s[8:9]
	v_cmp_nlt_f64_e64 s[8:9], |v[11:12]|, 1.0
                                        ; implicit-def: $vgpr21_vgpr22
	s_and_saveexec_b64 s[10:11], s[8:9]
	s_xor_b64 s[40:41], exec, s[10:11]
	s_cbranch_execz .LBB241_18
; %bb.17:                               ;   in Loop: Header=BB241_4 Depth=1
	s_mov_b32 s8, 0xc14b24be
	s_mov_b32 s9, 0x3c598d37
	v_fma_f64 v[21:22], |v[11:12]|, s[8:9], v[5:6]
	s_mov_b32 s8, 0xd735f9ec
	s_mov_b32 s9, 0x3d162dee
	v_fma_f64 v[21:22], |v[11:12]|, v[21:22], s[8:9]
	;; [unrolled: 3-line block ×10, first 2 shown]
	v_fma_f64 v[21:22], |v[11:12]|, v[21:22], s[44:45]
	v_fma_f64 v[21:22], |v[11:12]|, v[21:22], s[46:47]
	;; [unrolled: 1-line block ×12, first 2 shown]
	v_fma_f64 v[21:22], |v[11:12]|, v[21:22], |v[11:12]|
	v_mul_f64 v[23:24], v[21:22], s[68:69]
	v_cmp_ngt_f64_e64 s[8:9], s[34:35], v[21:22]
	v_cmp_nlt_f64_e64 s[10:11], s[36:37], v[21:22]
	v_rndne_f64_e32 v[23:24], v[23:24]
	v_fma_f64 v[25:26], v[23:24], s[70:71], -v[21:22]
	v_cvt_i32_f64_e32 v13, v[23:24]
	v_fma_f64 v[25:26], v[23:24], s[72:73], v[25:26]
	v_fma_f64 v[35:36], v[25:26], s[74:75], v[7:8]
	v_fma_f64 v[35:36], v[25:26], v[35:36], s[76:77]
	v_fma_f64 v[35:36], v[25:26], v[35:36], s[78:79]
	v_fma_f64 v[35:36], v[25:26], v[35:36], s[80:81]
	v_fma_f64 v[35:36], v[25:26], v[35:36], s[82:83]
	v_fma_f64 v[35:36], v[25:26], v[35:36], s[84:85]
	v_fma_f64 v[35:36], v[25:26], v[35:36], s[86:87]
	v_fma_f64 v[35:36], v[25:26], v[35:36], s[88:89]
	v_fma_f64 v[35:36], v[25:26], v[35:36], s[90:91]
	v_fma_f64 v[35:36], v[25:26], v[35:36], 1.0
	v_fma_f64 v[25:26], v[25:26], v[35:36], 1.0
	v_ldexp_f64 v[23:24], v[25:26], v13
	v_add_f64 v[23:24], -v[23:24], 1.0
	v_cndmask_b32_e64 v13, v33, v24, s[8:9]
	s_and_b64 s[8:9], s[10:11], s[8:9]
	v_cndmask_b32_e64 v22, v34, v13, s[10:11]
	v_cndmask_b32_e64 v21, 0, v23, s[8:9]
.LBB241_18:                             ;   in Loop: Header=BB241_4 Depth=1
	s_andn2_saveexec_b64 s[8:9], s[40:41]
	s_cbranch_execz .LBB241_20
; %bb.19:                               ;   in Loop: Header=BB241_4 Depth=1
	v_mul_f64 v[21:22], v[11:12], v[11:12]
	v_fma_f64 v[23:24], v[21:22], s[92:93], v[9:10]
	v_fma_f64 v[23:24], v[21:22], v[23:24], s[94:95]
	;; [unrolled: 1-line block ×11, first 2 shown]
	v_fma_f64 v[21:22], |v[11:12]|, v[21:22], |v[11:12]|
.LBB241_20:                             ;   in Loop: Header=BB241_4 Depth=1
	s_or_b64 exec, exec, s[8:9]
	v_cmp_nlt_f64_e64 s[8:9], |v[17:18]|, 1.0
                                        ; implicit-def: $vgpr23_vgpr24
	s_and_saveexec_b64 s[10:11], s[8:9]
	s_xor_b64 s[40:41], exec, s[10:11]
	s_cbranch_execz .LBB241_22
; %bb.21:                               ;   in Loop: Header=BB241_4 Depth=1
	s_mov_b32 s8, 0xc14b24be
	s_mov_b32 s9, 0x3c598d37
	v_fma_f64 v[23:24], |v[17:18]|, s[8:9], v[5:6]
	s_mov_b32 s8, 0xd735f9ec
	s_mov_b32 s9, 0x3d162dee
	v_fma_f64 v[23:24], |v[17:18]|, v[23:24], s[8:9]
	;; [unrolled: 3-line block ×10, first 2 shown]
	v_fma_f64 v[23:24], |v[17:18]|, v[23:24], s[44:45]
	v_fma_f64 v[23:24], |v[17:18]|, v[23:24], s[46:47]
	;; [unrolled: 1-line block ×12, first 2 shown]
	v_fma_f64 v[23:24], |v[17:18]|, v[23:24], |v[17:18]|
	v_mul_f64 v[25:26], v[23:24], s[68:69]
	v_cmp_ngt_f64_e64 s[8:9], s[34:35], v[23:24]
	v_cmp_nlt_f64_e64 s[10:11], s[36:37], v[23:24]
	v_rndne_f64_e32 v[25:26], v[25:26]
	v_fma_f64 v[35:36], v[25:26], s[70:71], -v[23:24]
	v_cvt_i32_f64_e32 v11, v[25:26]
	v_fma_f64 v[35:36], v[25:26], s[72:73], v[35:36]
	v_fma_f64 v[37:38], v[35:36], s[74:75], v[7:8]
	v_fma_f64 v[37:38], v[35:36], v[37:38], s[76:77]
	v_fma_f64 v[37:38], v[35:36], v[37:38], s[78:79]
	v_fma_f64 v[37:38], v[35:36], v[37:38], s[80:81]
	v_fma_f64 v[37:38], v[35:36], v[37:38], s[82:83]
	v_fma_f64 v[37:38], v[35:36], v[37:38], s[84:85]
	v_fma_f64 v[37:38], v[35:36], v[37:38], s[86:87]
	v_fma_f64 v[37:38], v[35:36], v[37:38], s[88:89]
	v_fma_f64 v[37:38], v[35:36], v[37:38], s[90:91]
	v_fma_f64 v[37:38], v[35:36], v[37:38], 1.0
	v_fma_f64 v[35:36], v[35:36], v[37:38], 1.0
	v_ldexp_f64 v[25:26], v[35:36], v11
	v_add_f64 v[25:26], -v[25:26], 1.0
	v_cndmask_b32_e64 v11, v33, v26, s[8:9]
	s_and_b64 s[8:9], s[10:11], s[8:9]
	v_cndmask_b32_e64 v24, v34, v11, s[10:11]
	v_cndmask_b32_e64 v23, 0, v25, s[8:9]
.LBB241_22:                             ;   in Loop: Header=BB241_4 Depth=1
	s_andn2_saveexec_b64 s[8:9], s[40:41]
	s_cbranch_execz .LBB241_24
; %bb.23:                               ;   in Loop: Header=BB241_4 Depth=1
	v_mul_f64 v[23:24], v[17:18], v[17:18]
	v_fma_f64 v[25:26], v[23:24], s[92:93], v[9:10]
	v_fma_f64 v[25:26], v[23:24], v[25:26], s[94:95]
	;; [unrolled: 1-line block ×11, first 2 shown]
	v_fma_f64 v[23:24], |v[17:18]|, v[23:24], |v[17:18]|
.LBB241_24:                             ;   in Loop: Header=BB241_4 Depth=1
	s_or_b64 exec, exec, s[8:9]
	v_cmp_nlt_f64_e64 s[8:9], |v[15:16]|, 1.0
                                        ; implicit-def: $vgpr25_vgpr26
	s_and_saveexec_b64 s[10:11], s[8:9]
	s_xor_b64 s[40:41], exec, s[10:11]
	s_cbranch_execnz .LBB241_30
; %bb.25:                               ;   in Loop: Header=BB241_4 Depth=1
	s_andn2_saveexec_b64 s[8:9], s[40:41]
	s_cbranch_execnz .LBB241_31
.LBB241_26:                             ;   in Loop: Header=BB241_4 Depth=1
	s_or_b64 exec, exec, s[8:9]
	s_and_saveexec_b64 s[8:9], vcc
	s_xor_b64 s[8:9], exec, s[8:9]
	s_cbranch_execnz .LBB241_32
.LBB241_27:                             ;   in Loop: Header=BB241_4 Depth=1
	s_or_b64 exec, exec, s[8:9]
	s_and_saveexec_b64 s[8:9], s[0:1]
	s_cbranch_execnz .LBB241_33
.LBB241_28:                             ;   in Loop: Header=BB241_4 Depth=1
	s_or_b64 exec, exec, s[8:9]
	s_and_saveexec_b64 s[0:1], s[2:3]
	s_cbranch_execnz .LBB241_34
.LBB241_29:                             ;   in Loop: Header=BB241_4 Depth=1
	s_or_b64 exec, exec, s[0:1]
	s_and_saveexec_b64 s[0:1], s[6:7]
	s_cbranch_execz .LBB241_3
	s_branch .LBB241_35
.LBB241_30:                             ;   in Loop: Header=BB241_4 Depth=1
	s_mov_b32 s8, 0xc14b24be
	s_mov_b32 s9, 0x3c598d37
	v_fma_f64 v[25:26], |v[15:16]|, s[8:9], v[5:6]
	s_mov_b32 s8, 0xd735f9ec
	s_mov_b32 s9, 0x3d162dee
	v_fma_f64 v[25:26], |v[15:16]|, v[25:26], s[8:9]
	;; [unrolled: 3-line block ×10, first 2 shown]
	v_fma_f64 v[25:26], |v[15:16]|, v[25:26], s[44:45]
	v_fma_f64 v[25:26], |v[15:16]|, v[25:26], s[46:47]
	;; [unrolled: 1-line block ×12, first 2 shown]
	v_fma_f64 v[25:26], |v[15:16]|, v[25:26], |v[15:16]|
	v_mul_f64 v[35:36], v[25:26], s[68:69]
	v_cmp_ngt_f64_e64 s[8:9], s[34:35], v[25:26]
	v_cmp_nlt_f64_e64 s[10:11], s[36:37], v[25:26]
	v_rndne_f64_e32 v[35:36], v[35:36]
	v_fma_f64 v[37:38], v[35:36], s[70:71], -v[25:26]
	v_cvt_i32_f64_e32 v11, v[35:36]
	v_fma_f64 v[37:38], v[35:36], s[72:73], v[37:38]
	v_fma_f64 v[39:40], v[37:38], s[74:75], v[7:8]
	;; [unrolled: 1-line block ×10, first 2 shown]
	v_fma_f64 v[39:40], v[37:38], v[39:40], 1.0
	v_fma_f64 v[37:38], v[37:38], v[39:40], 1.0
	v_ldexp_f64 v[35:36], v[37:38], v11
	v_add_f64 v[35:36], -v[35:36], 1.0
	v_cndmask_b32_e64 v11, v33, v36, s[8:9]
	s_and_b64 s[8:9], s[10:11], s[8:9]
	v_cndmask_b32_e64 v26, v34, v11, s[10:11]
	v_cndmask_b32_e64 v25, 0, v35, s[8:9]
	s_andn2_saveexec_b64 s[8:9], s[40:41]
	s_cbranch_execz .LBB241_26
.LBB241_31:                             ;   in Loop: Header=BB241_4 Depth=1
	v_mul_f64 v[25:26], v[15:16], v[15:16]
	v_fma_f64 v[35:36], v[25:26], s[92:93], v[9:10]
	v_fma_f64 v[35:36], v[25:26], v[35:36], s[94:95]
	;; [unrolled: 1-line block ×11, first 2 shown]
	v_fma_f64 v[25:26], |v[15:16]|, v[25:26], |v[15:16]|
	s_or_b64 exec, exec, s[8:9]
	s_and_saveexec_b64 s[8:9], vcc
	s_xor_b64 s[8:9], exec, s[8:9]
	s_cbranch_execz .LBB241_27
.LBB241_32:                             ;   in Loop: Header=BB241_4 Depth=1
	v_bfi_b32 v20, s42, v20, v14
	global_store_dwordx2 v[1:2], v[19:20], off
	s_or_b64 exec, exec, s[8:9]
	s_and_saveexec_b64 s[8:9], s[0:1]
	s_cbranch_execz .LBB241_28
.LBB241_33:                             ;   in Loop: Header=BB241_4 Depth=1
	v_bfi_b32 v22, s42, v22, v12
	global_store_dwordx2 v[3:4], v[21:22], off
	s_or_b64 exec, exec, s[8:9]
	s_and_saveexec_b64 s[0:1], s[2:3]
	s_cbranch_execz .LBB241_29
.LBB241_34:                             ;   in Loop: Header=BB241_4 Depth=1
	v_readlane_b32 s2, v41, 9
	v_add_co_u32_e32 v11, vcc, s2, v1
	v_bfi_b32 v24, s42, v24, v18
	v_addc_co_u32_e32 v12, vcc, 0, v2, vcc
	global_store_dwordx2 v[11:12], v[23:24], off
	s_or_b64 exec, exec, s[0:1]
	s_and_saveexec_b64 s[0:1], s[6:7]
	s_cbranch_execz .LBB241_3
.LBB241_35:                             ;   in Loop: Header=BB241_4 Depth=1
	v_readlane_b32 s2, v41, 8
	v_add_co_u32_e32 v11, vcc, s2, v1
	v_bfi_b32 v26, s42, v26, v16
	v_addc_co_u32_e32 v12, vcc, 0, v2, vcc
	global_store_dwordx2 v[11:12], v[25:26], off
	s_branch .LBB241_3
.LBB241_36:
	v_readlane_b32 s6, v41, 6
	v_readlane_b32 s7, v41, 7
	s_cbranch_execz .LBB241_38
	s_branch .LBB241_57
.LBB241_37:
.LBB241_38:
	v_mov_b32_e32 v1, 0x10000
	v_mov_b32_e32 v2, 0
	v_cmp_lt_i64_e32 vcc, s[6:7], v[1:2]
	v_mov_b32_e32 v2, 0
	s_and_b64 s[0:1], vcc, exec
	s_cselect_b32 s3, s7, 0
	s_cselect_b32 s2, s6, 0x10000
	v_lshlrev_b32_e32 v1, 2, v0
	v_cmp_gt_i64_e32 vcc, s[2:3], v[1:2]
	s_and_saveexec_b64 s[0:1], vcc
	s_cbranch_execz .LBB241_57
; %bb.39:
	v_readlane_b32 s0, v41, 0
	v_readlane_b32 s1, v41, 1
	s_load_dword s0, s[0:1], 0xd3c
	v_readlane_b32 s4, v41, 2
	v_readlane_b32 s5, v41, 3
	v_mov_b32_e32 v1, v2
	v_lshlrev_b32_e32 v2, 5, v0
	s_waitcnt lgkmcnt(0)
	s_and_b32 s33, s0, 0xffff
	v_readlane_b32 s0, v41, 4
	v_readlane_b32 s1, v41, 5
	s_add_u32 s0, s0, s4
	s_addc_u32 s1, s1, s5
	v_mov_b32_e32 v3, s1
	v_add_co_u32_e32 v2, vcc, s0, v2
	v_addc_co_u32_e32 v3, vcc, 0, v3, vcc
	v_add_co_u32_e32 v18, vcc, 16, v2
	s_mov_b32 s14, 0xcefddd8
	s_mov_b32 s16, 0x8c94b617
	;; [unrolled: 1-line block ×42, first 2 shown]
	v_addc_co_u32_e32 v19, vcc, 0, v3, vcc
	s_mov_b32 s15, 0x3e188b7a
	s_mov_b32 s17, 0xbe4aded4
	;; [unrolled: 1-line block ×40, first 2 shown]
	v_mov_b32_e32 v20, 0x502a41cd
	v_mov_b32_e32 v21, 0xbcc145a3
	v_mov_b32_e32 v22, 0xfca7ab0c
	v_mov_b32_e32 v23, 0x3e928af3
	v_mov_b32_e32 v26, 0xfff00000
	v_mov_b32_e32 v27, 0x3ff00000
	v_mov_b32_e32 v24, 0xdfeb1f49
	v_mov_b32_e32 v25, 0x3e4d6e3d
	s_lshl_b32 s12, s33, 5
	s_brev_b32 s13, -2
	s_mov_b32 s5, 0xc0900000
	s_mov_b32 s7, 0x4090cc00
	s_mov_b64 s[8:9], 0
	s_branch .LBB241_41
.LBB241_40:                             ;   in Loop: Header=BB241_41 Depth=1
	s_or_b64 exec, exec, s[0:1]
	v_add_co_u32_e32 v0, vcc, s33, v0
	v_addc_co_u32_e32 v1, vcc, 0, v1, vcc
	v_bfi_b32 v15, s13, v15, v3
	v_lshlrev_b64 v[2:3], 2, v[0:1]
	v_bfi_b32 v13, s13, v13, v9
	v_cmp_le_i64_e32 vcc, s[2:3], v[2:3]
	v_bfi_b32 v11, s13, v11, v7
	v_bfi_b32 v17, s13, v17, v5
	global_store_dwordx4 v[18:19], v[10:13], off offset:-16
	global_store_dwordx4 v[18:19], v[14:17], off
	s_or_b64 s[8:9], vcc, s[8:9]
	v_add_co_u32_e32 v18, vcc, s12, v18
	v_addc_co_u32_e32 v19, vcc, 0, v19, vcc
	s_andn2_b64 exec, exec, s[8:9]
	s_cbranch_execz .LBB241_57
.LBB241_41:                             ; =>This Inner Loop Header: Depth=1
	global_load_dwordx4 v[6:9], v[18:19], off offset:-16
	global_load_dwordx4 v[2:5], v[18:19], off
                                        ; implicit-def: $vgpr10_vgpr11
	s_waitcnt vmcnt(1)
	v_cmp_nlt_f64_e64 s[0:1], |v[6:7]|, 1.0
	s_and_saveexec_b64 s[10:11], s[0:1]
	s_xor_b64 s[10:11], exec, s[10:11]
	s_cbranch_execz .LBB241_43
; %bb.42:                               ;   in Loop: Header=BB241_41 Depth=1
	s_mov_b32 s0, 0xc14b24be
	s_mov_b32 s1, 0x3c598d37
	v_fma_f64 v[10:11], |v[6:7]|, s[0:1], v[20:21]
	s_mov_b32 s0, 0xd735f9ec
	s_mov_b32 s1, 0x3d162dee
	v_fma_f64 v[10:11], |v[6:7]|, v[10:11], s[0:1]
	;; [unrolled: 3-line block ×5, first 2 shown]
	v_fma_f64 v[10:11], |v[6:7]|, v[10:11], s[14:15]
	v_fma_f64 v[10:11], |v[6:7]|, v[10:11], s[16:17]
	;; [unrolled: 1-line block ×17, first 2 shown]
	v_fma_f64 v[10:11], |v[6:7]|, v[10:11], |v[6:7]|
	v_mul_f64 v[12:13], v[10:11], s[50:51]
	v_cmp_ngt_f64_e32 vcc, s[4:5], v[10:11]
	v_cmp_nlt_f64_e64 s[0:1], s[6:7], v[10:11]
	v_rndne_f64_e32 v[12:13], v[12:13]
	v_fma_f64 v[14:15], v[12:13], s[52:53], -v[10:11]
	v_fma_f64 v[14:15], v[12:13], s[54:55], v[14:15]
	v_cvt_i32_f64_e32 v12, v[12:13]
	v_fma_f64 v[16:17], v[14:15], s[56:57], v[22:23]
	v_fma_f64 v[16:17], v[14:15], v[16:17], s[58:59]
	;; [unrolled: 1-line block ×9, first 2 shown]
	v_fma_f64 v[16:17], v[14:15], v[16:17], 1.0
	v_fma_f64 v[14:15], v[14:15], v[16:17], 1.0
	v_ldexp_f64 v[12:13], v[14:15], v12
	v_add_f64 v[12:13], -v[12:13], 1.0
	v_cndmask_b32_e32 v13, v26, v13, vcc
	s_and_b64 vcc, s[0:1], vcc
	v_cndmask_b32_e64 v11, v27, v13, s[0:1]
	v_cndmask_b32_e32 v10, 0, v12, vcc
.LBB241_43:                             ;   in Loop: Header=BB241_41 Depth=1
	s_andn2_saveexec_b64 s[0:1], s[10:11]
	s_cbranch_execz .LBB241_45
; %bb.44:                               ;   in Loop: Header=BB241_41 Depth=1
	v_mul_f64 v[10:11], v[6:7], v[6:7]
	v_fma_f64 v[12:13], v[10:11], s[74:75], v[24:25]
	v_fma_f64 v[12:13], v[10:11], v[12:13], s[76:77]
	;; [unrolled: 1-line block ×11, first 2 shown]
	v_fma_f64 v[10:11], |v[6:7]|, v[10:11], |v[6:7]|
.LBB241_45:                             ;   in Loop: Header=BB241_41 Depth=1
	s_or_b64 exec, exec, s[0:1]
	v_cmp_nlt_f64_e64 s[0:1], |v[8:9]|, 1.0
	s_and_saveexec_b64 s[10:11], s[0:1]
	s_xor_b64 s[10:11], exec, s[10:11]
	s_cbranch_execz .LBB241_47
; %bb.46:                               ;   in Loop: Header=BB241_41 Depth=1
	s_mov_b32 s0, 0xc14b24be
	s_mov_b32 s1, 0x3c598d37
	v_fma_f64 v[12:13], |v[8:9]|, s[0:1], v[20:21]
	s_mov_b32 s0, 0xd735f9ec
	s_mov_b32 s1, 0x3d162dee
	v_fma_f64 v[12:13], |v[8:9]|, v[12:13], s[0:1]
	;; [unrolled: 3-line block ×5, first 2 shown]
	v_fma_f64 v[12:13], |v[8:9]|, v[12:13], s[14:15]
	v_fma_f64 v[12:13], |v[8:9]|, v[12:13], s[16:17]
	;; [unrolled: 1-line block ×17, first 2 shown]
	v_fma_f64 v[12:13], |v[8:9]|, v[12:13], |v[8:9]|
	v_mul_f64 v[14:15], v[12:13], s[50:51]
	v_cmp_ngt_f64_e32 vcc, s[4:5], v[12:13]
	v_cmp_nlt_f64_e64 s[0:1], s[6:7], v[12:13]
	v_rndne_f64_e32 v[14:15], v[14:15]
	v_fma_f64 v[16:17], v[14:15], s[52:53], -v[12:13]
	v_cvt_i32_f64_e32 v6, v[14:15]
	v_fma_f64 v[16:17], v[14:15], s[54:55], v[16:17]
	v_fma_f64 v[28:29], v[16:17], s[56:57], v[22:23]
	;; [unrolled: 1-line block ×10, first 2 shown]
	v_fma_f64 v[28:29], v[16:17], v[28:29], 1.0
	v_fma_f64 v[16:17], v[16:17], v[28:29], 1.0
	v_ldexp_f64 v[14:15], v[16:17], v6
	v_add_f64 v[14:15], -v[14:15], 1.0
	v_cndmask_b32_e32 v6, v26, v15, vcc
	s_and_b64 vcc, s[0:1], vcc
	v_cndmask_b32_e64 v13, v27, v6, s[0:1]
	v_cndmask_b32_e32 v12, 0, v14, vcc
.LBB241_47:                             ;   in Loop: Header=BB241_41 Depth=1
	s_andn2_saveexec_b64 s[0:1], s[10:11]
	s_cbranch_execz .LBB241_49
; %bb.48:                               ;   in Loop: Header=BB241_41 Depth=1
	v_mul_f64 v[12:13], v[8:9], v[8:9]
	v_fma_f64 v[14:15], v[12:13], s[74:75], v[24:25]
	v_fma_f64 v[14:15], v[12:13], v[14:15], s[76:77]
	;; [unrolled: 1-line block ×11, first 2 shown]
	v_fma_f64 v[12:13], |v[8:9]|, v[12:13], |v[8:9]|
.LBB241_49:                             ;   in Loop: Header=BB241_41 Depth=1
	s_or_b64 exec, exec, s[0:1]
	s_waitcnt vmcnt(0)
	v_cmp_nlt_f64_e64 s[0:1], |v[2:3]|, 1.0
                                        ; implicit-def: $vgpr14_vgpr15
	s_and_saveexec_b64 s[10:11], s[0:1]
	s_xor_b64 s[10:11], exec, s[10:11]
	s_cbranch_execz .LBB241_51
; %bb.50:                               ;   in Loop: Header=BB241_41 Depth=1
	s_mov_b32 s0, 0xc14b24be
	s_mov_b32 s1, 0x3c598d37
	v_fma_f64 v[14:15], |v[2:3]|, s[0:1], v[20:21]
	s_mov_b32 s0, 0xd735f9ec
	s_mov_b32 s1, 0x3d162dee
	v_fma_f64 v[14:15], |v[2:3]|, v[14:15], s[0:1]
	;; [unrolled: 3-line block ×5, first 2 shown]
	v_fma_f64 v[14:15], |v[2:3]|, v[14:15], s[14:15]
	v_fma_f64 v[14:15], |v[2:3]|, v[14:15], s[16:17]
	;; [unrolled: 1-line block ×17, first 2 shown]
	v_fma_f64 v[14:15], |v[2:3]|, v[14:15], |v[2:3]|
	v_mul_f64 v[16:17], v[14:15], s[50:51]
	v_cmp_ngt_f64_e32 vcc, s[4:5], v[14:15]
	v_cmp_nlt_f64_e64 s[0:1], s[6:7], v[14:15]
	v_rndne_f64_e32 v[16:17], v[16:17]
	v_fma_f64 v[28:29], v[16:17], s[52:53], -v[14:15]
	v_cvt_i32_f64_e32 v6, v[16:17]
	v_fma_f64 v[28:29], v[16:17], s[54:55], v[28:29]
	v_fma_f64 v[30:31], v[28:29], s[56:57], v[22:23]
	;; [unrolled: 1-line block ×10, first 2 shown]
	v_fma_f64 v[30:31], v[28:29], v[30:31], 1.0
	v_fma_f64 v[28:29], v[28:29], v[30:31], 1.0
	v_ldexp_f64 v[16:17], v[28:29], v6
	v_add_f64 v[16:17], -v[16:17], 1.0
	v_cndmask_b32_e32 v6, v26, v17, vcc
	s_and_b64 vcc, s[0:1], vcc
	v_cndmask_b32_e64 v15, v27, v6, s[0:1]
	v_cndmask_b32_e32 v14, 0, v16, vcc
.LBB241_51:                             ;   in Loop: Header=BB241_41 Depth=1
	s_andn2_saveexec_b64 s[0:1], s[10:11]
	s_cbranch_execz .LBB241_53
; %bb.52:                               ;   in Loop: Header=BB241_41 Depth=1
	v_mul_f64 v[14:15], v[2:3], v[2:3]
	v_fma_f64 v[16:17], v[14:15], s[74:75], v[24:25]
	v_fma_f64 v[16:17], v[14:15], v[16:17], s[76:77]
	;; [unrolled: 1-line block ×11, first 2 shown]
	v_fma_f64 v[14:15], |v[2:3]|, v[14:15], |v[2:3]|
.LBB241_53:                             ;   in Loop: Header=BB241_41 Depth=1
	s_or_b64 exec, exec, s[0:1]
	v_cmp_nlt_f64_e64 s[0:1], |v[4:5]|, 1.0
	s_and_saveexec_b64 s[10:11], s[0:1]
	s_xor_b64 s[10:11], exec, s[10:11]
	s_cbranch_execz .LBB241_55
; %bb.54:                               ;   in Loop: Header=BB241_41 Depth=1
	s_mov_b32 s0, 0xc14b24be
	s_mov_b32 s1, 0x3c598d37
	v_fma_f64 v[16:17], |v[4:5]|, s[0:1], v[20:21]
	s_mov_b32 s0, 0xd735f9ec
	s_mov_b32 s1, 0x3d162dee
	v_fma_f64 v[16:17], |v[4:5]|, v[16:17], s[0:1]
	;; [unrolled: 3-line block ×5, first 2 shown]
	v_fma_f64 v[16:17], |v[4:5]|, v[16:17], s[14:15]
	v_fma_f64 v[16:17], |v[4:5]|, v[16:17], s[16:17]
	;; [unrolled: 1-line block ×17, first 2 shown]
	v_fma_f64 v[16:17], |v[4:5]|, v[16:17], |v[4:5]|
	v_mul_f64 v[28:29], v[16:17], s[50:51]
	v_cmp_ngt_f64_e32 vcc, s[4:5], v[16:17]
	v_cmp_nlt_f64_e64 s[0:1], s[6:7], v[16:17]
	v_rndne_f64_e32 v[28:29], v[28:29]
	v_fma_f64 v[30:31], v[28:29], s[52:53], -v[16:17]
	v_cvt_i32_f64_e32 v2, v[28:29]
	v_fma_f64 v[30:31], v[28:29], s[54:55], v[30:31]
	v_fma_f64 v[32:33], v[30:31], s[56:57], v[22:23]
	;; [unrolled: 1-line block ×10, first 2 shown]
	v_fma_f64 v[32:33], v[30:31], v[32:33], 1.0
	v_fma_f64 v[30:31], v[30:31], v[32:33], 1.0
	v_ldexp_f64 v[28:29], v[30:31], v2
	v_add_f64 v[28:29], -v[28:29], 1.0
	v_cndmask_b32_e32 v2, v26, v29, vcc
	s_and_b64 vcc, s[0:1], vcc
	v_cndmask_b32_e64 v17, v27, v2, s[0:1]
	v_cndmask_b32_e32 v16, 0, v28, vcc
.LBB241_55:                             ;   in Loop: Header=BB241_41 Depth=1
	s_andn2_saveexec_b64 s[0:1], s[10:11]
	s_cbranch_execz .LBB241_40
; %bb.56:                               ;   in Loop: Header=BB241_41 Depth=1
	v_mul_f64 v[16:17], v[4:5], v[4:5]
	v_fma_f64 v[28:29], v[16:17], s[74:75], v[24:25]
	v_fma_f64 v[28:29], v[16:17], v[28:29], s[76:77]
	;; [unrolled: 1-line block ×11, first 2 shown]
	v_fma_f64 v[16:17], |v[4:5]|, v[16:17], |v[4:5]|
	s_branch .LBB241_40
.LBB241_57:
	s_endpgm
	.section	.rodata,"a",@progbits
	.p2align	6, 0x0
	.amdhsa_kernel _ZN2at6native12_GLOBAL__N_125multi_tensor_apply_kernelINS1_18TensorListMetadataILi1EEENS1_14UnaryOpFunctorIdLi1ELi1ELi0EEEJNS0_3ErfIdEEEEEvT_T0_DpT1_
		.amdhsa_group_segment_fixed_size 0
		.amdhsa_private_segment_fixed_size 0
		.amdhsa_kernarg_size 3632
		.amdhsa_user_sgpr_count 6
		.amdhsa_user_sgpr_private_segment_buffer 1
		.amdhsa_user_sgpr_dispatch_ptr 0
		.amdhsa_user_sgpr_queue_ptr 0
		.amdhsa_user_sgpr_kernarg_segment_ptr 1
		.amdhsa_user_sgpr_dispatch_id 0
		.amdhsa_user_sgpr_flat_scratch_init 0
		.amdhsa_user_sgpr_private_segment_size 0
		.amdhsa_uses_dynamic_stack 0
		.amdhsa_system_sgpr_private_segment_wavefront_offset 0
		.amdhsa_system_sgpr_workgroup_id_x 1
		.amdhsa_system_sgpr_workgroup_id_y 0
		.amdhsa_system_sgpr_workgroup_id_z 0
		.amdhsa_system_sgpr_workgroup_info 0
		.amdhsa_system_vgpr_workitem_id 0
		.amdhsa_next_free_vgpr 42
		.amdhsa_next_free_sgpr 96
		.amdhsa_reserve_vcc 1
		.amdhsa_reserve_flat_scratch 0
		.amdhsa_float_round_mode_32 0
		.amdhsa_float_round_mode_16_64 0
		.amdhsa_float_denorm_mode_32 3
		.amdhsa_float_denorm_mode_16_64 3
		.amdhsa_dx10_clamp 1
		.amdhsa_ieee_mode 1
		.amdhsa_fp16_overflow 0
		.amdhsa_exception_fp_ieee_invalid_op 0
		.amdhsa_exception_fp_denorm_src 0
		.amdhsa_exception_fp_ieee_div_zero 0
		.amdhsa_exception_fp_ieee_overflow 0
		.amdhsa_exception_fp_ieee_underflow 0
		.amdhsa_exception_fp_ieee_inexact 0
		.amdhsa_exception_int_div_zero 0
	.end_amdhsa_kernel
	.section	.text._ZN2at6native12_GLOBAL__N_125multi_tensor_apply_kernelINS1_18TensorListMetadataILi1EEENS1_14UnaryOpFunctorIdLi1ELi1ELi0EEEJNS0_3ErfIdEEEEEvT_T0_DpT1_,"axG",@progbits,_ZN2at6native12_GLOBAL__N_125multi_tensor_apply_kernelINS1_18TensorListMetadataILi1EEENS1_14UnaryOpFunctorIdLi1ELi1ELi0EEEJNS0_3ErfIdEEEEEvT_T0_DpT1_,comdat
.Lfunc_end241:
	.size	_ZN2at6native12_GLOBAL__N_125multi_tensor_apply_kernelINS1_18TensorListMetadataILi1EEENS1_14UnaryOpFunctorIdLi1ELi1ELi0EEEJNS0_3ErfIdEEEEEvT_T0_DpT1_, .Lfunc_end241-_ZN2at6native12_GLOBAL__N_125multi_tensor_apply_kernelINS1_18TensorListMetadataILi1EEENS1_14UnaryOpFunctorIdLi1ELi1ELi0EEEJNS0_3ErfIdEEEEEvT_T0_DpT1_
                                        ; -- End function
	.set _ZN2at6native12_GLOBAL__N_125multi_tensor_apply_kernelINS1_18TensorListMetadataILi1EEENS1_14UnaryOpFunctorIdLi1ELi1ELi0EEEJNS0_3ErfIdEEEEEvT_T0_DpT1_.num_vgpr, 42
	.set _ZN2at6native12_GLOBAL__N_125multi_tensor_apply_kernelINS1_18TensorListMetadataILi1EEENS1_14UnaryOpFunctorIdLi1ELi1ELi0EEEJNS0_3ErfIdEEEEEvT_T0_DpT1_.num_agpr, 0
	.set _ZN2at6native12_GLOBAL__N_125multi_tensor_apply_kernelINS1_18TensorListMetadataILi1EEENS1_14UnaryOpFunctorIdLi1ELi1ELi0EEEJNS0_3ErfIdEEEEEvT_T0_DpT1_.numbered_sgpr, 96
	.set _ZN2at6native12_GLOBAL__N_125multi_tensor_apply_kernelINS1_18TensorListMetadataILi1EEENS1_14UnaryOpFunctorIdLi1ELi1ELi0EEEJNS0_3ErfIdEEEEEvT_T0_DpT1_.num_named_barrier, 0
	.set _ZN2at6native12_GLOBAL__N_125multi_tensor_apply_kernelINS1_18TensorListMetadataILi1EEENS1_14UnaryOpFunctorIdLi1ELi1ELi0EEEJNS0_3ErfIdEEEEEvT_T0_DpT1_.private_seg_size, 0
	.set _ZN2at6native12_GLOBAL__N_125multi_tensor_apply_kernelINS1_18TensorListMetadataILi1EEENS1_14UnaryOpFunctorIdLi1ELi1ELi0EEEJNS0_3ErfIdEEEEEvT_T0_DpT1_.uses_vcc, 1
	.set _ZN2at6native12_GLOBAL__N_125multi_tensor_apply_kernelINS1_18TensorListMetadataILi1EEENS1_14UnaryOpFunctorIdLi1ELi1ELi0EEEJNS0_3ErfIdEEEEEvT_T0_DpT1_.uses_flat_scratch, 0
	.set _ZN2at6native12_GLOBAL__N_125multi_tensor_apply_kernelINS1_18TensorListMetadataILi1EEENS1_14UnaryOpFunctorIdLi1ELi1ELi0EEEJNS0_3ErfIdEEEEEvT_T0_DpT1_.has_dyn_sized_stack, 0
	.set _ZN2at6native12_GLOBAL__N_125multi_tensor_apply_kernelINS1_18TensorListMetadataILi1EEENS1_14UnaryOpFunctorIdLi1ELi1ELi0EEEJNS0_3ErfIdEEEEEvT_T0_DpT1_.has_recursion, 0
	.set _ZN2at6native12_GLOBAL__N_125multi_tensor_apply_kernelINS1_18TensorListMetadataILi1EEENS1_14UnaryOpFunctorIdLi1ELi1ELi0EEEJNS0_3ErfIdEEEEEvT_T0_DpT1_.has_indirect_call, 0
	.section	.AMDGPU.csdata,"",@progbits
; Kernel info:
; codeLenInByte = 7592
; TotalNumSgprs: 100
; NumVgprs: 42
; ScratchSize: 0
; MemoryBound: 1
; FloatMode: 240
; IeeeMode: 1
; LDSByteSize: 0 bytes/workgroup (compile time only)
; SGPRBlocks: 12
; VGPRBlocks: 10
; NumSGPRsForWavesPerEU: 100
; NumVGPRsForWavesPerEU: 42
; Occupancy: 5
; WaveLimiterHint : 0
; COMPUTE_PGM_RSRC2:SCRATCH_EN: 0
; COMPUTE_PGM_RSRC2:USER_SGPR: 6
; COMPUTE_PGM_RSRC2:TRAP_HANDLER: 0
; COMPUTE_PGM_RSRC2:TGID_X_EN: 1
; COMPUTE_PGM_RSRC2:TGID_Y_EN: 0
; COMPUTE_PGM_RSRC2:TGID_Z_EN: 0
; COMPUTE_PGM_RSRC2:TIDIG_COMP_CNT: 0
	.section	.text._ZN2at6native12_GLOBAL__N_125multi_tensor_apply_kernelINS1_18TensorListMetadataILi1EEENS1_14UnaryOpFunctorIfLi1ELi1ELi0EEEJNS0_3ErfIfEEEEEvT_T0_DpT1_,"axG",@progbits,_ZN2at6native12_GLOBAL__N_125multi_tensor_apply_kernelINS1_18TensorListMetadataILi1EEENS1_14UnaryOpFunctorIfLi1ELi1ELi0EEEJNS0_3ErfIfEEEEEvT_T0_DpT1_,comdat
	.globl	_ZN2at6native12_GLOBAL__N_125multi_tensor_apply_kernelINS1_18TensorListMetadataILi1EEENS1_14UnaryOpFunctorIfLi1ELi1ELi0EEEJNS0_3ErfIfEEEEEvT_T0_DpT1_ ; -- Begin function _ZN2at6native12_GLOBAL__N_125multi_tensor_apply_kernelINS1_18TensorListMetadataILi1EEENS1_14UnaryOpFunctorIfLi1ELi1ELi0EEEJNS0_3ErfIfEEEEEvT_T0_DpT1_
	.p2align	8
	.type	_ZN2at6native12_GLOBAL__N_125multi_tensor_apply_kernelINS1_18TensorListMetadataILi1EEENS1_14UnaryOpFunctorIfLi1ELi1ELi0EEEJNS0_3ErfIfEEEEEvT_T0_DpT1_,@function
_ZN2at6native12_GLOBAL__N_125multi_tensor_apply_kernelINS1_18TensorListMetadataILi1EEENS1_14UnaryOpFunctorIfLi1ELi1ELi0EEEJNS0_3ErfIfEEEEEvT_T0_DpT1_: ; @_ZN2at6native12_GLOBAL__N_125multi_tensor_apply_kernelINS1_18TensorListMetadataILi1EEENS1_14UnaryOpFunctorIfLi1ELi1ELi0EEEJNS0_3ErfIfEEEEEvT_T0_DpT1_
; %bb.0:
	v_mov_b32_e32 v1, s6
	global_load_ubyte v1, v1, s[4:5] offset:1760
	s_add_u32 s0, s4, s6
	s_mul_hi_u32 s1, s6, 3
	s_mul_i32 s6, s6, 3
	s_addc_u32 s2, s5, 0
	s_add_u32 s0, s0, s6
	s_addc_u32 s1, s2, s1
	s_load_dword s0, s[0:1], 0x820
	s_mov_b32 s7, 0
	s_waitcnt vmcnt(0)
	v_readfirstlane_b32 s1, v1
	s_lshl_b32 s1, s1, 3
	s_load_dwordx2 s[2:3], s[4:5], s1 offset:0x370
	s_load_dwordx2 s[10:11], s[4:5], s1 offset:0x0
	s_waitcnt lgkmcnt(0)
	s_ashr_i32 s1, s0, 31
	s_lshl_b64 s[12:13], s[0:1], 18
	s_lshl_b64 s[0:1], s[0:1], 16
	s_and_b32 s6, s10, 15
	s_sub_u32 s14, s2, s0
	s_subb_u32 s15, s3, s1
	s_and_b32 s0, s2, 3
	s_mov_b32 s1, s7
	s_or_b64 s[0:1], s[6:7], s[0:1]
	s_cmp_eq_u64 s[0:1], 0
	s_cbranch_scc1 .LBB242_37
; %bb.1:
	v_cmp_lt_i64_e64 s[0:1], s[14:15], 1
	s_and_b64 vcc, exec, s[0:1]
	s_cbranch_vccnz .LBB242_36
; %bb.2:
	v_mov_b32_e32 v1, 0x10000
	s_load_dword s2, s[4:5], 0xd3c
	v_mov_b32_e32 v2, 0
	v_cmp_lt_i64_e32 vcc, s[14:15], v[1:2]
	s_mov_b64 s[20:21], 0
	s_and_b64 s[0:1], vcc, exec
	v_cmp_lt_u64_e32 vcc, s[14:15], v[1:2]
	s_cselect_b32 s17, s15, 0
	s_cselect_b32 s16, s14, 0x10000
	s_waitcnt lgkmcnt(0)
	s_and_b32 s2, s2, 0xffff
	s_and_b64 s[0:1], vcc, exec
	s_cselect_b32 s19, s15, 0
	s_cselect_b32 s18, s14, 0x10000
	s_lshl_b32 s3, s2, 1
	s_lshl_b32 s24, s2, 2
	s_add_u32 s6, s10, s12
	v_lshlrev_b32_e32 v1, 2, v0
	s_addc_u32 s7, s11, s13
	v_mov_b32_e32 v2, s7
	v_add_co_u32_e32 v1, vcc, s6, v1
	s_mul_i32 s0, s2, 3
	v_addc_co_u32_e32 v2, vcc, 0, v2, vcc
	v_add_co_u32_e32 v5, vcc, s0, v0
	v_addc_co_u32_e64 v6, s[0:1], 0, 0, vcc
	v_add_co_u32_e32 v7, vcc, s3, v0
	v_addc_co_u32_e64 v8, s[0:1], 0, 0, vcc
	v_add_co_u32_e32 v9, vcc, s2, v0
	v_lshlrev_b32_e32 v3, 2, v9
	v_addc_co_u32_e64 v10, s[0:1], 0, 0, vcc
	v_mov_b32_e32 v4, s7
	v_add_co_u32_e32 v3, vcc, s6, v3
	s_lshl_b32 s25, s2, 4
	s_mul_i32 s26, s2, 12
	s_lshl_b32 s27, s2, 3
	v_addc_co_u32_e32 v4, vcc, 0, v4, vcc
	s_mov_b32 s28, 0x378e98ab
	s_mov_b32 s29, 0x3b7cd369
	;; [unrolled: 1-line block ×9, first 2 shown]
	v_mov_b32_e32 v11, 0xbcdac9b8
	v_mov_b32_e32 v12, 0x3de703be
	;; [unrolled: 1-line block ×4, first 2 shown]
	s_brev_b32 s38, -2
	v_mov_b32_e32 v15, 0xb9c68948
	v_mov_b32_e32 v16, 0x7f800000
	s_branch .LBB242_4
.LBB242_3:                              ;   in Loop: Header=BB242_4 Depth=1
	s_or_b64 exec, exec, s[0:1]
	s_add_u32 s20, s20, s24
	v_add_co_u32_e32 v1, vcc, s25, v1
	v_mov_b32_e32 v18, s17
	s_addc_u32 s21, s21, 0
	v_addc_co_u32_e32 v2, vcc, 0, v2, vcc
	v_mov_b32_e32 v17, s16
	v_cmp_ge_i64_e32 vcc, s[20:21], v[17:18]
	v_add_co_u32_e64 v3, s[0:1], s25, v3
	v_addc_co_u32_e64 v4, s[0:1], 0, v4, s[0:1]
	s_cbranch_vccnz .LBB242_36
.LBB242_4:                              ; =>This Inner Loop Header: Depth=1
	v_mov_b32_e32 v18, s21
	v_add_co_u32_e32 v17, vcc, s20, v0
	v_addc_co_u32_e32 v18, vcc, 0, v18, vcc
	v_cmp_gt_u64_e32 vcc, s[18:19], v[17:18]
	v_mov_b32_e32 v17, 0
	s_and_saveexec_b64 s[0:1], vcc
	s_cbranch_execz .LBB242_6
; %bb.5:                                ;   in Loop: Header=BB242_4 Depth=1
	global_load_dword v17, v[1:2], off
.LBB242_6:                              ;   in Loop: Header=BB242_4 Depth=1
	s_or_b64 exec, exec, s[0:1]
	v_mov_b32_e32 v19, s21
	v_add_co_u32_e64 v18, s[0:1], s20, v9
	v_addc_co_u32_e64 v19, s[0:1], v10, v19, s[0:1]
	v_cmp_gt_u64_e64 s[0:1], s[18:19], v[18:19]
	v_mov_b32_e32 v18, 0
	v_mov_b32_e32 v19, 0
	s_and_saveexec_b64 s[2:3], s[0:1]
	s_cbranch_execz .LBB242_8
; %bb.7:                                ;   in Loop: Header=BB242_4 Depth=1
	global_load_dword v19, v[3:4], off
.LBB242_8:                              ;   in Loop: Header=BB242_4 Depth=1
	s_or_b64 exec, exec, s[2:3]
	v_mov_b32_e32 v21, s21
	v_add_co_u32_e64 v20, s[2:3], s20, v7
	v_addc_co_u32_e64 v21, s[2:3], v8, v21, s[2:3]
	v_cmp_gt_u64_e64 s[2:3], s[18:19], v[20:21]
	s_and_saveexec_b64 s[8:9], s[2:3]
	s_cbranch_execz .LBB242_10
; %bb.9:                                ;   in Loop: Header=BB242_4 Depth=1
	v_add_co_u32_e64 v20, s[6:7], s27, v1
	v_addc_co_u32_e64 v21, s[6:7], 0, v2, s[6:7]
	global_load_dword v18, v[20:21], off
.LBB242_10:                             ;   in Loop: Header=BB242_4 Depth=1
	s_or_b64 exec, exec, s[8:9]
	v_mov_b32_e32 v21, s21
	v_add_co_u32_e64 v20, s[6:7], s20, v5
	v_addc_co_u32_e64 v21, s[6:7], v6, v21, s[6:7]
	v_cmp_gt_u64_e64 s[6:7], s[18:19], v[20:21]
	v_mov_b32_e32 v20, 0
	s_and_saveexec_b64 s[22:23], s[6:7]
	s_cbranch_execz .LBB242_12
; %bb.11:                               ;   in Loop: Header=BB242_4 Depth=1
	v_add_co_u32_e64 v20, s[8:9], s26, v1
	v_addc_co_u32_e64 v21, s[8:9], 0, v2, s[8:9]
	global_load_dword v20, v[20:21], off
.LBB242_12:                             ;   in Loop: Header=BB242_4 Depth=1
	s_or_b64 exec, exec, s[22:23]
	s_waitcnt vmcnt(0)
	v_cmp_nlt_f32_e64 s[8:9], |v17|, 1.0
                                        ; implicit-def: $vgpr21
	s_and_saveexec_b64 s[22:23], s[8:9]
	s_xor_b64 s[22:23], exec, s[22:23]
	s_cbranch_execz .LBB242_14
; %bb.13:                               ;   in Loop: Header=BB242_4 Depth=1
	v_fma_f32 v21, |v17|, s28, v15
	v_fma_f32 v21, |v17|, v21, s29
	;; [unrolled: 1-line block ×6, first 2 shown]
	v_fma_f32 v21, |v17|, v21, |v17|
	v_mul_f32_e32 v22, 0xbfb8aa3b, v21
	v_fma_f32 v23, v21, s35, -v22
	v_rndne_f32_e32 v24, v22
	v_fmac_f32_e32 v23, 0xb2a5705f, v21
	v_sub_f32_e32 v22, v22, v24
	v_add_f32_e32 v22, v22, v23
	v_cvt_i32_f32_e32 v23, v24
	v_exp_f32_e32 v22, v22
	v_cmp_nlt_f32_e64 s[8:9], s36, v21
	v_ldexp_f32 v22, v22, v23
	v_cndmask_b32_e64 v22, 0, v22, s[8:9]
	v_cmp_ngt_f32_e64 s[8:9], s37, v21
	v_cndmask_b32_e64 v21, v16, v22, s[8:9]
	v_sub_f32_e32 v21, 1.0, v21
.LBB242_14:                             ;   in Loop: Header=BB242_4 Depth=1
	s_andn2_saveexec_b64 s[8:9], s[22:23]
; %bb.15:                               ;   in Loop: Header=BB242_4 Depth=1
	v_mul_f32_e32 v21, v17, v17
	v_mov_b32_e32 v22, 0x3ba10414
	v_fmac_f32_e32 v22, 0xba1345e1, v21
	v_fma_f32 v22, v21, v22, v11
	v_fma_f32 v22, v21, v22, v12
	;; [unrolled: 1-line block ×4, first 2 shown]
	v_fma_f32 v21, |v17|, v21, |v17|
; %bb.16:                               ;   in Loop: Header=BB242_4 Depth=1
	s_or_b64 exec, exec, s[8:9]
	v_cmp_nlt_f32_e64 s[8:9], |v19|, 1.0
                                        ; implicit-def: $vgpr22
	s_and_saveexec_b64 s[22:23], s[8:9]
	s_xor_b64 s[22:23], exec, s[22:23]
	s_cbranch_execz .LBB242_18
; %bb.17:                               ;   in Loop: Header=BB242_4 Depth=1
	v_fma_f32 v22, |v19|, s28, v15
	v_fma_f32 v22, |v19|, v22, s29
	v_fma_f32 v22, |v19|, v22, s30
	v_fma_f32 v22, |v19|, v22, s31
	v_fma_f32 v22, |v19|, v22, s33
	v_fma_f32 v22, |v19|, v22, s34
	v_fma_f32 v22, |v19|, v22, |v19|
	v_mul_f32_e32 v23, 0xbfb8aa3b, v22
	v_fma_f32 v24, v22, s35, -v23
	v_rndne_f32_e32 v25, v23
	v_fmac_f32_e32 v24, 0xb2a5705f, v22
	v_sub_f32_e32 v23, v23, v25
	v_add_f32_e32 v23, v23, v24
	v_cvt_i32_f32_e32 v24, v25
	v_exp_f32_e32 v23, v23
	v_cmp_nlt_f32_e64 s[8:9], s36, v22
	v_ldexp_f32 v23, v23, v24
	v_cndmask_b32_e64 v23, 0, v23, s[8:9]
	v_cmp_ngt_f32_e64 s[8:9], s37, v22
	v_cndmask_b32_e64 v22, v16, v23, s[8:9]
	v_sub_f32_e32 v22, 1.0, v22
.LBB242_18:                             ;   in Loop: Header=BB242_4 Depth=1
	s_andn2_saveexec_b64 s[8:9], s[22:23]
; %bb.19:                               ;   in Loop: Header=BB242_4 Depth=1
	v_mul_f32_e32 v22, v19, v19
	v_mov_b32_e32 v23, 0x3ba10414
	v_fmac_f32_e32 v23, 0xba1345e1, v22
	v_fma_f32 v23, v22, v23, v11
	v_fma_f32 v23, v22, v23, v12
	;; [unrolled: 1-line block ×4, first 2 shown]
	v_fma_f32 v22, |v19|, v22, |v19|
; %bb.20:                               ;   in Loop: Header=BB242_4 Depth=1
	s_or_b64 exec, exec, s[8:9]
	v_cmp_nlt_f32_e64 s[8:9], |v18|, 1.0
                                        ; implicit-def: $vgpr23
	s_and_saveexec_b64 s[22:23], s[8:9]
	s_xor_b64 s[22:23], exec, s[22:23]
	s_cbranch_execz .LBB242_22
; %bb.21:                               ;   in Loop: Header=BB242_4 Depth=1
	v_fma_f32 v23, |v18|, s28, v15
	v_fma_f32 v23, |v18|, v23, s29
	;; [unrolled: 1-line block ×6, first 2 shown]
	v_fma_f32 v23, |v18|, v23, |v18|
	v_mul_f32_e32 v24, 0xbfb8aa3b, v23
	v_fma_f32 v25, v23, s35, -v24
	v_rndne_f32_e32 v26, v24
	v_fmac_f32_e32 v25, 0xb2a5705f, v23
	v_sub_f32_e32 v24, v24, v26
	v_add_f32_e32 v24, v24, v25
	v_cvt_i32_f32_e32 v25, v26
	v_exp_f32_e32 v24, v24
	v_cmp_nlt_f32_e64 s[8:9], s36, v23
	v_ldexp_f32 v24, v24, v25
	v_cndmask_b32_e64 v24, 0, v24, s[8:9]
	v_cmp_ngt_f32_e64 s[8:9], s37, v23
	v_cndmask_b32_e64 v23, v16, v24, s[8:9]
	v_sub_f32_e32 v23, 1.0, v23
.LBB242_22:                             ;   in Loop: Header=BB242_4 Depth=1
	s_andn2_saveexec_b64 s[8:9], s[22:23]
; %bb.23:                               ;   in Loop: Header=BB242_4 Depth=1
	v_mul_f32_e32 v23, v18, v18
	v_mov_b32_e32 v24, 0x3ba10414
	v_fmac_f32_e32 v24, 0xba1345e1, v23
	v_fma_f32 v24, v23, v24, v11
	v_fma_f32 v24, v23, v24, v12
	;; [unrolled: 1-line block ×4, first 2 shown]
	v_fma_f32 v23, |v18|, v23, |v18|
; %bb.24:                               ;   in Loop: Header=BB242_4 Depth=1
	s_or_b64 exec, exec, s[8:9]
	v_cmp_nlt_f32_e64 s[8:9], |v20|, 1.0
                                        ; implicit-def: $vgpr24
	s_and_saveexec_b64 s[22:23], s[8:9]
	s_xor_b64 s[22:23], exec, s[22:23]
	s_cbranch_execnz .LBB242_30
; %bb.25:                               ;   in Loop: Header=BB242_4 Depth=1
	s_andn2_saveexec_b64 s[8:9], s[22:23]
	s_cbranch_execnz .LBB242_31
.LBB242_26:                             ;   in Loop: Header=BB242_4 Depth=1
	s_or_b64 exec, exec, s[8:9]
	s_and_saveexec_b64 s[8:9], vcc
	s_xor_b64 s[8:9], exec, s[8:9]
	s_cbranch_execnz .LBB242_32
.LBB242_27:                             ;   in Loop: Header=BB242_4 Depth=1
	s_or_b64 exec, exec, s[8:9]
	s_and_saveexec_b64 s[8:9], s[0:1]
	s_cbranch_execnz .LBB242_33
.LBB242_28:                             ;   in Loop: Header=BB242_4 Depth=1
	s_or_b64 exec, exec, s[8:9]
	s_and_saveexec_b64 s[0:1], s[2:3]
	s_cbranch_execnz .LBB242_34
.LBB242_29:                             ;   in Loop: Header=BB242_4 Depth=1
	s_or_b64 exec, exec, s[0:1]
	s_and_saveexec_b64 s[0:1], s[6:7]
	s_cbranch_execz .LBB242_3
	s_branch .LBB242_35
.LBB242_30:                             ;   in Loop: Header=BB242_4 Depth=1
	v_fma_f32 v24, |v20|, s28, v15
	v_fma_f32 v24, |v20|, v24, s29
	;; [unrolled: 1-line block ×6, first 2 shown]
	v_fma_f32 v24, |v20|, v24, |v20|
	v_mul_f32_e32 v25, 0xbfb8aa3b, v24
	v_fma_f32 v26, v24, s35, -v25
	v_rndne_f32_e32 v27, v25
	v_fmac_f32_e32 v26, 0xb2a5705f, v24
	v_sub_f32_e32 v25, v25, v27
	v_add_f32_e32 v25, v25, v26
	v_cvt_i32_f32_e32 v26, v27
	v_exp_f32_e32 v25, v25
	v_cmp_nlt_f32_e64 s[8:9], s36, v24
	v_ldexp_f32 v25, v25, v26
	v_cndmask_b32_e64 v25, 0, v25, s[8:9]
	v_cmp_ngt_f32_e64 s[8:9], s37, v24
	v_cndmask_b32_e64 v24, v16, v25, s[8:9]
	v_sub_f32_e32 v24, 1.0, v24
	s_andn2_saveexec_b64 s[8:9], s[22:23]
	s_cbranch_execz .LBB242_26
.LBB242_31:                             ;   in Loop: Header=BB242_4 Depth=1
	v_mul_f32_e32 v24, v20, v20
	v_mov_b32_e32 v25, 0x3ba10414
	v_fmac_f32_e32 v25, 0xba1345e1, v24
	v_fma_f32 v25, v24, v25, v11
	v_fma_f32 v25, v24, v25, v12
	;; [unrolled: 1-line block ×4, first 2 shown]
	v_fma_f32 v24, |v20|, v24, |v20|
	s_or_b64 exec, exec, s[8:9]
	s_and_saveexec_b64 s[8:9], vcc
	s_xor_b64 s[8:9], exec, s[8:9]
	s_cbranch_execz .LBB242_27
.LBB242_32:                             ;   in Loop: Header=BB242_4 Depth=1
	v_bfi_b32 v17, s38, v21, v17
	global_store_dword v[1:2], v17, off
	s_or_b64 exec, exec, s[8:9]
	s_and_saveexec_b64 s[8:9], s[0:1]
	s_cbranch_execz .LBB242_28
.LBB242_33:                             ;   in Loop: Header=BB242_4 Depth=1
	v_bfi_b32 v17, s38, v22, v19
	global_store_dword v[3:4], v17, off
	s_or_b64 exec, exec, s[8:9]
	s_and_saveexec_b64 s[0:1], s[2:3]
	s_cbranch_execz .LBB242_29
.LBB242_34:                             ;   in Loop: Header=BB242_4 Depth=1
	v_add_co_u32_e32 v17, vcc, s27, v1
	v_bfi_b32 v19, s38, v23, v18
	v_addc_co_u32_e32 v18, vcc, 0, v2, vcc
	global_store_dword v[17:18], v19, off
	s_or_b64 exec, exec, s[0:1]
	s_and_saveexec_b64 s[0:1], s[6:7]
	s_cbranch_execz .LBB242_3
.LBB242_35:                             ;   in Loop: Header=BB242_4 Depth=1
	v_add_co_u32_e32 v17, vcc, s26, v1
	v_bfi_b32 v19, s38, v24, v20
	v_addc_co_u32_e32 v18, vcc, 0, v2, vcc
	global_store_dword v[17:18], v19, off
	s_branch .LBB242_3
.LBB242_36:
	s_cbranch_execz .LBB242_38
	s_branch .LBB242_57
.LBB242_37:
.LBB242_38:
	v_mov_b32_e32 v1, 0x10000
	v_mov_b32_e32 v2, 0
	v_cmp_lt_i64_e32 vcc, s[14:15], v[1:2]
	v_mov_b32_e32 v2, 0
	s_and_b64 s[0:1], vcc, exec
	s_cselect_b32 s1, s15, 0
	s_cselect_b32 s0, s14, 0x10000
	v_lshlrev_b32_e32 v1, 2, v0
	v_cmp_gt_i64_e32 vcc, s[0:1], v[1:2]
	s_and_saveexec_b64 s[2:3], vcc
	s_cbranch_execz .LBB242_57
; %bb.39:
	s_load_dword s2, s[4:5], 0xd3c
	v_mov_b32_e32 v1, v2
	v_lshlrev_b32_e32 v2, 4, v0
	s_mov_b32 s8, 0x378e98ab
	s_mov_b32 s9, 0x3b7cd369
	s_waitcnt lgkmcnt(0)
	s_and_b32 s6, s2, 0xffff
	s_add_u32 s2, s10, s12
	s_addc_u32 s3, s11, s13
	v_mov_b32_e32 v3, s3
	v_add_co_u32_e32 v2, vcc, s2, v2
	v_addc_co_u32_e32 v3, vcc, 0, v3, vcc
	v_add_co_u32_e32 v6, vcc, 8, v2
	v_addc_co_u32_e32 v7, vcc, 0, v3, vcc
	s_lshl_b32 s7, s6, 4
	s_mov_b64 s[2:3], 0
	s_mov_b32 s10, 0xbcc618b2
	s_mov_b32 s11, 0x3dda74e4
	;; [unrolled: 1-line block ×7, first 2 shown]
	v_mov_b32_e32 v8, 0xbcdac9b8
	v_mov_b32_e32 v9, 0x3de703be
	;; [unrolled: 1-line block ×4, first 2 shown]
	s_brev_b32 s17, -2
	v_mov_b32_e32 v12, 0xb9c68948
	v_mov_b32_e32 v13, 0x7f800000
	s_branch .LBB242_41
.LBB242_40:                             ;   in Loop: Header=BB242_41 Depth=1
	s_or_b64 exec, exec, s[4:5]
	v_add_co_u32_e32 v0, vcc, s6, v0
	v_addc_co_u32_e32 v1, vcc, 0, v1, vcc
	v_bfi_b32 v3, s17, v15, v3
	v_bfi_b32 v2, s17, v14, v2
	v_lshlrev_b64 v[14:15], 2, v[0:1]
	v_bfi_b32 v4, s17, v16, v4
	v_cmp_le_i64_e32 vcc, s[0:1], v[14:15]
	v_bfi_b32 v5, s17, v17, v5
	global_store_dwordx4 v[6:7], v[2:5], off offset:-8
	s_or_b64 s[2:3], vcc, s[2:3]
	v_add_co_u32_e32 v6, vcc, s7, v6
	v_addc_co_u32_e32 v7, vcc, 0, v7, vcc
	s_andn2_b64 exec, exec, s[2:3]
	s_cbranch_execz .LBB242_57
.LBB242_41:                             ; =>This Inner Loop Header: Depth=1
	global_load_dwordx4 v[2:5], v[6:7], off offset:-8
                                        ; implicit-def: $vgpr14
	s_waitcnt vmcnt(0)
	v_cmp_nlt_f32_e64 s[4:5], |v2|, 1.0
	s_and_saveexec_b64 s[18:19], s[4:5]
	s_xor_b64 s[4:5], exec, s[18:19]
	s_cbranch_execz .LBB242_43
; %bb.42:                               ;   in Loop: Header=BB242_41 Depth=1
	v_fma_f32 v14, |v2|, s8, v12
	v_fma_f32 v14, |v2|, v14, s9
	v_fma_f32 v14, |v2|, v14, s10
	v_fma_f32 v14, |v2|, v14, s11
	v_fma_f32 v14, |v2|, v14, s12
	v_fma_f32 v14, |v2|, v14, s13
	v_fma_f32 v14, |v2|, v14, |v2|
	v_mul_f32_e32 v15, 0xbfb8aa3b, v14
	v_fma_f32 v16, v14, s14, -v15
	v_rndne_f32_e32 v17, v15
	v_fmac_f32_e32 v16, 0xb2a5705f, v14
	v_sub_f32_e32 v15, v15, v17
	v_add_f32_e32 v15, v15, v16
	v_cvt_i32_f32_e32 v16, v17
	v_exp_f32_e32 v15, v15
	v_cmp_nlt_f32_e32 vcc, s15, v14
	v_ldexp_f32 v15, v15, v16
	v_cndmask_b32_e32 v15, 0, v15, vcc
	v_cmp_ngt_f32_e32 vcc, s16, v14
	v_cndmask_b32_e32 v14, v13, v15, vcc
	v_sub_f32_e32 v14, 1.0, v14
.LBB242_43:                             ;   in Loop: Header=BB242_41 Depth=1
	s_andn2_saveexec_b64 s[4:5], s[4:5]
; %bb.44:                               ;   in Loop: Header=BB242_41 Depth=1
	v_mul_f32_e32 v14, v2, v2
	v_mov_b32_e32 v15, 0x3ba10414
	v_fmac_f32_e32 v15, 0xba1345e1, v14
	v_fma_f32 v15, v14, v15, v8
	v_fma_f32 v15, v14, v15, v9
	v_fma_f32 v15, v14, v15, v10
	v_fma_f32 v14, v14, v15, v11
	v_fma_f32 v14, |v2|, v14, |v2|
; %bb.45:                               ;   in Loop: Header=BB242_41 Depth=1
	s_or_b64 exec, exec, s[4:5]
	v_cmp_nlt_f32_e64 s[4:5], |v3|, 1.0
                                        ; implicit-def: $vgpr15
	s_and_saveexec_b64 s[18:19], s[4:5]
	s_xor_b64 s[4:5], exec, s[18:19]
	s_cbranch_execz .LBB242_47
; %bb.46:                               ;   in Loop: Header=BB242_41 Depth=1
	v_fma_f32 v15, |v3|, s8, v12
	v_fma_f32 v15, |v3|, v15, s9
	;; [unrolled: 1-line block ×6, first 2 shown]
	v_fma_f32 v15, |v3|, v15, |v3|
	v_mul_f32_e32 v16, 0xbfb8aa3b, v15
	v_fma_f32 v17, v15, s14, -v16
	v_rndne_f32_e32 v18, v16
	v_fmac_f32_e32 v17, 0xb2a5705f, v15
	v_sub_f32_e32 v16, v16, v18
	v_add_f32_e32 v16, v16, v17
	v_cvt_i32_f32_e32 v17, v18
	v_exp_f32_e32 v16, v16
	v_cmp_nlt_f32_e32 vcc, s15, v15
	v_ldexp_f32 v16, v16, v17
	v_cndmask_b32_e32 v16, 0, v16, vcc
	v_cmp_ngt_f32_e32 vcc, s16, v15
	v_cndmask_b32_e32 v15, v13, v16, vcc
	v_sub_f32_e32 v15, 1.0, v15
.LBB242_47:                             ;   in Loop: Header=BB242_41 Depth=1
	s_andn2_saveexec_b64 s[4:5], s[4:5]
; %bb.48:                               ;   in Loop: Header=BB242_41 Depth=1
	v_mul_f32_e32 v15, v3, v3
	v_mov_b32_e32 v16, 0x3ba10414
	v_fmac_f32_e32 v16, 0xba1345e1, v15
	v_fma_f32 v16, v15, v16, v8
	v_fma_f32 v16, v15, v16, v9
	;; [unrolled: 1-line block ×4, first 2 shown]
	v_fma_f32 v15, |v3|, v15, |v3|
; %bb.49:                               ;   in Loop: Header=BB242_41 Depth=1
	s_or_b64 exec, exec, s[4:5]
	v_cmp_nlt_f32_e64 s[4:5], |v4|, 1.0
                                        ; implicit-def: $vgpr16
	s_and_saveexec_b64 s[18:19], s[4:5]
	s_xor_b64 s[4:5], exec, s[18:19]
	s_cbranch_execz .LBB242_51
; %bb.50:                               ;   in Loop: Header=BB242_41 Depth=1
	v_fma_f32 v16, |v4|, s8, v12
	v_fma_f32 v16, |v4|, v16, s9
	;; [unrolled: 1-line block ×6, first 2 shown]
	v_fma_f32 v16, |v4|, v16, |v4|
	v_mul_f32_e32 v17, 0xbfb8aa3b, v16
	v_fma_f32 v18, v16, s14, -v17
	v_rndne_f32_e32 v19, v17
	v_fmac_f32_e32 v18, 0xb2a5705f, v16
	v_sub_f32_e32 v17, v17, v19
	v_add_f32_e32 v17, v17, v18
	v_cvt_i32_f32_e32 v18, v19
	v_exp_f32_e32 v17, v17
	v_cmp_nlt_f32_e32 vcc, s15, v16
	v_ldexp_f32 v17, v17, v18
	v_cndmask_b32_e32 v17, 0, v17, vcc
	v_cmp_ngt_f32_e32 vcc, s16, v16
	v_cndmask_b32_e32 v16, v13, v17, vcc
	v_sub_f32_e32 v16, 1.0, v16
.LBB242_51:                             ;   in Loop: Header=BB242_41 Depth=1
	s_andn2_saveexec_b64 s[4:5], s[4:5]
; %bb.52:                               ;   in Loop: Header=BB242_41 Depth=1
	v_mul_f32_e32 v16, v4, v4
	v_mov_b32_e32 v17, 0x3ba10414
	v_fmac_f32_e32 v17, 0xba1345e1, v16
	v_fma_f32 v17, v16, v17, v8
	v_fma_f32 v17, v16, v17, v9
	;; [unrolled: 1-line block ×4, first 2 shown]
	v_fma_f32 v16, |v4|, v16, |v4|
; %bb.53:                               ;   in Loop: Header=BB242_41 Depth=1
	s_or_b64 exec, exec, s[4:5]
	v_cmp_nlt_f32_e64 s[4:5], |v5|, 1.0
                                        ; implicit-def: $vgpr17
	s_and_saveexec_b64 s[18:19], s[4:5]
	s_xor_b64 s[4:5], exec, s[18:19]
	s_cbranch_execz .LBB242_55
; %bb.54:                               ;   in Loop: Header=BB242_41 Depth=1
	v_fma_f32 v17, |v5|, s8, v12
	v_fma_f32 v17, |v5|, v17, s9
	;; [unrolled: 1-line block ×6, first 2 shown]
	v_fma_f32 v17, |v5|, v17, |v5|
	v_mul_f32_e32 v18, 0xbfb8aa3b, v17
	v_fma_f32 v19, v17, s14, -v18
	v_rndne_f32_e32 v20, v18
	v_fmac_f32_e32 v19, 0xb2a5705f, v17
	v_sub_f32_e32 v18, v18, v20
	v_add_f32_e32 v18, v18, v19
	v_cvt_i32_f32_e32 v19, v20
	v_exp_f32_e32 v18, v18
	v_cmp_nlt_f32_e32 vcc, s15, v17
	v_ldexp_f32 v18, v18, v19
	v_cndmask_b32_e32 v18, 0, v18, vcc
	v_cmp_ngt_f32_e32 vcc, s16, v17
	v_cndmask_b32_e32 v17, v13, v18, vcc
	v_sub_f32_e32 v17, 1.0, v17
.LBB242_55:                             ;   in Loop: Header=BB242_41 Depth=1
	s_andn2_saveexec_b64 s[4:5], s[4:5]
	s_cbranch_execz .LBB242_40
; %bb.56:                               ;   in Loop: Header=BB242_41 Depth=1
	v_mul_f32_e32 v17, v5, v5
	v_mov_b32_e32 v18, 0x3ba10414
	v_fmac_f32_e32 v18, 0xba1345e1, v17
	v_fma_f32 v18, v17, v18, v8
	v_fma_f32 v18, v17, v18, v9
	;; [unrolled: 1-line block ×4, first 2 shown]
	v_fma_f32 v17, |v5|, v17, |v5|
	s_branch .LBB242_40
.LBB242_57:
	s_endpgm
	.section	.rodata,"a",@progbits
	.p2align	6, 0x0
	.amdhsa_kernel _ZN2at6native12_GLOBAL__N_125multi_tensor_apply_kernelINS1_18TensorListMetadataILi1EEENS1_14UnaryOpFunctorIfLi1ELi1ELi0EEEJNS0_3ErfIfEEEEEvT_T0_DpT1_
		.amdhsa_group_segment_fixed_size 0
		.amdhsa_private_segment_fixed_size 0
		.amdhsa_kernarg_size 3632
		.amdhsa_user_sgpr_count 6
		.amdhsa_user_sgpr_private_segment_buffer 1
		.amdhsa_user_sgpr_dispatch_ptr 0
		.amdhsa_user_sgpr_queue_ptr 0
		.amdhsa_user_sgpr_kernarg_segment_ptr 1
		.amdhsa_user_sgpr_dispatch_id 0
		.amdhsa_user_sgpr_flat_scratch_init 0
		.amdhsa_user_sgpr_private_segment_size 0
		.amdhsa_uses_dynamic_stack 0
		.amdhsa_system_sgpr_private_segment_wavefront_offset 0
		.amdhsa_system_sgpr_workgroup_id_x 1
		.amdhsa_system_sgpr_workgroup_id_y 0
		.amdhsa_system_sgpr_workgroup_id_z 0
		.amdhsa_system_sgpr_workgroup_info 0
		.amdhsa_system_vgpr_workitem_id 0
		.amdhsa_next_free_vgpr 28
		.amdhsa_next_free_sgpr 39
		.amdhsa_reserve_vcc 1
		.amdhsa_reserve_flat_scratch 0
		.amdhsa_float_round_mode_32 0
		.amdhsa_float_round_mode_16_64 0
		.amdhsa_float_denorm_mode_32 3
		.amdhsa_float_denorm_mode_16_64 3
		.amdhsa_dx10_clamp 1
		.amdhsa_ieee_mode 1
		.amdhsa_fp16_overflow 0
		.amdhsa_exception_fp_ieee_invalid_op 0
		.amdhsa_exception_fp_denorm_src 0
		.amdhsa_exception_fp_ieee_div_zero 0
		.amdhsa_exception_fp_ieee_overflow 0
		.amdhsa_exception_fp_ieee_underflow 0
		.amdhsa_exception_fp_ieee_inexact 0
		.amdhsa_exception_int_div_zero 0
	.end_amdhsa_kernel
	.section	.text._ZN2at6native12_GLOBAL__N_125multi_tensor_apply_kernelINS1_18TensorListMetadataILi1EEENS1_14UnaryOpFunctorIfLi1ELi1ELi0EEEJNS0_3ErfIfEEEEEvT_T0_DpT1_,"axG",@progbits,_ZN2at6native12_GLOBAL__N_125multi_tensor_apply_kernelINS1_18TensorListMetadataILi1EEENS1_14UnaryOpFunctorIfLi1ELi1ELi0EEEJNS0_3ErfIfEEEEEvT_T0_DpT1_,comdat
.Lfunc_end242:
	.size	_ZN2at6native12_GLOBAL__N_125multi_tensor_apply_kernelINS1_18TensorListMetadataILi1EEENS1_14UnaryOpFunctorIfLi1ELi1ELi0EEEJNS0_3ErfIfEEEEEvT_T0_DpT1_, .Lfunc_end242-_ZN2at6native12_GLOBAL__N_125multi_tensor_apply_kernelINS1_18TensorListMetadataILi1EEENS1_14UnaryOpFunctorIfLi1ELi1ELi0EEEJNS0_3ErfIfEEEEEvT_T0_DpT1_
                                        ; -- End function
	.set _ZN2at6native12_GLOBAL__N_125multi_tensor_apply_kernelINS1_18TensorListMetadataILi1EEENS1_14UnaryOpFunctorIfLi1ELi1ELi0EEEJNS0_3ErfIfEEEEEvT_T0_DpT1_.num_vgpr, 28
	.set _ZN2at6native12_GLOBAL__N_125multi_tensor_apply_kernelINS1_18TensorListMetadataILi1EEENS1_14UnaryOpFunctorIfLi1ELi1ELi0EEEJNS0_3ErfIfEEEEEvT_T0_DpT1_.num_agpr, 0
	.set _ZN2at6native12_GLOBAL__N_125multi_tensor_apply_kernelINS1_18TensorListMetadataILi1EEENS1_14UnaryOpFunctorIfLi1ELi1ELi0EEEJNS0_3ErfIfEEEEEvT_T0_DpT1_.numbered_sgpr, 39
	.set _ZN2at6native12_GLOBAL__N_125multi_tensor_apply_kernelINS1_18TensorListMetadataILi1EEENS1_14UnaryOpFunctorIfLi1ELi1ELi0EEEJNS0_3ErfIfEEEEEvT_T0_DpT1_.num_named_barrier, 0
	.set _ZN2at6native12_GLOBAL__N_125multi_tensor_apply_kernelINS1_18TensorListMetadataILi1EEENS1_14UnaryOpFunctorIfLi1ELi1ELi0EEEJNS0_3ErfIfEEEEEvT_T0_DpT1_.private_seg_size, 0
	.set _ZN2at6native12_GLOBAL__N_125multi_tensor_apply_kernelINS1_18TensorListMetadataILi1EEENS1_14UnaryOpFunctorIfLi1ELi1ELi0EEEJNS0_3ErfIfEEEEEvT_T0_DpT1_.uses_vcc, 1
	.set _ZN2at6native12_GLOBAL__N_125multi_tensor_apply_kernelINS1_18TensorListMetadataILi1EEENS1_14UnaryOpFunctorIfLi1ELi1ELi0EEEJNS0_3ErfIfEEEEEvT_T0_DpT1_.uses_flat_scratch, 0
	.set _ZN2at6native12_GLOBAL__N_125multi_tensor_apply_kernelINS1_18TensorListMetadataILi1EEENS1_14UnaryOpFunctorIfLi1ELi1ELi0EEEJNS0_3ErfIfEEEEEvT_T0_DpT1_.has_dyn_sized_stack, 0
	.set _ZN2at6native12_GLOBAL__N_125multi_tensor_apply_kernelINS1_18TensorListMetadataILi1EEENS1_14UnaryOpFunctorIfLi1ELi1ELi0EEEJNS0_3ErfIfEEEEEvT_T0_DpT1_.has_recursion, 0
	.set _ZN2at6native12_GLOBAL__N_125multi_tensor_apply_kernelINS1_18TensorListMetadataILi1EEENS1_14UnaryOpFunctorIfLi1ELi1ELi0EEEJNS0_3ErfIfEEEEEvT_T0_DpT1_.has_indirect_call, 0
	.section	.AMDGPU.csdata,"",@progbits
; Kernel info:
; codeLenInByte = 3076
; TotalNumSgprs: 43
; NumVgprs: 28
; ScratchSize: 0
; MemoryBound: 0
; FloatMode: 240
; IeeeMode: 1
; LDSByteSize: 0 bytes/workgroup (compile time only)
; SGPRBlocks: 5
; VGPRBlocks: 6
; NumSGPRsForWavesPerEU: 43
; NumVGPRsForWavesPerEU: 28
; Occupancy: 9
; WaveLimiterHint : 0
; COMPUTE_PGM_RSRC2:SCRATCH_EN: 0
; COMPUTE_PGM_RSRC2:USER_SGPR: 6
; COMPUTE_PGM_RSRC2:TRAP_HANDLER: 0
; COMPUTE_PGM_RSRC2:TGID_X_EN: 1
; COMPUTE_PGM_RSRC2:TGID_Y_EN: 0
; COMPUTE_PGM_RSRC2:TGID_Z_EN: 0
; COMPUTE_PGM_RSRC2:TIDIG_COMP_CNT: 0
	.section	.text._ZN2at6native12_GLOBAL__N_125multi_tensor_apply_kernelINS1_18TensorListMetadataILi1EEENS1_14UnaryOpFunctorIN3c104HalfELi1ELi1ELi0EEEJNS0_3ErfIfEEEEEvT_T0_DpT1_,"axG",@progbits,_ZN2at6native12_GLOBAL__N_125multi_tensor_apply_kernelINS1_18TensorListMetadataILi1EEENS1_14UnaryOpFunctorIN3c104HalfELi1ELi1ELi0EEEJNS0_3ErfIfEEEEEvT_T0_DpT1_,comdat
	.globl	_ZN2at6native12_GLOBAL__N_125multi_tensor_apply_kernelINS1_18TensorListMetadataILi1EEENS1_14UnaryOpFunctorIN3c104HalfELi1ELi1ELi0EEEJNS0_3ErfIfEEEEEvT_T0_DpT1_ ; -- Begin function _ZN2at6native12_GLOBAL__N_125multi_tensor_apply_kernelINS1_18TensorListMetadataILi1EEENS1_14UnaryOpFunctorIN3c104HalfELi1ELi1ELi0EEEJNS0_3ErfIfEEEEEvT_T0_DpT1_
	.p2align	8
	.type	_ZN2at6native12_GLOBAL__N_125multi_tensor_apply_kernelINS1_18TensorListMetadataILi1EEENS1_14UnaryOpFunctorIN3c104HalfELi1ELi1ELi0EEEJNS0_3ErfIfEEEEEvT_T0_DpT1_,@function
_ZN2at6native12_GLOBAL__N_125multi_tensor_apply_kernelINS1_18TensorListMetadataILi1EEENS1_14UnaryOpFunctorIN3c104HalfELi1ELi1ELi0EEEJNS0_3ErfIfEEEEEvT_T0_DpT1_: ; @_ZN2at6native12_GLOBAL__N_125multi_tensor_apply_kernelINS1_18TensorListMetadataILi1EEENS1_14UnaryOpFunctorIN3c104HalfELi1ELi1ELi0EEEJNS0_3ErfIfEEEEEvT_T0_DpT1_
; %bb.0:
	v_mov_b32_e32 v1, s6
	global_load_ubyte v1, v1, s[4:5] offset:1760
	s_add_u32 s0, s4, s6
	s_mul_hi_u32 s1, s6, 3
	s_mul_i32 s6, s6, 3
	s_addc_u32 s2, s5, 0
	s_add_u32 s0, s0, s6
	s_addc_u32 s1, s2, s1
	s_load_dword s0, s[0:1], 0x820
	s_mov_b32 s7, 0
	s_waitcnt vmcnt(0)
	v_readfirstlane_b32 s1, v1
	s_lshl_b32 s1, s1, 3
	s_load_dwordx2 s[2:3], s[4:5], s1 offset:0x370
	s_load_dwordx2 s[10:11], s[4:5], s1 offset:0x0
	s_waitcnt lgkmcnt(0)
	s_ashr_i32 s1, s0, 31
	s_lshl_b64 s[12:13], s[0:1], 17
	s_lshl_b64 s[0:1], s[0:1], 16
	s_and_b32 s6, s10, 7
	s_sub_u32 s14, s2, s0
	s_subb_u32 s15, s3, s1
	s_and_b32 s0, s2, 3
	s_mov_b32 s1, s7
	s_or_b64 s[0:1], s[6:7], s[0:1]
	s_cmp_eq_u64 s[0:1], 0
	s_cbranch_scc1 .LBB243_37
; %bb.1:
	v_cmp_lt_i64_e64 s[0:1], s[14:15], 1
	s_and_b64 vcc, exec, s[0:1]
	s_cbranch_vccnz .LBB243_36
; %bb.2:
	v_mov_b32_e32 v1, 0x10000
	s_load_dword s2, s[4:5], 0xd3c
	v_mov_b32_e32 v2, 0
	v_cmp_lt_i64_e32 vcc, s[14:15], v[1:2]
	s_mov_b64 s[20:21], 0
	s_and_b64 s[0:1], vcc, exec
	v_cmp_lt_u64_e32 vcc, s[14:15], v[1:2]
	s_cselect_b32 s17, s15, 0
	s_cselect_b32 s16, s14, 0x10000
	s_waitcnt lgkmcnt(0)
	s_and_b32 s2, s2, 0xffff
	s_and_b64 s[0:1], vcc, exec
	s_cselect_b32 s19, s15, 0
	s_cselect_b32 s18, s14, 0x10000
	s_lshl_b32 s3, s2, 1
	s_lshl_b32 s24, s2, 2
	s_add_u32 s6, s10, s12
	v_lshlrev_b32_e32 v1, 1, v0
	s_addc_u32 s7, s11, s13
	v_mov_b32_e32 v2, s7
	v_add_co_u32_e32 v1, vcc, s6, v1
	s_mul_i32 s0, s2, 3
	v_addc_co_u32_e32 v2, vcc, 0, v2, vcc
	v_add_co_u32_e32 v5, vcc, s0, v0
	v_addc_co_u32_e64 v6, s[0:1], 0, 0, vcc
	v_add_co_u32_e32 v7, vcc, s3, v0
	v_addc_co_u32_e64 v8, s[0:1], 0, 0, vcc
	v_add_co_u32_e32 v9, vcc, s2, v0
	v_lshlrev_b32_e32 v3, 1, v9
	v_addc_co_u32_e64 v10, s[0:1], 0, 0, vcc
	v_mov_b32_e32 v4, s7
	v_add_co_u32_e32 v3, vcc, s6, v3
	s_lshl_b32 s25, s2, 3
	s_mul_i32 s26, s2, 6
	v_addc_co_u32_e32 v4, vcc, 0, v4, vcc
	s_mov_b32 s27, 0x378e98ab
	s_mov_b32 s28, 0x3b7cd369
	;; [unrolled: 1-line block ×9, first 2 shown]
	v_mov_b32_e32 v11, 0xbcdac9b8
	v_mov_b32_e32 v12, 0x3de703be
	;; [unrolled: 1-line block ×4, first 2 shown]
	s_movk_i32 s37, 0x7fff
	v_mov_b32_e32 v15, 0xb9c68948
	v_mov_b32_e32 v16, 0x7f800000
	s_branch .LBB243_4
.LBB243_3:                              ;   in Loop: Header=BB243_4 Depth=1
	s_or_b64 exec, exec, s[0:1]
	s_add_u32 s20, s20, s24
	v_add_co_u32_e32 v1, vcc, s25, v1
	v_mov_b32_e32 v18, s17
	s_addc_u32 s21, s21, 0
	v_addc_co_u32_e32 v2, vcc, 0, v2, vcc
	v_mov_b32_e32 v17, s16
	v_cmp_ge_i64_e32 vcc, s[20:21], v[17:18]
	v_add_co_u32_e64 v3, s[0:1], s25, v3
	v_addc_co_u32_e64 v4, s[0:1], 0, v4, s[0:1]
	s_cbranch_vccnz .LBB243_36
.LBB243_4:                              ; =>This Inner Loop Header: Depth=1
	v_mov_b32_e32 v18, s21
	v_add_co_u32_e32 v17, vcc, s20, v0
	v_addc_co_u32_e32 v18, vcc, 0, v18, vcc
	v_cmp_gt_u64_e32 vcc, s[18:19], v[17:18]
	v_mov_b32_e32 v17, 0
	s_and_saveexec_b64 s[0:1], vcc
	s_cbranch_execz .LBB243_6
; %bb.5:                                ;   in Loop: Header=BB243_4 Depth=1
	global_load_ushort v17, v[1:2], off
	s_waitcnt vmcnt(0)
	v_cvt_f32_f16_e32 v17, v17
.LBB243_6:                              ;   in Loop: Header=BB243_4 Depth=1
	s_or_b64 exec, exec, s[0:1]
	v_mov_b32_e32 v19, s21
	v_add_co_u32_e64 v18, s[0:1], s20, v9
	v_addc_co_u32_e64 v19, s[0:1], v10, v19, s[0:1]
	v_cmp_gt_u64_e64 s[0:1], s[18:19], v[18:19]
	v_mov_b32_e32 v18, 0
	v_mov_b32_e32 v19, 0
	s_and_saveexec_b64 s[2:3], s[0:1]
	s_cbranch_execz .LBB243_8
; %bb.7:                                ;   in Loop: Header=BB243_4 Depth=1
	global_load_ushort v19, v[3:4], off
	s_waitcnt vmcnt(0)
	v_cvt_f32_f16_e32 v19, v19
.LBB243_8:                              ;   in Loop: Header=BB243_4 Depth=1
	s_or_b64 exec, exec, s[2:3]
	v_mov_b32_e32 v21, s21
	v_add_co_u32_e64 v20, s[2:3], s20, v7
	v_addc_co_u32_e64 v21, s[2:3], v8, v21, s[2:3]
	v_cmp_gt_u64_e64 s[2:3], s[18:19], v[20:21]
	s_and_saveexec_b64 s[8:9], s[2:3]
	s_cbranch_execz .LBB243_10
; %bb.9:                                ;   in Loop: Header=BB243_4 Depth=1
	v_add_co_u32_e64 v20, s[6:7], s24, v1
	v_addc_co_u32_e64 v21, s[6:7], 0, v2, s[6:7]
	global_load_ushort v18, v[20:21], off
	s_waitcnt vmcnt(0)
	v_cvt_f32_f16_e32 v18, v18
.LBB243_10:                             ;   in Loop: Header=BB243_4 Depth=1
	s_or_b64 exec, exec, s[8:9]
	v_mov_b32_e32 v21, s21
	v_add_co_u32_e64 v20, s[6:7], s20, v5
	v_addc_co_u32_e64 v21, s[6:7], v6, v21, s[6:7]
	v_cmp_gt_u64_e64 s[6:7], s[18:19], v[20:21]
	v_mov_b32_e32 v20, 0
	s_and_saveexec_b64 s[22:23], s[6:7]
	s_cbranch_execz .LBB243_12
; %bb.11:                               ;   in Loop: Header=BB243_4 Depth=1
	v_add_co_u32_e64 v20, s[8:9], s26, v1
	v_addc_co_u32_e64 v21, s[8:9], 0, v2, s[8:9]
	global_load_ushort v20, v[20:21], off
	s_waitcnt vmcnt(0)
	v_cvt_f32_f16_e32 v20, v20
.LBB243_12:                             ;   in Loop: Header=BB243_4 Depth=1
	s_or_b64 exec, exec, s[22:23]
	v_cmp_nlt_f32_e64 s[8:9], |v17|, 1.0
                                        ; implicit-def: $vgpr21
	s_and_saveexec_b64 s[22:23], s[8:9]
	s_xor_b64 s[22:23], exec, s[22:23]
	s_cbranch_execz .LBB243_14
; %bb.13:                               ;   in Loop: Header=BB243_4 Depth=1
	v_fma_f32 v21, |v17|, s27, v15
	v_fma_f32 v21, |v17|, v21, s28
	v_fma_f32 v21, |v17|, v21, s29
	v_fma_f32 v21, |v17|, v21, s30
	v_fma_f32 v21, |v17|, v21, s31
	v_fma_f32 v21, |v17|, v21, s33
	v_fma_f32 v21, |v17|, v21, |v17|
	v_mul_f32_e32 v22, 0xbfb8aa3b, v21
	v_fma_f32 v23, v21, s34, -v22
	v_rndne_f32_e32 v24, v22
	v_fmac_f32_e32 v23, 0xb2a5705f, v21
	v_sub_f32_e32 v22, v22, v24
	v_add_f32_e32 v22, v22, v23
	v_cvt_i32_f32_e32 v23, v24
	v_exp_f32_e32 v22, v22
	v_cmp_nlt_f32_e64 s[8:9], s35, v21
	v_ldexp_f32 v22, v22, v23
	v_cndmask_b32_e64 v22, 0, v22, s[8:9]
	v_cmp_ngt_f32_e64 s[8:9], s36, v21
	v_cndmask_b32_e64 v21, v16, v22, s[8:9]
	v_sub_f32_e32 v21, 1.0, v21
.LBB243_14:                             ;   in Loop: Header=BB243_4 Depth=1
	s_andn2_saveexec_b64 s[8:9], s[22:23]
; %bb.15:                               ;   in Loop: Header=BB243_4 Depth=1
	v_mul_f32_e32 v21, v17, v17
	v_mov_b32_e32 v22, 0x3ba10414
	v_fmac_f32_e32 v22, 0xba1345e1, v21
	v_fma_f32 v22, v21, v22, v11
	v_fma_f32 v22, v21, v22, v12
	;; [unrolled: 1-line block ×4, first 2 shown]
	v_fma_f32 v21, |v17|, v21, |v17|
; %bb.16:                               ;   in Loop: Header=BB243_4 Depth=1
	s_or_b64 exec, exec, s[8:9]
	v_cmp_nlt_f32_e64 s[8:9], |v19|, 1.0
                                        ; implicit-def: $vgpr22
	s_and_saveexec_b64 s[22:23], s[8:9]
	s_xor_b64 s[22:23], exec, s[22:23]
	s_cbranch_execz .LBB243_18
; %bb.17:                               ;   in Loop: Header=BB243_4 Depth=1
	v_fma_f32 v22, |v19|, s27, v15
	v_fma_f32 v22, |v19|, v22, s28
	;; [unrolled: 1-line block ×6, first 2 shown]
	v_fma_f32 v22, |v19|, v22, |v19|
	v_mul_f32_e32 v23, 0xbfb8aa3b, v22
	v_fma_f32 v24, v22, s34, -v23
	v_rndne_f32_e32 v25, v23
	v_fmac_f32_e32 v24, 0xb2a5705f, v22
	v_sub_f32_e32 v23, v23, v25
	v_add_f32_e32 v23, v23, v24
	v_cvt_i32_f32_e32 v24, v25
	v_exp_f32_e32 v23, v23
	v_cmp_nlt_f32_e64 s[8:9], s35, v22
	v_ldexp_f32 v23, v23, v24
	v_cndmask_b32_e64 v23, 0, v23, s[8:9]
	v_cmp_ngt_f32_e64 s[8:9], s36, v22
	v_cndmask_b32_e64 v22, v16, v23, s[8:9]
	v_sub_f32_e32 v22, 1.0, v22
.LBB243_18:                             ;   in Loop: Header=BB243_4 Depth=1
	s_andn2_saveexec_b64 s[8:9], s[22:23]
; %bb.19:                               ;   in Loop: Header=BB243_4 Depth=1
	v_mul_f32_e32 v22, v19, v19
	v_mov_b32_e32 v23, 0x3ba10414
	v_fmac_f32_e32 v23, 0xba1345e1, v22
	v_fma_f32 v23, v22, v23, v11
	v_fma_f32 v23, v22, v23, v12
	;; [unrolled: 1-line block ×4, first 2 shown]
	v_fma_f32 v22, |v19|, v22, |v19|
; %bb.20:                               ;   in Loop: Header=BB243_4 Depth=1
	s_or_b64 exec, exec, s[8:9]
	v_cmp_nlt_f32_e64 s[8:9], |v18|, 1.0
                                        ; implicit-def: $vgpr23
	s_and_saveexec_b64 s[22:23], s[8:9]
	s_xor_b64 s[22:23], exec, s[22:23]
	s_cbranch_execz .LBB243_22
; %bb.21:                               ;   in Loop: Header=BB243_4 Depth=1
	v_fma_f32 v23, |v18|, s27, v15
	v_fma_f32 v23, |v18|, v23, s28
	;; [unrolled: 1-line block ×6, first 2 shown]
	v_fma_f32 v23, |v18|, v23, |v18|
	v_mul_f32_e32 v24, 0xbfb8aa3b, v23
	v_fma_f32 v25, v23, s34, -v24
	v_rndne_f32_e32 v26, v24
	v_fmac_f32_e32 v25, 0xb2a5705f, v23
	v_sub_f32_e32 v24, v24, v26
	v_add_f32_e32 v24, v24, v25
	v_cvt_i32_f32_e32 v25, v26
	v_exp_f32_e32 v24, v24
	v_cmp_nlt_f32_e64 s[8:9], s35, v23
	v_ldexp_f32 v24, v24, v25
	v_cndmask_b32_e64 v24, 0, v24, s[8:9]
	v_cmp_ngt_f32_e64 s[8:9], s36, v23
	v_cndmask_b32_e64 v23, v16, v24, s[8:9]
	v_sub_f32_e32 v23, 1.0, v23
.LBB243_22:                             ;   in Loop: Header=BB243_4 Depth=1
	s_andn2_saveexec_b64 s[8:9], s[22:23]
; %bb.23:                               ;   in Loop: Header=BB243_4 Depth=1
	v_mul_f32_e32 v23, v18, v18
	v_mov_b32_e32 v24, 0x3ba10414
	v_fmac_f32_e32 v24, 0xba1345e1, v23
	v_fma_f32 v24, v23, v24, v11
	v_fma_f32 v24, v23, v24, v12
	;; [unrolled: 1-line block ×4, first 2 shown]
	v_fma_f32 v23, |v18|, v23, |v18|
; %bb.24:                               ;   in Loop: Header=BB243_4 Depth=1
	s_or_b64 exec, exec, s[8:9]
	v_cmp_nlt_f32_e64 s[8:9], |v20|, 1.0
                                        ; implicit-def: $vgpr24
	s_and_saveexec_b64 s[22:23], s[8:9]
	s_xor_b64 s[22:23], exec, s[22:23]
	s_cbranch_execnz .LBB243_30
; %bb.25:                               ;   in Loop: Header=BB243_4 Depth=1
	s_andn2_saveexec_b64 s[8:9], s[22:23]
	s_cbranch_execnz .LBB243_31
.LBB243_26:                             ;   in Loop: Header=BB243_4 Depth=1
	s_or_b64 exec, exec, s[8:9]
	s_and_saveexec_b64 s[8:9], vcc
	s_xor_b64 s[8:9], exec, s[8:9]
	s_cbranch_execnz .LBB243_32
.LBB243_27:                             ;   in Loop: Header=BB243_4 Depth=1
	s_or_b64 exec, exec, s[8:9]
	s_and_saveexec_b64 s[8:9], s[0:1]
	s_cbranch_execnz .LBB243_33
.LBB243_28:                             ;   in Loop: Header=BB243_4 Depth=1
	s_or_b64 exec, exec, s[8:9]
	s_and_saveexec_b64 s[0:1], s[2:3]
	s_cbranch_execnz .LBB243_34
.LBB243_29:                             ;   in Loop: Header=BB243_4 Depth=1
	s_or_b64 exec, exec, s[0:1]
	s_and_saveexec_b64 s[0:1], s[6:7]
	s_cbranch_execz .LBB243_3
	s_branch .LBB243_35
.LBB243_30:                             ;   in Loop: Header=BB243_4 Depth=1
	v_fma_f32 v24, |v20|, s27, v15
	v_fma_f32 v24, |v20|, v24, s28
	;; [unrolled: 1-line block ×6, first 2 shown]
	v_fma_f32 v24, |v20|, v24, |v20|
	v_mul_f32_e32 v25, 0xbfb8aa3b, v24
	v_fma_f32 v26, v24, s34, -v25
	v_rndne_f32_e32 v27, v25
	v_fmac_f32_e32 v26, 0xb2a5705f, v24
	v_sub_f32_e32 v25, v25, v27
	v_add_f32_e32 v25, v25, v26
	v_cvt_i32_f32_e32 v26, v27
	v_exp_f32_e32 v25, v25
	v_cmp_nlt_f32_e64 s[8:9], s35, v24
	v_ldexp_f32 v25, v25, v26
	v_cndmask_b32_e64 v25, 0, v25, s[8:9]
	v_cmp_ngt_f32_e64 s[8:9], s36, v24
	v_cndmask_b32_e64 v24, v16, v25, s[8:9]
	v_sub_f32_e32 v24, 1.0, v24
	s_andn2_saveexec_b64 s[8:9], s[22:23]
	s_cbranch_execz .LBB243_26
.LBB243_31:                             ;   in Loop: Header=BB243_4 Depth=1
	v_mul_f32_e32 v24, v20, v20
	v_mov_b32_e32 v25, 0x3ba10414
	v_fmac_f32_e32 v25, 0xba1345e1, v24
	v_fma_f32 v25, v24, v25, v11
	v_fma_f32 v25, v24, v25, v12
	;; [unrolled: 1-line block ×4, first 2 shown]
	v_fma_f32 v24, |v20|, v24, |v20|
	s_or_b64 exec, exec, s[8:9]
	s_and_saveexec_b64 s[8:9], vcc
	s_xor_b64 s[8:9], exec, s[8:9]
	s_cbranch_execz .LBB243_27
.LBB243_32:                             ;   in Loop: Header=BB243_4 Depth=1
	v_cvt_f16_f32_e32 v21, v21
	v_lshrrev_b32_e32 v17, 16, v17
	v_bfi_b32 v17, s37, v21, v17
	global_store_short v[1:2], v17, off
	s_or_b64 exec, exec, s[8:9]
	s_and_saveexec_b64 s[8:9], s[0:1]
	s_cbranch_execz .LBB243_28
.LBB243_33:                             ;   in Loop: Header=BB243_4 Depth=1
	v_cvt_f16_f32_e32 v17, v22
	v_lshrrev_b32_e32 v19, 16, v19
	v_bfi_b32 v17, s37, v17, v19
	global_store_short v[3:4], v17, off
	s_or_b64 exec, exec, s[8:9]
	s_and_saveexec_b64 s[0:1], s[2:3]
	s_cbranch_execz .LBB243_29
.LBB243_34:                             ;   in Loop: Header=BB243_4 Depth=1
	v_cvt_f16_f32_e32 v17, v23
	v_lshrrev_b32_e32 v18, 16, v18
	v_bfi_b32 v19, s37, v17, v18
	v_add_co_u32_e32 v17, vcc, s24, v1
	v_addc_co_u32_e32 v18, vcc, 0, v2, vcc
	global_store_short v[17:18], v19, off
	s_or_b64 exec, exec, s[0:1]
	s_and_saveexec_b64 s[0:1], s[6:7]
	s_cbranch_execz .LBB243_3
.LBB243_35:                             ;   in Loop: Header=BB243_4 Depth=1
	v_cvt_f16_f32_e32 v17, v24
	v_lshrrev_b32_e32 v18, 16, v20
	v_bfi_b32 v19, s37, v17, v18
	v_add_co_u32_e32 v17, vcc, s26, v1
	v_addc_co_u32_e32 v18, vcc, 0, v2, vcc
	global_store_short v[17:18], v19, off
	s_branch .LBB243_3
.LBB243_36:
	s_cbranch_execz .LBB243_38
	s_branch .LBB243_57
.LBB243_37:
.LBB243_38:
	v_mov_b32_e32 v1, 0x10000
	v_mov_b32_e32 v2, 0
	v_cmp_lt_i64_e32 vcc, s[14:15], v[1:2]
	v_mov_b32_e32 v2, 0
	s_and_b64 s[0:1], vcc, exec
	s_cselect_b32 s1, s15, 0
	s_cselect_b32 s0, s14, 0x10000
	v_lshlrev_b32_e32 v1, 2, v0
	v_cmp_gt_i64_e32 vcc, s[0:1], v[1:2]
	s_and_saveexec_b64 s[2:3], vcc
	s_cbranch_execz .LBB243_57
; %bb.39:
	s_load_dword s2, s[4:5], 0xd3c
	v_mov_b32_e32 v1, v2
	v_lshlrev_b32_e32 v2, 3, v0
	s_mov_b32 s8, 0x378e98ab
	s_mov_b32 s9, 0x3b7cd369
	s_waitcnt lgkmcnt(0)
	s_and_b32 s6, s2, 0xffff
	s_add_u32 s2, s10, s12
	s_addc_u32 s3, s11, s13
	v_mov_b32_e32 v3, s3
	v_add_co_u32_e32 v2, vcc, s2, v2
	v_addc_co_u32_e32 v3, vcc, 0, v3, vcc
	v_add_co_u32_e32 v2, vcc, 4, v2
	v_addc_co_u32_e32 v3, vcc, 0, v3, vcc
	s_lshl_b32 s7, s6, 3
	s_mov_b64 s[2:3], 0
	s_mov_b32 s10, 0xbcc618b2
	s_mov_b32 s11, 0x3dda74e4
	s_mov_b32 s12, 0x3f228afd
	s_mov_b32 s13, 0x3e03c728
	s_mov_b32 s14, 0xbfb8aa3b
	s_mov_b32 s15, 0x42ce8ed0
	s_mov_b32 s16, 0xc2b17218
	v_mov_b32_e32 v6, 0xbcdac9b8
	v_mov_b32_e32 v7, 0x3de703be
	;; [unrolled: 1-line block ×4, first 2 shown]
	s_movk_i32 s17, 0x7fff
	v_mov_b32_e32 v10, 0xb9c68948
	v_mov_b32_e32 v11, 0x7f800000
	s_branch .LBB243_41
.LBB243_40:                             ;   in Loop: Header=BB243_41 Depth=1
	s_or_b64 exec, exec, s[4:5]
	v_cvt_f16_f32_e32 v14, v14
	v_cvt_f16_f32_e32 v16, v16
	;; [unrolled: 1-line block ×3, first 2 shown]
	v_lshrrev_b32_e32 v4, 16, v4
	v_bfi_b32 v4, s17, v14, v4
	v_cvt_f16_f32_e32 v14, v17
	v_add_co_u32_e32 v0, vcc, s6, v0
	v_lshrrev_b32_e32 v15, 16, v15
	v_lshrrev_b32_e32 v12, 16, v12
	v_addc_co_u32_e32 v1, vcc, 0, v1, vcc
	v_bfi_b32 v15, s17, v16, v15
	v_bfi_b32 v16, s17, v13, v12
	v_lshlrev_b64 v[12:13], 2, v[0:1]
	v_lshrrev_b32_e32 v5, 16, v5
	v_bfi_b32 v5, s17, v14, v5
	v_cmp_le_i64_e32 vcc, s[0:1], v[12:13]
	v_pack_b32_f16 v5, v15, v5
	v_pack_b32_f16 v4, v16, v4
	global_store_dwordx2 v[2:3], v[4:5], off offset:-4
	s_or_b64 s[2:3], vcc, s[2:3]
	v_add_co_u32_e32 v2, vcc, s7, v2
	v_addc_co_u32_e32 v3, vcc, 0, v3, vcc
	s_andn2_b64 exec, exec, s[2:3]
	s_cbranch_execz .LBB243_57
.LBB243_41:                             ; =>This Inner Loop Header: Depth=1
	global_load_dwordx2 v[4:5], v[2:3], off offset:-4
                                        ; implicit-def: $vgpr13
	s_waitcnt vmcnt(0)
	v_cvt_f32_f16_e32 v12, v4
	v_cmp_nlt_f32_e64 s[4:5], |v12|, 1.0
	s_and_saveexec_b64 s[18:19], s[4:5]
	s_xor_b64 s[4:5], exec, s[18:19]
	s_cbranch_execz .LBB243_43
; %bb.42:                               ;   in Loop: Header=BB243_41 Depth=1
	v_fma_f32 v13, |v12|, s8, v10
	v_fma_f32 v13, |v12|, v13, s9
	;; [unrolled: 1-line block ×6, first 2 shown]
	v_fma_f32 v13, |v12|, v13, |v12|
	v_mul_f32_e32 v14, 0xbfb8aa3b, v13
	v_fma_f32 v15, v13, s14, -v14
	v_rndne_f32_e32 v16, v14
	v_fmac_f32_e32 v15, 0xb2a5705f, v13
	v_sub_f32_e32 v14, v14, v16
	v_add_f32_e32 v14, v14, v15
	v_cvt_i32_f32_e32 v15, v16
	v_exp_f32_e32 v14, v14
	v_cmp_nlt_f32_e32 vcc, s15, v13
	v_ldexp_f32 v14, v14, v15
	v_cndmask_b32_e32 v14, 0, v14, vcc
	v_cmp_ngt_f32_e32 vcc, s16, v13
	v_cndmask_b32_e32 v13, v11, v14, vcc
	v_sub_f32_e32 v13, 1.0, v13
.LBB243_43:                             ;   in Loop: Header=BB243_41 Depth=1
	s_andn2_saveexec_b64 s[4:5], s[4:5]
; %bb.44:                               ;   in Loop: Header=BB243_41 Depth=1
	v_mul_f32_e32 v13, v12, v12
	v_mov_b32_e32 v14, 0x3ba10414
	v_fmac_f32_e32 v14, 0xba1345e1, v13
	v_fma_f32 v14, v13, v14, v6
	v_fma_f32 v14, v13, v14, v7
	v_fma_f32 v14, v13, v14, v8
	v_fma_f32 v13, v13, v14, v9
	v_fma_f32 v13, |v12|, v13, |v12|
; %bb.45:                               ;   in Loop: Header=BB243_41 Depth=1
	s_or_b64 exec, exec, s[4:5]
	v_cvt_f32_f16_sdwa v4, v4 dst_sel:DWORD dst_unused:UNUSED_PAD src0_sel:WORD_1
                                        ; implicit-def: $vgpr14
	v_cmp_nlt_f32_e64 s[4:5], |v4|, 1.0
	s_and_saveexec_b64 s[18:19], s[4:5]
	s_xor_b64 s[4:5], exec, s[18:19]
	s_cbranch_execz .LBB243_47
; %bb.46:                               ;   in Loop: Header=BB243_41 Depth=1
	v_fma_f32 v14, |v4|, s8, v10
	v_fma_f32 v14, |v4|, v14, s9
	;; [unrolled: 1-line block ×6, first 2 shown]
	v_fma_f32 v14, |v4|, v14, |v4|
	v_mul_f32_e32 v15, 0xbfb8aa3b, v14
	v_fma_f32 v16, v14, s14, -v15
	v_rndne_f32_e32 v17, v15
	v_fmac_f32_e32 v16, 0xb2a5705f, v14
	v_sub_f32_e32 v15, v15, v17
	v_add_f32_e32 v15, v15, v16
	v_cvt_i32_f32_e32 v16, v17
	v_exp_f32_e32 v15, v15
	v_cmp_nlt_f32_e32 vcc, s15, v14
	v_ldexp_f32 v15, v15, v16
	v_cndmask_b32_e32 v15, 0, v15, vcc
	v_cmp_ngt_f32_e32 vcc, s16, v14
	v_cndmask_b32_e32 v14, v11, v15, vcc
	v_sub_f32_e32 v14, 1.0, v14
.LBB243_47:                             ;   in Loop: Header=BB243_41 Depth=1
	s_andn2_saveexec_b64 s[4:5], s[4:5]
; %bb.48:                               ;   in Loop: Header=BB243_41 Depth=1
	v_mul_f32_e32 v14, v4, v4
	v_mov_b32_e32 v15, 0x3ba10414
	v_fmac_f32_e32 v15, 0xba1345e1, v14
	v_fma_f32 v15, v14, v15, v6
	v_fma_f32 v15, v14, v15, v7
	;; [unrolled: 1-line block ×4, first 2 shown]
	v_fma_f32 v14, |v4|, v14, |v4|
; %bb.49:                               ;   in Loop: Header=BB243_41 Depth=1
	s_or_b64 exec, exec, s[4:5]
	v_cvt_f32_f16_e32 v15, v5
                                        ; implicit-def: $vgpr16
	v_cmp_nlt_f32_e64 s[4:5], |v15|, 1.0
	s_and_saveexec_b64 s[18:19], s[4:5]
	s_xor_b64 s[4:5], exec, s[18:19]
	s_cbranch_execz .LBB243_51
; %bb.50:                               ;   in Loop: Header=BB243_41 Depth=1
	v_fma_f32 v16, |v15|, s8, v10
	v_fma_f32 v16, |v15|, v16, s9
	v_fma_f32 v16, |v15|, v16, s10
	v_fma_f32 v16, |v15|, v16, s11
	v_fma_f32 v16, |v15|, v16, s12
	v_fma_f32 v16, |v15|, v16, s13
	v_fma_f32 v16, |v15|, v16, |v15|
	v_mul_f32_e32 v17, 0xbfb8aa3b, v16
	v_fma_f32 v18, v16, s14, -v17
	v_rndne_f32_e32 v19, v17
	v_fmac_f32_e32 v18, 0xb2a5705f, v16
	v_sub_f32_e32 v17, v17, v19
	v_add_f32_e32 v17, v17, v18
	v_cvt_i32_f32_e32 v18, v19
	v_exp_f32_e32 v17, v17
	v_cmp_nlt_f32_e32 vcc, s15, v16
	v_ldexp_f32 v17, v17, v18
	v_cndmask_b32_e32 v17, 0, v17, vcc
	v_cmp_ngt_f32_e32 vcc, s16, v16
	v_cndmask_b32_e32 v16, v11, v17, vcc
	v_sub_f32_e32 v16, 1.0, v16
.LBB243_51:                             ;   in Loop: Header=BB243_41 Depth=1
	s_andn2_saveexec_b64 s[4:5], s[4:5]
; %bb.52:                               ;   in Loop: Header=BB243_41 Depth=1
	v_mul_f32_e32 v16, v15, v15
	v_mov_b32_e32 v17, 0x3ba10414
	v_fmac_f32_e32 v17, 0xba1345e1, v16
	v_fma_f32 v17, v16, v17, v6
	v_fma_f32 v17, v16, v17, v7
	;; [unrolled: 1-line block ×4, first 2 shown]
	v_fma_f32 v16, |v15|, v16, |v15|
; %bb.53:                               ;   in Loop: Header=BB243_41 Depth=1
	s_or_b64 exec, exec, s[4:5]
	v_cvt_f32_f16_sdwa v5, v5 dst_sel:DWORD dst_unused:UNUSED_PAD src0_sel:WORD_1
                                        ; implicit-def: $vgpr17
	v_cmp_nlt_f32_e64 s[4:5], |v5|, 1.0
	s_and_saveexec_b64 s[18:19], s[4:5]
	s_xor_b64 s[4:5], exec, s[18:19]
	s_cbranch_execz .LBB243_55
; %bb.54:                               ;   in Loop: Header=BB243_41 Depth=1
	v_fma_f32 v17, |v5|, s8, v10
	v_fma_f32 v17, |v5|, v17, s9
	;; [unrolled: 1-line block ×6, first 2 shown]
	v_fma_f32 v17, |v5|, v17, |v5|
	v_mul_f32_e32 v18, 0xbfb8aa3b, v17
	v_fma_f32 v19, v17, s14, -v18
	v_rndne_f32_e32 v20, v18
	v_fmac_f32_e32 v19, 0xb2a5705f, v17
	v_sub_f32_e32 v18, v18, v20
	v_add_f32_e32 v18, v18, v19
	v_cvt_i32_f32_e32 v19, v20
	v_exp_f32_e32 v18, v18
	v_cmp_nlt_f32_e32 vcc, s15, v17
	v_ldexp_f32 v18, v18, v19
	v_cndmask_b32_e32 v18, 0, v18, vcc
	v_cmp_ngt_f32_e32 vcc, s16, v17
	v_cndmask_b32_e32 v17, v11, v18, vcc
	v_sub_f32_e32 v17, 1.0, v17
.LBB243_55:                             ;   in Loop: Header=BB243_41 Depth=1
	s_andn2_saveexec_b64 s[4:5], s[4:5]
	s_cbranch_execz .LBB243_40
; %bb.56:                               ;   in Loop: Header=BB243_41 Depth=1
	v_mul_f32_e32 v17, v5, v5
	v_mov_b32_e32 v18, 0x3ba10414
	v_fmac_f32_e32 v18, 0xba1345e1, v17
	v_fma_f32 v18, v17, v18, v6
	v_fma_f32 v18, v17, v18, v7
	v_fma_f32 v18, v17, v18, v8
	v_fma_f32 v17, v17, v18, v9
	v_fma_f32 v17, |v5|, v17, |v5|
	s_branch .LBB243_40
.LBB243_57:
	s_endpgm
	.section	.rodata,"a",@progbits
	.p2align	6, 0x0
	.amdhsa_kernel _ZN2at6native12_GLOBAL__N_125multi_tensor_apply_kernelINS1_18TensorListMetadataILi1EEENS1_14UnaryOpFunctorIN3c104HalfELi1ELi1ELi0EEEJNS0_3ErfIfEEEEEvT_T0_DpT1_
		.amdhsa_group_segment_fixed_size 0
		.amdhsa_private_segment_fixed_size 0
		.amdhsa_kernarg_size 3632
		.amdhsa_user_sgpr_count 6
		.amdhsa_user_sgpr_private_segment_buffer 1
		.amdhsa_user_sgpr_dispatch_ptr 0
		.amdhsa_user_sgpr_queue_ptr 0
		.amdhsa_user_sgpr_kernarg_segment_ptr 1
		.amdhsa_user_sgpr_dispatch_id 0
		.amdhsa_user_sgpr_flat_scratch_init 0
		.amdhsa_user_sgpr_private_segment_size 0
		.amdhsa_uses_dynamic_stack 0
		.amdhsa_system_sgpr_private_segment_wavefront_offset 0
		.amdhsa_system_sgpr_workgroup_id_x 1
		.amdhsa_system_sgpr_workgroup_id_y 0
		.amdhsa_system_sgpr_workgroup_id_z 0
		.amdhsa_system_sgpr_workgroup_info 0
		.amdhsa_system_vgpr_workitem_id 0
		.amdhsa_next_free_vgpr 28
		.amdhsa_next_free_sgpr 38
		.amdhsa_reserve_vcc 1
		.amdhsa_reserve_flat_scratch 0
		.amdhsa_float_round_mode_32 0
		.amdhsa_float_round_mode_16_64 0
		.amdhsa_float_denorm_mode_32 3
		.amdhsa_float_denorm_mode_16_64 3
		.amdhsa_dx10_clamp 1
		.amdhsa_ieee_mode 1
		.amdhsa_fp16_overflow 0
		.amdhsa_exception_fp_ieee_invalid_op 0
		.amdhsa_exception_fp_denorm_src 0
		.amdhsa_exception_fp_ieee_div_zero 0
		.amdhsa_exception_fp_ieee_overflow 0
		.amdhsa_exception_fp_ieee_underflow 0
		.amdhsa_exception_fp_ieee_inexact 0
		.amdhsa_exception_int_div_zero 0
	.end_amdhsa_kernel
	.section	.text._ZN2at6native12_GLOBAL__N_125multi_tensor_apply_kernelINS1_18TensorListMetadataILi1EEENS1_14UnaryOpFunctorIN3c104HalfELi1ELi1ELi0EEEJNS0_3ErfIfEEEEEvT_T0_DpT1_,"axG",@progbits,_ZN2at6native12_GLOBAL__N_125multi_tensor_apply_kernelINS1_18TensorListMetadataILi1EEENS1_14UnaryOpFunctorIN3c104HalfELi1ELi1ELi0EEEJNS0_3ErfIfEEEEEvT_T0_DpT1_,comdat
.Lfunc_end243:
	.size	_ZN2at6native12_GLOBAL__N_125multi_tensor_apply_kernelINS1_18TensorListMetadataILi1EEENS1_14UnaryOpFunctorIN3c104HalfELi1ELi1ELi0EEEJNS0_3ErfIfEEEEEvT_T0_DpT1_, .Lfunc_end243-_ZN2at6native12_GLOBAL__N_125multi_tensor_apply_kernelINS1_18TensorListMetadataILi1EEENS1_14UnaryOpFunctorIN3c104HalfELi1ELi1ELi0EEEJNS0_3ErfIfEEEEEvT_T0_DpT1_
                                        ; -- End function
	.set _ZN2at6native12_GLOBAL__N_125multi_tensor_apply_kernelINS1_18TensorListMetadataILi1EEENS1_14UnaryOpFunctorIN3c104HalfELi1ELi1ELi0EEEJNS0_3ErfIfEEEEEvT_T0_DpT1_.num_vgpr, 28
	.set _ZN2at6native12_GLOBAL__N_125multi_tensor_apply_kernelINS1_18TensorListMetadataILi1EEENS1_14UnaryOpFunctorIN3c104HalfELi1ELi1ELi0EEEJNS0_3ErfIfEEEEEvT_T0_DpT1_.num_agpr, 0
	.set _ZN2at6native12_GLOBAL__N_125multi_tensor_apply_kernelINS1_18TensorListMetadataILi1EEENS1_14UnaryOpFunctorIN3c104HalfELi1ELi1ELi0EEEJNS0_3ErfIfEEEEEvT_T0_DpT1_.numbered_sgpr, 38
	.set _ZN2at6native12_GLOBAL__N_125multi_tensor_apply_kernelINS1_18TensorListMetadataILi1EEENS1_14UnaryOpFunctorIN3c104HalfELi1ELi1ELi0EEEJNS0_3ErfIfEEEEEvT_T0_DpT1_.num_named_barrier, 0
	.set _ZN2at6native12_GLOBAL__N_125multi_tensor_apply_kernelINS1_18TensorListMetadataILi1EEENS1_14UnaryOpFunctorIN3c104HalfELi1ELi1ELi0EEEJNS0_3ErfIfEEEEEvT_T0_DpT1_.private_seg_size, 0
	.set _ZN2at6native12_GLOBAL__N_125multi_tensor_apply_kernelINS1_18TensorListMetadataILi1EEENS1_14UnaryOpFunctorIN3c104HalfELi1ELi1ELi0EEEJNS0_3ErfIfEEEEEvT_T0_DpT1_.uses_vcc, 1
	.set _ZN2at6native12_GLOBAL__N_125multi_tensor_apply_kernelINS1_18TensorListMetadataILi1EEENS1_14UnaryOpFunctorIN3c104HalfELi1ELi1ELi0EEEJNS0_3ErfIfEEEEEvT_T0_DpT1_.uses_flat_scratch, 0
	.set _ZN2at6native12_GLOBAL__N_125multi_tensor_apply_kernelINS1_18TensorListMetadataILi1EEENS1_14UnaryOpFunctorIN3c104HalfELi1ELi1ELi0EEEJNS0_3ErfIfEEEEEvT_T0_DpT1_.has_dyn_sized_stack, 0
	.set _ZN2at6native12_GLOBAL__N_125multi_tensor_apply_kernelINS1_18TensorListMetadataILi1EEENS1_14UnaryOpFunctorIN3c104HalfELi1ELi1ELi0EEEJNS0_3ErfIfEEEEEvT_T0_DpT1_.has_recursion, 0
	.set _ZN2at6native12_GLOBAL__N_125multi_tensor_apply_kernelINS1_18TensorListMetadataILi1EEENS1_14UnaryOpFunctorIN3c104HalfELi1ELi1ELi0EEEJNS0_3ErfIfEEEEEvT_T0_DpT1_.has_indirect_call, 0
	.section	.AMDGPU.csdata,"",@progbits
; Kernel info:
; codeLenInByte = 3204
; TotalNumSgprs: 42
; NumVgprs: 28
; ScratchSize: 0
; MemoryBound: 0
; FloatMode: 240
; IeeeMode: 1
; LDSByteSize: 0 bytes/workgroup (compile time only)
; SGPRBlocks: 5
; VGPRBlocks: 6
; NumSGPRsForWavesPerEU: 42
; NumVGPRsForWavesPerEU: 28
; Occupancy: 9
; WaveLimiterHint : 0
; COMPUTE_PGM_RSRC2:SCRATCH_EN: 0
; COMPUTE_PGM_RSRC2:USER_SGPR: 6
; COMPUTE_PGM_RSRC2:TRAP_HANDLER: 0
; COMPUTE_PGM_RSRC2:TGID_X_EN: 1
; COMPUTE_PGM_RSRC2:TGID_Y_EN: 0
; COMPUTE_PGM_RSRC2:TGID_Z_EN: 0
; COMPUTE_PGM_RSRC2:TIDIG_COMP_CNT: 0
	.section	.text._ZN2at6native12_GLOBAL__N_125multi_tensor_apply_kernelINS1_18TensorListMetadataILi1EEENS1_14UnaryOpFunctorIN3c108BFloat16ELi1ELi1ELi0EEEJNS0_3ErfIfEEEEEvT_T0_DpT1_,"axG",@progbits,_ZN2at6native12_GLOBAL__N_125multi_tensor_apply_kernelINS1_18TensorListMetadataILi1EEENS1_14UnaryOpFunctorIN3c108BFloat16ELi1ELi1ELi0EEEJNS0_3ErfIfEEEEEvT_T0_DpT1_,comdat
	.globl	_ZN2at6native12_GLOBAL__N_125multi_tensor_apply_kernelINS1_18TensorListMetadataILi1EEENS1_14UnaryOpFunctorIN3c108BFloat16ELi1ELi1ELi0EEEJNS0_3ErfIfEEEEEvT_T0_DpT1_ ; -- Begin function _ZN2at6native12_GLOBAL__N_125multi_tensor_apply_kernelINS1_18TensorListMetadataILi1EEENS1_14UnaryOpFunctorIN3c108BFloat16ELi1ELi1ELi0EEEJNS0_3ErfIfEEEEEvT_T0_DpT1_
	.p2align	8
	.type	_ZN2at6native12_GLOBAL__N_125multi_tensor_apply_kernelINS1_18TensorListMetadataILi1EEENS1_14UnaryOpFunctorIN3c108BFloat16ELi1ELi1ELi0EEEJNS0_3ErfIfEEEEEvT_T0_DpT1_,@function
_ZN2at6native12_GLOBAL__N_125multi_tensor_apply_kernelINS1_18TensorListMetadataILi1EEENS1_14UnaryOpFunctorIN3c108BFloat16ELi1ELi1ELi0EEEJNS0_3ErfIfEEEEEvT_T0_DpT1_: ; @_ZN2at6native12_GLOBAL__N_125multi_tensor_apply_kernelINS1_18TensorListMetadataILi1EEENS1_14UnaryOpFunctorIN3c108BFloat16ELi1ELi1ELi0EEEJNS0_3ErfIfEEEEEvT_T0_DpT1_
; %bb.0:
	v_mov_b32_e32 v1, s6
	global_load_ubyte v1, v1, s[4:5] offset:1760
	s_add_u32 s0, s4, s6
	s_mul_hi_u32 s1, s6, 3
	s_mul_i32 s6, s6, 3
	s_addc_u32 s2, s5, 0
	s_add_u32 s0, s0, s6
	s_addc_u32 s1, s2, s1
	s_load_dword s0, s[0:1], 0x820
	s_mov_b32 s7, 0
	s_waitcnt vmcnt(0)
	v_readfirstlane_b32 s1, v1
	s_lshl_b32 s1, s1, 3
	s_load_dwordx2 s[2:3], s[4:5], s1 offset:0x370
	s_load_dwordx2 s[10:11], s[4:5], s1 offset:0x0
	s_waitcnt lgkmcnt(0)
	s_ashr_i32 s1, s0, 31
	s_lshl_b64 s[12:13], s[0:1], 17
	s_lshl_b64 s[0:1], s[0:1], 16
	s_and_b32 s6, s10, 7
	s_sub_u32 s14, s2, s0
	s_subb_u32 s15, s3, s1
	s_and_b32 s0, s2, 3
	s_mov_b32 s1, s7
	s_or_b64 s[0:1], s[6:7], s[0:1]
	s_cmp_eq_u64 s[0:1], 0
	s_cbranch_scc1 .LBB244_37
; %bb.1:
	v_cmp_lt_i64_e64 s[0:1], s[14:15], 1
	s_and_b64 vcc, exec, s[0:1]
	s_cbranch_vccnz .LBB244_36
; %bb.2:
	v_mov_b32_e32 v1, 0x10000
	s_load_dword s2, s[4:5], 0xd3c
	v_mov_b32_e32 v2, 0
	v_cmp_lt_i64_e32 vcc, s[14:15], v[1:2]
	s_mov_b64 s[20:21], 0
	s_and_b64 s[0:1], vcc, exec
	v_cmp_lt_u64_e32 vcc, s[14:15], v[1:2]
	s_cselect_b32 s17, s15, 0
	s_cselect_b32 s16, s14, 0x10000
	s_waitcnt lgkmcnt(0)
	s_and_b32 s2, s2, 0xffff
	s_and_b64 s[0:1], vcc, exec
	s_cselect_b32 s19, s15, 0
	s_cselect_b32 s18, s14, 0x10000
	s_lshl_b32 s3, s2, 1
	s_lshl_b32 s24, s2, 2
	s_add_u32 s6, s10, s12
	v_lshlrev_b32_e32 v1, 1, v0
	s_addc_u32 s7, s11, s13
	v_mov_b32_e32 v2, s7
	v_add_co_u32_e32 v1, vcc, s6, v1
	s_mul_i32 s0, s2, 3
	v_addc_co_u32_e32 v2, vcc, 0, v2, vcc
	v_add_co_u32_e32 v5, vcc, s0, v0
	v_addc_co_u32_e64 v6, s[0:1], 0, 0, vcc
	v_add_co_u32_e32 v7, vcc, s3, v0
	v_addc_co_u32_e64 v8, s[0:1], 0, 0, vcc
	v_add_co_u32_e32 v9, vcc, s2, v0
	v_lshlrev_b32_e32 v3, 1, v9
	v_addc_co_u32_e64 v10, s[0:1], 0, 0, vcc
	v_mov_b32_e32 v4, s7
	v_add_co_u32_e32 v3, vcc, s6, v3
	s_lshl_b32 s25, s2, 3
	s_mul_i32 s26, s2, 6
	v_addc_co_u32_e32 v4, vcc, 0, v4, vcc
	s_mov_b32 s27, 0x378e98ab
	s_mov_b32 s28, 0x3b7cd369
	;; [unrolled: 1-line block ×9, first 2 shown]
	v_mov_b32_e32 v11, 0xbcdac9b8
	v_mov_b32_e32 v12, 0x3de703be
	;; [unrolled: 1-line block ×4, first 2 shown]
	s_brev_b32 s37, -2
	s_movk_i32 s38, 0x7fff
	v_mov_b32_e32 v15, 0xb9c68948
	v_mov_b32_e32 v16, 0x7f800000
	;; [unrolled: 1-line block ×3, first 2 shown]
	s_branch .LBB244_4
.LBB244_3:                              ;   in Loop: Header=BB244_4 Depth=1
	s_or_b64 exec, exec, s[0:1]
	s_add_u32 s20, s20, s24
	v_add_co_u32_e32 v1, vcc, s25, v1
	v_mov_b32_e32 v19, s17
	s_addc_u32 s21, s21, 0
	v_addc_co_u32_e32 v2, vcc, 0, v2, vcc
	v_mov_b32_e32 v18, s16
	v_cmp_ge_i64_e32 vcc, s[20:21], v[18:19]
	v_add_co_u32_e64 v3, s[0:1], s25, v3
	v_addc_co_u32_e64 v4, s[0:1], 0, v4, s[0:1]
	s_cbranch_vccnz .LBB244_36
.LBB244_4:                              ; =>This Inner Loop Header: Depth=1
	v_mov_b32_e32 v19, s21
	v_add_co_u32_e32 v18, vcc, s20, v0
	v_addc_co_u32_e32 v19, vcc, 0, v19, vcc
	v_cmp_gt_u64_e32 vcc, s[18:19], v[18:19]
	v_mov_b32_e32 v19, 0
	s_and_saveexec_b64 s[0:1], vcc
	s_cbranch_execz .LBB244_6
; %bb.5:                                ;   in Loop: Header=BB244_4 Depth=1
	global_load_ushort v18, v[1:2], off
	s_waitcnt vmcnt(0)
	v_lshlrev_b32_e32 v19, 16, v18
.LBB244_6:                              ;   in Loop: Header=BB244_4 Depth=1
	s_or_b64 exec, exec, s[0:1]
	v_mov_b32_e32 v18, s21
	v_add_co_u32_e64 v20, s[0:1], s20, v9
	v_addc_co_u32_e64 v21, s[0:1], v10, v18, s[0:1]
	v_cmp_gt_u64_e64 s[0:1], s[18:19], v[20:21]
	v_mov_b32_e32 v18, 0
	v_mov_b32_e32 v20, 0
	s_and_saveexec_b64 s[2:3], s[0:1]
	s_cbranch_execz .LBB244_8
; %bb.7:                                ;   in Loop: Header=BB244_4 Depth=1
	global_load_ushort v20, v[3:4], off
	s_waitcnt vmcnt(0)
	v_lshlrev_b32_e32 v20, 16, v20
.LBB244_8:                              ;   in Loop: Header=BB244_4 Depth=1
	s_or_b64 exec, exec, s[2:3]
	v_mov_b32_e32 v22, s21
	v_add_co_u32_e64 v21, s[2:3], s20, v7
	v_addc_co_u32_e64 v22, s[2:3], v8, v22, s[2:3]
	v_cmp_gt_u64_e64 s[2:3], s[18:19], v[21:22]
	s_and_saveexec_b64 s[8:9], s[2:3]
	s_cbranch_execz .LBB244_10
; %bb.9:                                ;   in Loop: Header=BB244_4 Depth=1
	v_add_co_u32_e64 v21, s[6:7], s24, v1
	v_addc_co_u32_e64 v22, s[6:7], 0, v2, s[6:7]
	global_load_ushort v18, v[21:22], off
	s_waitcnt vmcnt(0)
	v_lshlrev_b32_e32 v18, 16, v18
.LBB244_10:                             ;   in Loop: Header=BB244_4 Depth=1
	s_or_b64 exec, exec, s[8:9]
	v_mov_b32_e32 v22, s21
	v_add_co_u32_e64 v21, s[6:7], s20, v5
	v_addc_co_u32_e64 v22, s[6:7], v6, v22, s[6:7]
	v_cmp_gt_u64_e64 s[6:7], s[18:19], v[21:22]
	v_mov_b32_e32 v21, 0
	s_and_saveexec_b64 s[22:23], s[6:7]
	s_cbranch_execz .LBB244_12
; %bb.11:                               ;   in Loop: Header=BB244_4 Depth=1
	v_add_co_u32_e64 v21, s[8:9], s26, v1
	v_addc_co_u32_e64 v22, s[8:9], 0, v2, s[8:9]
	global_load_ushort v21, v[21:22], off
	s_waitcnt vmcnt(0)
	v_lshlrev_b32_e32 v21, 16, v21
.LBB244_12:                             ;   in Loop: Header=BB244_4 Depth=1
	s_or_b64 exec, exec, s[22:23]
	v_cmp_nlt_f32_e64 s[8:9], |v19|, 1.0
                                        ; implicit-def: $vgpr22
	s_and_saveexec_b64 s[22:23], s[8:9]
	s_xor_b64 s[22:23], exec, s[22:23]
	s_cbranch_execz .LBB244_14
; %bb.13:                               ;   in Loop: Header=BB244_4 Depth=1
	v_fma_f32 v22, |v19|, s27, v15
	v_fma_f32 v22, |v19|, v22, s28
	;; [unrolled: 1-line block ×6, first 2 shown]
	v_fma_f32 v22, |v19|, v22, |v19|
	v_mul_f32_e32 v23, 0xbfb8aa3b, v22
	v_fma_f32 v24, v22, s34, -v23
	v_rndne_f32_e32 v25, v23
	v_fmac_f32_e32 v24, 0xb2a5705f, v22
	v_sub_f32_e32 v23, v23, v25
	v_add_f32_e32 v23, v23, v24
	v_cvt_i32_f32_e32 v24, v25
	v_exp_f32_e32 v23, v23
	v_cmp_nlt_f32_e64 s[8:9], s35, v22
	v_ldexp_f32 v23, v23, v24
	v_cndmask_b32_e64 v23, 0, v23, s[8:9]
	v_cmp_ngt_f32_e64 s[8:9], s36, v22
	v_cndmask_b32_e64 v22, v16, v23, s[8:9]
	v_sub_f32_e32 v22, 1.0, v22
.LBB244_14:                             ;   in Loop: Header=BB244_4 Depth=1
	s_andn2_saveexec_b64 s[8:9], s[22:23]
; %bb.15:                               ;   in Loop: Header=BB244_4 Depth=1
	v_mul_f32_e32 v22, v19, v19
	v_mov_b32_e32 v23, 0x3ba10414
	v_fmac_f32_e32 v23, 0xba1345e1, v22
	v_fma_f32 v23, v22, v23, v11
	v_fma_f32 v23, v22, v23, v12
	;; [unrolled: 1-line block ×4, first 2 shown]
	v_fma_f32 v22, |v19|, v22, |v19|
; %bb.16:                               ;   in Loop: Header=BB244_4 Depth=1
	s_or_b64 exec, exec, s[8:9]
	v_cmp_nlt_f32_e64 s[8:9], |v20|, 1.0
                                        ; implicit-def: $vgpr23
	s_and_saveexec_b64 s[22:23], s[8:9]
	s_xor_b64 s[22:23], exec, s[22:23]
	s_cbranch_execz .LBB244_18
; %bb.17:                               ;   in Loop: Header=BB244_4 Depth=1
	v_fma_f32 v23, |v20|, s27, v15
	v_fma_f32 v23, |v20|, v23, s28
	;; [unrolled: 1-line block ×6, first 2 shown]
	v_fma_f32 v23, |v20|, v23, |v20|
	v_mul_f32_e32 v24, 0xbfb8aa3b, v23
	v_fma_f32 v25, v23, s34, -v24
	v_rndne_f32_e32 v26, v24
	v_fmac_f32_e32 v25, 0xb2a5705f, v23
	v_sub_f32_e32 v24, v24, v26
	v_add_f32_e32 v24, v24, v25
	v_cvt_i32_f32_e32 v25, v26
	v_exp_f32_e32 v24, v24
	v_cmp_nlt_f32_e64 s[8:9], s35, v23
	v_ldexp_f32 v24, v24, v25
	v_cndmask_b32_e64 v24, 0, v24, s[8:9]
	v_cmp_ngt_f32_e64 s[8:9], s36, v23
	v_cndmask_b32_e64 v23, v16, v24, s[8:9]
	v_sub_f32_e32 v23, 1.0, v23
.LBB244_18:                             ;   in Loop: Header=BB244_4 Depth=1
	s_andn2_saveexec_b64 s[8:9], s[22:23]
; %bb.19:                               ;   in Loop: Header=BB244_4 Depth=1
	v_mul_f32_e32 v23, v20, v20
	v_mov_b32_e32 v24, 0x3ba10414
	v_fmac_f32_e32 v24, 0xba1345e1, v23
	v_fma_f32 v24, v23, v24, v11
	v_fma_f32 v24, v23, v24, v12
	;; [unrolled: 1-line block ×4, first 2 shown]
	v_fma_f32 v23, |v20|, v23, |v20|
; %bb.20:                               ;   in Loop: Header=BB244_4 Depth=1
	s_or_b64 exec, exec, s[8:9]
	v_cmp_nlt_f32_e64 s[8:9], |v18|, 1.0
                                        ; implicit-def: $vgpr24
	s_and_saveexec_b64 s[22:23], s[8:9]
	s_xor_b64 s[22:23], exec, s[22:23]
	s_cbranch_execz .LBB244_22
; %bb.21:                               ;   in Loop: Header=BB244_4 Depth=1
	v_fma_f32 v24, |v18|, s27, v15
	v_fma_f32 v24, |v18|, v24, s28
	;; [unrolled: 1-line block ×6, first 2 shown]
	v_fma_f32 v24, |v18|, v24, |v18|
	v_mul_f32_e32 v25, 0xbfb8aa3b, v24
	v_fma_f32 v26, v24, s34, -v25
	v_rndne_f32_e32 v27, v25
	v_fmac_f32_e32 v26, 0xb2a5705f, v24
	v_sub_f32_e32 v25, v25, v27
	v_add_f32_e32 v25, v25, v26
	v_cvt_i32_f32_e32 v26, v27
	v_exp_f32_e32 v25, v25
	v_cmp_nlt_f32_e64 s[8:9], s35, v24
	v_ldexp_f32 v25, v25, v26
	v_cndmask_b32_e64 v25, 0, v25, s[8:9]
	v_cmp_ngt_f32_e64 s[8:9], s36, v24
	v_cndmask_b32_e64 v24, v16, v25, s[8:9]
	v_sub_f32_e32 v24, 1.0, v24
.LBB244_22:                             ;   in Loop: Header=BB244_4 Depth=1
	s_andn2_saveexec_b64 s[8:9], s[22:23]
; %bb.23:                               ;   in Loop: Header=BB244_4 Depth=1
	v_mul_f32_e32 v24, v18, v18
	v_mov_b32_e32 v25, 0x3ba10414
	v_fmac_f32_e32 v25, 0xba1345e1, v24
	v_fma_f32 v25, v24, v25, v11
	v_fma_f32 v25, v24, v25, v12
	;; [unrolled: 1-line block ×4, first 2 shown]
	v_fma_f32 v24, |v18|, v24, |v18|
; %bb.24:                               ;   in Loop: Header=BB244_4 Depth=1
	s_or_b64 exec, exec, s[8:9]
	v_cmp_nlt_f32_e64 s[8:9], |v21|, 1.0
                                        ; implicit-def: $vgpr25
	s_and_saveexec_b64 s[22:23], s[8:9]
	s_xor_b64 s[22:23], exec, s[22:23]
	s_cbranch_execnz .LBB244_30
; %bb.25:                               ;   in Loop: Header=BB244_4 Depth=1
	s_andn2_saveexec_b64 s[8:9], s[22:23]
	s_cbranch_execnz .LBB244_31
.LBB244_26:                             ;   in Loop: Header=BB244_4 Depth=1
	s_or_b64 exec, exec, s[8:9]
	s_and_saveexec_b64 s[8:9], vcc
	s_xor_b64 s[8:9], exec, s[8:9]
	s_cbranch_execnz .LBB244_32
.LBB244_27:                             ;   in Loop: Header=BB244_4 Depth=1
	s_or_b64 exec, exec, s[8:9]
	s_and_saveexec_b64 s[8:9], s[0:1]
	s_cbranch_execnz .LBB244_33
.LBB244_28:                             ;   in Loop: Header=BB244_4 Depth=1
	s_or_b64 exec, exec, s[8:9]
	s_and_saveexec_b64 s[0:1], s[2:3]
	s_cbranch_execnz .LBB244_34
.LBB244_29:                             ;   in Loop: Header=BB244_4 Depth=1
	s_or_b64 exec, exec, s[0:1]
	s_and_saveexec_b64 s[0:1], s[6:7]
	s_cbranch_execz .LBB244_3
	s_branch .LBB244_35
.LBB244_30:                             ;   in Loop: Header=BB244_4 Depth=1
	v_fma_f32 v25, |v21|, s27, v15
	v_fma_f32 v25, |v21|, v25, s28
	;; [unrolled: 1-line block ×6, first 2 shown]
	v_fma_f32 v25, |v21|, v25, |v21|
	v_mul_f32_e32 v26, 0xbfb8aa3b, v25
	v_fma_f32 v27, v25, s34, -v26
	v_rndne_f32_e32 v28, v26
	v_fmac_f32_e32 v27, 0xb2a5705f, v25
	v_sub_f32_e32 v26, v26, v28
	v_add_f32_e32 v26, v26, v27
	v_cvt_i32_f32_e32 v27, v28
	v_exp_f32_e32 v26, v26
	v_cmp_nlt_f32_e64 s[8:9], s35, v25
	v_ldexp_f32 v26, v26, v27
	v_cndmask_b32_e64 v26, 0, v26, s[8:9]
	v_cmp_ngt_f32_e64 s[8:9], s36, v25
	v_cndmask_b32_e64 v25, v16, v26, s[8:9]
	v_sub_f32_e32 v25, 1.0, v25
	s_andn2_saveexec_b64 s[8:9], s[22:23]
	s_cbranch_execz .LBB244_26
.LBB244_31:                             ;   in Loop: Header=BB244_4 Depth=1
	v_mul_f32_e32 v25, v21, v21
	v_mov_b32_e32 v26, 0x3ba10414
	v_fmac_f32_e32 v26, 0xba1345e1, v25
	v_fma_f32 v26, v25, v26, v11
	v_fma_f32 v26, v25, v26, v12
	;; [unrolled: 1-line block ×4, first 2 shown]
	v_fma_f32 v25, |v21|, v25, |v21|
	s_or_b64 exec, exec, s[8:9]
	s_and_saveexec_b64 s[8:9], vcc
	s_xor_b64 s[8:9], exec, s[8:9]
	s_cbranch_execz .LBB244_27
.LBB244_32:                             ;   in Loop: Header=BB244_4 Depth=1
	v_bfi_b32 v19, s37, v22, v19
	v_bfe_u32 v22, v19, 16, 1
	v_add3_u32 v22, v19, v22, s38
	v_cmp_o_f32_e32 vcc, v19, v19
	v_cndmask_b32_sdwa v19, v17, v22, vcc dst_sel:DWORD dst_unused:UNUSED_PAD src0_sel:DWORD src1_sel:WORD_1
	global_store_short v[1:2], v19, off
	s_or_b64 exec, exec, s[8:9]
	s_and_saveexec_b64 s[8:9], s[0:1]
	s_cbranch_execz .LBB244_28
.LBB244_33:                             ;   in Loop: Header=BB244_4 Depth=1
	v_bfi_b32 v19, s37, v23, v20
	v_bfe_u32 v20, v19, 16, 1
	v_add3_u32 v20, v19, v20, s38
	v_cmp_o_f32_e32 vcc, v19, v19
	v_cndmask_b32_sdwa v19, v17, v20, vcc dst_sel:DWORD dst_unused:UNUSED_PAD src0_sel:DWORD src1_sel:WORD_1
	global_store_short v[3:4], v19, off
	s_or_b64 exec, exec, s[8:9]
	s_and_saveexec_b64 s[0:1], s[2:3]
	s_cbranch_execz .LBB244_29
.LBB244_34:                             ;   in Loop: Header=BB244_4 Depth=1
	v_bfi_b32 v18, s37, v24, v18
	v_bfe_u32 v19, v18, 16, 1
	v_add3_u32 v19, v18, v19, s38
	v_cmp_o_f32_e32 vcc, v18, v18
	v_cndmask_b32_sdwa v20, v17, v19, vcc dst_sel:DWORD dst_unused:UNUSED_PAD src0_sel:DWORD src1_sel:WORD_1
	v_add_co_u32_e32 v18, vcc, s24, v1
	v_addc_co_u32_e32 v19, vcc, 0, v2, vcc
	global_store_short v[18:19], v20, off
	s_or_b64 exec, exec, s[0:1]
	s_and_saveexec_b64 s[0:1], s[6:7]
	s_cbranch_execz .LBB244_3
.LBB244_35:                             ;   in Loop: Header=BB244_4 Depth=1
	v_bfi_b32 v18, s37, v25, v21
	v_bfe_u32 v19, v18, 16, 1
	v_add3_u32 v19, v18, v19, s38
	v_cmp_o_f32_e32 vcc, v18, v18
	v_cndmask_b32_sdwa v20, v17, v19, vcc dst_sel:DWORD dst_unused:UNUSED_PAD src0_sel:DWORD src1_sel:WORD_1
	v_add_co_u32_e32 v18, vcc, s26, v1
	v_addc_co_u32_e32 v19, vcc, 0, v2, vcc
	global_store_short v[18:19], v20, off
	s_branch .LBB244_3
.LBB244_36:
	s_cbranch_execz .LBB244_38
	s_branch .LBB244_57
.LBB244_37:
.LBB244_38:
	v_mov_b32_e32 v1, 0x10000
	v_mov_b32_e32 v2, 0
	v_cmp_lt_i64_e32 vcc, s[14:15], v[1:2]
	v_mov_b32_e32 v2, 0
	s_and_b64 s[0:1], vcc, exec
	s_cselect_b32 s1, s15, 0
	s_cselect_b32 s0, s14, 0x10000
	v_lshlrev_b32_e32 v1, 2, v0
	v_cmp_gt_i64_e32 vcc, s[0:1], v[1:2]
	s_and_saveexec_b64 s[2:3], vcc
	s_cbranch_execz .LBB244_57
; %bb.39:
	s_load_dword s2, s[4:5], 0xd3c
	v_mov_b32_e32 v1, v2
	v_lshlrev_b32_e32 v2, 3, v0
	s_mov_b32 s8, 0x378e98ab
	s_mov_b32 s9, 0x3b7cd369
	s_waitcnt lgkmcnt(0)
	s_and_b32 s6, s2, 0xffff
	s_add_u32 s2, s10, s12
	s_addc_u32 s3, s11, s13
	v_mov_b32_e32 v3, s3
	v_add_co_u32_e32 v2, vcc, s2, v2
	v_addc_co_u32_e32 v3, vcc, 0, v3, vcc
	s_lshl_b32 s7, s6, 3
	s_mov_b64 s[2:3], 0
	s_mov_b32 s10, 0xbcc618b2
	s_mov_b32 s11, 0x3dda74e4
	;; [unrolled: 1-line block ×7, first 2 shown]
	v_mov_b32_e32 v6, 0xbcdac9b8
	v_mov_b32_e32 v7, 0x3de703be
	;; [unrolled: 1-line block ×4, first 2 shown]
	s_brev_b32 s17, -2
	s_movk_i32 s18, 0x7fff
	v_mov_b32_e32 v10, 0xb9c68948
	v_mov_b32_e32 v11, 0x7f800000
	;; [unrolled: 1-line block ×4, first 2 shown]
	s_branch .LBB244_41
.LBB244_40:                             ;   in Loop: Header=BB244_41 Depth=1
	s_or_b64 exec, exec, s[4:5]
	v_bfi_b32 v5, s17, v19, v5
	v_bfi_b32 v4, s17, v18, v4
	v_bfe_u32 v19, v5, 16, 1
	v_bfe_u32 v18, v4, 16, 1
	v_bfi_b32 v16, s17, v17, v16
	v_add3_u32 v19, v5, v19, s18
	v_add3_u32 v18, v4, v18, s18
	v_bfe_u32 v17, v16, 16, 1
	v_bfi_b32 v14, s17, v15, v14
	v_and_b32_e32 v19, 0xffff0000, v19
	v_cmp_o_f32_e32 vcc, v5, v5
	v_lshrrev_b32_e32 v18, 16, v18
	v_add3_u32 v17, v16, v17, s18
	v_bfe_u32 v15, v14, 16, 1
	v_cndmask_b32_e32 v5, v12, v19, vcc
	v_cmp_o_f32_e32 vcc, v4, v4
	v_and_b32_e32 v17, 0xffff0000, v17
	v_add3_u32 v15, v14, v15, s18
	v_cndmask_b32_e32 v4, v13, v18, vcc
	v_cmp_o_f32_e32 vcc, v16, v16
	v_lshrrev_b32_e32 v15, 16, v15
	v_cndmask_b32_e32 v16, v12, v17, vcc
	v_cmp_o_f32_e32 vcc, v14, v14
	v_cndmask_b32_e32 v14, v13, v15, vcc
	v_add_co_u32_e32 v0, vcc, s6, v0
	v_addc_co_u32_e32 v1, vcc, 0, v1, vcc
	v_or_b32_e32 v16, v16, v14
	v_lshlrev_b64 v[14:15], 2, v[0:1]
	v_or3_b32 v5, 0, v4, v5
	v_cmp_le_i64_e32 vcc, s[0:1], v[14:15]
	v_or3_b32 v4, v16, 0, 0
	global_store_dwordx2 v[2:3], v[4:5], off
	s_or_b64 s[2:3], vcc, s[2:3]
	v_add_co_u32_e32 v2, vcc, s7, v2
	v_addc_co_u32_e32 v3, vcc, 0, v3, vcc
	s_andn2_b64 exec, exec, s[2:3]
	s_cbranch_execz .LBB244_57
.LBB244_41:                             ; =>This Inner Loop Header: Depth=1
	global_load_dwordx2 v[4:5], v[2:3], off
                                        ; implicit-def: $vgpr15
	s_waitcnt vmcnt(0)
	v_lshlrev_b32_e32 v14, 16, v4
	v_cmp_nlt_f32_e64 s[4:5], |v14|, 1.0
	s_and_saveexec_b64 s[20:21], s[4:5]
	s_xor_b64 s[4:5], exec, s[20:21]
	s_cbranch_execz .LBB244_43
; %bb.42:                               ;   in Loop: Header=BB244_41 Depth=1
	v_fma_f32 v15, |v14|, s8, v10
	v_fma_f32 v15, |v14|, v15, s9
	;; [unrolled: 1-line block ×6, first 2 shown]
	v_fma_f32 v15, |v14|, v15, |v14|
	v_mul_f32_e32 v16, 0xbfb8aa3b, v15
	v_fma_f32 v17, v15, s14, -v16
	v_rndne_f32_e32 v18, v16
	v_fmac_f32_e32 v17, 0xb2a5705f, v15
	v_sub_f32_e32 v16, v16, v18
	v_add_f32_e32 v16, v16, v17
	v_cvt_i32_f32_e32 v17, v18
	v_exp_f32_e32 v16, v16
	v_cmp_nlt_f32_e32 vcc, s15, v15
	v_ldexp_f32 v16, v16, v17
	v_cndmask_b32_e32 v16, 0, v16, vcc
	v_cmp_ngt_f32_e32 vcc, s16, v15
	v_cndmask_b32_e32 v15, v11, v16, vcc
	v_sub_f32_e32 v15, 1.0, v15
.LBB244_43:                             ;   in Loop: Header=BB244_41 Depth=1
	s_andn2_saveexec_b64 s[4:5], s[4:5]
; %bb.44:                               ;   in Loop: Header=BB244_41 Depth=1
	v_mul_f32_e32 v15, v14, v14
	v_mov_b32_e32 v16, 0x3ba10414
	v_fmac_f32_e32 v16, 0xba1345e1, v15
	v_fma_f32 v16, v15, v16, v6
	v_fma_f32 v16, v15, v16, v7
	;; [unrolled: 1-line block ×4, first 2 shown]
	v_fma_f32 v15, |v14|, v15, |v14|
; %bb.45:                               ;   in Loop: Header=BB244_41 Depth=1
	s_or_b64 exec, exec, s[4:5]
	v_and_b32_e32 v16, 0xffff0000, v4
	v_cmp_nlt_f32_e64 s[4:5], |v16|, 1.0
                                        ; implicit-def: $vgpr17
	s_and_saveexec_b64 s[20:21], s[4:5]
	s_xor_b64 s[4:5], exec, s[20:21]
	s_cbranch_execz .LBB244_47
; %bb.46:                               ;   in Loop: Header=BB244_41 Depth=1
	v_fma_f32 v17, |v16|, s8, v10
	v_fma_f32 v17, |v16|, v17, s9
	;; [unrolled: 1-line block ×6, first 2 shown]
	v_fma_f32 v17, |v16|, v17, |v16|
	v_mul_f32_e32 v18, 0xbfb8aa3b, v17
	v_fma_f32 v19, v17, s14, -v18
	v_rndne_f32_e32 v20, v18
	v_fmac_f32_e32 v19, 0xb2a5705f, v17
	v_sub_f32_e32 v18, v18, v20
	v_add_f32_e32 v18, v18, v19
	v_cvt_i32_f32_e32 v19, v20
	v_exp_f32_e32 v18, v18
	v_cmp_nlt_f32_e32 vcc, s15, v17
	v_ldexp_f32 v18, v18, v19
	v_cndmask_b32_e32 v18, 0, v18, vcc
	v_cmp_ngt_f32_e32 vcc, s16, v17
	v_cndmask_b32_e32 v17, v11, v18, vcc
	v_sub_f32_e32 v17, 1.0, v17
.LBB244_47:                             ;   in Loop: Header=BB244_41 Depth=1
	s_andn2_saveexec_b64 s[4:5], s[4:5]
; %bb.48:                               ;   in Loop: Header=BB244_41 Depth=1
	v_mul_f32_e32 v17, v16, v16
	v_mov_b32_e32 v18, 0x3ba10414
	v_fmac_f32_e32 v18, 0xba1345e1, v17
	v_fma_f32 v18, v17, v18, v6
	v_fma_f32 v18, v17, v18, v7
	;; [unrolled: 1-line block ×4, first 2 shown]
	v_fma_f32 v17, |v16|, v17, |v16|
; %bb.49:                               ;   in Loop: Header=BB244_41 Depth=1
	s_or_b64 exec, exec, s[4:5]
	v_alignbit_b32 v4, v5, v4, 16
	v_and_b32_e32 v4, 0xffff0000, v4
	v_cmp_nlt_f32_e64 s[4:5], |v4|, 1.0
                                        ; implicit-def: $vgpr18
	s_and_saveexec_b64 s[20:21], s[4:5]
	s_xor_b64 s[4:5], exec, s[20:21]
	s_cbranch_execz .LBB244_51
; %bb.50:                               ;   in Loop: Header=BB244_41 Depth=1
	v_fma_f32 v18, |v4|, s8, v10
	v_fma_f32 v18, |v4|, v18, s9
	;; [unrolled: 1-line block ×6, first 2 shown]
	v_fma_f32 v18, |v4|, v18, |v4|
	v_mul_f32_e32 v19, 0xbfb8aa3b, v18
	v_fma_f32 v20, v18, s14, -v19
	v_rndne_f32_e32 v21, v19
	v_fmac_f32_e32 v20, 0xb2a5705f, v18
	v_sub_f32_e32 v19, v19, v21
	v_add_f32_e32 v19, v19, v20
	v_cvt_i32_f32_e32 v20, v21
	v_exp_f32_e32 v19, v19
	v_cmp_nlt_f32_e32 vcc, s15, v18
	v_ldexp_f32 v19, v19, v20
	v_cndmask_b32_e32 v19, 0, v19, vcc
	v_cmp_ngt_f32_e32 vcc, s16, v18
	v_cndmask_b32_e32 v18, v11, v19, vcc
	v_sub_f32_e32 v18, 1.0, v18
.LBB244_51:                             ;   in Loop: Header=BB244_41 Depth=1
	s_andn2_saveexec_b64 s[4:5], s[4:5]
; %bb.52:                               ;   in Loop: Header=BB244_41 Depth=1
	v_mul_f32_e32 v18, v4, v4
	v_mov_b32_e32 v19, 0x3ba10414
	v_fmac_f32_e32 v19, 0xba1345e1, v18
	v_fma_f32 v19, v18, v19, v6
	v_fma_f32 v19, v18, v19, v7
	;; [unrolled: 1-line block ×4, first 2 shown]
	v_fma_f32 v18, |v4|, v18, |v4|
; %bb.53:                               ;   in Loop: Header=BB244_41 Depth=1
	s_or_b64 exec, exec, s[4:5]
	v_and_b32_e32 v5, 0xffff0000, v5
	v_cmp_nlt_f32_e64 s[4:5], |v5|, 1.0
                                        ; implicit-def: $vgpr19
	s_and_saveexec_b64 s[20:21], s[4:5]
	s_xor_b64 s[4:5], exec, s[20:21]
	s_cbranch_execz .LBB244_55
; %bb.54:                               ;   in Loop: Header=BB244_41 Depth=1
	v_fma_f32 v19, |v5|, s8, v10
	v_fma_f32 v19, |v5|, v19, s9
	;; [unrolled: 1-line block ×6, first 2 shown]
	v_fma_f32 v19, |v5|, v19, |v5|
	v_mul_f32_e32 v20, 0xbfb8aa3b, v19
	v_fma_f32 v21, v19, s14, -v20
	v_rndne_f32_e32 v22, v20
	v_fmac_f32_e32 v21, 0xb2a5705f, v19
	v_sub_f32_e32 v20, v20, v22
	v_add_f32_e32 v20, v20, v21
	v_cvt_i32_f32_e32 v21, v22
	v_exp_f32_e32 v20, v20
	v_cmp_nlt_f32_e32 vcc, s15, v19
	v_ldexp_f32 v20, v20, v21
	v_cndmask_b32_e32 v20, 0, v20, vcc
	v_cmp_ngt_f32_e32 vcc, s16, v19
	v_cndmask_b32_e32 v19, v11, v20, vcc
	v_sub_f32_e32 v19, 1.0, v19
.LBB244_55:                             ;   in Loop: Header=BB244_41 Depth=1
	s_andn2_saveexec_b64 s[4:5], s[4:5]
	s_cbranch_execz .LBB244_40
; %bb.56:                               ;   in Loop: Header=BB244_41 Depth=1
	v_mul_f32_e32 v19, v5, v5
	v_mov_b32_e32 v20, 0x3ba10414
	v_fmac_f32_e32 v20, 0xba1345e1, v19
	v_fma_f32 v20, v19, v20, v6
	v_fma_f32 v20, v19, v20, v7
	;; [unrolled: 1-line block ×4, first 2 shown]
	v_fma_f32 v19, |v5|, v19, |v5|
	s_branch .LBB244_40
.LBB244_57:
	s_endpgm
	.section	.rodata,"a",@progbits
	.p2align	6, 0x0
	.amdhsa_kernel _ZN2at6native12_GLOBAL__N_125multi_tensor_apply_kernelINS1_18TensorListMetadataILi1EEENS1_14UnaryOpFunctorIN3c108BFloat16ELi1ELi1ELi0EEEJNS0_3ErfIfEEEEEvT_T0_DpT1_
		.amdhsa_group_segment_fixed_size 0
		.amdhsa_private_segment_fixed_size 0
		.amdhsa_kernarg_size 3632
		.amdhsa_user_sgpr_count 6
		.amdhsa_user_sgpr_private_segment_buffer 1
		.amdhsa_user_sgpr_dispatch_ptr 0
		.amdhsa_user_sgpr_queue_ptr 0
		.amdhsa_user_sgpr_kernarg_segment_ptr 1
		.amdhsa_user_sgpr_dispatch_id 0
		.amdhsa_user_sgpr_flat_scratch_init 0
		.amdhsa_user_sgpr_private_segment_size 0
		.amdhsa_uses_dynamic_stack 0
		.amdhsa_system_sgpr_private_segment_wavefront_offset 0
		.amdhsa_system_sgpr_workgroup_id_x 1
		.amdhsa_system_sgpr_workgroup_id_y 0
		.amdhsa_system_sgpr_workgroup_id_z 0
		.amdhsa_system_sgpr_workgroup_info 0
		.amdhsa_system_vgpr_workitem_id 0
		.amdhsa_next_free_vgpr 29
		.amdhsa_next_free_sgpr 39
		.amdhsa_reserve_vcc 1
		.amdhsa_reserve_flat_scratch 0
		.amdhsa_float_round_mode_32 0
		.amdhsa_float_round_mode_16_64 0
		.amdhsa_float_denorm_mode_32 3
		.amdhsa_float_denorm_mode_16_64 3
		.amdhsa_dx10_clamp 1
		.amdhsa_ieee_mode 1
		.amdhsa_fp16_overflow 0
		.amdhsa_exception_fp_ieee_invalid_op 0
		.amdhsa_exception_fp_denorm_src 0
		.amdhsa_exception_fp_ieee_div_zero 0
		.amdhsa_exception_fp_ieee_overflow 0
		.amdhsa_exception_fp_ieee_underflow 0
		.amdhsa_exception_fp_ieee_inexact 0
		.amdhsa_exception_int_div_zero 0
	.end_amdhsa_kernel
	.section	.text._ZN2at6native12_GLOBAL__N_125multi_tensor_apply_kernelINS1_18TensorListMetadataILi1EEENS1_14UnaryOpFunctorIN3c108BFloat16ELi1ELi1ELi0EEEJNS0_3ErfIfEEEEEvT_T0_DpT1_,"axG",@progbits,_ZN2at6native12_GLOBAL__N_125multi_tensor_apply_kernelINS1_18TensorListMetadataILi1EEENS1_14UnaryOpFunctorIN3c108BFloat16ELi1ELi1ELi0EEEJNS0_3ErfIfEEEEEvT_T0_DpT1_,comdat
.Lfunc_end244:
	.size	_ZN2at6native12_GLOBAL__N_125multi_tensor_apply_kernelINS1_18TensorListMetadataILi1EEENS1_14UnaryOpFunctorIN3c108BFloat16ELi1ELi1ELi0EEEJNS0_3ErfIfEEEEEvT_T0_DpT1_, .Lfunc_end244-_ZN2at6native12_GLOBAL__N_125multi_tensor_apply_kernelINS1_18TensorListMetadataILi1EEENS1_14UnaryOpFunctorIN3c108BFloat16ELi1ELi1ELi0EEEJNS0_3ErfIfEEEEEvT_T0_DpT1_
                                        ; -- End function
	.set _ZN2at6native12_GLOBAL__N_125multi_tensor_apply_kernelINS1_18TensorListMetadataILi1EEENS1_14UnaryOpFunctorIN3c108BFloat16ELi1ELi1ELi0EEEJNS0_3ErfIfEEEEEvT_T0_DpT1_.num_vgpr, 29
	.set _ZN2at6native12_GLOBAL__N_125multi_tensor_apply_kernelINS1_18TensorListMetadataILi1EEENS1_14UnaryOpFunctorIN3c108BFloat16ELi1ELi1ELi0EEEJNS0_3ErfIfEEEEEvT_T0_DpT1_.num_agpr, 0
	.set _ZN2at6native12_GLOBAL__N_125multi_tensor_apply_kernelINS1_18TensorListMetadataILi1EEENS1_14UnaryOpFunctorIN3c108BFloat16ELi1ELi1ELi0EEEJNS0_3ErfIfEEEEEvT_T0_DpT1_.numbered_sgpr, 39
	.set _ZN2at6native12_GLOBAL__N_125multi_tensor_apply_kernelINS1_18TensorListMetadataILi1EEENS1_14UnaryOpFunctorIN3c108BFloat16ELi1ELi1ELi0EEEJNS0_3ErfIfEEEEEvT_T0_DpT1_.num_named_barrier, 0
	.set _ZN2at6native12_GLOBAL__N_125multi_tensor_apply_kernelINS1_18TensorListMetadataILi1EEENS1_14UnaryOpFunctorIN3c108BFloat16ELi1ELi1ELi0EEEJNS0_3ErfIfEEEEEvT_T0_DpT1_.private_seg_size, 0
	.set _ZN2at6native12_GLOBAL__N_125multi_tensor_apply_kernelINS1_18TensorListMetadataILi1EEENS1_14UnaryOpFunctorIN3c108BFloat16ELi1ELi1ELi0EEEJNS0_3ErfIfEEEEEvT_T0_DpT1_.uses_vcc, 1
	.set _ZN2at6native12_GLOBAL__N_125multi_tensor_apply_kernelINS1_18TensorListMetadataILi1EEENS1_14UnaryOpFunctorIN3c108BFloat16ELi1ELi1ELi0EEEJNS0_3ErfIfEEEEEvT_T0_DpT1_.uses_flat_scratch, 0
	.set _ZN2at6native12_GLOBAL__N_125multi_tensor_apply_kernelINS1_18TensorListMetadataILi1EEENS1_14UnaryOpFunctorIN3c108BFloat16ELi1ELi1ELi0EEEJNS0_3ErfIfEEEEEvT_T0_DpT1_.has_dyn_sized_stack, 0
	.set _ZN2at6native12_GLOBAL__N_125multi_tensor_apply_kernelINS1_18TensorListMetadataILi1EEENS1_14UnaryOpFunctorIN3c108BFloat16ELi1ELi1ELi0EEEJNS0_3ErfIfEEEEEvT_T0_DpT1_.has_recursion, 0
	.set _ZN2at6native12_GLOBAL__N_125multi_tensor_apply_kernelINS1_18TensorListMetadataILi1EEENS1_14UnaryOpFunctorIN3c108BFloat16ELi1ELi1ELi0EEEJNS0_3ErfIfEEEEEvT_T0_DpT1_.has_indirect_call, 0
	.section	.AMDGPU.csdata,"",@progbits
; Kernel info:
; codeLenInByte = 3412
; TotalNumSgprs: 43
; NumVgprs: 29
; ScratchSize: 0
; MemoryBound: 0
; FloatMode: 240
; IeeeMode: 1
; LDSByteSize: 0 bytes/workgroup (compile time only)
; SGPRBlocks: 5
; VGPRBlocks: 7
; NumSGPRsForWavesPerEU: 43
; NumVGPRsForWavesPerEU: 29
; Occupancy: 8
; WaveLimiterHint : 0
; COMPUTE_PGM_RSRC2:SCRATCH_EN: 0
; COMPUTE_PGM_RSRC2:USER_SGPR: 6
; COMPUTE_PGM_RSRC2:TRAP_HANDLER: 0
; COMPUTE_PGM_RSRC2:TGID_X_EN: 1
; COMPUTE_PGM_RSRC2:TGID_Y_EN: 0
; COMPUTE_PGM_RSRC2:TGID_Z_EN: 0
; COMPUTE_PGM_RSRC2:TIDIG_COMP_CNT: 0
	.section	.text._ZN2at6native12_GLOBAL__N_125multi_tensor_apply_kernelINS1_18TensorListMetadataILi2EEENS1_14UnaryOpFunctorIdLi2ELi1ELi1EEEJNS0_7SigmoidIdEEEEEvT_T0_DpT1_,"axG",@progbits,_ZN2at6native12_GLOBAL__N_125multi_tensor_apply_kernelINS1_18TensorListMetadataILi2EEENS1_14UnaryOpFunctorIdLi2ELi1ELi1EEEJNS0_7SigmoidIdEEEEEvT_T0_DpT1_,comdat
	.globl	_ZN2at6native12_GLOBAL__N_125multi_tensor_apply_kernelINS1_18TensorListMetadataILi2EEENS1_14UnaryOpFunctorIdLi2ELi1ELi1EEEJNS0_7SigmoidIdEEEEEvT_T0_DpT1_ ; -- Begin function _ZN2at6native12_GLOBAL__N_125multi_tensor_apply_kernelINS1_18TensorListMetadataILi2EEENS1_14UnaryOpFunctorIdLi2ELi1ELi1EEEJNS0_7SigmoidIdEEEEEvT_T0_DpT1_
	.p2align	8
	.type	_ZN2at6native12_GLOBAL__N_125multi_tensor_apply_kernelINS1_18TensorListMetadataILi2EEENS1_14UnaryOpFunctorIdLi2ELi1ELi1EEEJNS0_7SigmoidIdEEEEEvT_T0_DpT1_,@function
_ZN2at6native12_GLOBAL__N_125multi_tensor_apply_kernelINS1_18TensorListMetadataILi2EEENS1_14UnaryOpFunctorIdLi2ELi1ELi1EEEJNS0_7SigmoidIdEEEEEvT_T0_DpT1_: ; @_ZN2at6native12_GLOBAL__N_125multi_tensor_apply_kernelINS1_18TensorListMetadataILi2EEENS1_14UnaryOpFunctorIdLi2ELi1ELi1EEEJNS0_7SigmoidIdEEEEEvT_T0_DpT1_
; %bb.0:
	v_mov_b32_e32 v1, s6
	global_load_ubyte v1, v1, s[4:5] offset:1536
	s_add_u32 s0, s4, s6
	s_mul_hi_u32 s2, s6, 3
	s_mul_i32 s6, s6, 3
	s_addc_u32 s7, s5, 0
	s_add_u32 s6, s0, s6
	s_addc_u32 s7, s7, s2
	s_load_dword s6, s[6:7], 0x740
	s_mov_b32 s1, 0
	s_mov_b32 s3, s1
	s_waitcnt lgkmcnt(0)
	s_ashr_i32 s7, s6, 31
	s_lshl_b64 s[18:19], s[6:7], 19
	s_lshl_b64 s[6:7], s[6:7], 16
	s_waitcnt vmcnt(0)
	v_readfirstlane_b32 s0, v1
	s_lshl_b32 s0, s0, 3
	s_load_dwordx2 s[16:17], s[4:5], 0xc50
	s_load_dwordx2 s[8:9], s[4:5], s0 offset:0x400
	s_load_dwordx2 s[22:23], s[4:5], s0 offset:0x0
	;; [unrolled: 1-line block ×3, first 2 shown]
	s_waitcnt lgkmcnt(0)
	s_add_u32 s0, s22, s18
	s_and_b32 s2, s20, 31
	s_and_b32 s0, s0, 31
	s_sub_u32 s24, s8, s6
	s_subb_u32 s25, s9, s7
	s_and_b32 s6, s8, 3
	s_mov_b32 s7, s1
	s_or_b64 s[2:3], s[2:3], s[6:7]
	s_or_b64 s[0:1], s[2:3], s[0:1]
	s_cmp_eq_u64 s[0:1], 0
	s_mov_b64 s[0:1], -1
	s_cbranch_scc0 .LBB245_5
; %bb.1:
	v_mov_b32_e32 v1, 0x10000
	v_mov_b32_e32 v2, 0
	v_cmp_lt_i64_e32 vcc, s[24:25], v[1:2]
	v_mov_b32_e32 v2, 0
	s_and_b64 s[0:1], vcc, exec
	s_cselect_b32 s27, s25, 0
	s_cselect_b32 s26, s24, 0x10000
	v_lshlrev_b32_e32 v1, 2, v0
	v_cmp_gt_i64_e32 vcc, s[26:27], v[1:2]
	s_and_saveexec_b64 s[28:29], vcc
	s_cbranch_execz .LBB245_4
; %bb.2:
	s_load_dword s0, s[4:5], 0xc64
	v_mov_b32_e32 v1, v2
	v_lshlrev_b32_e32 v2, 5, v0
	v_mov_b32_e32 v3, s19
	v_add_co_u32_e32 v13, vcc, s18, v2
	s_waitcnt lgkmcnt(0)
	s_and_b32 s33, s0, 0xffff
	s_mov_b32 s0, 0xfca7ab0c
	s_mov_b32 s1, 0x3e928af3
	;; [unrolled: 1-line block ×6, first 2 shown]
	v_mov_b32_e32 v10, s1
	s_mov_b32 s42, 0x623fde64
	s_mov_b32 s44, 0x7c89e6b0
	s_mov_b32 s46, 0x14761f6e
	s_mov_b32 s48, 0x1852b7b0
	s_mov_b32 s50, 0x11122322
	s_mov_b32 s52, 0x555502a1
	s_mov_b32 s54, 0x55555511
	s_mov_b32 s56, 11
	s_mov_b32 s58, 0
	s_mov_b32 s60, 0
	v_mov_b32_e32 v12, v1
	v_addc_co_u32_e32 v14, vcc, 0, v3, vcc
	s_lshl_b32 s62, s33, 5
	s_mov_b64 s[30:31], 0
	v_mov_b32_e32 v15, s23
	s_mov_b32 s35, 0xbff71547
	s_mov_b32 s37, 0xbfe62e42
	;; [unrolled: 1-line block ×4, first 2 shown]
	v_mov_b32_e32 v9, s0
	s_mov_b32 s43, 0x3ec71dee
	s_mov_b32 s45, 0x3efa0199
	;; [unrolled: 1-line block ×9, first 2 shown]
	v_mov_b32_e32 v16, 0x7ff00000
	s_mov_b32 s61, 0x4090cc00
	v_mov_b32_e32 v17, s21
	v_mov_b32_e32 v11, v0
.LBB245_3:                              ; =>This Inner Loop Header: Depth=1
	v_add_co_u32_e32 v1, vcc, s22, v13
	v_addc_co_u32_e32 v2, vcc, v15, v14, vcc
	global_load_dwordx4 v[5:8], v[1:2], off
	s_nop 0
	global_load_dwordx4 v[1:4], v[1:2], off offset:16
	s_waitcnt vmcnt(1)
	v_mul_f64 v[18:19], v[5:6], s[34:35]
	s_waitcnt vmcnt(0)
	v_mul_f64 v[24:25], v[3:4], s[34:35]
	v_mul_f64 v[20:21], v[7:8], s[34:35]
	;; [unrolled: 1-line block ×3, first 2 shown]
	v_cmp_ngt_f64_e64 s[2:3], s[58:59], v[3:4]
	v_cmp_ngt_f64_e64 s[6:7], s[58:59], v[5:6]
	v_cmp_nlt_f64_e64 s[8:9], s[60:61], v[5:6]
	v_cmp_nlt_f64_e64 s[14:15], s[60:61], v[3:4]
	v_rndne_f64_e32 v[18:19], v[18:19]
	v_rndne_f64_e32 v[24:25], v[24:25]
	;; [unrolled: 1-line block ×4, first 2 shown]
	v_cmp_ngt_f64_e32 vcc, s[58:59], v[7:8]
	v_cmp_ngt_f64_e64 s[0:1], s[58:59], v[1:2]
	v_cmp_nlt_f64_e64 s[10:11], s[60:61], v[7:8]
	v_cmp_nlt_f64_e64 s[12:13], s[60:61], v[1:2]
	v_fma_f64 v[26:27], v[18:19], s[36:37], -v[5:6]
	v_fma_f64 v[32:33], v[24:25], s[36:37], -v[3:4]
	;; [unrolled: 1-line block ×3, first 2 shown]
	v_cvt_i32_f64_e32 v34, v[18:19]
	v_cvt_i32_f64_e32 v37, v[24:25]
	v_fma_f64 v[30:31], v[22:23], s[36:37], -v[1:2]
	v_cvt_i32_f64_e32 v35, v[20:21]
	v_cvt_i32_f64_e32 v36, v[22:23]
	v_fma_f64 v[18:19], v[18:19], s[38:39], v[26:27]
	v_fma_f64 v[24:25], v[24:25], s[38:39], v[32:33]
	;; [unrolled: 1-line block ×40, first 2 shown]
	v_fma_f64 v[26:27], v[18:19], v[26:27], 1.0
	v_fma_f64 v[32:33], v[24:25], v[32:33], 1.0
	;; [unrolled: 1-line block ×8, first 2 shown]
	v_ldexp_f64 v[18:19], v[18:19], v34
	v_ldexp_f64 v[24:25], v[24:25], v37
	;; [unrolled: 1-line block ×4, first 2 shown]
	v_cndmask_b32_e64 v19, v16, v19, s[6:7]
	v_cndmask_b32_e64 v1, v16, v25, s[2:3]
	s_and_b64 s[6:7], s[8:9], s[6:7]
	v_cndmask_b32_e64 v2, 0, v19, s[8:9]
	v_cndmask_b32_e64 v8, 0, v1, s[14:15]
	;; [unrolled: 1-line block ×3, first 2 shown]
	v_add_f64 v[1:2], s[16:17], v[1:2]
	v_cndmask_b32_e32 v5, v16, v21, vcc
	s_and_b64 vcc, s[10:11], vcc
	v_cndmask_b32_e64 v4, 0, v5, s[10:11]
	v_cndmask_b32_e32 v3, 0, v20, vcc
	v_cndmask_b32_e64 v6, v16, v23, s[0:1]
	s_and_b64 vcc, s[12:13], s[0:1]
	v_add_f64 v[3:4], s[16:17], v[3:4]
	v_div_scale_f64 v[18:19], s[0:1], v[1:2], v[1:2], s[16:17]
	v_cndmask_b32_e64 v6, 0, v6, s[12:13]
	v_cndmask_b32_e32 v5, 0, v22, vcc
	v_add_f64 v[5:6], s[16:17], v[5:6]
	s_and_b64 vcc, s[14:15], s[2:3]
	v_cndmask_b32_e32 v7, 0, v24, vcc
	v_div_scale_f64 v[22:23], s[0:1], v[3:4], v[3:4], s[16:17]
	v_add_f64 v[7:8], s[16:17], v[7:8]
	v_div_scale_f64 v[20:21], vcc, s[16:17], v[1:2], s[16:17]
	v_div_scale_f64 v[26:27], s[2:3], v[5:6], v[5:6], s[16:17]
	v_div_scale_f64 v[24:25], s[0:1], s[16:17], v[3:4], s[16:17]
	v_rcp_f64_e32 v[34:35], v[18:19]
	v_div_scale_f64 v[30:31], s[6:7], v[7:8], v[7:8], s[16:17]
	v_div_scale_f64 v[28:29], s[2:3], s[16:17], v[5:6], s[16:17]
	;; [unrolled: 1-line block ×3, first 2 shown]
	v_rcp_f64_e32 v[36:37], v[22:23]
	v_rcp_f64_e32 v[38:39], v[26:27]
	v_fma_f64 v[42:43], -v[18:19], v[34:35], 1.0
	v_rcp_f64_e32 v[40:41], v[30:31]
	v_fma_f64 v[34:35], v[34:35], v[42:43], v[34:35]
	v_fma_f64 v[42:43], -v[22:23], v[36:37], 1.0
	v_fma_f64 v[36:37], v[36:37], v[42:43], v[36:37]
	v_fma_f64 v[42:43], -v[26:27], v[38:39], 1.0
	;; [unrolled: 2-line block ×7, first 2 shown]
	v_fma_f64 v[40:41], v[40:41], v[42:43], v[40:41]
	v_mul_f64 v[42:43], v[20:21], v[34:35]
	v_fma_f64 v[18:19], -v[18:19], v[42:43], v[20:21]
	v_mul_f64 v[20:21], v[24:25], v[36:37]
	v_div_fmas_f64 v[18:19], v[18:19], v[34:35], v[42:43]
	v_fma_f64 v[22:23], -v[22:23], v[20:21], v[24:25]
	v_mul_f64 v[24:25], v[28:29], v[38:39]
	s_mov_b64 vcc, s[0:1]
	v_div_fmas_f64 v[20:21], v[22:23], v[36:37], v[20:21]
	v_fma_f64 v[26:27], -v[26:27], v[24:25], v[28:29]
	v_mul_f64 v[28:29], v[32:33], v[40:41]
	s_mov_b64 vcc, s[2:3]
	v_div_fixup_f64 v[1:2], v[18:19], v[1:2], s[16:17]
	v_div_fmas_f64 v[22:23], v[26:27], v[38:39], v[24:25]
	v_fma_f64 v[30:31], -v[30:31], v[28:29], v[32:33]
	s_mov_b64 vcc, s[6:7]
	v_div_fixup_f64 v[3:4], v[20:21], v[3:4], s[16:17]
	v_div_fmas_f64 v[24:25], v[30:31], v[40:41], v[28:29]
	v_add_co_u32_e32 v26, vcc, s20, v13
	v_addc_co_u32_e32 v27, vcc, v17, v14, vcc
	v_add_co_u32_e32 v11, vcc, s33, v11
	v_div_fixup_f64 v[5:6], v[22:23], v[5:6], s[16:17]
	v_addc_co_u32_e32 v12, vcc, 0, v12, vcc
	v_add_co_u32_e32 v13, vcc, s62, v13
	v_lshlrev_b64 v[18:19], 2, v[11:12]
	v_addc_co_u32_e32 v14, vcc, 0, v14, vcc
	v_cmp_le_i64_e32 vcc, s[26:27], v[18:19]
	v_div_fixup_f64 v[7:8], v[24:25], v[7:8], s[16:17]
	s_or_b64 s[30:31], vcc, s[30:31]
	global_store_dwordx4 v[26:27], v[1:4], off
	global_store_dwordx4 v[26:27], v[5:8], off offset:16
	s_andn2_b64 exec, exec, s[30:31]
	s_cbranch_execnz .LBB245_3
.LBB245_4:
	s_or_b64 exec, exec, s[28:29]
	s_mov_b64 s[0:1], 0
.LBB245_5:
	s_andn2_b64 vcc, exec, s[0:1]
	s_cbranch_vccnz .LBB245_25
; %bb.6:
	v_cmp_lt_i64_e64 s[0:1], s[24:25], 1
	s_and_b64 vcc, exec, s[0:1]
	s_cbranch_vccnz .LBB245_25
; %bb.7:
	v_mov_b32_e32 v1, 0x10000
	s_load_dword s2, s[4:5], 0xc64
	v_mov_b32_e32 v2, 0
	v_cmp_lt_i64_e32 vcc, s[24:25], v[1:2]
	v_mov_b32_e32 v3, 0
	s_and_b64 s[0:1], vcc, exec
	v_cmp_lt_u64_e32 vcc, s[24:25], v[1:2]
	s_cselect_b32 s11, s25, 0
	s_cselect_b32 s10, s24, 0x10000
	s_waitcnt lgkmcnt(0)
	s_and_b32 s2, s2, 0xffff
	v_lshlrev_b32_e32 v2, 3, v0
	s_and_b64 s[0:1], vcc, exec
	v_mov_b32_e32 v1, s23
	v_add_co_u32_e32 v11, vcc, s22, v2
	v_mad_u64_u32 v[3:4], s[0:1], s2, 24, v[2:3]
	v_addc_co_u32_e32 v12, vcc, 0, v1, vcc
	v_mov_b32_e32 v1, s21
	v_add_co_u32_e32 v13, vcc, s20, v2
	v_addc_co_u32_e32 v14, vcc, 0, v1, vcc
	v_mov_b32_e32 v1, s23
	v_add_co_u32_e32 v15, vcc, s22, v3
	;; [unrolled: 3-line block ×3, first 2 shown]
	s_cselect_b32 s13, s25, 0
	s_cselect_b32 s12, s24, 0x10000
	v_addc_co_u32_e32 v18, vcc, v1, v4, vcc
	s_lshl_b32 s0, s2, 4
	v_add_co_u32_e32 v1, vcc, s0, v2
	v_addc_co_u32_e64 v2, s[0:1], 0, 0, vcc
	v_mov_b32_e32 v3, s23
	v_add_co_u32_e32 v19, vcc, s22, v1
	v_addc_co_u32_e32 v20, vcc, v3, v2, vcc
	v_mov_b32_e32 v3, s21
	v_add_co_u32_e32 v21, vcc, s20, v1
	v_addc_co_u32_e32 v22, vcc, v3, v2, vcc
	v_add_co_u32_e32 v23, vcc, s2, v0
	v_lshlrev_b32_e32 v1, 3, v23
	v_addc_co_u32_e64 v24, s[0:1], 0, 0, vcc
	v_mov_b32_e32 v2, s23
	v_add_co_u32_e32 v25, vcc, s22, v1
	v_addc_co_u32_e32 v26, vcc, 0, v2, vcc
	v_mov_b32_e32 v2, s21
	v_add_co_u32_e32 v27, vcc, s20, v1
	s_mul_i32 s4, s2, 3
	v_addc_co_u32_e32 v28, vcc, 0, v2, vcc
	s_lshl_b32 s3, s2, 1
	v_add_co_u32_e32 v29, vcc, s4, v0
	s_mov_b32 s20, 0x652b82fe
	s_mov_b32 s22, 0xfefa39ef
	;; [unrolled: 1-line block ×14, first 2 shown]
	v_addc_co_u32_e64 v30, s[0:1], 0, 0, vcc
	v_add_co_u32_e32 v31, vcc, s3, v0
	s_lshl_b32 s33, s2, 2
	s_lshl_b32 s52, s2, 5
	s_mov_b64 s[14:15], 0
	s_mov_b32 s21, 0xbff71547
	s_mov_b32 s23, 0xbfe62e42
	;; [unrolled: 1-line block ×14, first 2 shown]
	v_mov_b32_e32 v1, 0xfca7ab0c
	v_mov_b32_e32 v2, 0x3e928af3
	v_addc_co_u32_e64 v32, s[0:1], 0, 0, vcc
	v_mov_b32_e32 v33, 0x7ff00000
	s_branch .LBB245_9
.LBB245_8:                              ;   in Loop: Header=BB245_9 Depth=1
	s_or_b64 exec, exec, s[2:3]
	v_add_co_u32_e32 v11, vcc, s52, v11
	v_addc_co_u32_e32 v12, vcc, 0, v12, vcc
	v_add_co_u32_e32 v13, vcc, s52, v13
	v_addc_co_u32_e32 v14, vcc, 0, v14, vcc
	;; [unrolled: 2-line block ×6, first 2 shown]
	s_add_u32 s14, s14, s33
	v_add_co_u32_e32 v25, vcc, s52, v25
	s_waitcnt vmcnt(0)
	v_mov_b32_e32 v3, s10
	s_addc_u32 s15, s15, 0
	v_addc_co_u32_e32 v26, vcc, 0, v26, vcc
	v_mov_b32_e32 v4, s11
	v_cmp_ge_i64_e32 vcc, s[14:15], v[3:4]
	v_add_co_u32_e64 v27, s[0:1], s52, v27
	v_addc_co_u32_e64 v28, s[0:1], 0, v28, s[0:1]
	s_cbranch_vccnz .LBB245_25
.LBB245_9:                              ; =>This Inner Loop Header: Depth=1
	v_mov_b32_e32 v4, s15
	v_add_co_u32_e32 v3, vcc, s14, v0
	v_addc_co_u32_e32 v4, vcc, 0, v4, vcc
	v_cmp_gt_u64_e32 vcc, s[12:13], v[3:4]
	v_mov_b32_e32 v7, 0
	v_mov_b32_e32 v9, 0
	;; [unrolled: 1-line block ×4, first 2 shown]
	s_and_saveexec_b64 s[2:3], vcc
	s_cbranch_execz .LBB245_11
; %bb.10:                               ;   in Loop: Header=BB245_9 Depth=1
	v_mov_b32_e32 v4, s19
	v_add_co_u32_e64 v3, s[0:1], s18, v11
	v_addc_co_u32_e64 v4, s[0:1], v12, v4, s[0:1]
	global_load_dwordx2 v[9:10], v[3:4], off
.LBB245_11:                             ;   in Loop: Header=BB245_9 Depth=1
	s_or_b64 exec, exec, s[2:3]
	v_mov_b32_e32 v4, s15
	v_add_co_u32_e64 v3, s[0:1], s14, v23
	v_addc_co_u32_e64 v4, s[0:1], v24, v4, s[0:1]
	v_cmp_gt_u64_e64 s[4:5], s[12:13], v[3:4]
	s_and_saveexec_b64 s[2:3], s[4:5]
	s_cbranch_execz .LBB245_13
; %bb.12:                               ;   in Loop: Header=BB245_9 Depth=1
	v_mov_b32_e32 v4, s19
	v_add_co_u32_e64 v3, s[0:1], s18, v25
	v_addc_co_u32_e64 v4, s[0:1], v26, v4, s[0:1]
	global_load_dwordx2 v[7:8], v[3:4], off
.LBB245_13:                             ;   in Loop: Header=BB245_9 Depth=1
	s_or_b64 exec, exec, s[2:3]
	v_mov_b32_e32 v4, s15
	v_add_co_u32_e64 v3, s[0:1], s14, v31
	v_addc_co_u32_e64 v4, s[0:1], v32, v4, s[0:1]
	v_cmp_gt_u64_e64 s[2:3], s[12:13], v[3:4]
	v_mov_b32_e32 v3, 0
	v_mov_b32_e32 v5, 0
	v_mov_b32_e32 v4, 0
	v_mov_b32_e32 v6, 0
	s_and_saveexec_b64 s[6:7], s[2:3]
	s_cbranch_execz .LBB245_15
; %bb.14:                               ;   in Loop: Header=BB245_9 Depth=1
	v_mov_b32_e32 v6, s19
	v_add_co_u32_e64 v5, s[0:1], s18, v19
	v_addc_co_u32_e64 v6, s[0:1], v20, v6, s[0:1]
	global_load_dwordx2 v[5:6], v[5:6], off
.LBB245_15:                             ;   in Loop: Header=BB245_9 Depth=1
	s_or_b64 exec, exec, s[6:7]
	v_mov_b32_e32 v35, s15
	v_add_co_u32_e64 v34, s[0:1], s14, v29
	v_addc_co_u32_e64 v35, s[0:1], v30, v35, s[0:1]
	v_cmp_gt_u64_e64 s[0:1], s[12:13], v[34:35]
	s_and_saveexec_b64 s[8:9], s[0:1]
	s_cbranch_execnz .LBB245_20
; %bb.16:                               ;   in Loop: Header=BB245_9 Depth=1
	s_or_b64 exec, exec, s[8:9]
	s_and_saveexec_b64 s[50:51], vcc
	s_cbranch_execnz .LBB245_21
.LBB245_17:                             ;   in Loop: Header=BB245_9 Depth=1
	s_or_b64 exec, exec, s[50:51]
	s_and_saveexec_b64 s[6:7], s[4:5]
	s_cbranch_execnz .LBB245_22
.LBB245_18:                             ;   in Loop: Header=BB245_9 Depth=1
	s_or_b64 exec, exec, s[6:7]
	s_and_saveexec_b64 s[4:5], s[2:3]
	s_cbranch_execnz .LBB245_23
.LBB245_19:                             ;   in Loop: Header=BB245_9 Depth=1
	s_or_b64 exec, exec, s[4:5]
	s_and_saveexec_b64 s[2:3], s[0:1]
	s_cbranch_execz .LBB245_8
	s_branch .LBB245_24
.LBB245_20:                             ;   in Loop: Header=BB245_9 Depth=1
	v_mov_b32_e32 v4, s19
	v_add_co_u32_e64 v3, s[6:7], s18, v15
	v_addc_co_u32_e64 v4, s[6:7], v16, v4, s[6:7]
	global_load_dwordx2 v[3:4], v[3:4], off
	s_or_b64 exec, exec, s[8:9]
	s_and_saveexec_b64 s[50:51], vcc
	s_cbranch_execz .LBB245_17
.LBB245_21:                             ;   in Loop: Header=BB245_9 Depth=1
	s_waitcnt vmcnt(0)
	v_mul_f64 v[34:35], v[9:10], s[20:21]
	v_cmp_ngt_f64_e32 vcc, s[46:47], v[9:10]
	v_cmp_nlt_f64_e64 s[6:7], s[48:49], v[9:10]
	v_rndne_f64_e32 v[34:35], v[34:35]
	s_and_b64 s[8:9], s[6:7], vcc
	v_fma_f64 v[36:37], v[34:35], s[22:23], -v[9:10]
	v_fma_f64 v[36:37], v[34:35], s[24:25], v[36:37]
	v_cvt_i32_f64_e32 v34, v[34:35]
	v_fma_f64 v[38:39], v[36:37], s[26:27], v[1:2]
	v_fma_f64 v[38:39], v[36:37], v[38:39], s[28:29]
	;; [unrolled: 1-line block ×9, first 2 shown]
	v_fma_f64 v[38:39], v[36:37], v[38:39], 1.0
	v_fma_f64 v[36:37], v[36:37], v[38:39], 1.0
	v_ldexp_f64 v[9:10], v[36:37], v34
	v_cndmask_b32_e32 v10, v33, v10, vcc
	v_cndmask_b32_e64 v9, 0, v9, s[8:9]
	v_cndmask_b32_e64 v10, 0, v10, s[6:7]
	v_add_f64 v[9:10], s[16:17], v[9:10]
	v_div_scale_f64 v[34:35], s[6:7], v[9:10], v[9:10], s[16:17]
	v_div_scale_f64 v[40:41], vcc, s[16:17], v[9:10], s[16:17]
	v_rcp_f64_e32 v[36:37], v[34:35]
	v_fma_f64 v[38:39], -v[34:35], v[36:37], 1.0
	v_fma_f64 v[36:37], v[36:37], v[38:39], v[36:37]
	v_fma_f64 v[38:39], -v[34:35], v[36:37], 1.0
	v_fma_f64 v[36:37], v[36:37], v[38:39], v[36:37]
	v_mul_f64 v[38:39], v[40:41], v[36:37]
	v_fma_f64 v[34:35], -v[34:35], v[38:39], v[40:41]
	v_div_fmas_f64 v[34:35], v[34:35], v[36:37], v[38:39]
	v_div_fixup_f64 v[9:10], v[34:35], v[9:10], s[16:17]
	v_mov_b32_e32 v35, s19
	v_add_co_u32_e32 v34, vcc, s18, v13
	v_addc_co_u32_e32 v35, vcc, v14, v35, vcc
	global_store_dwordx2 v[34:35], v[9:10], off
	s_or_b64 exec, exec, s[50:51]
	s_and_saveexec_b64 s[6:7], s[4:5]
	s_cbranch_execz .LBB245_18
.LBB245_22:                             ;   in Loop: Header=BB245_9 Depth=1
	s_waitcnt vmcnt(0)
	v_mul_f64 v[9:10], v[7:8], s[20:21]
	v_cmp_ngt_f64_e32 vcc, s[46:47], v[7:8]
	v_cmp_nlt_f64_e64 s[4:5], s[48:49], v[7:8]
	v_rndne_f64_e32 v[9:10], v[9:10]
	v_fma_f64 v[34:35], v[9:10], s[22:23], -v[7:8]
	v_fma_f64 v[34:35], v[9:10], s[24:25], v[34:35]
	v_cvt_i32_f64_e32 v9, v[9:10]
	v_fma_f64 v[36:37], v[34:35], s[26:27], v[1:2]
	v_fma_f64 v[36:37], v[34:35], v[36:37], s[28:29]
	;; [unrolled: 1-line block ×9, first 2 shown]
	v_fma_f64 v[36:37], v[34:35], v[36:37], 1.0
	v_fma_f64 v[34:35], v[34:35], v[36:37], 1.0
	v_ldexp_f64 v[9:10], v[34:35], v9
	v_cndmask_b32_e32 v10, v33, v10, vcc
	s_and_b64 vcc, s[4:5], vcc
	v_cndmask_b32_e64 v8, 0, v10, s[4:5]
	v_cndmask_b32_e32 v7, 0, v9, vcc
	v_add_f64 v[7:8], s[16:17], v[7:8]
	v_div_scale_f64 v[9:10], s[4:5], v[7:8], v[7:8], s[16:17]
	v_div_scale_f64 v[38:39], vcc, s[16:17], v[7:8], s[16:17]
	v_rcp_f64_e32 v[34:35], v[9:10]
	v_fma_f64 v[36:37], -v[9:10], v[34:35], 1.0
	v_fma_f64 v[34:35], v[34:35], v[36:37], v[34:35]
	v_fma_f64 v[36:37], -v[9:10], v[34:35], 1.0
	v_fma_f64 v[34:35], v[34:35], v[36:37], v[34:35]
	v_mul_f64 v[36:37], v[38:39], v[34:35]
	v_fma_f64 v[9:10], -v[9:10], v[36:37], v[38:39]
	v_div_fmas_f64 v[9:10], v[9:10], v[34:35], v[36:37]
	v_div_fixup_f64 v[7:8], v[9:10], v[7:8], s[16:17]
	v_mov_b32_e32 v10, s19
	v_add_co_u32_e32 v9, vcc, s18, v27
	v_addc_co_u32_e32 v10, vcc, v28, v10, vcc
	global_store_dwordx2 v[9:10], v[7:8], off
	s_or_b64 exec, exec, s[6:7]
	s_and_saveexec_b64 s[4:5], s[2:3]
	s_cbranch_execz .LBB245_19
.LBB245_23:                             ;   in Loop: Header=BB245_9 Depth=1
	s_waitcnt vmcnt(0)
	v_mul_f64 v[7:8], v[5:6], s[20:21]
	v_cmp_ngt_f64_e32 vcc, s[46:47], v[5:6]
	v_cmp_nlt_f64_e64 s[2:3], s[48:49], v[5:6]
	v_rndne_f64_e32 v[7:8], v[7:8]
	v_fma_f64 v[9:10], v[7:8], s[22:23], -v[5:6]
	v_fma_f64 v[9:10], v[7:8], s[24:25], v[9:10]
	v_cvt_i32_f64_e32 v7, v[7:8]
	v_fma_f64 v[34:35], v[9:10], s[26:27], v[1:2]
	v_fma_f64 v[34:35], v[9:10], v[34:35], s[28:29]
	;; [unrolled: 1-line block ×9, first 2 shown]
	v_fma_f64 v[34:35], v[9:10], v[34:35], 1.0
	v_fma_f64 v[9:10], v[9:10], v[34:35], 1.0
	v_ldexp_f64 v[7:8], v[9:10], v7
	v_cndmask_b32_e32 v8, v33, v8, vcc
	s_and_b64 vcc, s[2:3], vcc
	v_cndmask_b32_e64 v6, 0, v8, s[2:3]
	v_cndmask_b32_e32 v5, 0, v7, vcc
	v_add_f64 v[5:6], s[16:17], v[5:6]
	v_div_scale_f64 v[7:8], s[2:3], v[5:6], v[5:6], s[16:17]
	v_div_scale_f64 v[36:37], vcc, s[16:17], v[5:6], s[16:17]
	v_rcp_f64_e32 v[9:10], v[7:8]
	v_fma_f64 v[34:35], -v[7:8], v[9:10], 1.0
	v_fma_f64 v[9:10], v[9:10], v[34:35], v[9:10]
	v_fma_f64 v[34:35], -v[7:8], v[9:10], 1.0
	v_fma_f64 v[9:10], v[9:10], v[34:35], v[9:10]
	v_mul_f64 v[34:35], v[36:37], v[9:10]
	v_fma_f64 v[7:8], -v[7:8], v[34:35], v[36:37]
	v_div_fmas_f64 v[7:8], v[7:8], v[9:10], v[34:35]
	v_div_fixup_f64 v[5:6], v[7:8], v[5:6], s[16:17]
	v_mov_b32_e32 v8, s19
	v_add_co_u32_e32 v7, vcc, s18, v21
	v_addc_co_u32_e32 v8, vcc, v22, v8, vcc
	global_store_dwordx2 v[7:8], v[5:6], off
	s_or_b64 exec, exec, s[4:5]
	s_and_saveexec_b64 s[2:3], s[0:1]
	s_cbranch_execz .LBB245_8
.LBB245_24:                             ;   in Loop: Header=BB245_9 Depth=1
	s_waitcnt vmcnt(0)
	v_mul_f64 v[5:6], v[3:4], s[20:21]
	v_cmp_ngt_f64_e32 vcc, s[46:47], v[3:4]
	v_cmp_nlt_f64_e64 s[0:1], s[48:49], v[3:4]
	v_rndne_f64_e32 v[5:6], v[5:6]
	v_fma_f64 v[7:8], v[5:6], s[22:23], -v[3:4]
	v_fma_f64 v[7:8], v[5:6], s[24:25], v[7:8]
	v_cvt_i32_f64_e32 v5, v[5:6]
	v_fma_f64 v[9:10], v[7:8], s[26:27], v[1:2]
	v_fma_f64 v[9:10], v[7:8], v[9:10], s[28:29]
	;; [unrolled: 1-line block ×9, first 2 shown]
	v_fma_f64 v[9:10], v[7:8], v[9:10], 1.0
	v_fma_f64 v[7:8], v[7:8], v[9:10], 1.0
	v_ldexp_f64 v[5:6], v[7:8], v5
	v_cndmask_b32_e32 v6, v33, v6, vcc
	s_and_b64 vcc, s[0:1], vcc
	v_cndmask_b32_e64 v4, 0, v6, s[0:1]
	v_cndmask_b32_e32 v3, 0, v5, vcc
	v_add_f64 v[3:4], s[16:17], v[3:4]
	v_div_scale_f64 v[5:6], s[0:1], v[3:4], v[3:4], s[16:17]
	v_div_scale_f64 v[34:35], vcc, s[16:17], v[3:4], s[16:17]
	v_rcp_f64_e32 v[7:8], v[5:6]
	v_fma_f64 v[9:10], -v[5:6], v[7:8], 1.0
	v_fma_f64 v[7:8], v[7:8], v[9:10], v[7:8]
	v_fma_f64 v[9:10], -v[5:6], v[7:8], 1.0
	v_fma_f64 v[7:8], v[7:8], v[9:10], v[7:8]
	v_mul_f64 v[9:10], v[34:35], v[7:8]
	v_fma_f64 v[5:6], -v[5:6], v[9:10], v[34:35]
	v_div_fmas_f64 v[5:6], v[5:6], v[7:8], v[9:10]
	v_div_fixup_f64 v[3:4], v[5:6], v[3:4], s[16:17]
	v_mov_b32_e32 v6, s19
	v_add_co_u32_e32 v5, vcc, s18, v17
	v_addc_co_u32_e32 v6, vcc, v18, v6, vcc
	global_store_dwordx2 v[5:6], v[3:4], off
	s_branch .LBB245_8
.LBB245_25:
	s_endpgm
	.section	.rodata,"a",@progbits
	.p2align	6, 0x0
	.amdhsa_kernel _ZN2at6native12_GLOBAL__N_125multi_tensor_apply_kernelINS1_18TensorListMetadataILi2EEENS1_14UnaryOpFunctorIdLi2ELi1ELi1EEEJNS0_7SigmoidIdEEEEEvT_T0_DpT1_
		.amdhsa_group_segment_fixed_size 0
		.amdhsa_private_segment_fixed_size 0
		.amdhsa_kernarg_size 3416
		.amdhsa_user_sgpr_count 6
		.amdhsa_user_sgpr_private_segment_buffer 1
		.amdhsa_user_sgpr_dispatch_ptr 0
		.amdhsa_user_sgpr_queue_ptr 0
		.amdhsa_user_sgpr_kernarg_segment_ptr 1
		.amdhsa_user_sgpr_dispatch_id 0
		.amdhsa_user_sgpr_flat_scratch_init 0
		.amdhsa_user_sgpr_private_segment_size 0
		.amdhsa_uses_dynamic_stack 0
		.amdhsa_system_sgpr_private_segment_wavefront_offset 0
		.amdhsa_system_sgpr_workgroup_id_x 1
		.amdhsa_system_sgpr_workgroup_id_y 0
		.amdhsa_system_sgpr_workgroup_id_z 0
		.amdhsa_system_sgpr_workgroup_info 0
		.amdhsa_system_vgpr_workitem_id 0
		.amdhsa_next_free_vgpr 44
		.amdhsa_next_free_sgpr 63
		.amdhsa_reserve_vcc 1
		.amdhsa_reserve_flat_scratch 0
		.amdhsa_float_round_mode_32 0
		.amdhsa_float_round_mode_16_64 0
		.amdhsa_float_denorm_mode_32 3
		.amdhsa_float_denorm_mode_16_64 3
		.amdhsa_dx10_clamp 1
		.amdhsa_ieee_mode 1
		.amdhsa_fp16_overflow 0
		.amdhsa_exception_fp_ieee_invalid_op 0
		.amdhsa_exception_fp_denorm_src 0
		.amdhsa_exception_fp_ieee_div_zero 0
		.amdhsa_exception_fp_ieee_overflow 0
		.amdhsa_exception_fp_ieee_underflow 0
		.amdhsa_exception_fp_ieee_inexact 0
		.amdhsa_exception_int_div_zero 0
	.end_amdhsa_kernel
	.section	.text._ZN2at6native12_GLOBAL__N_125multi_tensor_apply_kernelINS1_18TensorListMetadataILi2EEENS1_14UnaryOpFunctorIdLi2ELi1ELi1EEEJNS0_7SigmoidIdEEEEEvT_T0_DpT1_,"axG",@progbits,_ZN2at6native12_GLOBAL__N_125multi_tensor_apply_kernelINS1_18TensorListMetadataILi2EEENS1_14UnaryOpFunctorIdLi2ELi1ELi1EEEJNS0_7SigmoidIdEEEEEvT_T0_DpT1_,comdat
.Lfunc_end245:
	.size	_ZN2at6native12_GLOBAL__N_125multi_tensor_apply_kernelINS1_18TensorListMetadataILi2EEENS1_14UnaryOpFunctorIdLi2ELi1ELi1EEEJNS0_7SigmoidIdEEEEEvT_T0_DpT1_, .Lfunc_end245-_ZN2at6native12_GLOBAL__N_125multi_tensor_apply_kernelINS1_18TensorListMetadataILi2EEENS1_14UnaryOpFunctorIdLi2ELi1ELi1EEEJNS0_7SigmoidIdEEEEEvT_T0_DpT1_
                                        ; -- End function
	.set _ZN2at6native12_GLOBAL__N_125multi_tensor_apply_kernelINS1_18TensorListMetadataILi2EEENS1_14UnaryOpFunctorIdLi2ELi1ELi1EEEJNS0_7SigmoidIdEEEEEvT_T0_DpT1_.num_vgpr, 44
	.set _ZN2at6native12_GLOBAL__N_125multi_tensor_apply_kernelINS1_18TensorListMetadataILi2EEENS1_14UnaryOpFunctorIdLi2ELi1ELi1EEEJNS0_7SigmoidIdEEEEEvT_T0_DpT1_.num_agpr, 0
	.set _ZN2at6native12_GLOBAL__N_125multi_tensor_apply_kernelINS1_18TensorListMetadataILi2EEENS1_14UnaryOpFunctorIdLi2ELi1ELi1EEEJNS0_7SigmoidIdEEEEEvT_T0_DpT1_.numbered_sgpr, 63
	.set _ZN2at6native12_GLOBAL__N_125multi_tensor_apply_kernelINS1_18TensorListMetadataILi2EEENS1_14UnaryOpFunctorIdLi2ELi1ELi1EEEJNS0_7SigmoidIdEEEEEvT_T0_DpT1_.num_named_barrier, 0
	.set _ZN2at6native12_GLOBAL__N_125multi_tensor_apply_kernelINS1_18TensorListMetadataILi2EEENS1_14UnaryOpFunctorIdLi2ELi1ELi1EEEJNS0_7SigmoidIdEEEEEvT_T0_DpT1_.private_seg_size, 0
	.set _ZN2at6native12_GLOBAL__N_125multi_tensor_apply_kernelINS1_18TensorListMetadataILi2EEENS1_14UnaryOpFunctorIdLi2ELi1ELi1EEEJNS0_7SigmoidIdEEEEEvT_T0_DpT1_.uses_vcc, 1
	.set _ZN2at6native12_GLOBAL__N_125multi_tensor_apply_kernelINS1_18TensorListMetadataILi2EEENS1_14UnaryOpFunctorIdLi2ELi1ELi1EEEJNS0_7SigmoidIdEEEEEvT_T0_DpT1_.uses_flat_scratch, 0
	.set _ZN2at6native12_GLOBAL__N_125multi_tensor_apply_kernelINS1_18TensorListMetadataILi2EEENS1_14UnaryOpFunctorIdLi2ELi1ELi1EEEJNS0_7SigmoidIdEEEEEvT_T0_DpT1_.has_dyn_sized_stack, 0
	.set _ZN2at6native12_GLOBAL__N_125multi_tensor_apply_kernelINS1_18TensorListMetadataILi2EEENS1_14UnaryOpFunctorIdLi2ELi1ELi1EEEJNS0_7SigmoidIdEEEEEvT_T0_DpT1_.has_recursion, 0
	.set _ZN2at6native12_GLOBAL__N_125multi_tensor_apply_kernelINS1_18TensorListMetadataILi2EEENS1_14UnaryOpFunctorIdLi2ELi1ELi1EEEJNS0_7SigmoidIdEEEEEvT_T0_DpT1_.has_indirect_call, 0
	.section	.AMDGPU.csdata,"",@progbits
; Kernel info:
; codeLenInByte = 3812
; TotalNumSgprs: 67
; NumVgprs: 44
; ScratchSize: 0
; MemoryBound: 0
; FloatMode: 240
; IeeeMode: 1
; LDSByteSize: 0 bytes/workgroup (compile time only)
; SGPRBlocks: 8
; VGPRBlocks: 10
; NumSGPRsForWavesPerEU: 67
; NumVGPRsForWavesPerEU: 44
; Occupancy: 5
; WaveLimiterHint : 0
; COMPUTE_PGM_RSRC2:SCRATCH_EN: 0
; COMPUTE_PGM_RSRC2:USER_SGPR: 6
; COMPUTE_PGM_RSRC2:TRAP_HANDLER: 0
; COMPUTE_PGM_RSRC2:TGID_X_EN: 1
; COMPUTE_PGM_RSRC2:TGID_Y_EN: 0
; COMPUTE_PGM_RSRC2:TGID_Z_EN: 0
; COMPUTE_PGM_RSRC2:TIDIG_COMP_CNT: 0
	.section	.text._ZN2at6native12_GLOBAL__N_125multi_tensor_apply_kernelINS1_18TensorListMetadataILi2EEENS1_14UnaryOpFunctorIfLi2ELi1ELi1EEEJNS0_7SigmoidIfEEEEEvT_T0_DpT1_,"axG",@progbits,_ZN2at6native12_GLOBAL__N_125multi_tensor_apply_kernelINS1_18TensorListMetadataILi2EEENS1_14UnaryOpFunctorIfLi2ELi1ELi1EEEJNS0_7SigmoidIfEEEEEvT_T0_DpT1_,comdat
	.globl	_ZN2at6native12_GLOBAL__N_125multi_tensor_apply_kernelINS1_18TensorListMetadataILi2EEENS1_14UnaryOpFunctorIfLi2ELi1ELi1EEEJNS0_7SigmoidIfEEEEEvT_T0_DpT1_ ; -- Begin function _ZN2at6native12_GLOBAL__N_125multi_tensor_apply_kernelINS1_18TensorListMetadataILi2EEENS1_14UnaryOpFunctorIfLi2ELi1ELi1EEEJNS0_7SigmoidIfEEEEEvT_T0_DpT1_
	.p2align	8
	.type	_ZN2at6native12_GLOBAL__N_125multi_tensor_apply_kernelINS1_18TensorListMetadataILi2EEENS1_14UnaryOpFunctorIfLi2ELi1ELi1EEEJNS0_7SigmoidIfEEEEEvT_T0_DpT1_,@function
_ZN2at6native12_GLOBAL__N_125multi_tensor_apply_kernelINS1_18TensorListMetadataILi2EEENS1_14UnaryOpFunctorIfLi2ELi1ELi1EEEJNS0_7SigmoidIfEEEEEvT_T0_DpT1_: ; @_ZN2at6native12_GLOBAL__N_125multi_tensor_apply_kernelINS1_18TensorListMetadataILi2EEENS1_14UnaryOpFunctorIfLi2ELi1ELi1EEEJNS0_7SigmoidIfEEEEEvT_T0_DpT1_
; %bb.0:
	v_mov_b32_e32 v1, s6
	global_load_ubyte v1, v1, s[4:5] offset:1536
	s_add_u32 s0, s4, s6
	s_mul_hi_u32 s2, s6, 3
	s_mul_i32 s6, s6, 3
	s_addc_u32 s7, s5, 0
	s_add_u32 s6, s0, s6
	s_addc_u32 s7, s7, s2
	s_load_dword s6, s[6:7], 0x740
	s_mov_b32 s1, 0
	s_mov_b32 s3, s1
	s_waitcnt lgkmcnt(0)
	s_ashr_i32 s7, s6, 31
	s_lshl_b64 s[8:9], s[6:7], 18
	s_lshl_b64 s[6:7], s[6:7], 16
	s_waitcnt vmcnt(0)
	v_readfirstlane_b32 s0, v1
	s_lshl_b32 s0, s0, 3
	s_load_dword s22, s[4:5], 0xc4c
	s_load_dwordx2 s[14:15], s[4:5], s0 offset:0x400
	s_load_dwordx2 s[12:13], s[4:5], s0 offset:0x0
	;; [unrolled: 1-line block ×3, first 2 shown]
	s_waitcnt lgkmcnt(0)
	s_add_u32 s0, s12, s8
	s_and_b32 s2, s10, 15
	s_and_b32 s0, s0, 15
	s_sub_u32 s16, s14, s6
	s_subb_u32 s17, s15, s7
	s_and_b32 s6, s14, 3
	s_mov_b32 s7, s1
	s_or_b64 s[2:3], s[2:3], s[6:7]
	s_or_b64 s[0:1], s[2:3], s[0:1]
	s_cmp_eq_u64 s[0:1], 0
	s_mov_b64 s[0:1], -1
	s_cbranch_scc0 .LBB246_5
; %bb.1:
	v_mov_b32_e32 v1, 0x10000
	v_mov_b32_e32 v2, 0
	v_cmp_lt_i64_e32 vcc, s[16:17], v[1:2]
	v_mov_b32_e32 v2, 0
	s_and_b64 s[0:1], vcc, exec
	s_cselect_b32 s15, s17, 0
	s_cselect_b32 s14, s16, 0x10000
	v_lshlrev_b32_e32 v1, 2, v0
	v_cmp_gt_i64_e32 vcc, s[14:15], v[1:2]
	s_and_saveexec_b64 s[18:19], vcc
	s_cbranch_execz .LBB246_4
; %bb.2:
	s_load_dword s0, s[4:5], 0xc5c
	v_mov_b32_e32 v1, v2
	v_lshlrev_b32_e32 v2, 4, v0
	v_mov_b32_e32 v4, s9
	v_add_co_u32_e32 v3, vcc, s8, v2
	s_waitcnt lgkmcnt(0)
	s_and_b32 s23, s0, 0xffff
	v_mov_b32_e32 v2, v1
	v_addc_co_u32_e32 v4, vcc, 0, v4, vcc
	s_lshl_b32 s24, s23, 4
	s_mov_b64 s[20:21], 0
	v_mov_b32_e32 v5, s13
	s_mov_b32 s25, 0xbfb8aa3b
	s_mov_b32 s26, 0x42ce8ed0
	;; [unrolled: 1-line block ×3, first 2 shown]
	v_mov_b32_e32 v6, 0x7f800000
	v_mov_b32_e32 v7, s11
	;; [unrolled: 1-line block ×3, first 2 shown]
.LBB246_3:                              ; =>This Inner Loop Header: Depth=1
	v_add_co_u32_e32 v8, vcc, s12, v3
	v_addc_co_u32_e32 v9, vcc, v5, v4, vcc
	global_load_dwordx4 v[8:11], v[8:9], off
	v_add_co_u32_e32 v12, vcc, s10, v3
	v_addc_co_u32_e32 v13, vcc, v7, v4, vcc
	s_waitcnt vmcnt(0)
	v_mul_f32_e32 v14, 0xbfb8aa3b, v8
	v_mul_f32_e32 v15, 0xbfb8aa3b, v9
	v_fma_f32 v18, v8, s25, -v14
	v_rndne_f32_e32 v19, v14
	v_mul_f32_e32 v16, 0xbfb8aa3b, v10
	v_mul_f32_e32 v17, 0xbfb8aa3b, v11
	v_fma_f32 v20, v9, s25, -v15
	v_rndne_f32_e32 v21, v15
	v_fmac_f32_e32 v18, 0xb2a5705f, v8
	v_sub_f32_e32 v14, v14, v19
	v_fma_f32 v22, v10, s25, -v16
	v_rndne_f32_e32 v23, v16
	v_fma_f32 v24, v11, s25, -v17
	v_rndne_f32_e32 v25, v17
	v_fmac_f32_e32 v20, 0xb2a5705f, v9
	v_sub_f32_e32 v15, v15, v21
	v_add_f32_e32 v14, v14, v18
	v_fmac_f32_e32 v22, 0xb2a5705f, v10
	v_sub_f32_e32 v16, v16, v23
	v_cvt_i32_f32_e32 v19, v19
	v_fmac_f32_e32 v24, 0xb2a5705f, v11
	v_sub_f32_e32 v17, v17, v25
	v_add_f32_e32 v15, v15, v20
	v_exp_f32_e32 v14, v14
	v_cvt_i32_f32_e32 v21, v21
	v_add_f32_e32 v16, v16, v22
	v_add_f32_e32 v17, v17, v24
	v_exp_f32_e32 v15, v15
	v_cvt_i32_f32_e32 v23, v23
	v_cvt_i32_f32_e32 v25, v25
	v_exp_f32_e32 v16, v16
	v_exp_f32_e32 v17, v17
	v_ldexp_f32 v14, v14, v19
	v_cmp_nlt_f32_e64 s[6:7], s26, v8
	v_ldexp_f32 v15, v15, v21
	v_cmp_nlt_f32_e32 vcc, s26, v9
	v_cndmask_b32_e64 v14, 0, v14, s[6:7]
	v_cmp_ngt_f32_e64 s[6:7], s27, v8
	v_ldexp_f32 v16, v16, v23
	v_cmp_nlt_f32_e64 s[0:1], s26, v10
	v_ldexp_f32 v17, v17, v25
	v_cmp_nlt_f32_e64 s[2:3], s26, v11
	v_cndmask_b32_e32 v15, 0, v15, vcc
	v_cmp_ngt_f32_e32 vcc, s27, v9
	v_cndmask_b32_e64 v8, v6, v14, s[6:7]
	v_cndmask_b32_e64 v9, 0, v16, s[0:1]
	v_cmp_ngt_f32_e64 s[0:1], s27, v10
	v_cndmask_b32_e64 v10, 0, v17, s[2:3]
	v_cmp_ngt_f32_e64 s[2:3], s27, v11
	v_cndmask_b32_e32 v11, v6, v15, vcc
	v_add_f32_e32 v14, s22, v8
	v_cndmask_b32_e64 v9, v6, v9, s[0:1]
	v_add_f32_e32 v11, s22, v11
	v_div_scale_f32 v8, s[0:1], v14, v14, s22
	v_cndmask_b32_e64 v10, v6, v10, s[2:3]
	v_add_f32_e32 v15, s22, v9
	v_div_scale_f32 v9, s[0:1], v11, v11, s22
	v_add_f32_e32 v16, s22, v10
	v_div_scale_f32 v10, s[0:1], v15, v15, s22
	v_div_scale_f32 v17, s[0:1], v16, v16, s22
	v_div_scale_f32 v18, vcc, s22, v14, s22
	v_div_scale_f32 v19, s[0:1], s22, v11, s22
	v_div_scale_f32 v20, s[2:3], s22, v15, s22
	;; [unrolled: 1-line block ×3, first 2 shown]
	v_rcp_f32_e32 v22, v8
	v_rcp_f32_e32 v23, v9
	;; [unrolled: 1-line block ×3, first 2 shown]
	v_fma_f32 v26, -v8, v22, 1.0
	v_rcp_f32_e32 v25, v17
	v_fma_f32 v27, -v9, v23, 1.0
	v_fmac_f32_e32 v22, v26, v22
	v_fma_f32 v28, -v10, v24, 1.0
	v_fmac_f32_e32 v23, v27, v23
	v_mul_f32_e32 v26, v18, v22
	v_fma_f32 v29, -v17, v25, 1.0
	v_fmac_f32_e32 v24, v28, v24
	v_mul_f32_e32 v27, v19, v23
	v_fma_f32 v30, -v8, v26, v18
	v_fmac_f32_e32 v25, v29, v25
	v_mul_f32_e32 v28, v20, v24
	v_fma_f32 v31, -v9, v27, v19
	v_fmac_f32_e32 v26, v30, v22
	v_mul_f32_e32 v29, v21, v25
	v_fma_f32 v32, -v10, v28, v20
	v_fmac_f32_e32 v27, v31, v23
	v_fma_f32 v8, -v8, v26, v18
	v_fma_f32 v30, -v17, v29, v21
	v_fmac_f32_e32 v28, v32, v24
	v_fma_f32 v9, -v9, v27, v19
	v_div_fmas_f32 v18, v8, v22, v26
	s_mov_b64 vcc, s[0:1]
	v_fmac_f32_e32 v29, v30, v25
	v_fma_f32 v10, -v10, v28, v20
	v_div_fmas_f32 v19, v9, v23, v27
	s_mov_b64 vcc, s[2:3]
	v_fma_f32 v17, -v17, v29, v21
	v_div_fmas_f32 v10, v10, v24, v28
	s_mov_b64 vcc, s[6:7]
	v_div_fmas_f32 v17, v17, v25, v29
	v_add_co_u32_e32 v1, vcc, s23, v1
	v_addc_co_u32_e32 v2, vcc, 0, v2, vcc
	v_add_co_u32_e32 v3, vcc, s24, v3
	v_lshlrev_b64 v[8:9], 2, v[1:2]
	v_addc_co_u32_e32 v4, vcc, 0, v4, vcc
	v_cmp_le_i64_e32 vcc, s[14:15], v[8:9]
	v_div_fixup_f32 v8, v18, v14, s22
	s_or_b64 s[20:21], vcc, s[20:21]
	v_div_fixup_f32 v9, v19, v11, s22
	v_div_fixup_f32 v10, v10, v15, s22
	v_div_fixup_f32 v11, v17, v16, s22
	global_store_dwordx4 v[12:13], v[8:11], off
	s_andn2_b64 exec, exec, s[20:21]
	s_cbranch_execnz .LBB246_3
.LBB246_4:
	s_or_b64 exec, exec, s[18:19]
	s_mov_b64 s[0:1], 0
.LBB246_5:
	s_andn2_b64 vcc, exec, s[0:1]
	s_cbranch_vccnz .LBB246_25
; %bb.6:
	v_cmp_lt_i64_e64 s[0:1], s[16:17], 1
	s_and_b64 vcc, exec, s[0:1]
	s_cbranch_vccnz .LBB246_25
; %bb.7:
	v_mov_b32_e32 v1, 0x10000
	s_load_dword s2, s[4:5], 0xc5c
	v_mov_b32_e32 v2, 0
	v_cmp_lt_i64_e32 vcc, s[16:17], v[1:2]
	v_mov_b32_e32 v10, 0
	s_and_b64 s[0:1], vcc, exec
	v_cmp_lt_u64_e32 vcc, s[16:17], v[1:2]
	s_cselect_b32 s15, s17, 0
	s_cselect_b32 s14, s16, 0x10000
	s_waitcnt lgkmcnt(0)
	s_and_b32 s2, s2, 0xffff
	v_lshlrev_b32_e32 v9, 2, v0
	s_and_b64 s[0:1], vcc, exec
	v_mov_b32_e32 v2, s13
	v_add_co_u32_e32 v1, vcc, s12, v9
	v_mad_u64_u32 v[7:8], s[0:1], s2, 12, v[9:10]
	v_addc_co_u32_e32 v2, vcc, 0, v2, vcc
	v_mov_b32_e32 v4, s11
	v_add_co_u32_e32 v3, vcc, s10, v9
	v_addc_co_u32_e32 v4, vcc, 0, v4, vcc
	v_mov_b32_e32 v6, s13
	v_add_co_u32_e32 v5, vcc, s12, v7
	;; [unrolled: 3-line block ×3, first 2 shown]
	s_cselect_b32 s17, s17, 0
	s_cselect_b32 s16, s16, 0x10000
	v_addc_co_u32_e32 v8, vcc, v10, v8, vcc
	s_lshl_b32 s0, s2, 3
	v_add_co_u32_e32 v11, vcc, s0, v9
	v_addc_co_u32_e64 v12, s[0:1], 0, 0, vcc
	v_mov_b32_e32 v10, s13
	v_add_co_u32_e32 v9, vcc, s12, v11
	v_addc_co_u32_e32 v10, vcc, v10, v12, vcc
	v_mov_b32_e32 v13, s11
	v_add_co_u32_e32 v11, vcc, s10, v11
	v_addc_co_u32_e32 v12, vcc, v13, v12, vcc
	v_add_co_u32_e32 v13, vcc, s2, v0
	v_lshlrev_b32_e32 v17, 2, v13
	v_addc_co_u32_e64 v14, s[0:1], 0, 0, vcc
	v_mov_b32_e32 v16, s13
	v_add_co_u32_e32 v15, vcc, s12, v17
	v_addc_co_u32_e32 v16, vcc, 0, v16, vcc
	v_mov_b32_e32 v18, s11
	v_add_co_u32_e32 v17, vcc, s10, v17
	s_mul_i32 s4, s2, 3
	v_addc_co_u32_e32 v18, vcc, 0, v18, vcc
	s_lshl_b32 s3, s2, 1
	v_add_co_u32_e32 v19, vcc, s4, v0
	v_addc_co_u32_e64 v20, s[0:1], 0, 0, vcc
	v_add_co_u32_e32 v21, vcc, s3, v0
	s_lshl_b32 s18, s2, 2
	s_lshl_b32 s19, s2, 4
	s_mov_b64 s[10:11], 0
	s_mov_b32 s20, 0xbfb8aa3b
	s_mov_b32 s21, 0x42ce8ed0
	;; [unrolled: 1-line block ×3, first 2 shown]
	v_addc_co_u32_e64 v22, s[0:1], 0, 0, vcc
	v_mov_b32_e32 v23, 0x7f800000
	s_branch .LBB246_9
.LBB246_8:                              ;   in Loop: Header=BB246_9 Depth=1
	s_or_b64 exec, exec, s[2:3]
	v_add_co_u32_e32 v1, vcc, s19, v1
	v_addc_co_u32_e32 v2, vcc, 0, v2, vcc
	v_add_co_u32_e32 v3, vcc, s19, v3
	v_addc_co_u32_e32 v4, vcc, 0, v4, vcc
	;; [unrolled: 2-line block ×6, first 2 shown]
	s_add_u32 s10, s10, s18
	v_add_co_u32_e32 v15, vcc, s19, v15
	s_waitcnt vmcnt(0)
	v_mov_b32_e32 v25, s15
	s_addc_u32 s11, s11, 0
	v_addc_co_u32_e32 v16, vcc, 0, v16, vcc
	v_mov_b32_e32 v24, s14
	v_cmp_ge_i64_e32 vcc, s[10:11], v[24:25]
	v_add_co_u32_e64 v17, s[0:1], s19, v17
	v_addc_co_u32_e64 v18, s[0:1], 0, v18, s[0:1]
	s_cbranch_vccnz .LBB246_25
.LBB246_9:                              ; =>This Inner Loop Header: Depth=1
	v_mov_b32_e32 v25, s11
	v_add_co_u32_e32 v24, vcc, s10, v0
	v_addc_co_u32_e32 v25, vcc, 0, v25, vcc
	v_cmp_gt_u64_e32 vcc, s[16:17], v[24:25]
	v_mov_b32_e32 v27, 0
	s_and_saveexec_b64 s[2:3], vcc
	s_cbranch_execz .LBB246_11
; %bb.10:                               ;   in Loop: Header=BB246_9 Depth=1
	v_mov_b32_e32 v25, s9
	v_add_co_u32_e64 v24, s[0:1], s8, v1
	v_addc_co_u32_e64 v25, s[0:1], v2, v25, s[0:1]
	global_load_dword v27, v[24:25], off
.LBB246_11:                             ;   in Loop: Header=BB246_9 Depth=1
	s_or_b64 exec, exec, s[2:3]
	v_mov_b32_e32 v25, s11
	v_add_co_u32_e64 v24, s[0:1], s10, v13
	v_addc_co_u32_e64 v25, s[0:1], v14, v25, s[0:1]
	v_cmp_gt_u64_e64 s[4:5], s[16:17], v[24:25]
	v_mov_b32_e32 v24, 0
	v_mov_b32_e32 v26, 0
	s_and_saveexec_b64 s[2:3], s[4:5]
	s_cbranch_execz .LBB246_13
; %bb.12:                               ;   in Loop: Header=BB246_9 Depth=1
	v_mov_b32_e32 v26, s9
	v_add_co_u32_e64 v25, s[0:1], s8, v15
	v_addc_co_u32_e64 v26, s[0:1], v16, v26, s[0:1]
	global_load_dword v26, v[25:26], off
.LBB246_13:                             ;   in Loop: Header=BB246_9 Depth=1
	s_or_b64 exec, exec, s[2:3]
	v_mov_b32_e32 v25, s11
	v_add_co_u32_e64 v28, s[0:1], s10, v21
	v_addc_co_u32_e64 v29, s[0:1], v22, v25, s[0:1]
	v_cmp_gt_u64_e64 s[2:3], s[16:17], v[28:29]
	s_and_saveexec_b64 s[6:7], s[2:3]
	s_cbranch_execz .LBB246_15
; %bb.14:                               ;   in Loop: Header=BB246_9 Depth=1
	v_mov_b32_e32 v25, s9
	v_add_co_u32_e64 v24, s[0:1], s8, v9
	v_addc_co_u32_e64 v25, s[0:1], v10, v25, s[0:1]
	global_load_dword v24, v[24:25], off
.LBB246_15:                             ;   in Loop: Header=BB246_9 Depth=1
	s_or_b64 exec, exec, s[6:7]
	v_mov_b32_e32 v25, s11
	v_add_co_u32_e64 v28, s[0:1], s10, v19
	v_addc_co_u32_e64 v29, s[0:1], v20, v25, s[0:1]
	v_cmp_gt_u64_e64 s[0:1], s[16:17], v[28:29]
	v_mov_b32_e32 v25, 0
	s_and_saveexec_b64 s[12:13], s[0:1]
	s_cbranch_execnz .LBB246_20
; %bb.16:                               ;   in Loop: Header=BB246_9 Depth=1
	s_or_b64 exec, exec, s[12:13]
	s_and_saveexec_b64 s[6:7], vcc
	s_cbranch_execnz .LBB246_21
.LBB246_17:                             ;   in Loop: Header=BB246_9 Depth=1
	s_or_b64 exec, exec, s[6:7]
	s_and_saveexec_b64 s[6:7], s[4:5]
	s_cbranch_execnz .LBB246_22
.LBB246_18:                             ;   in Loop: Header=BB246_9 Depth=1
	s_or_b64 exec, exec, s[6:7]
	s_and_saveexec_b64 s[4:5], s[2:3]
	s_cbranch_execnz .LBB246_23
.LBB246_19:                             ;   in Loop: Header=BB246_9 Depth=1
	s_or_b64 exec, exec, s[4:5]
	s_and_saveexec_b64 s[2:3], s[0:1]
	s_cbranch_execz .LBB246_8
	s_branch .LBB246_24
.LBB246_20:                             ;   in Loop: Header=BB246_9 Depth=1
	v_mov_b32_e32 v25, s9
	v_add_co_u32_e64 v28, s[6:7], s8, v5
	v_addc_co_u32_e64 v29, s[6:7], v6, v25, s[6:7]
	global_load_dword v25, v[28:29], off
	s_or_b64 exec, exec, s[12:13]
	s_and_saveexec_b64 s[6:7], vcc
	s_cbranch_execz .LBB246_17
.LBB246_21:                             ;   in Loop: Header=BB246_9 Depth=1
	s_waitcnt vmcnt(0)
	v_mul_f32_e32 v28, 0xbfb8aa3b, v27
	v_rndne_f32_e32 v29, v28
	v_sub_f32_e32 v30, v28, v29
	v_fma_f32 v28, v27, s20, -v28
	v_fmac_f32_e32 v28, 0xb2a5705f, v27
	v_add_f32_e32 v28, v30, v28
	v_cvt_i32_f32_e32 v29, v29
	v_exp_f32_e32 v28, v28
	v_cmp_nlt_f32_e32 vcc, s21, v27
	v_ldexp_f32 v28, v28, v29
	v_cndmask_b32_e32 v28, 0, v28, vcc
	v_cmp_ngt_f32_e32 vcc, s23, v27
	v_cndmask_b32_e32 v27, v23, v28, vcc
	v_add_f32_e32 v28, s22, v27
	v_div_scale_f32 v27, s[12:13], v28, v28, s22
	v_div_scale_f32 v29, vcc, s22, v28, s22
	v_rcp_f32_e32 v30, v27
	v_fma_f32 v31, -v27, v30, 1.0
	v_fmac_f32_e32 v30, v31, v30
	v_mul_f32_e32 v31, v29, v30
	v_fma_f32 v32, -v27, v31, v29
	v_fmac_f32_e32 v31, v32, v30
	v_fma_f32 v27, -v27, v31, v29
	v_div_fmas_f32 v29, v27, v30, v31
	v_mov_b32_e32 v30, s9
	v_add_co_u32_e32 v27, vcc, s8, v3
	v_div_fixup_f32 v29, v29, v28, s22
	v_addc_co_u32_e32 v28, vcc, v4, v30, vcc
	global_store_dword v[27:28], v29, off
	s_or_b64 exec, exec, s[6:7]
	s_and_saveexec_b64 s[6:7], s[4:5]
	s_cbranch_execz .LBB246_18
.LBB246_22:                             ;   in Loop: Header=BB246_9 Depth=1
	s_waitcnt vmcnt(0)
	v_mul_f32_e32 v27, 0xbfb8aa3b, v26
	v_rndne_f32_e32 v28, v27
	v_sub_f32_e32 v29, v27, v28
	v_fma_f32 v27, v26, s20, -v27
	v_fmac_f32_e32 v27, 0xb2a5705f, v26
	v_add_f32_e32 v27, v29, v27
	v_cvt_i32_f32_e32 v28, v28
	v_exp_f32_e32 v27, v27
	v_cmp_nlt_f32_e32 vcc, s21, v26
	v_ldexp_f32 v27, v27, v28
	v_cndmask_b32_e32 v27, 0, v27, vcc
	v_cmp_ngt_f32_e32 vcc, s23, v26
	v_cndmask_b32_e32 v26, v23, v27, vcc
	v_add_f32_e32 v26, s22, v26
	v_div_scale_f32 v27, s[4:5], v26, v26, s22
	v_div_scale_f32 v28, vcc, s22, v26, s22
	v_rcp_f32_e32 v29, v27
	v_fma_f32 v30, -v27, v29, 1.0
	v_fmac_f32_e32 v29, v30, v29
	v_mul_f32_e32 v30, v28, v29
	v_fma_f32 v31, -v27, v30, v28
	v_fmac_f32_e32 v30, v31, v29
	v_fma_f32 v27, -v27, v30, v28
	v_div_fmas_f32 v27, v27, v29, v30
	v_mov_b32_e32 v28, s9
	v_div_fixup_f32 v29, v27, v26, s22
	v_add_co_u32_e32 v26, vcc, s8, v17
	v_addc_co_u32_e32 v27, vcc, v18, v28, vcc
	global_store_dword v[26:27], v29, off
	s_or_b64 exec, exec, s[6:7]
	s_and_saveexec_b64 s[4:5], s[2:3]
	s_cbranch_execz .LBB246_19
.LBB246_23:                             ;   in Loop: Header=BB246_9 Depth=1
	s_waitcnt vmcnt(0)
	v_mul_f32_e32 v26, 0xbfb8aa3b, v24
	v_rndne_f32_e32 v27, v26
	v_sub_f32_e32 v28, v26, v27
	v_fma_f32 v26, v24, s20, -v26
	v_fmac_f32_e32 v26, 0xb2a5705f, v24
	v_add_f32_e32 v26, v28, v26
	v_cvt_i32_f32_e32 v27, v27
	v_exp_f32_e32 v26, v26
	v_cmp_nlt_f32_e32 vcc, s21, v24
	v_ldexp_f32 v26, v26, v27
	v_cndmask_b32_e32 v26, 0, v26, vcc
	v_cmp_ngt_f32_e32 vcc, s23, v24
	v_cndmask_b32_e32 v24, v23, v26, vcc
	v_add_f32_e32 v24, s22, v24
	v_div_scale_f32 v26, s[2:3], v24, v24, s22
	v_div_scale_f32 v27, vcc, s22, v24, s22
	v_rcp_f32_e32 v28, v26
	v_fma_f32 v29, -v26, v28, 1.0
	v_fmac_f32_e32 v28, v29, v28
	v_mul_f32_e32 v29, v27, v28
	v_fma_f32 v30, -v26, v29, v27
	v_fmac_f32_e32 v29, v30, v28
	v_fma_f32 v26, -v26, v29, v27
	v_div_fmas_f32 v26, v26, v28, v29
	v_mov_b32_e32 v27, s9
	v_div_fixup_f32 v24, v26, v24, s22
	v_add_co_u32_e32 v26, vcc, s8, v11
	v_addc_co_u32_e32 v27, vcc, v12, v27, vcc
	global_store_dword v[26:27], v24, off
	s_or_b64 exec, exec, s[4:5]
	s_and_saveexec_b64 s[2:3], s[0:1]
	s_cbranch_execz .LBB246_8
.LBB246_24:                             ;   in Loop: Header=BB246_9 Depth=1
	s_waitcnt vmcnt(0)
	v_mul_f32_e32 v24, 0xbfb8aa3b, v25
	v_rndne_f32_e32 v26, v24
	v_sub_f32_e32 v27, v24, v26
	v_fma_f32 v24, v25, s20, -v24
	v_fmac_f32_e32 v24, 0xb2a5705f, v25
	v_add_f32_e32 v24, v27, v24
	v_cvt_i32_f32_e32 v26, v26
	v_exp_f32_e32 v24, v24
	v_cmp_nlt_f32_e32 vcc, s21, v25
	v_ldexp_f32 v24, v24, v26
	v_cndmask_b32_e32 v24, 0, v24, vcc
	v_cmp_ngt_f32_e32 vcc, s23, v25
	v_cndmask_b32_e32 v24, v23, v24, vcc
	v_add_f32_e32 v24, s22, v24
	v_div_scale_f32 v25, s[0:1], v24, v24, s22
	v_div_scale_f32 v26, vcc, s22, v24, s22
	v_rcp_f32_e32 v27, v25
	v_fma_f32 v28, -v25, v27, 1.0
	v_fmac_f32_e32 v27, v28, v27
	v_mul_f32_e32 v28, v26, v27
	v_fma_f32 v29, -v25, v28, v26
	v_fmac_f32_e32 v28, v29, v27
	v_fma_f32 v25, -v25, v28, v26
	v_div_fmas_f32 v25, v25, v27, v28
	v_mov_b32_e32 v26, s9
	v_div_fixup_f32 v27, v25, v24, s22
	v_add_co_u32_e32 v24, vcc, s8, v7
	v_addc_co_u32_e32 v25, vcc, v8, v26, vcc
	global_store_dword v[24:25], v27, off
	s_branch .LBB246_8
.LBB246_25:
	s_endpgm
	.section	.rodata,"a",@progbits
	.p2align	6, 0x0
	.amdhsa_kernel _ZN2at6native12_GLOBAL__N_125multi_tensor_apply_kernelINS1_18TensorListMetadataILi2EEENS1_14UnaryOpFunctorIfLi2ELi1ELi1EEEJNS0_7SigmoidIfEEEEEvT_T0_DpT1_
		.amdhsa_group_segment_fixed_size 0
		.amdhsa_private_segment_fixed_size 0
		.amdhsa_kernarg_size 3408
		.amdhsa_user_sgpr_count 6
		.amdhsa_user_sgpr_private_segment_buffer 1
		.amdhsa_user_sgpr_dispatch_ptr 0
		.amdhsa_user_sgpr_queue_ptr 0
		.amdhsa_user_sgpr_kernarg_segment_ptr 1
		.amdhsa_user_sgpr_dispatch_id 0
		.amdhsa_user_sgpr_flat_scratch_init 0
		.amdhsa_user_sgpr_private_segment_size 0
		.amdhsa_uses_dynamic_stack 0
		.amdhsa_system_sgpr_private_segment_wavefront_offset 0
		.amdhsa_system_sgpr_workgroup_id_x 1
		.amdhsa_system_sgpr_workgroup_id_y 0
		.amdhsa_system_sgpr_workgroup_id_z 0
		.amdhsa_system_sgpr_workgroup_info 0
		.amdhsa_system_vgpr_workitem_id 0
		.amdhsa_next_free_vgpr 33
		.amdhsa_next_free_sgpr 28
		.amdhsa_reserve_vcc 1
		.amdhsa_reserve_flat_scratch 0
		.amdhsa_float_round_mode_32 0
		.amdhsa_float_round_mode_16_64 0
		.amdhsa_float_denorm_mode_32 3
		.amdhsa_float_denorm_mode_16_64 3
		.amdhsa_dx10_clamp 1
		.amdhsa_ieee_mode 1
		.amdhsa_fp16_overflow 0
		.amdhsa_exception_fp_ieee_invalid_op 0
		.amdhsa_exception_fp_denorm_src 0
		.amdhsa_exception_fp_ieee_div_zero 0
		.amdhsa_exception_fp_ieee_overflow 0
		.amdhsa_exception_fp_ieee_underflow 0
		.amdhsa_exception_fp_ieee_inexact 0
		.amdhsa_exception_int_div_zero 0
	.end_amdhsa_kernel
	.section	.text._ZN2at6native12_GLOBAL__N_125multi_tensor_apply_kernelINS1_18TensorListMetadataILi2EEENS1_14UnaryOpFunctorIfLi2ELi1ELi1EEEJNS0_7SigmoidIfEEEEEvT_T0_DpT1_,"axG",@progbits,_ZN2at6native12_GLOBAL__N_125multi_tensor_apply_kernelINS1_18TensorListMetadataILi2EEENS1_14UnaryOpFunctorIfLi2ELi1ELi1EEEJNS0_7SigmoidIfEEEEEvT_T0_DpT1_,comdat
.Lfunc_end246:
	.size	_ZN2at6native12_GLOBAL__N_125multi_tensor_apply_kernelINS1_18TensorListMetadataILi2EEENS1_14UnaryOpFunctorIfLi2ELi1ELi1EEEJNS0_7SigmoidIfEEEEEvT_T0_DpT1_, .Lfunc_end246-_ZN2at6native12_GLOBAL__N_125multi_tensor_apply_kernelINS1_18TensorListMetadataILi2EEENS1_14UnaryOpFunctorIfLi2ELi1ELi1EEEJNS0_7SigmoidIfEEEEEvT_T0_DpT1_
                                        ; -- End function
	.set _ZN2at6native12_GLOBAL__N_125multi_tensor_apply_kernelINS1_18TensorListMetadataILi2EEENS1_14UnaryOpFunctorIfLi2ELi1ELi1EEEJNS0_7SigmoidIfEEEEEvT_T0_DpT1_.num_vgpr, 33
	.set _ZN2at6native12_GLOBAL__N_125multi_tensor_apply_kernelINS1_18TensorListMetadataILi2EEENS1_14UnaryOpFunctorIfLi2ELi1ELi1EEEJNS0_7SigmoidIfEEEEEvT_T0_DpT1_.num_agpr, 0
	.set _ZN2at6native12_GLOBAL__N_125multi_tensor_apply_kernelINS1_18TensorListMetadataILi2EEENS1_14UnaryOpFunctorIfLi2ELi1ELi1EEEJNS0_7SigmoidIfEEEEEvT_T0_DpT1_.numbered_sgpr, 28
	.set _ZN2at6native12_GLOBAL__N_125multi_tensor_apply_kernelINS1_18TensorListMetadataILi2EEENS1_14UnaryOpFunctorIfLi2ELi1ELi1EEEJNS0_7SigmoidIfEEEEEvT_T0_DpT1_.num_named_barrier, 0
	.set _ZN2at6native12_GLOBAL__N_125multi_tensor_apply_kernelINS1_18TensorListMetadataILi2EEENS1_14UnaryOpFunctorIfLi2ELi1ELi1EEEJNS0_7SigmoidIfEEEEEvT_T0_DpT1_.private_seg_size, 0
	.set _ZN2at6native12_GLOBAL__N_125multi_tensor_apply_kernelINS1_18TensorListMetadataILi2EEENS1_14UnaryOpFunctorIfLi2ELi1ELi1EEEJNS0_7SigmoidIfEEEEEvT_T0_DpT1_.uses_vcc, 1
	.set _ZN2at6native12_GLOBAL__N_125multi_tensor_apply_kernelINS1_18TensorListMetadataILi2EEENS1_14UnaryOpFunctorIfLi2ELi1ELi1EEEJNS0_7SigmoidIfEEEEEvT_T0_DpT1_.uses_flat_scratch, 0
	.set _ZN2at6native12_GLOBAL__N_125multi_tensor_apply_kernelINS1_18TensorListMetadataILi2EEENS1_14UnaryOpFunctorIfLi2ELi1ELi1EEEJNS0_7SigmoidIfEEEEEvT_T0_DpT1_.has_dyn_sized_stack, 0
	.set _ZN2at6native12_GLOBAL__N_125multi_tensor_apply_kernelINS1_18TensorListMetadataILi2EEENS1_14UnaryOpFunctorIfLi2ELi1ELi1EEEJNS0_7SigmoidIfEEEEEvT_T0_DpT1_.has_recursion, 0
	.set _ZN2at6native12_GLOBAL__N_125multi_tensor_apply_kernelINS1_18TensorListMetadataILi2EEENS1_14UnaryOpFunctorIfLi2ELi1ELi1EEEJNS0_7SigmoidIfEEEEEvT_T0_DpT1_.has_indirect_call, 0
	.section	.AMDGPU.csdata,"",@progbits
; Kernel info:
; codeLenInByte = 2508
; TotalNumSgprs: 32
; NumVgprs: 33
; ScratchSize: 0
; MemoryBound: 0
; FloatMode: 240
; IeeeMode: 1
; LDSByteSize: 0 bytes/workgroup (compile time only)
; SGPRBlocks: 3
; VGPRBlocks: 8
; NumSGPRsForWavesPerEU: 32
; NumVGPRsForWavesPerEU: 33
; Occupancy: 7
; WaveLimiterHint : 0
; COMPUTE_PGM_RSRC2:SCRATCH_EN: 0
; COMPUTE_PGM_RSRC2:USER_SGPR: 6
; COMPUTE_PGM_RSRC2:TRAP_HANDLER: 0
; COMPUTE_PGM_RSRC2:TGID_X_EN: 1
; COMPUTE_PGM_RSRC2:TGID_Y_EN: 0
; COMPUTE_PGM_RSRC2:TGID_Z_EN: 0
; COMPUTE_PGM_RSRC2:TIDIG_COMP_CNT: 0
	.section	.text._ZN2at6native12_GLOBAL__N_125multi_tensor_apply_kernelINS1_18TensorListMetadataILi2EEENS1_14UnaryOpFunctorIN3c107complexIdEELi2ELi1ELi1EEEJNS0_7SigmoidIS8_EEEEEvT_T0_DpT1_,"axG",@progbits,_ZN2at6native12_GLOBAL__N_125multi_tensor_apply_kernelINS1_18TensorListMetadataILi2EEENS1_14UnaryOpFunctorIN3c107complexIdEELi2ELi1ELi1EEEJNS0_7SigmoidIS8_EEEEEvT_T0_DpT1_,comdat
	.globl	_ZN2at6native12_GLOBAL__N_125multi_tensor_apply_kernelINS1_18TensorListMetadataILi2EEENS1_14UnaryOpFunctorIN3c107complexIdEELi2ELi1ELi1EEEJNS0_7SigmoidIS8_EEEEEvT_T0_DpT1_ ; -- Begin function _ZN2at6native12_GLOBAL__N_125multi_tensor_apply_kernelINS1_18TensorListMetadataILi2EEENS1_14UnaryOpFunctorIN3c107complexIdEELi2ELi1ELi1EEEJNS0_7SigmoidIS8_EEEEEvT_T0_DpT1_
	.p2align	8
	.type	_ZN2at6native12_GLOBAL__N_125multi_tensor_apply_kernelINS1_18TensorListMetadataILi2EEENS1_14UnaryOpFunctorIN3c107complexIdEELi2ELi1ELi1EEEJNS0_7SigmoidIS8_EEEEEvT_T0_DpT1_,@function
_ZN2at6native12_GLOBAL__N_125multi_tensor_apply_kernelINS1_18TensorListMetadataILi2EEENS1_14UnaryOpFunctorIN3c107complexIdEELi2ELi1ELi1EEEJNS0_7SigmoidIS8_EEEEEvT_T0_DpT1_: ; @_ZN2at6native12_GLOBAL__N_125multi_tensor_apply_kernelINS1_18TensorListMetadataILi2EEENS1_14UnaryOpFunctorIN3c107complexIdEELi2ELi1ELi1EEEJNS0_7SigmoidIS8_EEEEEvT_T0_DpT1_
; %bb.0:
	v_mov_b32_e32 v1, s6
	global_load_ubyte v1, v1, s[4:5] offset:1536
	s_add_u32 s0, s4, s6
	s_mul_hi_u32 s3, s6, 3
	s_mul_i32 s6, s6, 3
	s_addc_u32 s7, s5, 0
	s_add_u32 s2, s0, s6
	s_addc_u32 s3, s7, s3
	s_load_dwordx4 s[12:15], s[4:5], 0xc50
	s_load_dword s6, s[2:3], 0x740
	s_mov_b32 s1, 0
	s_mov_b32 s3, s1
                                        ; implicit-def: $vgpr65 : SGPR spill to VGPR lane
	s_waitcnt lgkmcnt(0)
	s_ashr_i32 s7, s6, 31
	s_lshl_b64 s[18:19], s[6:7], 20
	s_waitcnt vmcnt(0)
	v_readfirstlane_b32 s0, v1
	s_lshl_b32 s0, s0, 3
	s_load_dwordx2 s[8:9], s[4:5], s0 offset:0x0
	s_load_dwordx2 s[10:11], s[4:5], s0 offset:0x400
	;; [unrolled: 1-line block ×3, first 2 shown]
	s_waitcnt lgkmcnt(0)
	s_add_u32 s26, s8, s18
	s_addc_u32 s27, s9, s19
	s_and_b32 s0, s26, 63
	s_add_u32 s84, s16, s18
	s_addc_u32 s85, s17, s19
	s_lshl_b64 s[6:7], s[6:7], 16
	s_and_b32 s2, s84, 63
	s_sub_u32 s6, s10, s6
	s_subb_u32 s7, s11, s7
	s_and_b32 s8, s10, 3
	s_mov_b32 s9, s1
	s_or_b64 s[2:3], s[2:3], s[8:9]
	s_or_b64 s[0:1], s[2:3], s[0:1]
	s_cmp_eq_u64 s[0:1], 0
	s_mov_b64 s[0:1], -1
	s_cbranch_scc0 .LBB247_213
; %bb.1:
	v_mov_b32_e32 v1, 0x10000
	v_mov_b32_e32 v2, 0
	v_cmp_lt_i64_e32 vcc, s[6:7], v[1:2]
	v_mov_b32_e32 v17, 0
	s_and_b64 s[0:1], vcc, exec
	s_cselect_b32 s9, s7, 0
	s_cselect_b32 s8, s6, 0x10000
	v_lshlrev_b32_e32 v1, 2, v0
	v_mov_b32_e32 v2, v17
	v_cmp_gt_i64_e32 vcc, s[8:9], v[1:2]
	s_mov_b64 s[0:1], exec
	v_writelane_b32 v65, s0, 0
	v_writelane_b32 v65, s1, 1
	s_and_b64 s[0:1], s[0:1], vcc
	s_mov_b64 exec, s[0:1]
	s_cbranch_execz .LBB247_212
; %bb.2:
	s_load_dword s0, s[4:5], 0xc6c
	v_mov_b32_e32 v1, v17
	s_mov_b32 s30, 0x54442d18
	s_mov_b32 s38, 0x33145c00
	;; [unrolled: 1-line block ×3, first 2 shown]
	s_waitcnt lgkmcnt(0)
	s_and_b32 s33, s0, 0xffff
	s_mov_b32 s44, 0xfefa39ef
	s_mov_b32 s46, 0x3b39803f
	;; [unrolled: 1-line block ×18, first 2 shown]
	v_mov_b32_e32 v22, v1
	s_mov_b32 s94, 0
	s_mov_b32 s24, 0
	v_lshlrev_b32_e32 v39, 6, v0
	s_mov_b64 s[20:21], 0
	s_lshl_b32 s76, s33, 6
	s_mov_b32 s29, 0x3ff921fb
	s_mov_b32 s31, 0xbff921fb
	;; [unrolled: 1-line block ×23, first 2 shown]
	s_movk_i32 s77, 0x1f8
	v_mov_b32_e32 v40, 0x40100000
	v_mov_b32_e32 v41, 0x3ff00000
	;; [unrolled: 1-line block ×7, first 2 shown]
	s_mov_b32 s86, 0x33145c07
	s_mov_b32 s89, 0xbff71547
	s_mov_b32 s90, 0x11122322
	s_mov_b32 s92, 0x555502a1
	s_mov_b32 s95, 0xc0900000
	s_mov_b32 s25, 0x4090cc00
	s_mov_b32 s61, 0xbfc55555
	s_mov_b64 s[16:17], s[26:27]
	s_mov_b64 s[18:19], s[84:85]
	s_branch .LBB247_4
.LBB247_3:                              ;   in Loop: Header=BB247_4 Depth=1
	s_or_b64 exec, exec, s[0:1]
	v_mov_b32_e32 v18, s19
	v_add_co_u32_e32 v23, vcc, s18, v39
	v_addc_co_u32_e32 v24, vcc, 0, v18, vcc
	v_add_co_u32_e32 v21, vcc, s33, v21
	v_addc_co_u32_e32 v22, vcc, 0, v22, vcc
	global_store_dwordx4 v[23:24], v[5:8], off
	global_store_dwordx4 v[23:24], v[13:16], off offset:16
	global_store_dwordx4 v[23:24], v[9:12], off offset:32
	v_lshlrev_b64 v[5:6], 2, v[21:22]
	s_add_u32 s18, s18, s76
	s_addc_u32 s19, s19, 0
	s_add_u32 s16, s16, s76
	v_cmp_le_i64_e32 vcc, s[8:9], v[5:6]
	s_addc_u32 s17, s17, 0
	s_or_b64 s[20:21], vcc, s[20:21]
	global_store_dwordx4 v[23:24], v[1:4], off offset:48
	s_andn2_b64 exec, exec, s[20:21]
	s_cbranch_execz .LBB247_212
.LBB247_4:                              ; =>This Inner Loop Header: Depth=1
	v_mov_b32_e32 v1, s17
	v_add_co_u32_e32 v9, vcc, s16, v39
	v_addc_co_u32_e32 v10, vcc, 0, v1, vcc
	global_load_dwordx4 v[5:8], v[9:10], off
	global_load_dwordx4 v[13:16], v[9:10], off offset:16
	global_load_dwordx4 v[1:4], v[9:10], off offset:48
	s_nop 0
	global_load_dwordx4 v[9:12], v[9:10], off offset:32
                                        ; implicit-def: $vgpr25_vgpr26
	s_waitcnt vmcnt(3)
	v_xor_b32_e32 v24, 0x80000000, v8
	v_and_b32_e32 v29, 0x7fffffff, v24
	v_or_b32_e32 v18, v29, v7
	v_mov_b32_e32 v23, v7
	v_cmp_ne_u32_e32 vcc, 0, v18
	s_and_saveexec_b64 s[0:1], vcc
	s_xor_b64 s[22:23], exec, s[0:1]
	s_cbranch_execz .LBB247_46
; %bb.5:                                ;   in Loop: Header=BB247_4 Depth=1
	v_xor_b32_e32 v28, 0x80000000, v6
	v_and_b32_e32 v18, 0x7fffffff, v28
	v_or_b32_e32 v23, v18, v5
	v_mov_b32_e32 v27, v5
	v_cmp_ne_u32_e32 vcc, 0, v23
                                        ; implicit-def: $vgpr25_vgpr26
	s_and_saveexec_b64 s[0:1], vcc
	s_xor_b64 s[36:37], exec, s[0:1]
	s_cbranch_execz .LBB247_35
; %bb.6:                                ;   in Loop: Header=BB247_4 Depth=1
	s_mov_b32 s0, 0x7ff00000
	v_cmp_gt_u32_e32 vcc, s0, v29
                                        ; implicit-def: $vgpr25_vgpr26
	s_and_saveexec_b64 s[0:1], vcc
	s_xor_b64 s[40:41], exec, s[0:1]
	s_cbranch_execz .LBB247_28
; %bb.7:                                ;   in Loop: Header=BB247_4 Depth=1
	v_add_u32_e32 v18, 0xbf79d1be, v28
	s_mov_b32 s0, 0x108aa2
	v_cmp_lt_u32_e32 vcc, s0, v18
                                        ; implicit-def: $vgpr25_vgpr26
	s_and_saveexec_b64 s[0:1], vcc
	s_xor_b64 s[2:3], exec, s[0:1]
	s_cbranch_execz .LBB247_17
; %bb.8:                                ;   in Loop: Header=BB247_4 Depth=1
	s_mov_b32 s0, 0
	s_mov_b32 s1, 0x41d00000
	v_cmp_nlt_f64_e64 s[0:1], |v[7:8]|, s[0:1]
                                        ; implicit-def: $vgpr33
                                        ; implicit-def: $vgpr25_vgpr26
                                        ; implicit-def: $vgpr27_vgpr28
	s_and_saveexec_b64 s[66:67], s[0:1]
	s_xor_b64 s[66:67], exec, s[66:67]
	s_cbranch_execz .LBB247_10
; %bb.9:                                ;   in Loop: Header=BB247_4 Depth=1
	v_trig_preop_f64 v[25:26], |v[7:8]|, 0
	s_mov_b32 vcc_lo, 0
	s_movk_i32 s28, 0xff80
	s_mov_b32 vcc_hi, 0x7b000000
	v_ldexp_f64 v[27:28], |v[7:8]|, s28
	v_cmp_ge_f64_e64 vcc, |v[7:8]|, vcc
	v_trig_preop_f64 v[29:30], |v[7:8]|, 1
	v_and_b32_e32 v18, 0x7fffffff, v8
	v_trig_preop_f64 v[37:38], |v[7:8]|, 2
	s_mov_b32 s28, s30
	s_mov_b32 s87, s35
	v_cndmask_b32_e32 v28, v18, v28, vcc
	v_cndmask_b32_e32 v27, v7, v27, vcc
	s_mov_b32 vcc_lo, 0
	v_mul_f64 v[31:32], v[25:26], v[27:28]
	s_mov_b32 vcc_hi, 0x7ff00000
	v_mul_f64 v[33:34], v[29:30], v[27:28]
	v_mul_f64 v[48:49], v[37:38], v[27:28]
	v_fma_f64 v[25:26], v[25:26], v[27:28], -v[31:32]
	v_fma_f64 v[29:30], v[29:30], v[27:28], -v[33:34]
	;; [unrolled: 1-line block ×3, first 2 shown]
	v_add_f64 v[35:36], v[33:34], v[25:26]
	v_add_f64 v[44:45], v[35:36], -v[33:34]
	v_add_f64 v[50:51], v[31:32], v[35:36]
	v_add_f64 v[46:47], v[35:36], -v[44:45]
	v_add_f64 v[25:26], v[25:26], -v[44:45]
	v_add_f64 v[44:45], v[48:49], v[29:30]
	v_add_f64 v[31:32], v[50:51], -v[31:32]
	v_add_f64 v[33:34], v[33:34], -v[46:47]
	v_ldexp_f64 v[46:47], v[50:51], -2
	v_add_f64 v[52:53], v[44:45], -v[48:49]
	v_add_f64 v[31:32], v[35:36], -v[31:32]
	v_add_f64 v[25:26], v[25:26], v[33:34]
	v_fract_f64_e32 v[33:34], v[46:47]
	v_cmp_neq_f64_e64 vcc, |v[46:47]|, vcc
	v_add_f64 v[29:30], v[29:30], -v[52:53]
	v_add_f64 v[35:36], v[44:45], v[25:26]
	v_ldexp_f64 v[33:34], v[33:34], 2
	v_add_f64 v[46:47], v[31:32], v[35:36]
	v_cndmask_b32_e32 v34, 0, v34, vcc
	v_cndmask_b32_e32 v33, 0, v33, vcc
	v_add_f64 v[54:55], v[35:36], -v[44:45]
	v_add_f64 v[50:51], v[46:47], v[33:34]
	v_add_f64 v[31:32], v[46:47], -v[31:32]
	v_add_f64 v[56:57], v[35:36], -v[54:55]
	;; [unrolled: 1-line block ×3, first 2 shown]
	v_cmp_gt_f64_e32 vcc, 0, v[50:51]
	v_add_f64 v[50:51], v[44:45], -v[52:53]
	v_add_f64 v[31:32], v[35:36], -v[31:32]
	;; [unrolled: 1-line block ×3, first 2 shown]
	v_cndmask_b32_e32 v18, 0, v40, vcc
	v_add_f64 v[33:34], v[33:34], v[17:18]
	v_add_f64 v[50:51], v[48:49], -v[50:51]
	v_add_f64 v[25:26], v[25:26], v[44:45]
	v_add_f64 v[58:59], v[46:47], v[33:34]
	;; [unrolled: 1-line block ×3, first 2 shown]
	v_cvt_i32_f64_e32 v23, v[58:59]
	v_add_f64 v[25:26], v[29:30], v[25:26]
	v_cvt_f64_i32_e32 v[52:53], v23
	v_add_f64 v[33:34], v[33:34], -v[52:53]
	v_add_f64 v[25:26], v[27:28], v[25:26]
	v_add_f64 v[29:30], v[46:47], v[33:34]
	;; [unrolled: 1-line block ×3, first 2 shown]
	v_add_f64 v[27:28], v[29:30], -v[33:34]
	v_cmp_le_f64_e32 vcc, 0.5, v[29:30]
	v_add_f64 v[27:28], v[46:47], -v[27:28]
	v_cndmask_b32_e32 v18, 0, v41, vcc
	v_add_f64 v[25:26], v[25:26], v[27:28]
	v_add_f64 v[27:28], v[29:30], -v[17:18]
	v_add_f64 v[29:30], v[27:28], v[25:26]
	v_mul_f64 v[31:32], v[29:30], s[28:29]
	v_add_f64 v[27:28], v[29:30], -v[27:28]
	v_fma_f64 v[33:34], v[29:30], s[28:29], -v[31:32]
	v_add_f64 v[25:26], v[25:26], -v[27:28]
	v_fma_f64 v[27:28], v[29:30], s[86:87], v[33:34]
	v_addc_co_u32_e32 v33, vcc, 0, v23, vcc
	v_fma_f64 v[27:28], v[25:26], s[28:29], v[27:28]
	v_add_f64 v[25:26], v[31:32], v[27:28]
	v_add_f64 v[29:30], v[25:26], -v[31:32]
	v_add_f64 v[27:28], v[27:28], -v[29:30]
	s_andn2_saveexec_b64 s[66:67], s[66:67]
	s_cbranch_execz .LBB247_12
	s_branch .LBB247_11
.LBB247_10:                             ;   in Loop: Header=BB247_4 Depth=1
	s_andn2_saveexec_b64 s[66:67], s[66:67]
	s_cbranch_execz .LBB247_12
.LBB247_11:                             ;   in Loop: Header=BB247_4 Depth=1
	s_mov_b32 vcc_lo, 0x6dc9c883
	s_mov_b32 vcc_hi, 0x3fe45f30
	v_mul_f64 v[25:26], |v[7:8]|, vcc
	s_mov_b32 s34, s38
	s_mov_b32 vcc_lo, 0x252049c0
	s_mov_b32 vcc_hi, 0xb97b839a
	v_rndne_f64_e32 v[29:30], v[25:26]
	v_fma_f64 v[25:26], v[29:30], s[30:31], |v[7:8]|
	v_mul_f64 v[27:28], v[29:30], s[38:39]
	v_fma_f64 v[35:36], v[29:30], s[38:39], v[25:26]
	v_add_f64 v[31:32], v[25:26], v[27:28]
	v_add_f64 v[33:34], v[25:26], -v[31:32]
	v_add_f64 v[31:32], v[31:32], -v[35:36]
	v_add_f64 v[25:26], v[33:34], v[27:28]
	v_fma_f64 v[27:28], v[29:30], s[34:35], v[27:28]
	v_cvt_i32_f64_e32 v33, v[29:30]
	v_add_f64 v[25:26], v[31:32], v[25:26]
	v_add_f64 v[25:26], v[25:26], -v[27:28]
	v_fma_f64 v[27:28], v[29:30], vcc, v[25:26]
	v_add_f64 v[25:26], v[35:36], v[27:28]
	v_add_f64 v[31:32], v[25:26], -v[35:36]
	v_add_f64 v[27:28], v[27:28], -v[31:32]
.LBB247_12:                             ;   in Loop: Header=BB247_4 Depth=1
	s_or_b64 exec, exec, s[66:67]
                                        ; implicit-def: $vgpr23
                                        ; implicit-def: $vgpr29_vgpr30
                                        ; implicit-def: $vgpr31_vgpr32
	s_and_saveexec_b64 s[66:67], s[0:1]
	s_xor_b64 s[66:67], exec, s[66:67]
	s_cbranch_execz .LBB247_14
; %bb.13:                               ;   in Loop: Header=BB247_4 Depth=1
	v_trig_preop_f64 v[29:30], |v[7:8]|, 0
	s_mov_b32 s0, 0
	s_mov_b32 s1, 0x7b000000
	v_cmp_ge_f64_e64 vcc, |v[7:8]|, s[0:1]
	s_movk_i32 s0, 0xff80
	v_ldexp_f64 v[34:35], |v[7:8]|, s0
	v_trig_preop_f64 v[31:32], |v[7:8]|, 1
	v_and_b32_e32 v18, 0x7fffffff, v8
	s_mov_b32 s0, 0
	s_mov_b32 s1, 0x7ff00000
	;; [unrolled: 1-line block ×4, first 2 shown]
	v_cndmask_b32_e32 v35, v18, v35, vcc
	v_cndmask_b32_e32 v34, v7, v34, vcc
	v_mul_f64 v[44:45], v[29:30], v[34:35]
	v_mul_f64 v[36:37], v[31:32], v[34:35]
	v_fma_f64 v[29:30], v[29:30], v[34:35], -v[44:45]
	v_fma_f64 v[31:32], v[31:32], v[34:35], -v[36:37]
	v_add_f64 v[46:47], v[36:37], v[29:30]
	v_add_f64 v[54:55], v[46:47], -v[36:37]
	v_add_f64 v[48:49], v[44:45], v[46:47]
	v_add_f64 v[29:30], v[29:30], -v[54:55]
	v_add_f64 v[54:55], v[46:47], -v[54:55]
	v_ldexp_f64 v[50:51], v[48:49], -2
	v_add_f64 v[44:45], v[48:49], -v[44:45]
	v_add_f64 v[54:55], v[36:37], -v[54:55]
	v_trig_preop_f64 v[36:37], |v[7:8]|, 2
	v_fract_f64_e32 v[52:53], v[50:51]
	v_add_f64 v[44:45], v[46:47], -v[44:45]
	v_cmp_neq_f64_e64 vcc, |v[50:51]|, s[0:1]
	v_add_f64 v[29:30], v[29:30], v[54:55]
	v_mul_f64 v[54:55], v[36:37], v[34:35]
	v_add_f64 v[56:57], v[54:55], v[31:32]
	v_add_f64 v[58:59], v[56:57], v[29:30]
	v_add_f64 v[48:49], v[58:59], -v[56:57]
	v_add_f64 v[46:47], v[44:45], v[58:59]
	v_add_f64 v[29:30], v[29:30], -v[48:49]
	v_add_f64 v[48:49], v[58:59], -v[48:49]
	;; [unrolled: 1-line block ×5, first 2 shown]
	v_add_f64 v[29:30], v[29:30], v[48:49]
	v_add_f64 v[48:49], v[56:57], -v[54:55]
	v_add_f64 v[31:32], v[31:32], -v[48:49]
	;; [unrolled: 1-line block ×4, first 2 shown]
	v_add_f64 v[31:32], v[31:32], v[48:49]
	v_add_f64 v[29:30], v[31:32], v[29:30]
	v_fma_f64 v[31:32], v[36:37], v[34:35], -v[54:55]
	v_add_f64 v[29:30], v[31:32], v[29:30]
	v_ldexp_f64 v[31:32], v[52:53], 2
	v_add_f64 v[29:30], v[44:45], v[29:30]
	v_cndmask_b32_e32 v32, 0, v32, vcc
	v_cndmask_b32_e32 v31, 0, v31, vcc
	v_add_f64 v[34:35], v[46:47], v[31:32]
	v_cmp_gt_f64_e32 vcc, 0, v[34:35]
	v_cndmask_b32_e32 v18, 0, v40, vcc
	v_add_f64 v[31:32], v[31:32], v[17:18]
	v_add_f64 v[34:35], v[46:47], v[31:32]
	v_cvt_i32_f64_e32 v18, v[34:35]
	v_cvt_f64_i32_e32 v[34:35], v18
	v_add_f64 v[31:32], v[31:32], -v[34:35]
	v_add_f64 v[34:35], v[46:47], v[31:32]
	v_add_f64 v[31:32], v[34:35], -v[31:32]
	v_cmp_le_f64_e32 vcc, 0.5, v[34:35]
	v_add_f64 v[31:32], v[46:47], -v[31:32]
	v_addc_co_u32_e64 v23, s[0:1], 0, v18, vcc
	v_cndmask_b32_e32 v18, 0, v41, vcc
	v_add_f64 v[29:30], v[29:30], v[31:32]
	v_add_f64 v[31:32], v[34:35], -v[17:18]
	v_add_f64 v[34:35], v[31:32], v[29:30]
	v_add_f64 v[31:32], v[34:35], -v[31:32]
	v_add_f64 v[29:30], v[29:30], -v[31:32]
	v_mul_f64 v[31:32], v[34:35], s[28:29]
	v_fma_f64 v[36:37], v[34:35], s[28:29], -v[31:32]
	v_fma_f64 v[34:35], v[34:35], s[86:87], v[36:37]
	v_fma_f64 v[34:35], v[29:30], s[28:29], v[34:35]
	v_add_f64 v[29:30], v[31:32], v[34:35]
	v_add_f64 v[31:32], v[29:30], -v[31:32]
	v_add_f64 v[31:32], v[34:35], -v[31:32]
	s_andn2_saveexec_b64 s[0:1], s[66:67]
	s_cbranch_execnz .LBB247_15
	s_branch .LBB247_16
.LBB247_14:                             ;   in Loop: Header=BB247_4 Depth=1
	s_andn2_saveexec_b64 s[0:1], s[66:67]
	s_cbranch_execz .LBB247_16
.LBB247_15:                             ;   in Loop: Header=BB247_4 Depth=1
	s_mov_b32 s66, 0x6dc9c883
	s_mov_b32 s67, 0x3fe45f30
	v_mul_f64 v[29:30], |v[7:8]|, s[66:67]
	s_mov_b32 s34, s38
	s_mov_b32 s66, 0x252049c0
	;; [unrolled: 1-line block ×3, first 2 shown]
	v_rndne_f64_e32 v[34:35], v[29:30]
	v_fma_f64 v[29:30], v[34:35], s[30:31], |v[7:8]|
	v_mul_f64 v[31:32], v[34:35], s[38:39]
	v_cvt_i32_f64_e32 v23, v[34:35]
	v_fma_f64 v[46:47], v[34:35], s[38:39], v[29:30]
	v_add_f64 v[36:37], v[29:30], v[31:32]
	v_add_f64 v[44:45], v[29:30], -v[36:37]
	v_add_f64 v[36:37], v[36:37], -v[46:47]
	v_add_f64 v[29:30], v[44:45], v[31:32]
	v_fma_f64 v[31:32], v[34:35], s[34:35], v[31:32]
	v_add_f64 v[29:30], v[36:37], v[29:30]
	v_add_f64 v[29:30], v[29:30], -v[31:32]
	v_fma_f64 v[31:32], v[34:35], s[66:67], v[29:30]
	v_add_f64 v[29:30], v[46:47], v[31:32]
	v_add_f64 v[36:37], v[29:30], -v[46:47]
	v_add_f64 v[31:32], v[31:32], -v[36:37]
.LBB247_16:                             ;   in Loop: Header=BB247_4 Depth=1
	s_or_b64 exec, exec, s[0:1]
	s_mov_b32 s88, s42
	v_mul_f64 v[34:35], v[5:6], s[88:89]
	s_mov_b32 s91, s59
	s_mov_b32 s93, s11
	v_cmp_ngt_f64_e32 vcc, s[94:95], v[5:6]
	v_cmp_nlt_f64_e64 s[0:1], s[24:25], v[5:6]
	v_mul_f64 v[52:53], v[27:28], 0.5
	s_mov_b32 s60, s10
	v_rndne_f64_e32 v[34:35], v[34:35]
	v_fma_f64 v[36:37], v[34:35], s[44:45], -v[5:6]
	v_cvt_i32_f64_e32 v18, v[34:35]
	v_fma_f64 v[36:37], v[34:35], s[46:47], v[36:37]
	v_fma_f64 v[44:45], v[36:37], s[48:49], v[19:20]
	;; [unrolled: 1-line block ×10, first 2 shown]
	v_fma_f64 v[44:45], v[36:37], v[44:45], 1.0
	v_fma_f64 v[36:37], v[36:37], v[44:45], 1.0
	v_ldexp_f64 v[34:35], v[36:37], v18
	v_cndmask_b32_e32 v18, v42, v35, vcc
	s_and_b64 vcc, s[0:1], vcc
	v_cndmask_b32_e32 v5, 0, v34, vcc
	v_mul_f64 v[34:35], v[25:26], v[25:26]
	v_cndmask_b32_e64 v6, 0, v18, s[0:1]
	s_mov_b32 s0, 0x9037ab78
	s_mov_b32 s1, 0x3e21eeb6
	v_mov_b32_e32 v49, s1
	v_mov_b32_e32 v48, s0
	s_mov_b32 s0, 0xb42fdfa7
	s_mov_b32 s1, 0xbe5ae600
	v_mul_f64 v[36:37], v[34:35], 0.5
	v_fma_f64 v[50:51], v[34:35], s[68:69], v[48:49]
	v_add_f64 v[44:45], -v[36:37], 1.0
	v_fma_f64 v[50:51], v[34:35], v[50:51], s[70:71]
	v_add_f64 v[46:47], -v[44:45], 1.0
	v_fma_f64 v[50:51], v[34:35], v[50:51], s[72:73]
	v_add_f64 v[36:37], v[46:47], -v[36:37]
	v_fma_f64 v[50:51], v[34:35], v[50:51], s[74:75]
	v_mul_f64 v[46:47], v[34:35], v[34:35]
	v_fma_f64 v[36:37], v[25:26], -v[27:28], v[36:37]
	v_fma_f64 v[50:51], v[34:35], v[50:51], s[10:11]
	v_fma_f64 v[36:37], v[46:47], v[50:51], v[36:37]
	v_mul_f64 v[50:51], v[25:26], -v[34:35]
	v_add_f64 v[36:37], v[44:45], v[36:37]
	v_mov_b32_e32 v45, s1
	v_mov_b32_e32 v44, s0
	v_fma_f64 v[46:47], v[34:35], s[78:79], v[44:45]
	v_fma_f64 v[46:47], v[34:35], v[46:47], s[80:81]
	;; [unrolled: 1-line block ×5, first 2 shown]
	v_fma_f64 v[27:28], v[34:35], v[46:47], -v[27:28]
	v_fma_f64 v[27:28], v[50:51], s[60:61], v[27:28]
	v_add_f64 v[25:26], v[25:26], -v[27:28]
	v_xor_b32_e32 v18, 0x80000000, v26
	v_and_b32_e32 v26, 1, v33
	v_cmp_eq_u32_e32 vcc, 0, v26
	v_cndmask_b32_e32 v25, v25, v36, vcc
	v_cndmask_b32_e32 v18, v18, v37, vcc
	v_cmp_class_f64_e64 vcc, v[7:8], s77
	v_lshlrev_b32_e32 v26, 30, v33
	v_and_b32_e32 v26, 0x80000000, v26
	v_xor_b32_e32 v18, v18, v26
	v_cndmask_b32_e32 v7, 0, v25, vcc
	v_cndmask_b32_e32 v8, v43, v18, vcc
	v_mul_f64 v[25:26], v[5:6], v[7:8]
	v_mul_f64 v[7:8], v[29:30], v[29:30]
	v_and_b32_e32 v18, 1, v23
	v_cmp_eq_u32_e64 s[0:1], 0, v18
	v_lshlrev_b32_e32 v18, 30, v23
	v_xor_b32_e32 v18, v18, v24
	v_and_b32_e32 v18, 0x80000000, v18
	v_mul_f64 v[27:28], v[7:8], 0.5
	v_fma_f64 v[37:38], v[7:8], s[68:69], v[48:49]
	v_add_f64 v[33:34], -v[27:28], 1.0
	v_fma_f64 v[37:38], v[7:8], v[37:38], s[70:71]
	v_add_f64 v[35:36], -v[33:34], 1.0
	v_fma_f64 v[37:38], v[7:8], v[37:38], s[72:73]
	v_add_f64 v[27:28], v[35:36], -v[27:28]
	v_fma_f64 v[37:38], v[7:8], v[37:38], s[74:75]
	v_mul_f64 v[35:36], v[7:8], v[7:8]
	v_fma_f64 v[27:28], v[29:30], -v[31:32], v[27:28]
	v_fma_f64 v[37:38], v[7:8], v[37:38], s[10:11]
	v_fma_f64 v[27:28], v[35:36], v[37:38], v[27:28]
	v_mul_f64 v[35:36], v[29:30], -v[7:8]
	v_mul_f64 v[37:38], v[31:32], 0.5
	v_add_f64 v[27:28], v[33:34], v[27:28]
	v_fma_f64 v[33:34], v[7:8], s[78:79], v[44:45]
	v_fma_f64 v[33:34], v[7:8], v[33:34], s[80:81]
	;; [unrolled: 1-line block ×5, first 2 shown]
	v_fma_f64 v[7:8], v[7:8], v[33:34], -v[31:32]
	v_fma_f64 v[7:8], v[35:36], s[60:61], v[7:8]
	v_add_f64 v[7:8], v[29:30], -v[7:8]
	v_cndmask_b32_e64 v8, v28, v8, s[0:1]
	v_cndmask_b32_e64 v7, v27, v7, s[0:1]
	v_xor_b32_e32 v8, v8, v18
	v_cndmask_b32_e32 v7, 0, v7, vcc
	v_cndmask_b32_e32 v8, v43, v8, vcc
	v_mul_f64 v[23:24], v[5:6], v[7:8]
                                        ; implicit-def: $vgpr7_vgpr8
.LBB247_17:                             ;   in Loop: Header=BB247_4 Depth=1
	s_andn2_saveexec_b64 s[66:67], s[2:3]
	s_cbranch_execz .LBB247_20
; %bb.18:                               ;   in Loop: Header=BB247_4 Depth=1
	s_mov_b32 s0, 0
	s_mov_b32 s1, 0x41d00000
	v_cmp_nlt_f64_e64 s[0:1], |v[7:8]|, s[0:1]
                                        ; implicit-def: $vgpr37
                                        ; implicit-def: $vgpr25_vgpr26
                                        ; implicit-def: $vgpr31_vgpr32
	s_and_saveexec_b64 s[2:3], s[0:1]
	s_xor_b64 s[2:3], exec, s[2:3]
	s_cbranch_execz .LBB247_21
; %bb.19:                               ;   in Loop: Header=BB247_4 Depth=1
	v_trig_preop_f64 v[25:26], |v[7:8]|, 0
	s_mov_b32 vcc_lo, 0
	s_movk_i32 s28, 0xff80
	s_mov_b32 vcc_hi, 0x7b000000
	v_ldexp_f64 v[27:28], |v[7:8]|, s28
	v_cmp_ge_f64_e64 vcc, |v[7:8]|, vcc
	v_trig_preop_f64 v[29:30], |v[7:8]|, 1
	v_and_b32_e32 v18, 0x7fffffff, v8
	v_trig_preop_f64 v[37:38], |v[7:8]|, 2
	s_mov_b32 s28, s30
	s_mov_b32 s87, s35
	v_cndmask_b32_e32 v28, v18, v28, vcc
	v_cndmask_b32_e32 v27, v7, v27, vcc
	s_mov_b32 vcc_lo, 0
	v_mul_f64 v[31:32], v[25:26], v[27:28]
	s_mov_b32 vcc_hi, 0x7ff00000
	v_mul_f64 v[33:34], v[29:30], v[27:28]
	v_mul_f64 v[48:49], v[37:38], v[27:28]
	v_fma_f64 v[25:26], v[25:26], v[27:28], -v[31:32]
	v_fma_f64 v[29:30], v[29:30], v[27:28], -v[33:34]
	;; [unrolled: 1-line block ×3, first 2 shown]
	v_add_f64 v[35:36], v[33:34], v[25:26]
	v_add_f64 v[44:45], v[35:36], -v[33:34]
	v_add_f64 v[50:51], v[31:32], v[35:36]
	v_add_f64 v[46:47], v[35:36], -v[44:45]
	v_add_f64 v[25:26], v[25:26], -v[44:45]
	v_add_f64 v[44:45], v[48:49], v[29:30]
	v_add_f64 v[31:32], v[50:51], -v[31:32]
	v_add_f64 v[33:34], v[33:34], -v[46:47]
	v_ldexp_f64 v[46:47], v[50:51], -2
	v_add_f64 v[52:53], v[44:45], -v[48:49]
	v_add_f64 v[31:32], v[35:36], -v[31:32]
	v_add_f64 v[25:26], v[25:26], v[33:34]
	v_fract_f64_e32 v[33:34], v[46:47]
	v_cmp_neq_f64_e64 vcc, |v[46:47]|, vcc
	v_add_f64 v[29:30], v[29:30], -v[52:53]
	v_add_f64 v[35:36], v[44:45], v[25:26]
	v_ldexp_f64 v[33:34], v[33:34], 2
	v_add_f64 v[46:47], v[31:32], v[35:36]
	v_cndmask_b32_e32 v34, 0, v34, vcc
	v_cndmask_b32_e32 v33, 0, v33, vcc
	v_add_f64 v[54:55], v[35:36], -v[44:45]
	v_add_f64 v[50:51], v[46:47], v[33:34]
	v_add_f64 v[31:32], v[46:47], -v[31:32]
	v_add_f64 v[56:57], v[35:36], -v[54:55]
	;; [unrolled: 1-line block ×3, first 2 shown]
	v_cmp_gt_f64_e32 vcc, 0, v[50:51]
	v_add_f64 v[50:51], v[44:45], -v[52:53]
	v_add_f64 v[31:32], v[35:36], -v[31:32]
	v_add_f64 v[44:45], v[44:45], -v[56:57]
	v_cndmask_b32_e32 v18, 0, v40, vcc
	v_add_f64 v[33:34], v[33:34], v[17:18]
	v_add_f64 v[50:51], v[48:49], -v[50:51]
	v_add_f64 v[25:26], v[25:26], v[44:45]
	v_add_f64 v[58:59], v[46:47], v[33:34]
	;; [unrolled: 1-line block ×3, first 2 shown]
	v_cvt_i32_f64_e32 v23, v[58:59]
	v_add_f64 v[25:26], v[29:30], v[25:26]
	v_cvt_f64_i32_e32 v[52:53], v23
	v_add_f64 v[33:34], v[33:34], -v[52:53]
	v_add_f64 v[25:26], v[27:28], v[25:26]
	v_add_f64 v[29:30], v[46:47], v[33:34]
	;; [unrolled: 1-line block ×3, first 2 shown]
	v_add_f64 v[27:28], v[29:30], -v[33:34]
	v_cmp_le_f64_e32 vcc, 0.5, v[29:30]
	v_add_f64 v[27:28], v[46:47], -v[27:28]
	v_cndmask_b32_e32 v18, 0, v41, vcc
	v_addc_co_u32_e32 v37, vcc, 0, v23, vcc
	v_add_f64 v[25:26], v[25:26], v[27:28]
	v_add_f64 v[27:28], v[29:30], -v[17:18]
	v_add_f64 v[29:30], v[27:28], v[25:26]
	v_mul_f64 v[31:32], v[29:30], s[28:29]
	v_add_f64 v[27:28], v[29:30], -v[27:28]
	v_fma_f64 v[33:34], v[29:30], s[28:29], -v[31:32]
	v_add_f64 v[25:26], v[25:26], -v[27:28]
	v_fma_f64 v[27:28], v[29:30], s[86:87], v[33:34]
	v_fma_f64 v[27:28], v[25:26], s[28:29], v[27:28]
	v_add_f64 v[25:26], v[31:32], v[27:28]
	v_add_f64 v[29:30], v[25:26], -v[31:32]
	v_add_f64 v[31:32], v[27:28], -v[29:30]
	s_andn2_saveexec_b64 s[2:3], s[2:3]
	s_cbranch_execz .LBB247_23
	s_branch .LBB247_22
.LBB247_20:                             ;   in Loop: Header=BB247_4 Depth=1
	s_or_b64 exec, exec, s[66:67]
                                        ; implicit-def: $vgpr27_vgpr28
                                        ; implicit-def: $vgpr5_vgpr6
                                        ; implicit-def: $vgpr18
	s_andn2_saveexec_b64 s[2:3], s[40:41]
	s_cbranch_execnz .LBB247_29
	s_branch .LBB247_34
.LBB247_21:                             ;   in Loop: Header=BB247_4 Depth=1
	s_andn2_saveexec_b64 s[2:3], s[2:3]
	s_cbranch_execz .LBB247_23
.LBB247_22:                             ;   in Loop: Header=BB247_4 Depth=1
	s_mov_b32 vcc_lo, 0x6dc9c883
	s_mov_b32 vcc_hi, 0x3fe45f30
	v_mul_f64 v[25:26], |v[7:8]|, vcc
	s_mov_b32 s34, s38
	s_mov_b32 vcc_lo, 0x252049c0
	s_mov_b32 vcc_hi, 0xb97b839a
	v_rndne_f64_e32 v[27:28], v[25:26]
	v_fma_f64 v[25:26], v[27:28], s[30:31], |v[7:8]|
	v_mul_f64 v[29:30], v[27:28], s[38:39]
	v_cvt_i32_f64_e32 v37, v[27:28]
	v_fma_f64 v[35:36], v[27:28], s[38:39], v[25:26]
	v_add_f64 v[31:32], v[25:26], v[29:30]
	v_add_f64 v[33:34], v[25:26], -v[31:32]
	v_add_f64 v[31:32], v[31:32], -v[35:36]
	v_add_f64 v[25:26], v[33:34], v[29:30]
	v_fma_f64 v[29:30], v[27:28], s[34:35], v[29:30]
	v_add_f64 v[25:26], v[31:32], v[25:26]
	v_add_f64 v[25:26], v[25:26], -v[29:30]
	v_fma_f64 v[29:30], v[27:28], vcc, v[25:26]
	v_add_f64 v[25:26], v[35:36], v[29:30]
	v_add_f64 v[31:32], v[25:26], -v[35:36]
	v_add_f64 v[31:32], v[29:30], -v[31:32]
.LBB247_23:                             ;   in Loop: Header=BB247_4 Depth=1
	s_or_b64 exec, exec, s[2:3]
                                        ; implicit-def: $vgpr23
                                        ; implicit-def: $vgpr27_vgpr28
                                        ; implicit-def: $vgpr29_vgpr30
	s_and_saveexec_b64 s[2:3], s[0:1]
	s_xor_b64 s[2:3], exec, s[2:3]
	s_cbranch_execz .LBB247_25
; %bb.24:                               ;   in Loop: Header=BB247_4 Depth=1
	v_trig_preop_f64 v[27:28], |v[7:8]|, 0
	s_mov_b32 s0, 0
	s_mov_b32 s1, 0x7b000000
	v_cmp_ge_f64_e64 vcc, |v[7:8]|, s[0:1]
	s_movk_i32 s0, 0xff80
	v_ldexp_f64 v[33:34], |v[7:8]|, s0
	v_trig_preop_f64 v[29:30], |v[7:8]|, 1
	v_and_b32_e32 v18, 0x7fffffff, v8
	s_mov_b32 s0, 0
	s_mov_b32 s1, 0x7ff00000
	;; [unrolled: 1-line block ×4, first 2 shown]
	v_cndmask_b32_e32 v34, v18, v34, vcc
	v_cndmask_b32_e32 v33, v7, v33, vcc
	v_mul_f64 v[44:45], v[27:28], v[33:34]
	v_mul_f64 v[35:36], v[29:30], v[33:34]
	v_fma_f64 v[27:28], v[27:28], v[33:34], -v[44:45]
	v_fma_f64 v[29:30], v[29:30], v[33:34], -v[35:36]
	v_add_f64 v[46:47], v[35:36], v[27:28]
	v_add_f64 v[54:55], v[46:47], -v[35:36]
	v_add_f64 v[48:49], v[44:45], v[46:47]
	v_add_f64 v[27:28], v[27:28], -v[54:55]
	v_add_f64 v[54:55], v[46:47], -v[54:55]
	v_ldexp_f64 v[50:51], v[48:49], -2
	v_add_f64 v[44:45], v[48:49], -v[44:45]
	v_add_f64 v[54:55], v[35:36], -v[54:55]
	v_trig_preop_f64 v[35:36], |v[7:8]|, 2
	v_fract_f64_e32 v[52:53], v[50:51]
	v_add_f64 v[44:45], v[46:47], -v[44:45]
	v_cmp_neq_f64_e64 vcc, |v[50:51]|, s[0:1]
	v_add_f64 v[27:28], v[27:28], v[54:55]
	v_mul_f64 v[54:55], v[35:36], v[33:34]
	v_add_f64 v[56:57], v[54:55], v[29:30]
	v_add_f64 v[58:59], v[56:57], v[27:28]
	v_add_f64 v[48:49], v[58:59], -v[56:57]
	v_add_f64 v[46:47], v[44:45], v[58:59]
	v_add_f64 v[27:28], v[27:28], -v[48:49]
	v_add_f64 v[48:49], v[58:59], -v[48:49]
	;; [unrolled: 1-line block ×5, first 2 shown]
	v_add_f64 v[27:28], v[27:28], v[48:49]
	v_add_f64 v[48:49], v[56:57], -v[54:55]
	v_add_f64 v[29:30], v[29:30], -v[48:49]
	;; [unrolled: 1-line block ×4, first 2 shown]
	v_add_f64 v[29:30], v[29:30], v[48:49]
	v_add_f64 v[27:28], v[29:30], v[27:28]
	v_fma_f64 v[29:30], v[35:36], v[33:34], -v[54:55]
	v_add_f64 v[27:28], v[29:30], v[27:28]
	v_ldexp_f64 v[29:30], v[52:53], 2
	v_add_f64 v[27:28], v[44:45], v[27:28]
	v_cndmask_b32_e32 v30, 0, v30, vcc
	v_cndmask_b32_e32 v29, 0, v29, vcc
	v_add_f64 v[33:34], v[46:47], v[29:30]
	v_cmp_gt_f64_e32 vcc, 0, v[33:34]
	v_cndmask_b32_e32 v18, 0, v40, vcc
	v_add_f64 v[29:30], v[29:30], v[17:18]
	v_add_f64 v[33:34], v[46:47], v[29:30]
	v_cvt_i32_f64_e32 v18, v[33:34]
	v_cvt_f64_i32_e32 v[33:34], v18
	v_add_f64 v[29:30], v[29:30], -v[33:34]
	v_add_f64 v[33:34], v[46:47], v[29:30]
	v_add_f64 v[29:30], v[33:34], -v[29:30]
	v_cmp_le_f64_e32 vcc, 0.5, v[33:34]
	v_add_f64 v[29:30], v[46:47], -v[29:30]
	v_addc_co_u32_e64 v23, s[0:1], 0, v18, vcc
	v_cndmask_b32_e32 v18, 0, v41, vcc
	v_add_f64 v[27:28], v[27:28], v[29:30]
	v_add_f64 v[29:30], v[33:34], -v[17:18]
	v_add_f64 v[33:34], v[29:30], v[27:28]
	v_add_f64 v[29:30], v[33:34], -v[29:30]
	v_add_f64 v[27:28], v[27:28], -v[29:30]
	v_mul_f64 v[29:30], v[33:34], s[28:29]
	v_fma_f64 v[35:36], v[33:34], s[28:29], -v[29:30]
	v_fma_f64 v[33:34], v[33:34], s[86:87], v[35:36]
	v_fma_f64 v[33:34], v[27:28], s[28:29], v[33:34]
	v_add_f64 v[27:28], v[29:30], v[33:34]
	v_add_f64 v[29:30], v[27:28], -v[29:30]
	v_add_f64 v[29:30], v[33:34], -v[29:30]
	s_andn2_saveexec_b64 s[0:1], s[2:3]
	s_cbranch_execnz .LBB247_26
	s_branch .LBB247_27
.LBB247_25:                             ;   in Loop: Header=BB247_4 Depth=1
	s_andn2_saveexec_b64 s[0:1], s[2:3]
	s_cbranch_execz .LBB247_27
.LBB247_26:                             ;   in Loop: Header=BB247_4 Depth=1
	s_mov_b32 s2, 0x6dc9c883
	s_mov_b32 s3, 0x3fe45f30
	v_mul_f64 v[27:28], |v[7:8]|, s[2:3]
	s_mov_b32 s34, s38
	s_mov_b32 s2, 0x252049c0
	s_mov_b32 s3, 0xb97b839a
	v_rndne_f64_e32 v[33:34], v[27:28]
	v_fma_f64 v[27:28], v[33:34], s[30:31], |v[7:8]|
	v_mul_f64 v[29:30], v[33:34], s[38:39]
	v_cvt_i32_f64_e32 v23, v[33:34]
	v_fma_f64 v[46:47], v[33:34], s[38:39], v[27:28]
	v_add_f64 v[35:36], v[27:28], v[29:30]
	v_add_f64 v[44:45], v[27:28], -v[35:36]
	v_add_f64 v[35:36], v[35:36], -v[46:47]
	v_add_f64 v[27:28], v[44:45], v[29:30]
	v_fma_f64 v[29:30], v[33:34], s[34:35], v[29:30]
	v_add_f64 v[27:28], v[35:36], v[27:28]
	v_add_f64 v[27:28], v[27:28], -v[29:30]
	v_fma_f64 v[29:30], v[33:34], s[2:3], v[27:28]
	v_add_f64 v[27:28], v[46:47], v[29:30]
	v_add_f64 v[35:36], v[27:28], -v[46:47]
	v_add_f64 v[29:30], v[29:30], -v[35:36]
.LBB247_27:                             ;   in Loop: Header=BB247_4 Depth=1
	s_or_b64 exec, exec, s[0:1]
	v_cmp_class_f64_e64 vcc, v[7:8], s77
	v_and_b32_e32 v7, 1, v37
	v_cmp_eq_u32_e64 s[0:1], 0, v7
	v_mul_f64 v[7:8], v[25:26], v[25:26]
	s_mov_b32 s2, 0x9037ab78
	s_mov_b32 s3, 0x3e21eeb6
	v_mov_b32_e32 v36, s3
	v_mov_b32_e32 v35, s2
	s_mov_b32 s2, 0xb42fdfa7
	s_mov_b32 s3, 0xbe5ae600
	s_mov_b32 s60, s10
	v_mul_f64 v[33:34], v[7:8], 0.5
	v_fma_f64 v[48:49], v[7:8], s[68:69], v[35:36]
	v_mul_f64 v[46:47], v[7:8], v[7:8]
	v_lshlrev_b32_e32 v18, 30, v37
	v_and_b32_e32 v18, 0x80000000, v18
	s_mov_b32 s91, s59
	s_mov_b32 s93, s11
	v_add_f64 v[44:45], -v[33:34], 1.0
	v_fma_f64 v[48:49], v[7:8], v[48:49], s[70:71]
	v_add_f64 v[50:51], -v[44:45], 1.0
	v_fma_f64 v[48:49], v[7:8], v[48:49], s[72:73]
	v_add_f64 v[33:34], v[50:51], -v[33:34]
	v_fma_f64 v[48:49], v[7:8], v[48:49], s[74:75]
	v_mul_f64 v[50:51], v[31:32], 0.5
	v_fma_f64 v[33:34], v[25:26], -v[31:32], v[33:34]
	v_fma_f64 v[48:49], v[7:8], v[48:49], s[10:11]
	v_fma_f64 v[33:34], v[46:47], v[48:49], v[33:34]
	v_mul_f64 v[46:47], v[25:26], -v[7:8]
	v_add_f64 v[44:45], v[44:45], v[33:34]
	v_mov_b32_e32 v34, s3
	v_mov_b32_e32 v33, s2
	v_fma_f64 v[48:49], v[7:8], s[78:79], v[33:34]
	s_mov_b32 s2, 0
	s_mov_b32 s3, 0xc090cc00
	v_fma_f64 v[48:49], v[7:8], v[48:49], s[80:81]
	v_fma_f64 v[48:49], v[7:8], v[48:49], s[82:83]
	;; [unrolled: 1-line block ×4, first 2 shown]
	v_fma_f64 v[7:8], v[7:8], v[48:49], -v[31:32]
	v_fma_f64 v[7:8], v[46:47], s[60:61], v[7:8]
	v_add_f64 v[7:8], v[25:26], -v[7:8]
	v_xor_b32_e32 v8, 0x80000000, v8
	v_cndmask_b32_e64 v7, v7, v44, s[0:1]
	v_cndmask_b32_e64 v8, v8, v45, s[0:1]
	s_mov_b32 s0, 0x19ba0da4
	s_mov_b32 s1, 0xc0937be3
	v_add_f64 v[5:6], -v[5:6], s[0:1]
	v_xor_b32_e32 v8, v8, v18
	v_cndmask_b32_e32 v25, 0, v7, vcc
	v_cndmask_b32_e32 v26, v43, v8, vcc
	s_mov_b32 s0, 0
	s_mov_b32 s1, 0x40900000
	v_mul_f64 v[7:8], v[5:6], s[42:43]
	v_cmp_nlt_f64_e64 s[0:1], s[0:1], v[5:6]
	v_cmp_ngt_f64_e64 s[2:3], s[2:3], v[5:6]
	v_rndne_f64_e32 v[7:8], v[7:8]
	v_fma_f64 v[31:32], v[7:8], s[44:45], v[5:6]
	v_fma_f64 v[31:32], v[7:8], s[46:47], v[31:32]
	v_cvt_i32_f64_e32 v7, v[7:8]
	v_fma_f64 v[37:38], v[31:32], s[48:49], v[19:20]
	v_fma_f64 v[37:38], v[31:32], v[37:38], s[50:51]
	;; [unrolled: 1-line block ×9, first 2 shown]
	v_fma_f64 v[37:38], v[31:32], v[37:38], 1.0
	v_fma_f64 v[31:32], v[31:32], v[37:38], 1.0
	v_ldexp_f64 v[7:8], v[31:32], v7
	v_cndmask_b32_e64 v8, v42, v8, s[0:1]
	v_cndmask_b32_e64 v18, 0, v8, s[2:3]
	s_and_b64 s[0:1], s[2:3], s[0:1]
	v_and_b32_e32 v5, 0xfffff, v18
	v_cndmask_b32_e64 v7, 0, v7, s[0:1]
	v_or_b32_e32 v8, 0x7fe00000, v5
	v_mul_f64 v[5:6], v[7:8], v[25:26]
	v_lshrrev_b32_e32 v18, 20, v18
	v_add_u32_e32 v31, 0xffffff09, v18
	v_lshrrev_b16_e32 v18, 15, v31
	v_add_u16_e32 v18, v31, v18
	v_ashrrev_i16_e32 v18, 1, v18
	v_bfe_i32 v32, v18, 0, 16
	v_lshl_add_u32 v18, v32, 20, v41
	v_mul_f64 v[25:26], v[5:6], v[17:18]
	v_sub_u32_e32 v5, v31, v32
	v_mul_f64 v[31:32], v[27:28], v[27:28]
	v_lshl_add_u32 v6, v5, 20, v41
	v_mov_b32_e32 v5, v17
	v_mul_f64 v[25:26], v[25:26], v[5:6]
	v_mul_f64 v[37:38], v[31:32], 0.5
	v_fma_f64 v[35:36], v[31:32], s[68:69], v[35:36]
	v_fma_f64 v[33:34], v[31:32], s[78:79], v[33:34]
	v_add_f64 v[44:45], -v[37:38], 1.0
	v_fma_f64 v[35:36], v[31:32], v[35:36], s[70:71]
	v_fma_f64 v[33:34], v[31:32], v[33:34], s[80:81]
	v_add_f64 v[46:47], -v[44:45], 1.0
	v_fma_f64 v[35:36], v[31:32], v[35:36], s[72:73]
	v_fma_f64 v[33:34], v[31:32], v[33:34], s[82:83]
	v_add_f64 v[37:38], v[46:47], -v[37:38]
	v_fma_f64 v[35:36], v[31:32], v[35:36], s[74:75]
	v_mul_f64 v[46:47], v[31:32], v[31:32]
	v_fma_f64 v[33:34], v[31:32], v[33:34], s[58:59]
	v_fma_f64 v[37:38], v[27:28], -v[29:30], v[37:38]
	v_fma_f64 v[35:36], v[31:32], v[35:36], s[10:11]
	v_fma_f64 v[35:36], v[46:47], v[35:36], v[37:38]
	v_mul_f64 v[37:38], v[27:28], -v[31:32]
	v_add_f64 v[35:36], v[44:45], v[35:36]
	v_mul_f64 v[44:45], v[29:30], 0.5
	v_fma_f64 v[33:34], v[37:38], v[33:34], v[44:45]
	v_fma_f64 v[29:30], v[31:32], v[33:34], -v[29:30]
	v_fma_f64 v[29:30], v[37:38], s[60:61], v[29:30]
	v_add_f64 v[27:28], v[27:28], -v[29:30]
	v_and_b32_e32 v29, 1, v23
	v_lshlrev_b32_e32 v23, 30, v23
	v_cmp_eq_u32_e64 s[0:1], 0, v29
	v_xor_b32_e32 v23, v23, v24
	v_and_b32_e32 v23, 0x80000000, v23
	v_cndmask_b32_e64 v28, v36, v28, s[0:1]
	v_cndmask_b32_e64 v27, v35, v27, s[0:1]
	v_xor_b32_e32 v24, v28, v23
	v_cndmask_b32_e32 v23, 0, v27, vcc
	v_cndmask_b32_e32 v24, v43, v24, vcc
	v_mul_f64 v[7:8], v[7:8], v[23:24]
	v_mul_f64 v[7:8], v[7:8], v[17:18]
	;; [unrolled: 1-line block ×3, first 2 shown]
	s_or_b64 exec, exec, s[66:67]
                                        ; implicit-def: $vgpr27_vgpr28
                                        ; implicit-def: $vgpr5_vgpr6
                                        ; implicit-def: $vgpr18
.LBB247_28:                             ;   in Loop: Header=BB247_4 Depth=1
	s_andn2_saveexec_b64 s[2:3], s[40:41]
	s_cbranch_execz .LBB247_34
.LBB247_29:                             ;   in Loop: Header=BB247_4 Depth=1
	v_add_f64 v[23:24], v[7:8], -v[7:8]
	s_mov_b32 s0, 0x7ff00000
	v_cmp_ne_u32_e32 vcc, 0, v5
	v_cmp_ne_u32_e64 s[0:1], s0, v18
	s_or_b64 s[0:1], vcc, s[0:1]
	s_and_saveexec_b64 s[40:41], s[0:1]
	s_xor_b64 s[0:1], exec, s[40:41]
; %bb.30:                               ;   in Loop: Header=BB247_4 Depth=1
                                        ; implicit-def: $vgpr27_vgpr28
                                        ; implicit-def: $vgpr5_vgpr6
; %bb.31:                               ;   in Loop: Header=BB247_4 Depth=1
	s_or_saveexec_b64 s[0:1], s[0:1]
	v_mov_b32_e32 v26, v24
	v_mov_b32_e32 v25, v23
	s_xor_b64 exec, exec, s[0:1]
; %bb.32:                               ;   in Loop: Header=BB247_4 Depth=1
	v_cmp_lt_i64_e32 vcc, -1, v[27:28]
	v_cndmask_b32_e32 v26, 0, v28, vcc
	v_cndmask_b32_e32 v25, 0, v5, vcc
	;; [unrolled: 1-line block ×4, first 2 shown]
; %bb.33:                               ;   in Loop: Header=BB247_4 Depth=1
	s_or_b64 exec, exec, s[0:1]
.LBB247_34:                             ;   in Loop: Header=BB247_4 Depth=1
	s_or_b64 exec, exec, s[2:3]
                                        ; implicit-def: $vgpr7_vgpr8
.LBB247_35:                             ;   in Loop: Header=BB247_4 Depth=1
	s_andn2_saveexec_b64 s[2:3], s[36:37]
	s_cbranch_execz .LBB247_45
; %bb.36:                               ;   in Loop: Header=BB247_4 Depth=1
	v_trig_preop_f64 v[31:32], |v[7:8]|, 0
	v_trig_preop_f64 v[29:30], |v[7:8]|, 1
	;; [unrolled: 1-line block ×3, first 2 shown]
	s_mov_b32 s0, 0
	s_mov_b32 s1, 0x41d00000
	s_movk_i32 s28, 0xff80
	v_cmp_nlt_f64_e64 s[0:1], |v[7:8]|, s[0:1]
	v_ldexp_f64 v[33:34], |v[7:8]|, s28
	v_and_b32_e32 v44, 0x7fffffff, v8
                                        ; implicit-def: $vgpr23
                                        ; implicit-def: $vgpr35_vgpr36
                                        ; implicit-def: $vgpr37_vgpr38
	s_and_saveexec_b64 s[36:37], s[0:1]
	s_xor_b64 s[36:37], exec, s[36:37]
	s_cbranch_execz .LBB247_38
; %bb.37:                               ;   in Loop: Header=BB247_4 Depth=1
	s_mov_b32 s40, 0
	s_mov_b32 s41, 0x7b000000
	v_cmp_ge_f64_e64 vcc, |v[7:8]|, s[40:41]
	s_mov_b32 s40, 0
	s_mov_b32 s41, 0x7ff00000
	;; [unrolled: 1-line block ×4, first 2 shown]
	v_cndmask_b32_e32 v6, v44, v34, vcc
	v_cndmask_b32_e32 v5, v7, v33, vcc
	v_mul_f64 v[27:28], v[31:32], v[5:6]
	v_mul_f64 v[35:36], v[29:30], v[5:6]
	;; [unrolled: 1-line block ×3, first 2 shown]
	v_fma_f64 v[37:38], v[31:32], v[5:6], -v[27:28]
	v_fma_f64 v[51:52], v[29:30], v[5:6], -v[35:36]
	v_fma_f64 v[5:6], v[25:26], v[5:6], -v[49:50]
	v_add_f64 v[45:46], v[35:36], v[37:38]
	v_add_f64 v[55:56], v[49:50], v[51:52]
	v_add_f64 v[47:48], v[45:46], -v[35:36]
	v_add_f64 v[53:54], v[45:46], -v[47:48]
	v_add_f64 v[37:38], v[37:38], -v[47:48]
	v_add_f64 v[47:48], v[27:28], v[45:46]
	v_add_f64 v[35:36], v[35:36], -v[53:54]
	v_add_f64 v[53:54], v[55:56], -v[49:50]
	;; [unrolled: 1-line block ×3, first 2 shown]
	v_ldexp_f64 v[47:48], v[47:48], -2
	v_add_f64 v[35:36], v[37:38], v[35:36]
	v_add_f64 v[37:38], v[55:56], -v[53:54]
	v_add_f64 v[51:52], v[51:52], -v[53:54]
	v_fract_f64_e32 v[53:54], v[47:48]
	v_add_f64 v[27:28], v[45:46], -v[27:28]
	v_cmp_neq_f64_e64 vcc, |v[47:48]|, s[40:41]
	v_add_f64 v[45:46], v[55:56], v[35:36]
	v_add_f64 v[37:38], v[49:50], -v[37:38]
	v_ldexp_f64 v[47:48], v[53:54], 2
	v_add_f64 v[53:54], v[27:28], v[45:46]
	v_add_f64 v[37:38], v[51:52], v[37:38]
	v_cndmask_b32_e32 v48, 0, v48, vcc
	v_cndmask_b32_e32 v47, 0, v47, vcc
	v_add_f64 v[51:52], v[53:54], v[47:48]
	v_add_f64 v[27:28], v[53:54], -v[27:28]
	v_cmp_gt_f64_e32 vcc, 0, v[51:52]
	v_add_f64 v[51:52], v[45:46], -v[55:56]
	v_add_f64 v[27:28], v[45:46], -v[27:28]
	v_cndmask_b32_e32 v18, 0, v40, vcc
	v_add_f64 v[35:36], v[35:36], -v[51:52]
	v_add_f64 v[51:52], v[45:46], -v[51:52]
	v_add_f64 v[47:48], v[47:48], v[17:18]
	v_add_f64 v[51:52], v[55:56], -v[51:52]
	v_add_f64 v[55:56], v[53:54], v[47:48]
	v_add_f64 v[35:36], v[35:36], v[51:52]
	v_cvt_i32_f64_e32 v23, v[55:56]
	v_cvt_f64_i32_e32 v[51:52], v23
	v_add_f64 v[35:36], v[37:38], v[35:36]
	v_add_f64 v[47:48], v[47:48], -v[51:52]
	v_add_f64 v[5:6], v[5:6], v[35:36]
	v_add_f64 v[37:38], v[53:54], v[47:48]
	;; [unrolled: 1-line block ×3, first 2 shown]
	v_add_f64 v[35:36], v[37:38], -v[47:48]
	v_cmp_le_f64_e32 vcc, 0.5, v[37:38]
	v_add_f64 v[27:28], v[53:54], -v[35:36]
	v_cndmask_b32_e32 v18, 0, v41, vcc
	v_addc_co_u32_e32 v23, vcc, 0, v23, vcc
	v_add_f64 v[5:6], v[5:6], v[27:28]
	v_add_f64 v[27:28], v[37:38], -v[17:18]
	v_add_f64 v[35:36], v[27:28], v[5:6]
	v_mul_f64 v[37:38], v[35:36], s[28:29]
	v_add_f64 v[27:28], v[35:36], -v[27:28]
	v_fma_f64 v[45:46], v[35:36], s[28:29], -v[37:38]
	v_add_f64 v[5:6], v[5:6], -v[27:28]
	v_fma_f64 v[27:28], v[35:36], s[86:87], v[45:46]
	v_fma_f64 v[5:6], v[5:6], s[28:29], v[27:28]
	v_add_f64 v[35:36], v[37:38], v[5:6]
	v_add_f64 v[27:28], v[35:36], -v[37:38]
	v_add_f64 v[37:38], v[5:6], -v[27:28]
	s_andn2_saveexec_b64 s[36:37], s[36:37]
	s_cbranch_execz .LBB247_40
	s_branch .LBB247_39
.LBB247_38:                             ;   in Loop: Header=BB247_4 Depth=1
	s_andn2_saveexec_b64 s[36:37], s[36:37]
	s_cbranch_execz .LBB247_40
.LBB247_39:                             ;   in Loop: Header=BB247_4 Depth=1
	s_mov_b32 s40, 0x6dc9c883
	s_mov_b32 s41, 0x3fe45f30
	v_mul_f64 v[5:6], |v[7:8]|, s[40:41]
	s_mov_b32 s34, s38
	s_mov_b32 s40, 0x252049c0
	;; [unrolled: 1-line block ×3, first 2 shown]
	v_rndne_f64_e32 v[5:6], v[5:6]
	v_fma_f64 v[27:28], v[5:6], s[30:31], |v[7:8]|
	v_mul_f64 v[35:36], v[5:6], s[38:39]
	v_cvt_i32_f64_e32 v23, v[5:6]
	v_add_f64 v[37:38], v[27:28], v[35:36]
	v_add_f64 v[45:46], v[27:28], -v[37:38]
	v_fma_f64 v[27:28], v[5:6], s[38:39], v[27:28]
	v_add_f64 v[45:46], v[45:46], v[35:36]
	v_add_f64 v[37:38], v[37:38], -v[27:28]
	v_fma_f64 v[35:36], v[5:6], s[34:35], v[35:36]
	;; [unrolled: 3-line block ×3, first 2 shown]
	v_add_f64 v[35:36], v[27:28], v[37:38]
	v_add_f64 v[27:28], v[35:36], -v[27:28]
	v_add_f64 v[37:38], v[37:38], -v[27:28]
.LBB247_40:                             ;   in Loop: Header=BB247_4 Depth=1
	s_or_b64 exec, exec, s[36:37]
                                        ; implicit-def: $vgpr18
                                        ; implicit-def: $vgpr5_vgpr6
                                        ; implicit-def: $vgpr27_vgpr28
	s_and_saveexec_b64 s[36:37], s[0:1]
	s_xor_b64 s[0:1], exec, s[36:37]
	s_cbranch_execz .LBB247_42
; %bb.41:                               ;   in Loop: Header=BB247_4 Depth=1
	s_mov_b32 s36, 0
	s_mov_b32 s37, 0x7b000000
	v_cmp_ge_f64_e64 vcc, |v[7:8]|, s[36:37]
	s_mov_b32 s36, 0
	s_mov_b32 s37, 0x7ff00000
	;; [unrolled: 1-line block ×4, first 2 shown]
	v_cndmask_b32_e32 v6, v44, v34, vcc
	v_cndmask_b32_e32 v5, v7, v33, vcc
	v_mul_f64 v[27:28], v[31:32], v[5:6]
	v_mul_f64 v[33:34], v[29:30], v[5:6]
	;; [unrolled: 1-line block ×3, first 2 shown]
	v_fma_f64 v[31:32], v[31:32], v[5:6], -v[27:28]
	v_fma_f64 v[29:30], v[29:30], v[5:6], -v[33:34]
	;; [unrolled: 1-line block ×3, first 2 shown]
	v_add_f64 v[44:45], v[33:34], v[31:32]
	v_add_f64 v[46:47], v[44:45], -v[33:34]
	v_add_f64 v[52:53], v[27:28], v[44:45]
	v_add_f64 v[48:49], v[44:45], -v[46:47]
	v_add_f64 v[31:32], v[31:32], -v[46:47]
	v_add_f64 v[46:47], v[50:51], v[29:30]
	v_add_f64 v[27:28], v[52:53], -v[27:28]
	v_add_f64 v[33:34], v[33:34], -v[48:49]
	v_ldexp_f64 v[48:49], v[52:53], -2
	v_add_f64 v[54:55], v[46:47], -v[50:51]
	v_add_f64 v[27:28], v[44:45], -v[27:28]
	v_add_f64 v[31:32], v[31:32], v[33:34]
	v_fract_f64_e32 v[33:34], v[48:49]
	v_cmp_neq_f64_e64 vcc, |v[48:49]|, s[36:37]
	v_add_f64 v[29:30], v[29:30], -v[54:55]
	v_add_f64 v[44:45], v[46:47], v[31:32]
	v_ldexp_f64 v[33:34], v[33:34], 2
	v_add_f64 v[48:49], v[27:28], v[44:45]
	v_cndmask_b32_e32 v34, 0, v34, vcc
	v_cndmask_b32_e32 v33, 0, v33, vcc
	v_add_f64 v[56:57], v[44:45], -v[46:47]
	v_add_f64 v[52:53], v[48:49], v[33:34]
	v_add_f64 v[25:26], v[48:49], -v[27:28]
	v_add_f64 v[58:59], v[44:45], -v[56:57]
	;; [unrolled: 1-line block ×3, first 2 shown]
	v_cmp_gt_f64_e32 vcc, 0, v[52:53]
	v_add_f64 v[52:53], v[46:47], -v[54:55]
	v_add_f64 v[25:26], v[44:45], -v[25:26]
	;; [unrolled: 1-line block ×3, first 2 shown]
	v_cndmask_b32_e32 v18, 0, v40, vcc
	v_add_f64 v[33:34], v[33:34], v[17:18]
	v_add_f64 v[52:53], v[50:51], -v[52:53]
	v_add_f64 v[31:32], v[31:32], v[46:47]
	v_add_f64 v[60:61], v[48:49], v[33:34]
	;; [unrolled: 1-line block ×3, first 2 shown]
	v_cvt_i32_f64_e32 v56, v[60:61]
	v_add_f64 v[27:28], v[29:30], v[31:32]
	v_cvt_f64_i32_e32 v[54:55], v56
	v_add_f64 v[33:34], v[33:34], -v[54:55]
	v_add_f64 v[5:6], v[5:6], v[27:28]
	v_add_f64 v[29:30], v[48:49], v[33:34]
	;; [unrolled: 1-line block ×3, first 2 shown]
	v_add_f64 v[27:28], v[29:30], -v[33:34]
	v_cmp_le_f64_e32 vcc, 0.5, v[29:30]
	v_add_f64 v[25:26], v[48:49], -v[27:28]
	v_cndmask_b32_e32 v18, 0, v41, vcc
	v_add_f64 v[5:6], v[5:6], v[25:26]
	v_add_f64 v[25:26], v[29:30], -v[17:18]
	v_addc_co_u32_e32 v18, vcc, 0, v56, vcc
	v_add_f64 v[27:28], v[25:26], v[5:6]
	v_mul_f64 v[29:30], v[27:28], s[28:29]
	v_add_f64 v[25:26], v[27:28], -v[25:26]
	v_fma_f64 v[31:32], v[27:28], s[28:29], -v[29:30]
	v_add_f64 v[5:6], v[5:6], -v[25:26]
	v_fma_f64 v[25:26], v[27:28], s[86:87], v[31:32]
	v_fma_f64 v[25:26], v[5:6], s[28:29], v[25:26]
	v_add_f64 v[5:6], v[29:30], v[25:26]
	v_add_f64 v[27:28], v[5:6], -v[29:30]
	v_add_f64 v[27:28], v[25:26], -v[27:28]
	s_andn2_saveexec_b64 s[0:1], s[0:1]
	s_cbranch_execnz .LBB247_43
	s_branch .LBB247_44
.LBB247_42:                             ;   in Loop: Header=BB247_4 Depth=1
	s_andn2_saveexec_b64 s[0:1], s[0:1]
	s_cbranch_execz .LBB247_44
.LBB247_43:                             ;   in Loop: Header=BB247_4 Depth=1
	s_mov_b32 s36, 0x6dc9c883
	s_mov_b32 s37, 0x3fe45f30
	v_mul_f64 v[5:6], |v[7:8]|, s[36:37]
	s_mov_b32 s34, s38
	s_mov_b32 s36, 0x252049c0
	;; [unrolled: 1-line block ×3, first 2 shown]
	v_rndne_f64_e32 v[25:26], v[5:6]
	v_fma_f64 v[5:6], v[25:26], s[30:31], |v[7:8]|
	v_mul_f64 v[27:28], v[25:26], s[38:39]
	v_cvt_i32_f64_e32 v18, v[25:26]
	v_fma_f64 v[33:34], v[25:26], s[38:39], v[5:6]
	v_add_f64 v[29:30], v[5:6], v[27:28]
	v_add_f64 v[31:32], v[5:6], -v[29:30]
	v_add_f64 v[29:30], v[29:30], -v[33:34]
	v_add_f64 v[5:6], v[31:32], v[27:28]
	v_fma_f64 v[27:28], v[25:26], s[34:35], v[27:28]
	v_add_f64 v[5:6], v[29:30], v[5:6]
	v_add_f64 v[5:6], v[5:6], -v[27:28]
	v_fma_f64 v[27:28], v[25:26], s[36:37], v[5:6]
	v_add_f64 v[5:6], v[33:34], v[27:28]
	v_add_f64 v[29:30], v[5:6], -v[33:34]
	v_add_f64 v[27:28], v[27:28], -v[29:30]
.LBB247_44:                             ;   in Loop: Header=BB247_4 Depth=1
	s_or_b64 exec, exec, s[0:1]
	v_mul_f64 v[25:26], v[35:36], v[35:36]
	s_mov_b32 s0, 0x9037ab78
	s_mov_b32 s1, 0x3e21eeb6
	v_mov_b32_e32 v45, s1
	v_mov_b32_e32 v44, s0
	s_mov_b32 s0, 0xb42fdfa7
	s_mov_b32 s1, 0xbe5ae600
	v_mul_f64 v[48:49], v[37:38], 0.5
	v_mul_f64 v[29:30], v[25:26], 0.5
	v_fma_f64 v[46:47], v[25:26], s[68:69], v[44:45]
	s_mov_b32 s60, s10
	v_add_f64 v[31:32], -v[29:30], 1.0
	v_fma_f64 v[46:47], v[25:26], v[46:47], s[70:71]
	v_add_f64 v[33:34], -v[31:32], 1.0
	v_fma_f64 v[46:47], v[25:26], v[46:47], s[72:73]
	v_add_f64 v[29:30], v[33:34], -v[29:30]
	v_fma_f64 v[46:47], v[25:26], v[46:47], s[74:75]
	v_mul_f64 v[33:34], v[25:26], v[25:26]
	v_fma_f64 v[29:30], v[35:36], -v[37:38], v[29:30]
	v_fma_f64 v[46:47], v[25:26], v[46:47], s[10:11]
	v_fma_f64 v[29:30], v[33:34], v[46:47], v[29:30]
	v_mul_f64 v[46:47], v[35:36], -v[25:26]
	v_add_f64 v[29:30], v[31:32], v[29:30]
	v_mov_b32_e32 v32, s1
	v_mov_b32_e32 v31, s0
	v_fma_f64 v[33:34], v[25:26], s[78:79], v[31:32]
	v_fma_f64 v[33:34], v[25:26], v[33:34], s[80:81]
	;; [unrolled: 1-line block ×5, first 2 shown]
	v_fma_f64 v[25:26], v[25:26], v[33:34], -v[37:38]
	v_and_b32_e32 v33, 1, v23
	v_cmp_eq_u32_e32 vcc, 0, v33
	v_lshlrev_b32_e32 v23, 30, v23
	v_and_b32_e32 v23, 0x80000000, v23
	v_fma_f64 v[25:26], v[46:47], s[60:61], v[25:26]
	v_add_f64 v[25:26], v[35:36], -v[25:26]
	v_xor_b32_e32 v26, 0x80000000, v26
	v_cndmask_b32_e32 v25, v25, v29, vcc
	v_cndmask_b32_e32 v26, v26, v30, vcc
	v_cmp_class_f64_e64 vcc, v[7:8], s77
	v_mul_f64 v[7:8], v[5:6], v[5:6]
	v_xor_b32_e32 v23, v26, v23
	v_cndmask_b32_e32 v25, 0, v25, vcc
	v_mul_f64 v[29:30], v[7:8], 0.5
	v_fma_f64 v[37:38], v[7:8], s[68:69], v[44:45]
	v_fma_f64 v[31:32], v[7:8], s[78:79], v[31:32]
	v_cndmask_b32_e32 v26, v43, v23, vcc
	v_add_f64 v[33:34], -v[29:30], 1.0
	v_fma_f64 v[37:38], v[7:8], v[37:38], s[70:71]
	v_fma_f64 v[31:32], v[7:8], v[31:32], s[80:81]
	v_add_f64 v[35:36], -v[33:34], 1.0
	v_fma_f64 v[37:38], v[7:8], v[37:38], s[72:73]
	v_fma_f64 v[31:32], v[7:8], v[31:32], s[82:83]
	v_add_f64 v[29:30], v[35:36], -v[29:30]
	v_fma_f64 v[37:38], v[7:8], v[37:38], s[74:75]
	v_mul_f64 v[35:36], v[7:8], v[7:8]
	v_fma_f64 v[31:32], v[7:8], v[31:32], s[58:59]
	v_fma_f64 v[29:30], v[5:6], -v[27:28], v[29:30]
	v_fma_f64 v[37:38], v[7:8], v[37:38], s[10:11]
	v_fma_f64 v[29:30], v[35:36], v[37:38], v[29:30]
	v_mul_f64 v[35:36], v[27:28], 0.5
	v_add_f64 v[29:30], v[33:34], v[29:30]
	v_mul_f64 v[33:34], v[5:6], -v[7:8]
	v_fma_f64 v[31:32], v[33:34], v[31:32], v[35:36]
	v_fma_f64 v[7:8], v[7:8], v[31:32], -v[27:28]
	v_fma_f64 v[7:8], v[33:34], s[60:61], v[7:8]
	v_add_f64 v[5:6], v[5:6], -v[7:8]
	v_and_b32_e32 v7, 1, v18
	v_cmp_eq_u32_e64 s[0:1], 0, v7
	v_lshlrev_b32_e32 v7, 30, v18
	v_xor_b32_e32 v7, v7, v24
	v_and_b32_e32 v7, 0x80000000, v7
	v_cndmask_b32_e64 v6, v30, v6, s[0:1]
	v_cndmask_b32_e64 v5, v29, v5, s[0:1]
	v_xor_b32_e32 v6, v6, v7
	v_cndmask_b32_e32 v23, 0, v5, vcc
	v_cndmask_b32_e32 v24, v43, v6, vcc
.LBB247_45:                             ;   in Loop: Header=BB247_4 Depth=1
	s_or_b64 exec, exec, s[2:3]
                                        ; implicit-def: $vgpr5_vgpr6
.LBB247_46:                             ;   in Loop: Header=BB247_4 Depth=1
	s_andn2_saveexec_b64 s[2:3], s[22:23]
	s_cbranch_execz .LBB247_48
; %bb.47:                               ;   in Loop: Header=BB247_4 Depth=1
	s_mov_b32 s88, s42
	v_mul_f64 v[7:8], v[5:6], s[88:89]
	s_mov_b32 s91, s59
	s_mov_b32 s93, s11
	v_cmp_ngt_f64_e32 vcc, s[94:95], v[5:6]
	v_cmp_nlt_f64_e64 s[0:1], s[24:25], v[5:6]
	v_rndne_f64_e32 v[7:8], v[7:8]
	v_fma_f64 v[25:26], v[7:8], s[44:45], -v[5:6]
	v_fma_f64 v[25:26], v[7:8], s[46:47], v[25:26]
	v_cvt_i32_f64_e32 v7, v[7:8]
	v_fma_f64 v[27:28], v[25:26], s[48:49], v[19:20]
	v_fma_f64 v[27:28], v[25:26], v[27:28], s[50:51]
	;; [unrolled: 1-line block ×9, first 2 shown]
	v_fma_f64 v[27:28], v[25:26], v[27:28], 1.0
	v_fma_f64 v[25:26], v[25:26], v[27:28], 1.0
	v_ldexp_f64 v[7:8], v[25:26], v7
	v_cndmask_b32_e32 v8, v42, v8, vcc
	s_and_b64 vcc, s[0:1], vcc
	v_cndmask_b32_e64 v26, 0, v8, s[0:1]
	v_cndmask_b32_e32 v25, 0, v7, vcc
.LBB247_48:                             ;   in Loop: Header=BB247_4 Depth=1
	s_or_b64 exec, exec, s[2:3]
	v_add_f64 v[25:26], s[12:13], v[25:26]
	v_add_f64 v[23:24], s[14:15], v[23:24]
	v_cmp_gt_f64_e32 vcc, 0, v[25:26]
	v_xor_b32_e32 v5, 0x80000000, v26
	v_xor_b32_e32 v6, 0x80000000, v24
	v_mov_b32_e32 v27, v25
	v_mov_b32_e32 v29, v23
	v_cndmask_b32_e32 v28, v26, v5, vcc
	v_cmp_gt_f64_e32 vcc, 0, v[23:24]
	v_cndmask_b32_e32 v30, v24, v6, vcc
	v_cmp_ge_f64_e32 vcc, v[27:28], v[29:30]
                                        ; implicit-def: $vgpr7_vgpr8
	s_and_saveexec_b64 s[0:1], vcc
	s_xor_b64 s[2:3], exec, s[0:1]
	s_cbranch_execz .LBB247_54
; %bb.49:                               ;   in Loop: Header=BB247_4 Depth=1
	v_cmp_neq_f64_e32 vcc, 0, v[25:26]
	v_cmp_neq_f64_e64 s[0:1], 0, v[23:24]
                                        ; implicit-def: $vgpr7_vgpr8
	s_or_b64 s[0:1], vcc, s[0:1]
	s_and_saveexec_b64 s[22:23], s[0:1]
	s_xor_b64 s[0:1], exec, s[22:23]
	s_cbranch_execz .LBB247_51
; %bb.50:                               ;   in Loop: Header=BB247_4 Depth=1
	v_div_scale_f64 v[5:6], s[22:23], v[25:26], v[25:26], v[23:24]
	v_rcp_f64_e32 v[7:8], v[5:6]
	v_fma_f64 v[27:28], -v[5:6], v[7:8], 1.0
	v_fma_f64 v[7:8], v[7:8], v[27:28], v[7:8]
	v_div_scale_f64 v[27:28], vcc, v[23:24], v[25:26], v[23:24]
	v_fma_f64 v[29:30], -v[5:6], v[7:8], 1.0
	v_fma_f64 v[7:8], v[7:8], v[29:30], v[7:8]
	v_mul_f64 v[29:30], v[27:28], v[7:8]
	v_fma_f64 v[5:6], -v[5:6], v[29:30], v[27:28]
	v_div_fmas_f64 v[5:6], v[5:6], v[7:8], v[29:30]
	v_div_fixup_f64 v[5:6], v[5:6], v[25:26], v[23:24]
	v_fma_f64 v[7:8], v[23:24], v[5:6], v[25:26]
	v_div_scale_f64 v[23:24], s[22:23], v[7:8], v[7:8], 1.0
	v_rcp_f64_e32 v[25:26], v[23:24]
	v_fma_f64 v[27:28], -v[23:24], v[25:26], 1.0
	v_fma_f64 v[25:26], v[25:26], v[27:28], v[25:26]
	v_div_scale_f64 v[27:28], vcc, 1.0, v[7:8], 1.0
	v_fma_f64 v[29:30], -v[23:24], v[25:26], 1.0
	v_fma_f64 v[25:26], v[25:26], v[29:30], v[25:26]
	v_mul_f64 v[29:30], v[27:28], v[25:26]
	v_fma_f64 v[23:24], -v[23:24], v[29:30], v[27:28]
	v_mov_b32_e32 v28, s15
	v_mov_b32_e32 v27, s14
	v_div_fmas_f64 v[23:24], v[23:24], v[25:26], v[29:30]
	v_mov_b32_e32 v26, s13
	v_mov_b32_e32 v25, s12
	v_fma_f64 v[25:26], s[14:15], v[5:6], v[25:26]
                                        ; implicit-def: $vgpr29_vgpr30
	v_div_fixup_f64 v[7:8], v[23:24], v[7:8], 1.0
	v_fma_f64 v[23:24], -s[12:13], v[5:6], v[27:28]
                                        ; implicit-def: $vgpr27_vgpr28
	v_mul_f64 v[5:6], v[25:26], v[7:8]
	v_mul_f64 v[7:8], v[23:24], v[7:8]
.LBB247_51:                             ;   in Loop: Header=BB247_4 Depth=1
	s_andn2_saveexec_b64 s[22:23], s[0:1]
	s_cbranch_execz .LBB247_53
; %bb.52:                               ;   in Loop: Header=BB247_4 Depth=1
	v_div_scale_f64 v[5:6], s[0:1], v[27:28], v[27:28], s[12:13]
	v_div_scale_f64 v[7:8], s[0:1], v[29:30], v[29:30], s[14:15]
	;; [unrolled: 1-line block ×3, first 2 shown]
	v_rcp_f64_e32 v[23:24], v[5:6]
	v_rcp_f64_e32 v[25:26], v[7:8]
	v_fma_f64 v[31:32], -v[5:6], v[23:24], 1.0
	v_fma_f64 v[33:34], -v[7:8], v[25:26], 1.0
	v_fma_f64 v[23:24], v[23:24], v[31:32], v[23:24]
	v_div_scale_f64 v[31:32], vcc, s[12:13], v[27:28], s[12:13]
	v_fma_f64 v[25:26], v[25:26], v[33:34], v[25:26]
	v_fma_f64 v[33:34], -v[5:6], v[23:24], 1.0
	v_fma_f64 v[37:38], -v[7:8], v[25:26], 1.0
	v_fma_f64 v[23:24], v[23:24], v[33:34], v[23:24]
	v_fma_f64 v[25:26], v[25:26], v[37:38], v[25:26]
	v_mul_f64 v[33:34], v[31:32], v[23:24]
	v_mul_f64 v[37:38], v[35:36], v[25:26]
	v_fma_f64 v[5:6], -v[5:6], v[33:34], v[31:32]
	v_fma_f64 v[7:8], -v[7:8], v[37:38], v[35:36]
	v_div_fmas_f64 v[5:6], v[5:6], v[23:24], v[33:34]
	s_mov_b64 vcc, s[0:1]
	v_div_fmas_f64 v[7:8], v[7:8], v[25:26], v[37:38]
	v_div_fixup_f64 v[5:6], v[5:6], v[27:28], s[12:13]
	v_div_fixup_f64 v[7:8], v[7:8], v[29:30], s[14:15]
.LBB247_53:                             ;   in Loop: Header=BB247_4 Depth=1
	s_or_b64 exec, exec, s[22:23]
                                        ; implicit-def: $vgpr23_vgpr24
                                        ; implicit-def: $vgpr25_vgpr26
.LBB247_54:                             ;   in Loop: Header=BB247_4 Depth=1
	s_andn2_saveexec_b64 s[0:1], s[2:3]
	s_cbranch_execz .LBB247_56
; %bb.55:                               ;   in Loop: Header=BB247_4 Depth=1
	v_div_scale_f64 v[5:6], s[2:3], v[23:24], v[23:24], v[25:26]
	v_rcp_f64_e32 v[7:8], v[5:6]
	v_fma_f64 v[27:28], -v[5:6], v[7:8], 1.0
	v_fma_f64 v[7:8], v[7:8], v[27:28], v[7:8]
	v_div_scale_f64 v[27:28], vcc, v[25:26], v[23:24], v[25:26]
	v_fma_f64 v[29:30], -v[5:6], v[7:8], 1.0
	v_fma_f64 v[7:8], v[7:8], v[29:30], v[7:8]
	v_mul_f64 v[29:30], v[27:28], v[7:8]
	v_fma_f64 v[5:6], -v[5:6], v[29:30], v[27:28]
	v_div_fmas_f64 v[5:6], v[5:6], v[7:8], v[29:30]
	v_div_fixup_f64 v[5:6], v[5:6], v[23:24], v[25:26]
	v_fma_f64 v[7:8], v[25:26], v[5:6], v[23:24]
	v_div_scale_f64 v[23:24], s[2:3], v[7:8], v[7:8], 1.0
	v_rcp_f64_e32 v[25:26], v[23:24]
	v_fma_f64 v[27:28], -v[23:24], v[25:26], 1.0
	v_fma_f64 v[25:26], v[25:26], v[27:28], v[25:26]
	v_div_scale_f64 v[27:28], vcc, 1.0, v[7:8], 1.0
	v_fma_f64 v[29:30], -v[23:24], v[25:26], 1.0
	v_fma_f64 v[25:26], v[25:26], v[29:30], v[25:26]
	v_mul_f64 v[29:30], v[27:28], v[25:26]
	v_fma_f64 v[23:24], -v[23:24], v[29:30], v[27:28]
	v_mov_b32_e32 v28, s13
	v_mov_b32_e32 v27, s12
	v_div_fmas_f64 v[23:24], v[23:24], v[25:26], v[29:30]
	v_mov_b32_e32 v26, s15
	v_mov_b32_e32 v25, s14
	v_fma_f64 v[25:26], s[12:13], v[5:6], v[25:26]
	v_div_fixup_f64 v[7:8], v[23:24], v[7:8], 1.0
	v_fma_f64 v[23:24], s[14:15], v[5:6], -v[27:28]
	v_mul_f64 v[5:6], v[25:26], v[7:8]
	v_mul_f64 v[7:8], v[23:24], v[7:8]
.LBB247_56:                             ;   in Loop: Header=BB247_4 Depth=1
	s_or_b64 exec, exec, s[0:1]
	s_waitcnt vmcnt(2)
	v_xor_b32_e32 v24, 0x80000000, v16
	v_and_b32_e32 v29, 0x7fffffff, v24
	v_or_b32_e32 v18, v29, v15
	v_mov_b32_e32 v23, v15
	v_cmp_ne_u32_e32 vcc, 0, v18
                                        ; implicit-def: $vgpr25_vgpr26
	s_and_saveexec_b64 s[0:1], vcc
	s_xor_b64 s[22:23], exec, s[0:1]
	s_cbranch_execz .LBB247_98
; %bb.57:                               ;   in Loop: Header=BB247_4 Depth=1
	v_xor_b32_e32 v28, 0x80000000, v14
	v_and_b32_e32 v18, 0x7fffffff, v28
	v_or_b32_e32 v23, v18, v13
	v_mov_b32_e32 v27, v13
	v_cmp_ne_u32_e32 vcc, 0, v23
                                        ; implicit-def: $vgpr25_vgpr26
	s_and_saveexec_b64 s[0:1], vcc
	s_xor_b64 s[36:37], exec, s[0:1]
	s_cbranch_execz .LBB247_87
; %bb.58:                               ;   in Loop: Header=BB247_4 Depth=1
	s_mov_b32 s0, 0x7ff00000
	v_cmp_gt_u32_e32 vcc, s0, v29
                                        ; implicit-def: $vgpr25_vgpr26
	s_and_saveexec_b64 s[0:1], vcc
	s_xor_b64 s[40:41], exec, s[0:1]
	s_cbranch_execz .LBB247_80
; %bb.59:                               ;   in Loop: Header=BB247_4 Depth=1
	v_add_u32_e32 v18, 0xbf79d1be, v28
	s_mov_b32 s0, 0x108aa2
	v_cmp_lt_u32_e32 vcc, s0, v18
                                        ; implicit-def: $vgpr25_vgpr26
	s_and_saveexec_b64 s[0:1], vcc
	s_xor_b64 s[2:3], exec, s[0:1]
	s_cbranch_execz .LBB247_69
; %bb.60:                               ;   in Loop: Header=BB247_4 Depth=1
	s_mov_b32 s0, 0
	s_mov_b32 s1, 0x41d00000
	v_cmp_nlt_f64_e64 s[0:1], |v[15:16]|, s[0:1]
                                        ; implicit-def: $vgpr33
                                        ; implicit-def: $vgpr25_vgpr26
                                        ; implicit-def: $vgpr27_vgpr28
	s_and_saveexec_b64 s[66:67], s[0:1]
	s_xor_b64 s[66:67], exec, s[66:67]
	s_cbranch_execz .LBB247_62
; %bb.61:                               ;   in Loop: Header=BB247_4 Depth=1
	v_trig_preop_f64 v[25:26], |v[15:16]|, 0
	s_mov_b32 vcc_lo, 0
	s_movk_i32 s28, 0xff80
	s_mov_b32 vcc_hi, 0x7b000000
	v_ldexp_f64 v[27:28], |v[15:16]|, s28
	v_cmp_ge_f64_e64 vcc, |v[15:16]|, vcc
	v_trig_preop_f64 v[29:30], |v[15:16]|, 1
	v_and_b32_e32 v18, 0x7fffffff, v16
	v_trig_preop_f64 v[37:38], |v[15:16]|, 2
	s_mov_b32 s28, s30
	s_mov_b32 s87, s35
	v_cndmask_b32_e32 v28, v18, v28, vcc
	v_cndmask_b32_e32 v27, v15, v27, vcc
	s_mov_b32 vcc_lo, 0
	v_mul_f64 v[31:32], v[25:26], v[27:28]
	s_mov_b32 vcc_hi, 0x7ff00000
	v_mul_f64 v[33:34], v[29:30], v[27:28]
	v_mul_f64 v[48:49], v[37:38], v[27:28]
	v_fma_f64 v[25:26], v[25:26], v[27:28], -v[31:32]
	v_fma_f64 v[29:30], v[29:30], v[27:28], -v[33:34]
	;; [unrolled: 1-line block ×3, first 2 shown]
	v_add_f64 v[35:36], v[33:34], v[25:26]
	v_add_f64 v[44:45], v[35:36], -v[33:34]
	v_add_f64 v[50:51], v[31:32], v[35:36]
	v_add_f64 v[46:47], v[35:36], -v[44:45]
	v_add_f64 v[25:26], v[25:26], -v[44:45]
	v_add_f64 v[44:45], v[48:49], v[29:30]
	v_add_f64 v[31:32], v[50:51], -v[31:32]
	v_add_f64 v[33:34], v[33:34], -v[46:47]
	v_ldexp_f64 v[46:47], v[50:51], -2
	v_add_f64 v[52:53], v[44:45], -v[48:49]
	v_add_f64 v[31:32], v[35:36], -v[31:32]
	v_add_f64 v[25:26], v[25:26], v[33:34]
	v_fract_f64_e32 v[33:34], v[46:47]
	v_cmp_neq_f64_e64 vcc, |v[46:47]|, vcc
	v_add_f64 v[29:30], v[29:30], -v[52:53]
	v_add_f64 v[35:36], v[44:45], v[25:26]
	v_ldexp_f64 v[33:34], v[33:34], 2
	v_add_f64 v[46:47], v[31:32], v[35:36]
	v_cndmask_b32_e32 v34, 0, v34, vcc
	v_cndmask_b32_e32 v33, 0, v33, vcc
	v_add_f64 v[54:55], v[35:36], -v[44:45]
	v_add_f64 v[50:51], v[46:47], v[33:34]
	v_add_f64 v[31:32], v[46:47], -v[31:32]
	v_add_f64 v[56:57], v[35:36], -v[54:55]
	;; [unrolled: 1-line block ×3, first 2 shown]
	v_cmp_gt_f64_e32 vcc, 0, v[50:51]
	v_add_f64 v[50:51], v[44:45], -v[52:53]
	v_add_f64 v[31:32], v[35:36], -v[31:32]
	v_add_f64 v[44:45], v[44:45], -v[56:57]
	v_cndmask_b32_e32 v18, 0, v40, vcc
	v_add_f64 v[33:34], v[33:34], v[17:18]
	v_add_f64 v[50:51], v[48:49], -v[50:51]
	v_add_f64 v[25:26], v[25:26], v[44:45]
	v_add_f64 v[58:59], v[46:47], v[33:34]
	;; [unrolled: 1-line block ×3, first 2 shown]
	v_cvt_i32_f64_e32 v23, v[58:59]
	v_add_f64 v[25:26], v[29:30], v[25:26]
	v_cvt_f64_i32_e32 v[52:53], v23
	v_add_f64 v[33:34], v[33:34], -v[52:53]
	v_add_f64 v[25:26], v[27:28], v[25:26]
	v_add_f64 v[29:30], v[46:47], v[33:34]
	;; [unrolled: 1-line block ×3, first 2 shown]
	v_add_f64 v[27:28], v[29:30], -v[33:34]
	v_cmp_le_f64_e32 vcc, 0.5, v[29:30]
	v_add_f64 v[27:28], v[46:47], -v[27:28]
	v_cndmask_b32_e32 v18, 0, v41, vcc
	v_add_f64 v[25:26], v[25:26], v[27:28]
	v_add_f64 v[27:28], v[29:30], -v[17:18]
	v_add_f64 v[29:30], v[27:28], v[25:26]
	v_mul_f64 v[31:32], v[29:30], s[28:29]
	v_add_f64 v[27:28], v[29:30], -v[27:28]
	v_fma_f64 v[33:34], v[29:30], s[28:29], -v[31:32]
	v_add_f64 v[25:26], v[25:26], -v[27:28]
	v_fma_f64 v[27:28], v[29:30], s[86:87], v[33:34]
	v_addc_co_u32_e32 v33, vcc, 0, v23, vcc
	v_fma_f64 v[27:28], v[25:26], s[28:29], v[27:28]
	v_add_f64 v[25:26], v[31:32], v[27:28]
	v_add_f64 v[29:30], v[25:26], -v[31:32]
	v_add_f64 v[27:28], v[27:28], -v[29:30]
	s_andn2_saveexec_b64 s[66:67], s[66:67]
	s_cbranch_execz .LBB247_64
	s_branch .LBB247_63
.LBB247_62:                             ;   in Loop: Header=BB247_4 Depth=1
	s_andn2_saveexec_b64 s[66:67], s[66:67]
	s_cbranch_execz .LBB247_64
.LBB247_63:                             ;   in Loop: Header=BB247_4 Depth=1
	s_mov_b32 vcc_lo, 0x6dc9c883
	s_mov_b32 vcc_hi, 0x3fe45f30
	v_mul_f64 v[25:26], |v[15:16]|, vcc
	s_mov_b32 s34, s38
	s_mov_b32 vcc_lo, 0x252049c0
	s_mov_b32 vcc_hi, 0xb97b839a
	v_rndne_f64_e32 v[29:30], v[25:26]
	v_fma_f64 v[25:26], v[29:30], s[30:31], |v[15:16]|
	v_mul_f64 v[27:28], v[29:30], s[38:39]
	v_fma_f64 v[35:36], v[29:30], s[38:39], v[25:26]
	v_add_f64 v[31:32], v[25:26], v[27:28]
	v_add_f64 v[33:34], v[25:26], -v[31:32]
	v_add_f64 v[31:32], v[31:32], -v[35:36]
	v_add_f64 v[25:26], v[33:34], v[27:28]
	v_fma_f64 v[27:28], v[29:30], s[34:35], v[27:28]
	v_cvt_i32_f64_e32 v33, v[29:30]
	v_add_f64 v[25:26], v[31:32], v[25:26]
	v_add_f64 v[25:26], v[25:26], -v[27:28]
	v_fma_f64 v[27:28], v[29:30], vcc, v[25:26]
	v_add_f64 v[25:26], v[35:36], v[27:28]
	v_add_f64 v[31:32], v[25:26], -v[35:36]
	v_add_f64 v[27:28], v[27:28], -v[31:32]
.LBB247_64:                             ;   in Loop: Header=BB247_4 Depth=1
	s_or_b64 exec, exec, s[66:67]
                                        ; implicit-def: $vgpr23
                                        ; implicit-def: $vgpr29_vgpr30
                                        ; implicit-def: $vgpr31_vgpr32
	s_and_saveexec_b64 s[66:67], s[0:1]
	s_xor_b64 s[66:67], exec, s[66:67]
	s_cbranch_execz .LBB247_66
; %bb.65:                               ;   in Loop: Header=BB247_4 Depth=1
	v_trig_preop_f64 v[29:30], |v[15:16]|, 0
	s_mov_b32 s0, 0
	s_mov_b32 s1, 0x7b000000
	v_cmp_ge_f64_e64 vcc, |v[15:16]|, s[0:1]
	s_movk_i32 s0, 0xff80
	v_ldexp_f64 v[34:35], |v[15:16]|, s0
	v_trig_preop_f64 v[31:32], |v[15:16]|, 1
	v_and_b32_e32 v18, 0x7fffffff, v16
	s_mov_b32 s0, 0
	s_mov_b32 s1, 0x7ff00000
	;; [unrolled: 1-line block ×4, first 2 shown]
	v_cndmask_b32_e32 v35, v18, v35, vcc
	v_cndmask_b32_e32 v34, v15, v34, vcc
	v_mul_f64 v[44:45], v[29:30], v[34:35]
	v_mul_f64 v[36:37], v[31:32], v[34:35]
	v_fma_f64 v[29:30], v[29:30], v[34:35], -v[44:45]
	v_fma_f64 v[31:32], v[31:32], v[34:35], -v[36:37]
	v_add_f64 v[46:47], v[36:37], v[29:30]
	v_add_f64 v[54:55], v[46:47], -v[36:37]
	v_add_f64 v[48:49], v[44:45], v[46:47]
	v_add_f64 v[29:30], v[29:30], -v[54:55]
	v_add_f64 v[54:55], v[46:47], -v[54:55]
	v_ldexp_f64 v[50:51], v[48:49], -2
	v_add_f64 v[44:45], v[48:49], -v[44:45]
	v_add_f64 v[54:55], v[36:37], -v[54:55]
	v_trig_preop_f64 v[36:37], |v[15:16]|, 2
	v_fract_f64_e32 v[52:53], v[50:51]
	v_add_f64 v[44:45], v[46:47], -v[44:45]
	v_cmp_neq_f64_e64 vcc, |v[50:51]|, s[0:1]
	v_add_f64 v[29:30], v[29:30], v[54:55]
	v_mul_f64 v[54:55], v[36:37], v[34:35]
	v_add_f64 v[56:57], v[54:55], v[31:32]
	v_add_f64 v[58:59], v[56:57], v[29:30]
	v_add_f64 v[48:49], v[58:59], -v[56:57]
	v_add_f64 v[46:47], v[44:45], v[58:59]
	v_add_f64 v[29:30], v[29:30], -v[48:49]
	v_add_f64 v[48:49], v[58:59], -v[48:49]
	;; [unrolled: 1-line block ×5, first 2 shown]
	v_add_f64 v[29:30], v[29:30], v[48:49]
	v_add_f64 v[48:49], v[56:57], -v[54:55]
	v_add_f64 v[31:32], v[31:32], -v[48:49]
	;; [unrolled: 1-line block ×4, first 2 shown]
	v_add_f64 v[31:32], v[31:32], v[48:49]
	v_add_f64 v[29:30], v[31:32], v[29:30]
	v_fma_f64 v[31:32], v[36:37], v[34:35], -v[54:55]
	v_add_f64 v[29:30], v[31:32], v[29:30]
	v_ldexp_f64 v[31:32], v[52:53], 2
	v_add_f64 v[29:30], v[44:45], v[29:30]
	v_cndmask_b32_e32 v32, 0, v32, vcc
	v_cndmask_b32_e32 v31, 0, v31, vcc
	v_add_f64 v[34:35], v[46:47], v[31:32]
	v_cmp_gt_f64_e32 vcc, 0, v[34:35]
	v_cndmask_b32_e32 v18, 0, v40, vcc
	v_add_f64 v[31:32], v[31:32], v[17:18]
	v_add_f64 v[34:35], v[46:47], v[31:32]
	v_cvt_i32_f64_e32 v18, v[34:35]
	v_cvt_f64_i32_e32 v[34:35], v18
	v_add_f64 v[31:32], v[31:32], -v[34:35]
	v_add_f64 v[34:35], v[46:47], v[31:32]
	v_add_f64 v[31:32], v[34:35], -v[31:32]
	v_cmp_le_f64_e32 vcc, 0.5, v[34:35]
	v_add_f64 v[31:32], v[46:47], -v[31:32]
	v_addc_co_u32_e64 v23, s[0:1], 0, v18, vcc
	v_cndmask_b32_e32 v18, 0, v41, vcc
	v_add_f64 v[29:30], v[29:30], v[31:32]
	v_add_f64 v[31:32], v[34:35], -v[17:18]
	v_add_f64 v[34:35], v[31:32], v[29:30]
	v_add_f64 v[31:32], v[34:35], -v[31:32]
	v_add_f64 v[29:30], v[29:30], -v[31:32]
	v_mul_f64 v[31:32], v[34:35], s[28:29]
	v_fma_f64 v[36:37], v[34:35], s[28:29], -v[31:32]
	v_fma_f64 v[34:35], v[34:35], s[86:87], v[36:37]
	v_fma_f64 v[34:35], v[29:30], s[28:29], v[34:35]
	v_add_f64 v[29:30], v[31:32], v[34:35]
	v_add_f64 v[31:32], v[29:30], -v[31:32]
	v_add_f64 v[31:32], v[34:35], -v[31:32]
	s_andn2_saveexec_b64 s[0:1], s[66:67]
	s_cbranch_execnz .LBB247_67
	s_branch .LBB247_68
.LBB247_66:                             ;   in Loop: Header=BB247_4 Depth=1
	s_andn2_saveexec_b64 s[0:1], s[66:67]
	s_cbranch_execz .LBB247_68
.LBB247_67:                             ;   in Loop: Header=BB247_4 Depth=1
	s_mov_b32 s66, 0x6dc9c883
	s_mov_b32 s67, 0x3fe45f30
	v_mul_f64 v[29:30], |v[15:16]|, s[66:67]
	s_mov_b32 s34, s38
	s_mov_b32 s66, 0x252049c0
	;; [unrolled: 1-line block ×3, first 2 shown]
	v_rndne_f64_e32 v[34:35], v[29:30]
	v_fma_f64 v[29:30], v[34:35], s[30:31], |v[15:16]|
	v_mul_f64 v[31:32], v[34:35], s[38:39]
	v_cvt_i32_f64_e32 v23, v[34:35]
	v_fma_f64 v[46:47], v[34:35], s[38:39], v[29:30]
	v_add_f64 v[36:37], v[29:30], v[31:32]
	v_add_f64 v[44:45], v[29:30], -v[36:37]
	v_add_f64 v[36:37], v[36:37], -v[46:47]
	v_add_f64 v[29:30], v[44:45], v[31:32]
	v_fma_f64 v[31:32], v[34:35], s[34:35], v[31:32]
	v_add_f64 v[29:30], v[36:37], v[29:30]
	v_add_f64 v[29:30], v[29:30], -v[31:32]
	v_fma_f64 v[31:32], v[34:35], s[66:67], v[29:30]
	v_add_f64 v[29:30], v[46:47], v[31:32]
	v_add_f64 v[36:37], v[29:30], -v[46:47]
	v_add_f64 v[31:32], v[31:32], -v[36:37]
.LBB247_68:                             ;   in Loop: Header=BB247_4 Depth=1
	s_or_b64 exec, exec, s[0:1]
	s_mov_b32 s88, s42
	v_mul_f64 v[34:35], v[13:14], s[88:89]
	s_mov_b32 s91, s59
	s_mov_b32 s93, s11
	v_cmp_ngt_f64_e32 vcc, s[94:95], v[13:14]
	v_cmp_nlt_f64_e64 s[0:1], s[24:25], v[13:14]
	v_mul_f64 v[52:53], v[27:28], 0.5
	s_mov_b32 s60, s10
	v_rndne_f64_e32 v[34:35], v[34:35]
	v_fma_f64 v[36:37], v[34:35], s[44:45], -v[13:14]
	v_cvt_i32_f64_e32 v18, v[34:35]
	v_fma_f64 v[36:37], v[34:35], s[46:47], v[36:37]
	v_fma_f64 v[44:45], v[36:37], s[48:49], v[19:20]
	;; [unrolled: 1-line block ×10, first 2 shown]
	v_fma_f64 v[44:45], v[36:37], v[44:45], 1.0
	v_fma_f64 v[36:37], v[36:37], v[44:45], 1.0
	v_ldexp_f64 v[34:35], v[36:37], v18
	v_cndmask_b32_e32 v18, v42, v35, vcc
	s_and_b64 vcc, s[0:1], vcc
	v_cndmask_b32_e32 v13, 0, v34, vcc
	v_mul_f64 v[34:35], v[25:26], v[25:26]
	v_cndmask_b32_e64 v14, 0, v18, s[0:1]
	s_mov_b32 s0, 0x9037ab78
	s_mov_b32 s1, 0x3e21eeb6
	v_mov_b32_e32 v49, s1
	v_mov_b32_e32 v48, s0
	s_mov_b32 s0, 0xb42fdfa7
	s_mov_b32 s1, 0xbe5ae600
	v_mul_f64 v[36:37], v[34:35], 0.5
	v_fma_f64 v[50:51], v[34:35], s[68:69], v[48:49]
	v_add_f64 v[44:45], -v[36:37], 1.0
	v_fma_f64 v[50:51], v[34:35], v[50:51], s[70:71]
	v_add_f64 v[46:47], -v[44:45], 1.0
	v_fma_f64 v[50:51], v[34:35], v[50:51], s[72:73]
	v_add_f64 v[36:37], v[46:47], -v[36:37]
	v_fma_f64 v[50:51], v[34:35], v[50:51], s[74:75]
	v_mul_f64 v[46:47], v[34:35], v[34:35]
	v_fma_f64 v[36:37], v[25:26], -v[27:28], v[36:37]
	v_fma_f64 v[50:51], v[34:35], v[50:51], s[10:11]
	v_fma_f64 v[36:37], v[46:47], v[50:51], v[36:37]
	v_mul_f64 v[50:51], v[25:26], -v[34:35]
	v_add_f64 v[36:37], v[44:45], v[36:37]
	v_mov_b32_e32 v45, s1
	v_mov_b32_e32 v44, s0
	v_fma_f64 v[46:47], v[34:35], s[78:79], v[44:45]
	v_fma_f64 v[46:47], v[34:35], v[46:47], s[80:81]
	;; [unrolled: 1-line block ×5, first 2 shown]
	v_fma_f64 v[27:28], v[34:35], v[46:47], -v[27:28]
	v_fma_f64 v[27:28], v[50:51], s[60:61], v[27:28]
	v_add_f64 v[25:26], v[25:26], -v[27:28]
	v_xor_b32_e32 v18, 0x80000000, v26
	v_and_b32_e32 v26, 1, v33
	v_cmp_eq_u32_e32 vcc, 0, v26
	v_cndmask_b32_e32 v25, v25, v36, vcc
	v_cndmask_b32_e32 v18, v18, v37, vcc
	v_cmp_class_f64_e64 vcc, v[15:16], s77
	v_lshlrev_b32_e32 v26, 30, v33
	v_and_b32_e32 v26, 0x80000000, v26
	v_xor_b32_e32 v18, v18, v26
	v_cndmask_b32_e32 v15, 0, v25, vcc
	v_cndmask_b32_e32 v16, v43, v18, vcc
	v_mul_f64 v[25:26], v[13:14], v[15:16]
	v_mul_f64 v[15:16], v[29:30], v[29:30]
	v_and_b32_e32 v18, 1, v23
	v_cmp_eq_u32_e64 s[0:1], 0, v18
	v_lshlrev_b32_e32 v18, 30, v23
	v_xor_b32_e32 v18, v18, v24
	v_and_b32_e32 v18, 0x80000000, v18
	v_mul_f64 v[27:28], v[15:16], 0.5
	v_fma_f64 v[37:38], v[15:16], s[68:69], v[48:49]
	v_add_f64 v[33:34], -v[27:28], 1.0
	v_fma_f64 v[37:38], v[15:16], v[37:38], s[70:71]
	v_add_f64 v[35:36], -v[33:34], 1.0
	v_fma_f64 v[37:38], v[15:16], v[37:38], s[72:73]
	v_add_f64 v[27:28], v[35:36], -v[27:28]
	v_fma_f64 v[37:38], v[15:16], v[37:38], s[74:75]
	v_mul_f64 v[35:36], v[15:16], v[15:16]
	v_fma_f64 v[27:28], v[29:30], -v[31:32], v[27:28]
	v_fma_f64 v[37:38], v[15:16], v[37:38], s[10:11]
	v_fma_f64 v[27:28], v[35:36], v[37:38], v[27:28]
	v_mul_f64 v[35:36], v[29:30], -v[15:16]
	v_mul_f64 v[37:38], v[31:32], 0.5
	v_add_f64 v[27:28], v[33:34], v[27:28]
	v_fma_f64 v[33:34], v[15:16], s[78:79], v[44:45]
	v_fma_f64 v[33:34], v[15:16], v[33:34], s[80:81]
	;; [unrolled: 1-line block ×5, first 2 shown]
	v_fma_f64 v[15:16], v[15:16], v[33:34], -v[31:32]
	v_fma_f64 v[15:16], v[35:36], s[60:61], v[15:16]
	v_add_f64 v[15:16], v[29:30], -v[15:16]
	v_cndmask_b32_e64 v16, v28, v16, s[0:1]
	v_cndmask_b32_e64 v15, v27, v15, s[0:1]
	v_xor_b32_e32 v16, v16, v18
	v_cndmask_b32_e32 v15, 0, v15, vcc
	v_cndmask_b32_e32 v16, v43, v16, vcc
	v_mul_f64 v[23:24], v[13:14], v[15:16]
                                        ; implicit-def: $vgpr15_vgpr16
.LBB247_69:                             ;   in Loop: Header=BB247_4 Depth=1
	s_andn2_saveexec_b64 s[66:67], s[2:3]
	s_cbranch_execz .LBB247_79
; %bb.70:                               ;   in Loop: Header=BB247_4 Depth=1
	s_mov_b32 s0, 0
	s_mov_b32 s1, 0x41d00000
	v_cmp_nlt_f64_e64 s[0:1], |v[15:16]|, s[0:1]
                                        ; implicit-def: $vgpr37
                                        ; implicit-def: $vgpr25_vgpr26
                                        ; implicit-def: $vgpr31_vgpr32
	s_and_saveexec_b64 s[2:3], s[0:1]
	s_xor_b64 s[2:3], exec, s[2:3]
	s_cbranch_execz .LBB247_72
; %bb.71:                               ;   in Loop: Header=BB247_4 Depth=1
	v_trig_preop_f64 v[25:26], |v[15:16]|, 0
	s_mov_b32 vcc_lo, 0
	s_movk_i32 s28, 0xff80
	s_mov_b32 vcc_hi, 0x7b000000
	v_ldexp_f64 v[27:28], |v[15:16]|, s28
	v_cmp_ge_f64_e64 vcc, |v[15:16]|, vcc
	v_trig_preop_f64 v[29:30], |v[15:16]|, 1
	v_and_b32_e32 v18, 0x7fffffff, v16
	v_trig_preop_f64 v[37:38], |v[15:16]|, 2
	s_mov_b32 s28, s30
	s_mov_b32 s87, s35
	v_cndmask_b32_e32 v28, v18, v28, vcc
	v_cndmask_b32_e32 v27, v15, v27, vcc
	s_mov_b32 vcc_lo, 0
	v_mul_f64 v[31:32], v[25:26], v[27:28]
	s_mov_b32 vcc_hi, 0x7ff00000
	v_mul_f64 v[33:34], v[29:30], v[27:28]
	v_mul_f64 v[48:49], v[37:38], v[27:28]
	v_fma_f64 v[25:26], v[25:26], v[27:28], -v[31:32]
	v_fma_f64 v[29:30], v[29:30], v[27:28], -v[33:34]
	;; [unrolled: 1-line block ×3, first 2 shown]
	v_add_f64 v[35:36], v[33:34], v[25:26]
	v_add_f64 v[44:45], v[35:36], -v[33:34]
	v_add_f64 v[50:51], v[31:32], v[35:36]
	v_add_f64 v[46:47], v[35:36], -v[44:45]
	v_add_f64 v[25:26], v[25:26], -v[44:45]
	v_add_f64 v[44:45], v[48:49], v[29:30]
	v_add_f64 v[31:32], v[50:51], -v[31:32]
	v_add_f64 v[33:34], v[33:34], -v[46:47]
	v_ldexp_f64 v[46:47], v[50:51], -2
	v_add_f64 v[52:53], v[44:45], -v[48:49]
	v_add_f64 v[31:32], v[35:36], -v[31:32]
	v_add_f64 v[25:26], v[25:26], v[33:34]
	v_fract_f64_e32 v[33:34], v[46:47]
	v_cmp_neq_f64_e64 vcc, |v[46:47]|, vcc
	v_add_f64 v[29:30], v[29:30], -v[52:53]
	v_add_f64 v[35:36], v[44:45], v[25:26]
	v_ldexp_f64 v[33:34], v[33:34], 2
	v_add_f64 v[46:47], v[31:32], v[35:36]
	v_cndmask_b32_e32 v34, 0, v34, vcc
	v_cndmask_b32_e32 v33, 0, v33, vcc
	v_add_f64 v[54:55], v[35:36], -v[44:45]
	v_add_f64 v[50:51], v[46:47], v[33:34]
	v_add_f64 v[31:32], v[46:47], -v[31:32]
	v_add_f64 v[56:57], v[35:36], -v[54:55]
	;; [unrolled: 1-line block ×3, first 2 shown]
	v_cmp_gt_f64_e32 vcc, 0, v[50:51]
	v_add_f64 v[50:51], v[44:45], -v[52:53]
	v_add_f64 v[31:32], v[35:36], -v[31:32]
	;; [unrolled: 1-line block ×3, first 2 shown]
	v_cndmask_b32_e32 v18, 0, v40, vcc
	v_add_f64 v[33:34], v[33:34], v[17:18]
	v_add_f64 v[50:51], v[48:49], -v[50:51]
	v_add_f64 v[25:26], v[25:26], v[44:45]
	v_add_f64 v[58:59], v[46:47], v[33:34]
	;; [unrolled: 1-line block ×3, first 2 shown]
	v_cvt_i32_f64_e32 v23, v[58:59]
	v_add_f64 v[25:26], v[29:30], v[25:26]
	v_cvt_f64_i32_e32 v[52:53], v23
	v_add_f64 v[33:34], v[33:34], -v[52:53]
	v_add_f64 v[25:26], v[27:28], v[25:26]
	v_add_f64 v[29:30], v[46:47], v[33:34]
	;; [unrolled: 1-line block ×3, first 2 shown]
	v_add_f64 v[27:28], v[29:30], -v[33:34]
	v_cmp_le_f64_e32 vcc, 0.5, v[29:30]
	v_add_f64 v[27:28], v[46:47], -v[27:28]
	v_cndmask_b32_e32 v18, 0, v41, vcc
	v_addc_co_u32_e32 v37, vcc, 0, v23, vcc
	v_add_f64 v[25:26], v[25:26], v[27:28]
	v_add_f64 v[27:28], v[29:30], -v[17:18]
	v_add_f64 v[29:30], v[27:28], v[25:26]
	v_mul_f64 v[31:32], v[29:30], s[28:29]
	v_add_f64 v[27:28], v[29:30], -v[27:28]
	v_fma_f64 v[33:34], v[29:30], s[28:29], -v[31:32]
	v_add_f64 v[25:26], v[25:26], -v[27:28]
	v_fma_f64 v[27:28], v[29:30], s[86:87], v[33:34]
	v_fma_f64 v[27:28], v[25:26], s[28:29], v[27:28]
	v_add_f64 v[25:26], v[31:32], v[27:28]
	v_add_f64 v[29:30], v[25:26], -v[31:32]
	v_add_f64 v[31:32], v[27:28], -v[29:30]
	s_andn2_saveexec_b64 s[2:3], s[2:3]
	s_cbranch_execz .LBB247_74
	s_branch .LBB247_73
.LBB247_72:                             ;   in Loop: Header=BB247_4 Depth=1
	s_andn2_saveexec_b64 s[2:3], s[2:3]
	s_cbranch_execz .LBB247_74
.LBB247_73:                             ;   in Loop: Header=BB247_4 Depth=1
	s_mov_b32 vcc_lo, 0x6dc9c883
	s_mov_b32 vcc_hi, 0x3fe45f30
	v_mul_f64 v[25:26], |v[15:16]|, vcc
	s_mov_b32 s34, s38
	s_mov_b32 vcc_lo, 0x252049c0
	s_mov_b32 vcc_hi, 0xb97b839a
	v_rndne_f64_e32 v[27:28], v[25:26]
	v_fma_f64 v[25:26], v[27:28], s[30:31], |v[15:16]|
	v_mul_f64 v[29:30], v[27:28], s[38:39]
	v_cvt_i32_f64_e32 v37, v[27:28]
	v_fma_f64 v[35:36], v[27:28], s[38:39], v[25:26]
	v_add_f64 v[31:32], v[25:26], v[29:30]
	v_add_f64 v[33:34], v[25:26], -v[31:32]
	v_add_f64 v[31:32], v[31:32], -v[35:36]
	v_add_f64 v[25:26], v[33:34], v[29:30]
	v_fma_f64 v[29:30], v[27:28], s[34:35], v[29:30]
	v_add_f64 v[25:26], v[31:32], v[25:26]
	v_add_f64 v[25:26], v[25:26], -v[29:30]
	v_fma_f64 v[29:30], v[27:28], vcc, v[25:26]
	v_add_f64 v[25:26], v[35:36], v[29:30]
	v_add_f64 v[31:32], v[25:26], -v[35:36]
	v_add_f64 v[31:32], v[29:30], -v[31:32]
.LBB247_74:                             ;   in Loop: Header=BB247_4 Depth=1
	s_or_b64 exec, exec, s[2:3]
                                        ; implicit-def: $vgpr23
                                        ; implicit-def: $vgpr27_vgpr28
                                        ; implicit-def: $vgpr29_vgpr30
	s_and_saveexec_b64 s[2:3], s[0:1]
	s_xor_b64 s[2:3], exec, s[2:3]
	s_cbranch_execz .LBB247_76
; %bb.75:                               ;   in Loop: Header=BB247_4 Depth=1
	v_trig_preop_f64 v[27:28], |v[15:16]|, 0
	s_mov_b32 s0, 0
	s_mov_b32 s1, 0x7b000000
	v_cmp_ge_f64_e64 vcc, |v[15:16]|, s[0:1]
	s_movk_i32 s0, 0xff80
	v_ldexp_f64 v[33:34], |v[15:16]|, s0
	v_trig_preop_f64 v[29:30], |v[15:16]|, 1
	v_and_b32_e32 v18, 0x7fffffff, v16
	s_mov_b32 s0, 0
	s_mov_b32 s1, 0x7ff00000
	;; [unrolled: 1-line block ×4, first 2 shown]
	v_cndmask_b32_e32 v34, v18, v34, vcc
	v_cndmask_b32_e32 v33, v15, v33, vcc
	v_mul_f64 v[44:45], v[27:28], v[33:34]
	v_mul_f64 v[35:36], v[29:30], v[33:34]
	v_fma_f64 v[27:28], v[27:28], v[33:34], -v[44:45]
	v_fma_f64 v[29:30], v[29:30], v[33:34], -v[35:36]
	v_add_f64 v[46:47], v[35:36], v[27:28]
	v_add_f64 v[54:55], v[46:47], -v[35:36]
	v_add_f64 v[48:49], v[44:45], v[46:47]
	v_add_f64 v[27:28], v[27:28], -v[54:55]
	v_add_f64 v[54:55], v[46:47], -v[54:55]
	v_ldexp_f64 v[50:51], v[48:49], -2
	v_add_f64 v[44:45], v[48:49], -v[44:45]
	v_add_f64 v[54:55], v[35:36], -v[54:55]
	v_trig_preop_f64 v[35:36], |v[15:16]|, 2
	v_fract_f64_e32 v[52:53], v[50:51]
	v_add_f64 v[44:45], v[46:47], -v[44:45]
	v_cmp_neq_f64_e64 vcc, |v[50:51]|, s[0:1]
	v_add_f64 v[27:28], v[27:28], v[54:55]
	v_mul_f64 v[54:55], v[35:36], v[33:34]
	v_add_f64 v[56:57], v[54:55], v[29:30]
	v_add_f64 v[58:59], v[56:57], v[27:28]
	v_add_f64 v[48:49], v[58:59], -v[56:57]
	v_add_f64 v[46:47], v[44:45], v[58:59]
	v_add_f64 v[27:28], v[27:28], -v[48:49]
	v_add_f64 v[48:49], v[58:59], -v[48:49]
	v_add_f64 v[44:45], v[46:47], -v[44:45]
	v_add_f64 v[48:49], v[56:57], -v[48:49]
	v_add_f64 v[44:45], v[58:59], -v[44:45]
	v_add_f64 v[27:28], v[27:28], v[48:49]
	v_add_f64 v[48:49], v[56:57], -v[54:55]
	v_add_f64 v[29:30], v[29:30], -v[48:49]
	v_add_f64 v[48:49], v[56:57], -v[48:49]
	v_add_f64 v[48:49], v[54:55], -v[48:49]
	v_add_f64 v[29:30], v[29:30], v[48:49]
	v_add_f64 v[27:28], v[29:30], v[27:28]
	v_fma_f64 v[29:30], v[35:36], v[33:34], -v[54:55]
	v_add_f64 v[27:28], v[29:30], v[27:28]
	v_ldexp_f64 v[29:30], v[52:53], 2
	v_add_f64 v[27:28], v[44:45], v[27:28]
	v_cndmask_b32_e32 v30, 0, v30, vcc
	v_cndmask_b32_e32 v29, 0, v29, vcc
	v_add_f64 v[33:34], v[46:47], v[29:30]
	v_cmp_gt_f64_e32 vcc, 0, v[33:34]
	v_cndmask_b32_e32 v18, 0, v40, vcc
	v_add_f64 v[29:30], v[29:30], v[17:18]
	v_add_f64 v[33:34], v[46:47], v[29:30]
	v_cvt_i32_f64_e32 v18, v[33:34]
	v_cvt_f64_i32_e32 v[33:34], v18
	v_add_f64 v[29:30], v[29:30], -v[33:34]
	v_add_f64 v[33:34], v[46:47], v[29:30]
	v_add_f64 v[29:30], v[33:34], -v[29:30]
	v_cmp_le_f64_e32 vcc, 0.5, v[33:34]
	v_add_f64 v[29:30], v[46:47], -v[29:30]
	v_addc_co_u32_e64 v23, s[0:1], 0, v18, vcc
	v_cndmask_b32_e32 v18, 0, v41, vcc
	v_add_f64 v[27:28], v[27:28], v[29:30]
	v_add_f64 v[29:30], v[33:34], -v[17:18]
	v_add_f64 v[33:34], v[29:30], v[27:28]
	v_add_f64 v[29:30], v[33:34], -v[29:30]
	v_add_f64 v[27:28], v[27:28], -v[29:30]
	v_mul_f64 v[29:30], v[33:34], s[28:29]
	v_fma_f64 v[35:36], v[33:34], s[28:29], -v[29:30]
	v_fma_f64 v[33:34], v[33:34], s[86:87], v[35:36]
	v_fma_f64 v[33:34], v[27:28], s[28:29], v[33:34]
	v_add_f64 v[27:28], v[29:30], v[33:34]
	v_add_f64 v[29:30], v[27:28], -v[29:30]
	v_add_f64 v[29:30], v[33:34], -v[29:30]
	s_andn2_saveexec_b64 s[0:1], s[2:3]
	s_cbranch_execnz .LBB247_77
	s_branch .LBB247_78
.LBB247_76:                             ;   in Loop: Header=BB247_4 Depth=1
	s_andn2_saveexec_b64 s[0:1], s[2:3]
	s_cbranch_execz .LBB247_78
.LBB247_77:                             ;   in Loop: Header=BB247_4 Depth=1
	s_mov_b32 s2, 0x6dc9c883
	s_mov_b32 s3, 0x3fe45f30
	v_mul_f64 v[27:28], |v[15:16]|, s[2:3]
	s_mov_b32 s34, s38
	s_mov_b32 s2, 0x252049c0
	;; [unrolled: 1-line block ×3, first 2 shown]
	v_rndne_f64_e32 v[33:34], v[27:28]
	v_fma_f64 v[27:28], v[33:34], s[30:31], |v[15:16]|
	v_mul_f64 v[29:30], v[33:34], s[38:39]
	v_cvt_i32_f64_e32 v23, v[33:34]
	v_fma_f64 v[46:47], v[33:34], s[38:39], v[27:28]
	v_add_f64 v[35:36], v[27:28], v[29:30]
	v_add_f64 v[44:45], v[27:28], -v[35:36]
	v_add_f64 v[35:36], v[35:36], -v[46:47]
	v_add_f64 v[27:28], v[44:45], v[29:30]
	v_fma_f64 v[29:30], v[33:34], s[34:35], v[29:30]
	v_add_f64 v[27:28], v[35:36], v[27:28]
	v_add_f64 v[27:28], v[27:28], -v[29:30]
	v_fma_f64 v[29:30], v[33:34], s[2:3], v[27:28]
	v_add_f64 v[27:28], v[46:47], v[29:30]
	v_add_f64 v[35:36], v[27:28], -v[46:47]
	v_add_f64 v[29:30], v[29:30], -v[35:36]
.LBB247_78:                             ;   in Loop: Header=BB247_4 Depth=1
	s_or_b64 exec, exec, s[0:1]
	v_cmp_class_f64_e64 vcc, v[15:16], s77
	v_and_b32_e32 v15, 1, v37
	v_cmp_eq_u32_e64 s[0:1], 0, v15
	v_mul_f64 v[15:16], v[25:26], v[25:26]
	s_mov_b32 s2, 0x9037ab78
	s_mov_b32 s3, 0x3e21eeb6
	v_mov_b32_e32 v36, s3
	v_mov_b32_e32 v35, s2
	s_mov_b32 s2, 0xb42fdfa7
	s_mov_b32 s3, 0xbe5ae600
	;; [unrolled: 1-line block ×3, first 2 shown]
	v_mul_f64 v[33:34], v[15:16], 0.5
	v_fma_f64 v[48:49], v[15:16], s[68:69], v[35:36]
	v_mul_f64 v[46:47], v[15:16], v[15:16]
	v_lshlrev_b32_e32 v18, 30, v37
	v_and_b32_e32 v18, 0x80000000, v18
	s_mov_b32 s91, s59
	s_mov_b32 s93, s11
	v_add_f64 v[44:45], -v[33:34], 1.0
	v_fma_f64 v[48:49], v[15:16], v[48:49], s[70:71]
	v_add_f64 v[50:51], -v[44:45], 1.0
	v_fma_f64 v[48:49], v[15:16], v[48:49], s[72:73]
	v_add_f64 v[33:34], v[50:51], -v[33:34]
	v_fma_f64 v[48:49], v[15:16], v[48:49], s[74:75]
	v_mul_f64 v[50:51], v[31:32], 0.5
	v_fma_f64 v[33:34], v[25:26], -v[31:32], v[33:34]
	v_fma_f64 v[48:49], v[15:16], v[48:49], s[10:11]
	v_fma_f64 v[33:34], v[46:47], v[48:49], v[33:34]
	v_mul_f64 v[46:47], v[25:26], -v[15:16]
	v_add_f64 v[44:45], v[44:45], v[33:34]
	v_mov_b32_e32 v34, s3
	v_mov_b32_e32 v33, s2
	v_fma_f64 v[48:49], v[15:16], s[78:79], v[33:34]
	s_mov_b32 s2, 0
	s_mov_b32 s3, 0xc090cc00
	v_fma_f64 v[48:49], v[15:16], v[48:49], s[80:81]
	v_fma_f64 v[48:49], v[15:16], v[48:49], s[82:83]
	;; [unrolled: 1-line block ×4, first 2 shown]
	v_fma_f64 v[15:16], v[15:16], v[48:49], -v[31:32]
	v_fma_f64 v[15:16], v[46:47], s[60:61], v[15:16]
	v_add_f64 v[15:16], v[25:26], -v[15:16]
	v_xor_b32_e32 v16, 0x80000000, v16
	v_cndmask_b32_e64 v15, v15, v44, s[0:1]
	v_cndmask_b32_e64 v16, v16, v45, s[0:1]
	s_mov_b32 s0, 0x19ba0da4
	s_mov_b32 s1, 0xc0937be3
	v_add_f64 v[13:14], -v[13:14], s[0:1]
	v_xor_b32_e32 v16, v16, v18
	v_cndmask_b32_e32 v25, 0, v15, vcc
	v_cndmask_b32_e32 v26, v43, v16, vcc
	s_mov_b32 s0, 0
	s_mov_b32 s1, 0x40900000
	v_mul_f64 v[15:16], v[13:14], s[42:43]
	v_cmp_nlt_f64_e64 s[0:1], s[0:1], v[13:14]
	v_cmp_ngt_f64_e64 s[2:3], s[2:3], v[13:14]
	v_rndne_f64_e32 v[15:16], v[15:16]
	v_fma_f64 v[31:32], v[15:16], s[44:45], v[13:14]
	v_fma_f64 v[31:32], v[15:16], s[46:47], v[31:32]
	v_cvt_i32_f64_e32 v15, v[15:16]
	v_fma_f64 v[37:38], v[31:32], s[48:49], v[19:20]
	v_fma_f64 v[37:38], v[31:32], v[37:38], s[50:51]
	;; [unrolled: 1-line block ×9, first 2 shown]
	v_fma_f64 v[37:38], v[31:32], v[37:38], 1.0
	v_fma_f64 v[31:32], v[31:32], v[37:38], 1.0
	v_ldexp_f64 v[15:16], v[31:32], v15
	v_cndmask_b32_e64 v16, v42, v16, s[0:1]
	v_cndmask_b32_e64 v18, 0, v16, s[2:3]
	s_and_b64 s[0:1], s[2:3], s[0:1]
	v_and_b32_e32 v13, 0xfffff, v18
	v_cndmask_b32_e64 v15, 0, v15, s[0:1]
	v_or_b32_e32 v16, 0x7fe00000, v13
	v_mul_f64 v[13:14], v[15:16], v[25:26]
	v_lshrrev_b32_e32 v18, 20, v18
	v_add_u32_e32 v31, 0xffffff09, v18
	v_lshrrev_b16_e32 v18, 15, v31
	v_add_u16_e32 v18, v31, v18
	v_ashrrev_i16_e32 v18, 1, v18
	v_bfe_i32 v32, v18, 0, 16
	v_lshl_add_u32 v18, v32, 20, v41
	v_mul_f64 v[25:26], v[13:14], v[17:18]
	v_sub_u32_e32 v13, v31, v32
	v_mul_f64 v[31:32], v[27:28], v[27:28]
	v_lshl_add_u32 v14, v13, 20, v41
	v_mov_b32_e32 v13, v17
	v_mul_f64 v[25:26], v[25:26], v[13:14]
	v_mul_f64 v[37:38], v[31:32], 0.5
	v_fma_f64 v[35:36], v[31:32], s[68:69], v[35:36]
	v_fma_f64 v[33:34], v[31:32], s[78:79], v[33:34]
	v_add_f64 v[44:45], -v[37:38], 1.0
	v_fma_f64 v[35:36], v[31:32], v[35:36], s[70:71]
	v_fma_f64 v[33:34], v[31:32], v[33:34], s[80:81]
	v_add_f64 v[46:47], -v[44:45], 1.0
	v_fma_f64 v[35:36], v[31:32], v[35:36], s[72:73]
	v_fma_f64 v[33:34], v[31:32], v[33:34], s[82:83]
	v_add_f64 v[37:38], v[46:47], -v[37:38]
	v_fma_f64 v[35:36], v[31:32], v[35:36], s[74:75]
	v_mul_f64 v[46:47], v[31:32], v[31:32]
	v_fma_f64 v[33:34], v[31:32], v[33:34], s[58:59]
	v_fma_f64 v[37:38], v[27:28], -v[29:30], v[37:38]
	v_fma_f64 v[35:36], v[31:32], v[35:36], s[10:11]
	v_fma_f64 v[35:36], v[46:47], v[35:36], v[37:38]
	v_mul_f64 v[37:38], v[27:28], -v[31:32]
	v_add_f64 v[35:36], v[44:45], v[35:36]
	v_mul_f64 v[44:45], v[29:30], 0.5
	v_fma_f64 v[33:34], v[37:38], v[33:34], v[44:45]
	v_fma_f64 v[29:30], v[31:32], v[33:34], -v[29:30]
	v_fma_f64 v[29:30], v[37:38], s[60:61], v[29:30]
	v_add_f64 v[27:28], v[27:28], -v[29:30]
	v_and_b32_e32 v29, 1, v23
	v_lshlrev_b32_e32 v23, 30, v23
	v_cmp_eq_u32_e64 s[0:1], 0, v29
	v_xor_b32_e32 v23, v23, v24
	v_and_b32_e32 v23, 0x80000000, v23
	v_cndmask_b32_e64 v28, v36, v28, s[0:1]
	v_cndmask_b32_e64 v27, v35, v27, s[0:1]
	v_xor_b32_e32 v24, v28, v23
	v_cndmask_b32_e32 v23, 0, v27, vcc
	v_cndmask_b32_e32 v24, v43, v24, vcc
	v_mul_f64 v[15:16], v[15:16], v[23:24]
	v_mul_f64 v[15:16], v[15:16], v[17:18]
	;; [unrolled: 1-line block ×3, first 2 shown]
.LBB247_79:                             ;   in Loop: Header=BB247_4 Depth=1
	s_or_b64 exec, exec, s[66:67]
                                        ; implicit-def: $vgpr27_vgpr28
                                        ; implicit-def: $vgpr13_vgpr14
                                        ; implicit-def: $vgpr18
.LBB247_80:                             ;   in Loop: Header=BB247_4 Depth=1
	s_andn2_saveexec_b64 s[2:3], s[40:41]
	s_cbranch_execz .LBB247_86
; %bb.81:                               ;   in Loop: Header=BB247_4 Depth=1
	v_add_f64 v[23:24], v[15:16], -v[15:16]
	s_mov_b32 s0, 0x7ff00000
	v_cmp_ne_u32_e32 vcc, 0, v13
	v_cmp_ne_u32_e64 s[0:1], s0, v18
	s_or_b64 s[0:1], vcc, s[0:1]
	s_and_saveexec_b64 s[40:41], s[0:1]
	s_xor_b64 s[0:1], exec, s[40:41]
; %bb.82:                               ;   in Loop: Header=BB247_4 Depth=1
                                        ; implicit-def: $vgpr27_vgpr28
                                        ; implicit-def: $vgpr13_vgpr14
; %bb.83:                               ;   in Loop: Header=BB247_4 Depth=1
	s_or_saveexec_b64 s[0:1], s[0:1]
	v_mov_b32_e32 v26, v24
	v_mov_b32_e32 v25, v23
	s_xor_b64 exec, exec, s[0:1]
; %bb.84:                               ;   in Loop: Header=BB247_4 Depth=1
	v_cmp_lt_i64_e32 vcc, -1, v[27:28]
	v_cndmask_b32_e32 v26, 0, v28, vcc
	v_cndmask_b32_e32 v25, 0, v13, vcc
	;; [unrolled: 1-line block ×4, first 2 shown]
; %bb.85:                               ;   in Loop: Header=BB247_4 Depth=1
	s_or_b64 exec, exec, s[0:1]
.LBB247_86:                             ;   in Loop: Header=BB247_4 Depth=1
	s_or_b64 exec, exec, s[2:3]
                                        ; implicit-def: $vgpr15_vgpr16
.LBB247_87:                             ;   in Loop: Header=BB247_4 Depth=1
	s_andn2_saveexec_b64 s[2:3], s[36:37]
	s_cbranch_execz .LBB247_97
; %bb.88:                               ;   in Loop: Header=BB247_4 Depth=1
	v_trig_preop_f64 v[31:32], |v[15:16]|, 0
	v_trig_preop_f64 v[25:26], |v[15:16]|, 1
	;; [unrolled: 1-line block ×3, first 2 shown]
	s_mov_b32 s0, 0
	s_mov_b32 s1, 0x41d00000
	v_cmp_nlt_f64_e64 s[36:37], |v[15:16]|, s[0:1]
	s_movk_i32 s0, 0xff80
	v_ldexp_f64 v[33:34], |v[15:16]|, s0
	v_and_b32_e32 v23, 0x7fffffff, v16
                                        ; implicit-def: $vgpr44
                                        ; implicit-def: $vgpr35_vgpr36
                                        ; implicit-def: $vgpr37_vgpr38
	s_and_saveexec_b64 s[0:1], s[36:37]
	s_xor_b64 s[40:41], exec, s[0:1]
	s_cbranch_execz .LBB247_90
; %bb.89:                               ;   in Loop: Header=BB247_4 Depth=1
	s_mov_b32 s0, 0
	s_mov_b32 s1, 0x7b000000
	v_cmp_ge_f64_e64 vcc, |v[15:16]|, s[0:1]
	s_mov_b32 s0, 0
	s_mov_b32 s1, 0x7ff00000
	;; [unrolled: 1-line block ×4, first 2 shown]
	v_cndmask_b32_e32 v28, v23, v34, vcc
	v_cndmask_b32_e32 v27, v15, v33, vcc
	v_mul_f64 v[35:36], v[31:32], v[27:28]
	v_mul_f64 v[29:30], v[25:26], v[27:28]
	v_fma_f64 v[37:38], v[31:32], v[27:28], -v[35:36]
	v_add_f64 v[44:45], v[29:30], v[37:38]
	v_add_f64 v[52:53], v[44:45], -v[29:30]
	v_add_f64 v[46:47], v[35:36], v[44:45]
	v_add_f64 v[37:38], v[37:38], -v[52:53]
	v_add_f64 v[52:53], v[44:45], -v[52:53]
	v_ldexp_f64 v[48:49], v[46:47], -2
	v_add_f64 v[35:36], v[46:47], -v[35:36]
	v_add_f64 v[52:53], v[29:30], -v[52:53]
	v_fma_f64 v[29:30], v[25:26], v[27:28], -v[29:30]
	v_add_f64 v[35:36], v[44:45], -v[35:36]
	v_fract_f64_e32 v[50:51], v[48:49]
	v_cmp_neq_f64_e64 vcc, |v[48:49]|, s[0:1]
	v_add_f64 v[37:38], v[37:38], v[52:53]
	v_mul_f64 v[52:53], v[13:14], v[27:28]
	v_add_f64 v[54:55], v[52:53], v[29:30]
	v_fma_f64 v[27:28], v[13:14], v[27:28], -v[52:53]
	v_add_f64 v[56:57], v[54:55], v[37:38]
	v_add_f64 v[46:47], v[56:57], -v[54:55]
	v_add_f64 v[44:45], v[35:36], v[56:57]
	v_add_f64 v[37:38], v[37:38], -v[46:47]
	v_add_f64 v[46:47], v[56:57], -v[46:47]
	;; [unrolled: 1-line block ×5, first 2 shown]
	v_add_f64 v[37:38], v[37:38], v[46:47]
	v_add_f64 v[46:47], v[54:55], -v[52:53]
	v_add_f64 v[29:30], v[29:30], -v[46:47]
	;; [unrolled: 1-line block ×4, first 2 shown]
	v_add_f64 v[29:30], v[29:30], v[46:47]
	v_add_f64 v[29:30], v[29:30], v[37:38]
	;; [unrolled: 1-line block ×3, first 2 shown]
	v_ldexp_f64 v[29:30], v[50:51], 2
	v_add_f64 v[27:28], v[35:36], v[27:28]
	v_cndmask_b32_e32 v30, 0, v30, vcc
	v_cndmask_b32_e32 v29, 0, v29, vcc
	v_add_f64 v[35:36], v[44:45], v[29:30]
	v_cmp_gt_f64_e32 vcc, 0, v[35:36]
	v_cndmask_b32_e32 v18, 0, v40, vcc
	v_add_f64 v[29:30], v[29:30], v[17:18]
	v_add_f64 v[35:36], v[44:45], v[29:30]
	v_cvt_i32_f64_e32 v18, v[35:36]
	v_cvt_f64_i32_e32 v[35:36], v18
	v_add_f64 v[29:30], v[29:30], -v[35:36]
	v_add_f64 v[35:36], v[44:45], v[29:30]
	v_add_f64 v[29:30], v[35:36], -v[29:30]
	v_cmp_le_f64_e32 vcc, 0.5, v[35:36]
	v_add_f64 v[29:30], v[44:45], -v[29:30]
	v_addc_co_u32_e64 v44, s[0:1], 0, v18, vcc
	v_cndmask_b32_e32 v18, 0, v41, vcc
	v_add_f64 v[27:28], v[27:28], v[29:30]
	v_add_f64 v[29:30], v[35:36], -v[17:18]
	v_add_f64 v[35:36], v[29:30], v[27:28]
	v_add_f64 v[29:30], v[35:36], -v[29:30]
	v_add_f64 v[27:28], v[27:28], -v[29:30]
	v_mul_f64 v[29:30], v[35:36], s[28:29]
	v_fma_f64 v[37:38], v[35:36], s[28:29], -v[29:30]
	v_fma_f64 v[35:36], v[35:36], s[86:87], v[37:38]
	v_fma_f64 v[27:28], v[27:28], s[28:29], v[35:36]
	v_add_f64 v[35:36], v[29:30], v[27:28]
	v_add_f64 v[29:30], v[35:36], -v[29:30]
	v_add_f64 v[37:38], v[27:28], -v[29:30]
	s_andn2_saveexec_b64 s[0:1], s[40:41]
	s_cbranch_execz .LBB247_92
	s_branch .LBB247_91
.LBB247_90:                             ;   in Loop: Header=BB247_4 Depth=1
	s_andn2_saveexec_b64 s[0:1], s[40:41]
	s_cbranch_execz .LBB247_92
.LBB247_91:                             ;   in Loop: Header=BB247_4 Depth=1
	s_mov_b32 s40, 0x6dc9c883
	s_mov_b32 s41, 0x3fe45f30
	v_mul_f64 v[27:28], |v[15:16]|, s[40:41]
	s_mov_b32 s34, s38
	s_mov_b32 s40, 0x252049c0
	;; [unrolled: 1-line block ×3, first 2 shown]
	v_rndne_f64_e32 v[27:28], v[27:28]
	v_fma_f64 v[29:30], v[27:28], s[30:31], |v[15:16]|
	v_mul_f64 v[35:36], v[27:28], s[38:39]
	v_add_f64 v[37:38], v[29:30], v[35:36]
	v_add_f64 v[44:45], v[29:30], -v[37:38]
	v_fma_f64 v[29:30], v[27:28], s[38:39], v[29:30]
	v_add_f64 v[44:45], v[44:45], v[35:36]
	v_add_f64 v[37:38], v[37:38], -v[29:30]
	v_fma_f64 v[35:36], v[27:28], s[34:35], v[35:36]
	v_add_f64 v[37:38], v[37:38], v[44:45]
	v_cvt_i32_f64_e32 v44, v[27:28]
	v_add_f64 v[35:36], v[37:38], -v[35:36]
	v_fma_f64 v[37:38], v[27:28], s[40:41], v[35:36]
	v_add_f64 v[35:36], v[29:30], v[37:38]
	v_add_f64 v[29:30], v[35:36], -v[29:30]
	v_add_f64 v[37:38], v[37:38], -v[29:30]
.LBB247_92:                             ;   in Loop: Header=BB247_4 Depth=1
	s_or_b64 exec, exec, s[0:1]
                                        ; implicit-def: $vgpr18
                                        ; implicit-def: $vgpr27_vgpr28
                                        ; implicit-def: $vgpr29_vgpr30
	s_and_saveexec_b64 s[0:1], s[36:37]
	s_xor_b64 s[0:1], exec, s[0:1]
	s_cbranch_execz .LBB247_94
; %bb.93:                               ;   in Loop: Header=BB247_4 Depth=1
	s_mov_b32 s36, 0
	s_mov_b32 s37, 0x7b000000
	v_cmp_ge_f64_e64 vcc, |v[15:16]|, s[36:37]
	s_mov_b32 s36, 0
	s_mov_b32 s37, 0x7ff00000
	;; [unrolled: 1-line block ×4, first 2 shown]
	v_cndmask_b32_e32 v28, v23, v34, vcc
	v_cndmask_b32_e32 v27, v15, v33, vcc
	v_mul_f64 v[29:30], v[31:32], v[27:28]
	v_mul_f64 v[33:34], v[25:26], v[27:28]
	;; [unrolled: 1-line block ×3, first 2 shown]
	v_fma_f64 v[31:32], v[31:32], v[27:28], -v[29:30]
	v_fma_f64 v[25:26], v[25:26], v[27:28], -v[33:34]
	;; [unrolled: 1-line block ×3, first 2 shown]
	v_add_f64 v[45:46], v[33:34], v[31:32]
	v_add_f64 v[47:48], v[45:46], -v[33:34]
	v_add_f64 v[53:54], v[29:30], v[45:46]
	v_add_f64 v[49:50], v[45:46], -v[47:48]
	v_add_f64 v[31:32], v[31:32], -v[47:48]
	v_add_f64 v[47:48], v[51:52], v[25:26]
	v_add_f64 v[29:30], v[53:54], -v[29:30]
	v_add_f64 v[33:34], v[33:34], -v[49:50]
	v_ldexp_f64 v[49:50], v[53:54], -2
	v_add_f64 v[55:56], v[47:48], -v[51:52]
	v_add_f64 v[29:30], v[45:46], -v[29:30]
	v_add_f64 v[31:32], v[31:32], v[33:34]
	v_fract_f64_e32 v[33:34], v[49:50]
	v_cmp_neq_f64_e64 vcc, |v[49:50]|, s[36:37]
	v_add_f64 v[25:26], v[25:26], -v[55:56]
	v_add_f64 v[45:46], v[47:48], v[31:32]
	v_ldexp_f64 v[33:34], v[33:34], 2
	v_add_f64 v[49:50], v[29:30], v[45:46]
	v_cndmask_b32_e32 v34, 0, v34, vcc
	v_cndmask_b32_e32 v33, 0, v33, vcc
	v_add_f64 v[57:58], v[45:46], -v[47:48]
	v_add_f64 v[53:54], v[49:50], v[33:34]
	v_add_f64 v[27:28], v[49:50], -v[29:30]
	v_add_f64 v[59:60], v[45:46], -v[57:58]
	;; [unrolled: 1-line block ×3, first 2 shown]
	v_cmp_gt_f64_e32 vcc, 0, v[53:54]
	v_add_f64 v[53:54], v[47:48], -v[55:56]
	v_add_f64 v[27:28], v[45:46], -v[27:28]
	;; [unrolled: 1-line block ×3, first 2 shown]
	v_cndmask_b32_e32 v18, 0, v40, vcc
	v_add_f64 v[33:34], v[33:34], v[17:18]
	v_add_f64 v[53:54], v[51:52], -v[53:54]
	v_add_f64 v[31:32], v[31:32], v[47:48]
	v_add_f64 v[61:62], v[49:50], v[33:34]
	v_add_f64 v[25:26], v[25:26], v[53:54]
	v_cvt_i32_f64_e32 v23, v[61:62]
	v_add_f64 v[25:26], v[25:26], v[31:32]
	v_cvt_f64_i32_e32 v[55:56], v23
	v_add_f64 v[33:34], v[33:34], -v[55:56]
	v_add_f64 v[13:14], v[13:14], v[25:26]
	v_add_f64 v[29:30], v[49:50], v[33:34]
	;; [unrolled: 1-line block ×3, first 2 shown]
	v_add_f64 v[25:26], v[29:30], -v[33:34]
	v_cmp_le_f64_e32 vcc, 0.5, v[29:30]
	v_add_f64 v[25:26], v[49:50], -v[25:26]
	v_cndmask_b32_e32 v18, 0, v41, vcc
	v_add_f64 v[13:14], v[13:14], v[25:26]
	v_add_f64 v[25:26], v[29:30], -v[17:18]
	v_addc_co_u32_e32 v18, vcc, 0, v23, vcc
	v_add_f64 v[27:28], v[25:26], v[13:14]
	v_mul_f64 v[29:30], v[27:28], s[28:29]
	v_add_f64 v[25:26], v[27:28], -v[25:26]
	v_fma_f64 v[31:32], v[27:28], s[28:29], -v[29:30]
	v_add_f64 v[13:14], v[13:14], -v[25:26]
	v_fma_f64 v[25:26], v[27:28], s[86:87], v[31:32]
	v_fma_f64 v[13:14], v[13:14], s[28:29], v[25:26]
	v_add_f64 v[27:28], v[29:30], v[13:14]
	v_add_f64 v[25:26], v[27:28], -v[29:30]
	v_add_f64 v[29:30], v[13:14], -v[25:26]
	s_andn2_saveexec_b64 s[0:1], s[0:1]
	s_cbranch_execnz .LBB247_95
	s_branch .LBB247_96
.LBB247_94:                             ;   in Loop: Header=BB247_4 Depth=1
	s_andn2_saveexec_b64 s[0:1], s[0:1]
	s_cbranch_execz .LBB247_96
.LBB247_95:                             ;   in Loop: Header=BB247_4 Depth=1
	s_mov_b32 s36, 0x6dc9c883
	s_mov_b32 s37, 0x3fe45f30
	v_mul_f64 v[13:14], |v[15:16]|, s[36:37]
	s_mov_b32 s34, s38
	s_mov_b32 s36, 0x252049c0
	;; [unrolled: 1-line block ×3, first 2 shown]
	v_rndne_f64_e32 v[13:14], v[13:14]
	v_fma_f64 v[25:26], v[13:14], s[30:31], |v[15:16]|
	v_mul_f64 v[27:28], v[13:14], s[38:39]
	v_cvt_i32_f64_e32 v18, v[13:14]
	v_add_f64 v[29:30], v[25:26], v[27:28]
	v_add_f64 v[31:32], v[25:26], -v[29:30]
	v_fma_f64 v[25:26], v[13:14], s[38:39], v[25:26]
	v_add_f64 v[31:32], v[31:32], v[27:28]
	v_add_f64 v[29:30], v[29:30], -v[25:26]
	v_fma_f64 v[27:28], v[13:14], s[34:35], v[27:28]
	;; [unrolled: 3-line block ×3, first 2 shown]
	v_add_f64 v[27:28], v[25:26], v[29:30]
	v_add_f64 v[25:26], v[27:28], -v[25:26]
	v_add_f64 v[29:30], v[29:30], -v[25:26]
.LBB247_96:                             ;   in Loop: Header=BB247_4 Depth=1
	s_or_b64 exec, exec, s[0:1]
	v_mul_f64 v[13:14], v[35:36], v[35:36]
	s_mov_b32 s0, 0x9037ab78
	s_mov_b32 s1, 0x3e21eeb6
	v_mov_b32_e32 v46, s1
	v_mov_b32_e32 v45, s0
	s_mov_b32 s0, 0xb42fdfa7
	s_mov_b32 s1, 0xbe5ae600
	v_mul_f64 v[49:50], v[37:38], 0.5
	v_mul_f64 v[25:26], v[13:14], 0.5
	v_fma_f64 v[47:48], v[13:14], s[68:69], v[45:46]
	s_mov_b32 s60, s10
	v_and_b32_e32 v23, 1, v44
	v_cmp_eq_u32_e32 vcc, 0, v23
	v_lshlrev_b32_e32 v23, 30, v44
	v_and_b32_e32 v23, 0x80000000, v23
	v_add_f64 v[31:32], -v[25:26], 1.0
	v_fma_f64 v[47:48], v[13:14], v[47:48], s[70:71]
	v_add_f64 v[33:34], -v[31:32], 1.0
	v_fma_f64 v[47:48], v[13:14], v[47:48], s[72:73]
	v_add_f64 v[25:26], v[33:34], -v[25:26]
	v_fma_f64 v[47:48], v[13:14], v[47:48], s[74:75]
	v_mul_f64 v[33:34], v[13:14], v[13:14]
	v_fma_f64 v[25:26], v[35:36], -v[37:38], v[25:26]
	v_fma_f64 v[47:48], v[13:14], v[47:48], s[10:11]
	v_fma_f64 v[25:26], v[33:34], v[47:48], v[25:26]
	v_mul_f64 v[47:48], v[35:36], -v[13:14]
	v_add_f64 v[25:26], v[31:32], v[25:26]
	v_mov_b32_e32 v32, s1
	v_mov_b32_e32 v31, s0
	v_fma_f64 v[33:34], v[13:14], s[78:79], v[31:32]
	v_fma_f64 v[33:34], v[13:14], v[33:34], s[80:81]
	;; [unrolled: 1-line block ×5, first 2 shown]
	v_fma_f64 v[13:14], v[13:14], v[33:34], -v[37:38]
	v_fma_f64 v[13:14], v[47:48], s[60:61], v[13:14]
	v_add_f64 v[13:14], v[35:36], -v[13:14]
	v_xor_b32_e32 v14, 0x80000000, v14
	v_cndmask_b32_e32 v13, v13, v25, vcc
	v_cndmask_b32_e32 v14, v14, v26, vcc
	v_cmp_class_f64_e64 vcc, v[15:16], s77
	v_xor_b32_e32 v14, v14, v23
	v_and_b32_e32 v23, 1, v18
	v_cmp_eq_u32_e64 s[0:1], 0, v23
	v_cndmask_b32_e32 v25, 0, v13, vcc
	v_cndmask_b32_e32 v26, v43, v14, vcc
	v_mul_f64 v[13:14], v[27:28], v[27:28]
	v_mul_f64 v[15:16], v[13:14], 0.5
	v_fma_f64 v[37:38], v[13:14], s[68:69], v[45:46]
	v_fma_f64 v[31:32], v[13:14], s[78:79], v[31:32]
	v_add_f64 v[33:34], -v[15:16], 1.0
	v_fma_f64 v[37:38], v[13:14], v[37:38], s[70:71]
	v_fma_f64 v[31:32], v[13:14], v[31:32], s[80:81]
	v_add_f64 v[35:36], -v[33:34], 1.0
	v_fma_f64 v[37:38], v[13:14], v[37:38], s[72:73]
	v_fma_f64 v[31:32], v[13:14], v[31:32], s[82:83]
	v_add_f64 v[15:16], v[35:36], -v[15:16]
	v_fma_f64 v[37:38], v[13:14], v[37:38], s[74:75]
	v_mul_f64 v[35:36], v[13:14], v[13:14]
	v_fma_f64 v[31:32], v[13:14], v[31:32], s[58:59]
	v_fma_f64 v[15:16], v[27:28], -v[29:30], v[15:16]
	v_fma_f64 v[37:38], v[13:14], v[37:38], s[10:11]
	v_fma_f64 v[15:16], v[35:36], v[37:38], v[15:16]
	v_mul_f64 v[35:36], v[29:30], 0.5
	v_add_f64 v[15:16], v[33:34], v[15:16]
	v_mul_f64 v[33:34], v[27:28], -v[13:14]
	v_fma_f64 v[31:32], v[33:34], v[31:32], v[35:36]
	v_fma_f64 v[13:14], v[13:14], v[31:32], -v[29:30]
	v_fma_f64 v[13:14], v[33:34], s[60:61], v[13:14]
	v_add_f64 v[13:14], v[27:28], -v[13:14]
	v_cndmask_b32_e64 v13, v15, v13, s[0:1]
	v_lshlrev_b32_e32 v15, 30, v18
	v_xor_b32_e32 v15, v15, v24
	v_cndmask_b32_e64 v14, v16, v14, s[0:1]
	v_and_b32_e32 v15, 0x80000000, v15
	v_xor_b32_e32 v14, v14, v15
	v_cndmask_b32_e32 v23, 0, v13, vcc
	v_cndmask_b32_e32 v24, v43, v14, vcc
.LBB247_97:                             ;   in Loop: Header=BB247_4 Depth=1
	s_or_b64 exec, exec, s[2:3]
                                        ; implicit-def: $vgpr13_vgpr14
.LBB247_98:                             ;   in Loop: Header=BB247_4 Depth=1
	s_andn2_saveexec_b64 s[2:3], s[22:23]
	s_cbranch_execz .LBB247_100
; %bb.99:                               ;   in Loop: Header=BB247_4 Depth=1
	s_mov_b32 s88, s42
	v_mul_f64 v[15:16], v[13:14], s[88:89]
	s_mov_b32 s91, s59
	s_mov_b32 s93, s11
	v_cmp_ngt_f64_e32 vcc, s[94:95], v[13:14]
	v_cmp_nlt_f64_e64 s[0:1], s[24:25], v[13:14]
	v_rndne_f64_e32 v[15:16], v[15:16]
	v_fma_f64 v[25:26], v[15:16], s[44:45], -v[13:14]
	v_fma_f64 v[25:26], v[15:16], s[46:47], v[25:26]
	v_cvt_i32_f64_e32 v15, v[15:16]
	v_fma_f64 v[27:28], v[25:26], s[48:49], v[19:20]
	v_fma_f64 v[27:28], v[25:26], v[27:28], s[50:51]
	v_fma_f64 v[27:28], v[25:26], v[27:28], s[52:53]
	v_fma_f64 v[27:28], v[25:26], v[27:28], s[54:55]
	v_fma_f64 v[27:28], v[25:26], v[27:28], s[56:57]
	v_fma_f64 v[27:28], v[25:26], v[27:28], s[90:91]
	v_fma_f64 v[27:28], v[25:26], v[27:28], s[92:93]
	v_fma_f64 v[27:28], v[25:26], v[27:28], s[62:63]
	v_fma_f64 v[27:28], v[25:26], v[27:28], s[64:65]
	v_fma_f64 v[27:28], v[25:26], v[27:28], 1.0
	v_fma_f64 v[25:26], v[25:26], v[27:28], 1.0
	v_ldexp_f64 v[15:16], v[25:26], v15
	v_cndmask_b32_e32 v16, v42, v16, vcc
	s_and_b64 vcc, s[0:1], vcc
	v_cndmask_b32_e64 v26, 0, v16, s[0:1]
	v_cndmask_b32_e32 v25, 0, v15, vcc
.LBB247_100:                            ;   in Loop: Header=BB247_4 Depth=1
	s_or_b64 exec, exec, s[2:3]
	v_add_f64 v[25:26], s[12:13], v[25:26]
	v_add_f64 v[23:24], s[14:15], v[23:24]
	v_cmp_gt_f64_e32 vcc, 0, v[25:26]
	v_xor_b32_e32 v13, 0x80000000, v26
	v_xor_b32_e32 v14, 0x80000000, v24
	v_mov_b32_e32 v27, v25
	v_mov_b32_e32 v29, v23
	v_cndmask_b32_e32 v28, v26, v13, vcc
	v_cmp_gt_f64_e32 vcc, 0, v[23:24]
	v_cndmask_b32_e32 v30, v24, v14, vcc
	v_cmp_ge_f64_e32 vcc, v[27:28], v[29:30]
                                        ; implicit-def: $vgpr15_vgpr16
	s_and_saveexec_b64 s[0:1], vcc
	s_xor_b64 s[2:3], exec, s[0:1]
	s_cbranch_execz .LBB247_106
; %bb.101:                              ;   in Loop: Header=BB247_4 Depth=1
	v_cmp_neq_f64_e32 vcc, 0, v[25:26]
	v_cmp_neq_f64_e64 s[0:1], 0, v[23:24]
                                        ; implicit-def: $vgpr15_vgpr16
	s_or_b64 s[0:1], vcc, s[0:1]
	s_and_saveexec_b64 s[22:23], s[0:1]
	s_xor_b64 s[0:1], exec, s[22:23]
	s_cbranch_execz .LBB247_103
; %bb.102:                              ;   in Loop: Header=BB247_4 Depth=1
	v_div_scale_f64 v[13:14], s[22:23], v[25:26], v[25:26], v[23:24]
	v_rcp_f64_e32 v[15:16], v[13:14]
	v_fma_f64 v[27:28], -v[13:14], v[15:16], 1.0
	v_fma_f64 v[15:16], v[15:16], v[27:28], v[15:16]
	v_div_scale_f64 v[27:28], vcc, v[23:24], v[25:26], v[23:24]
	v_fma_f64 v[29:30], -v[13:14], v[15:16], 1.0
	v_fma_f64 v[15:16], v[15:16], v[29:30], v[15:16]
	v_mul_f64 v[29:30], v[27:28], v[15:16]
	v_fma_f64 v[13:14], -v[13:14], v[29:30], v[27:28]
	v_div_fmas_f64 v[13:14], v[13:14], v[15:16], v[29:30]
	v_div_fixup_f64 v[13:14], v[13:14], v[25:26], v[23:24]
	v_fma_f64 v[15:16], v[23:24], v[13:14], v[25:26]
	v_div_scale_f64 v[23:24], s[22:23], v[15:16], v[15:16], 1.0
	v_rcp_f64_e32 v[25:26], v[23:24]
	v_fma_f64 v[27:28], -v[23:24], v[25:26], 1.0
	v_fma_f64 v[25:26], v[25:26], v[27:28], v[25:26]
	v_div_scale_f64 v[27:28], vcc, 1.0, v[15:16], 1.0
	v_fma_f64 v[29:30], -v[23:24], v[25:26], 1.0
	v_fma_f64 v[25:26], v[25:26], v[29:30], v[25:26]
	v_mul_f64 v[29:30], v[27:28], v[25:26]
	v_fma_f64 v[23:24], -v[23:24], v[29:30], v[27:28]
	v_mov_b32_e32 v28, s15
	v_mov_b32_e32 v27, s14
	v_div_fmas_f64 v[23:24], v[23:24], v[25:26], v[29:30]
	v_mov_b32_e32 v26, s13
	v_mov_b32_e32 v25, s12
	v_fma_f64 v[25:26], s[14:15], v[13:14], v[25:26]
                                        ; implicit-def: $vgpr29_vgpr30
	v_div_fixup_f64 v[15:16], v[23:24], v[15:16], 1.0
	v_fma_f64 v[23:24], -s[12:13], v[13:14], v[27:28]
                                        ; implicit-def: $vgpr27_vgpr28
	v_mul_f64 v[13:14], v[25:26], v[15:16]
	v_mul_f64 v[15:16], v[23:24], v[15:16]
.LBB247_103:                            ;   in Loop: Header=BB247_4 Depth=1
	s_andn2_saveexec_b64 s[22:23], s[0:1]
	s_cbranch_execz .LBB247_105
; %bb.104:                              ;   in Loop: Header=BB247_4 Depth=1
	v_div_scale_f64 v[13:14], s[0:1], v[27:28], v[27:28], s[12:13]
	v_div_scale_f64 v[15:16], s[0:1], v[29:30], v[29:30], s[14:15]
	;; [unrolled: 1-line block ×3, first 2 shown]
	v_rcp_f64_e32 v[23:24], v[13:14]
	v_rcp_f64_e32 v[25:26], v[15:16]
	v_fma_f64 v[31:32], -v[13:14], v[23:24], 1.0
	v_fma_f64 v[33:34], -v[15:16], v[25:26], 1.0
	v_fma_f64 v[23:24], v[23:24], v[31:32], v[23:24]
	v_div_scale_f64 v[31:32], vcc, s[12:13], v[27:28], s[12:13]
	v_fma_f64 v[25:26], v[25:26], v[33:34], v[25:26]
	v_fma_f64 v[33:34], -v[13:14], v[23:24], 1.0
	v_fma_f64 v[37:38], -v[15:16], v[25:26], 1.0
	v_fma_f64 v[23:24], v[23:24], v[33:34], v[23:24]
	v_fma_f64 v[25:26], v[25:26], v[37:38], v[25:26]
	v_mul_f64 v[33:34], v[31:32], v[23:24]
	v_mul_f64 v[37:38], v[35:36], v[25:26]
	v_fma_f64 v[13:14], -v[13:14], v[33:34], v[31:32]
	v_fma_f64 v[15:16], -v[15:16], v[37:38], v[35:36]
	v_div_fmas_f64 v[13:14], v[13:14], v[23:24], v[33:34]
	s_mov_b64 vcc, s[0:1]
	v_div_fmas_f64 v[15:16], v[15:16], v[25:26], v[37:38]
	v_div_fixup_f64 v[13:14], v[13:14], v[27:28], s[12:13]
	v_div_fixup_f64 v[15:16], v[15:16], v[29:30], s[14:15]
.LBB247_105:                            ;   in Loop: Header=BB247_4 Depth=1
	s_or_b64 exec, exec, s[22:23]
                                        ; implicit-def: $vgpr23_vgpr24
                                        ; implicit-def: $vgpr25_vgpr26
.LBB247_106:                            ;   in Loop: Header=BB247_4 Depth=1
	s_andn2_saveexec_b64 s[0:1], s[2:3]
	s_cbranch_execz .LBB247_108
; %bb.107:                              ;   in Loop: Header=BB247_4 Depth=1
	v_div_scale_f64 v[13:14], s[2:3], v[23:24], v[23:24], v[25:26]
	v_rcp_f64_e32 v[15:16], v[13:14]
	v_fma_f64 v[27:28], -v[13:14], v[15:16], 1.0
	v_fma_f64 v[15:16], v[15:16], v[27:28], v[15:16]
	v_div_scale_f64 v[27:28], vcc, v[25:26], v[23:24], v[25:26]
	v_fma_f64 v[29:30], -v[13:14], v[15:16], 1.0
	v_fma_f64 v[15:16], v[15:16], v[29:30], v[15:16]
	v_mul_f64 v[29:30], v[27:28], v[15:16]
	v_fma_f64 v[13:14], -v[13:14], v[29:30], v[27:28]
	v_div_fmas_f64 v[13:14], v[13:14], v[15:16], v[29:30]
	v_div_fixup_f64 v[13:14], v[13:14], v[23:24], v[25:26]
	v_fma_f64 v[15:16], v[25:26], v[13:14], v[23:24]
	v_div_scale_f64 v[23:24], s[2:3], v[15:16], v[15:16], 1.0
	v_rcp_f64_e32 v[25:26], v[23:24]
	v_fma_f64 v[27:28], -v[23:24], v[25:26], 1.0
	v_fma_f64 v[25:26], v[25:26], v[27:28], v[25:26]
	v_div_scale_f64 v[27:28], vcc, 1.0, v[15:16], 1.0
	v_fma_f64 v[29:30], -v[23:24], v[25:26], 1.0
	v_fma_f64 v[25:26], v[25:26], v[29:30], v[25:26]
	v_mul_f64 v[29:30], v[27:28], v[25:26]
	v_fma_f64 v[23:24], -v[23:24], v[29:30], v[27:28]
	v_mov_b32_e32 v28, s13
	v_mov_b32_e32 v27, s12
	v_div_fmas_f64 v[23:24], v[23:24], v[25:26], v[29:30]
	v_mov_b32_e32 v26, s15
	v_mov_b32_e32 v25, s14
	v_fma_f64 v[25:26], s[12:13], v[13:14], v[25:26]
	v_div_fixup_f64 v[15:16], v[23:24], v[15:16], 1.0
	v_fma_f64 v[23:24], s[14:15], v[13:14], -v[27:28]
	v_mul_f64 v[13:14], v[25:26], v[15:16]
	v_mul_f64 v[15:16], v[23:24], v[15:16]
.LBB247_108:                            ;   in Loop: Header=BB247_4 Depth=1
	s_or_b64 exec, exec, s[0:1]
	s_waitcnt vmcnt(0)
	v_xor_b32_e32 v24, 0x80000000, v12
	v_and_b32_e32 v29, 0x7fffffff, v24
	v_or_b32_e32 v18, v29, v11
	v_mov_b32_e32 v23, v11
	v_cmp_ne_u32_e32 vcc, 0, v18
                                        ; implicit-def: $vgpr25_vgpr26
	s_and_saveexec_b64 s[0:1], vcc
	s_xor_b64 s[22:23], exec, s[0:1]
	s_cbranch_execz .LBB247_150
; %bb.109:                              ;   in Loop: Header=BB247_4 Depth=1
	v_xor_b32_e32 v28, 0x80000000, v10
	v_and_b32_e32 v18, 0x7fffffff, v28
	v_or_b32_e32 v23, v18, v9
	v_mov_b32_e32 v27, v9
	v_cmp_ne_u32_e32 vcc, 0, v23
                                        ; implicit-def: $vgpr25_vgpr26
	s_and_saveexec_b64 s[0:1], vcc
	s_xor_b64 s[36:37], exec, s[0:1]
	s_cbranch_execz .LBB247_139
; %bb.110:                              ;   in Loop: Header=BB247_4 Depth=1
	s_mov_b32 s0, 0x7ff00000
	v_cmp_gt_u32_e32 vcc, s0, v29
                                        ; implicit-def: $vgpr25_vgpr26
	s_and_saveexec_b64 s[0:1], vcc
	s_xor_b64 s[40:41], exec, s[0:1]
	s_cbranch_execz .LBB247_132
; %bb.111:                              ;   in Loop: Header=BB247_4 Depth=1
	v_add_u32_e32 v18, 0xbf79d1be, v28
	s_mov_b32 s0, 0x108aa2
	v_cmp_lt_u32_e32 vcc, s0, v18
                                        ; implicit-def: $vgpr25_vgpr26
	s_and_saveexec_b64 s[0:1], vcc
	s_xor_b64 s[2:3], exec, s[0:1]
	s_cbranch_execz .LBB247_121
; %bb.112:                              ;   in Loop: Header=BB247_4 Depth=1
	s_mov_b32 s0, 0
	s_mov_b32 s1, 0x41d00000
	v_cmp_nlt_f64_e64 s[0:1], |v[11:12]|, s[0:1]
                                        ; implicit-def: $vgpr33
                                        ; implicit-def: $vgpr25_vgpr26
                                        ; implicit-def: $vgpr27_vgpr28
	s_and_saveexec_b64 s[66:67], s[0:1]
	s_xor_b64 s[66:67], exec, s[66:67]
	s_cbranch_execz .LBB247_114
; %bb.113:                              ;   in Loop: Header=BB247_4 Depth=1
	v_trig_preop_f64 v[25:26], |v[11:12]|, 0
	s_mov_b32 vcc_lo, 0
	s_movk_i32 s28, 0xff80
	s_mov_b32 vcc_hi, 0x7b000000
	v_ldexp_f64 v[27:28], |v[11:12]|, s28
	v_cmp_ge_f64_e64 vcc, |v[11:12]|, vcc
	v_trig_preop_f64 v[29:30], |v[11:12]|, 1
	v_and_b32_e32 v18, 0x7fffffff, v12
	v_trig_preop_f64 v[37:38], |v[11:12]|, 2
	s_mov_b32 s28, s30
	s_mov_b32 s87, s35
	v_cndmask_b32_e32 v28, v18, v28, vcc
	v_cndmask_b32_e32 v27, v11, v27, vcc
	s_mov_b32 vcc_lo, 0
	v_mul_f64 v[31:32], v[25:26], v[27:28]
	s_mov_b32 vcc_hi, 0x7ff00000
	v_mul_f64 v[33:34], v[29:30], v[27:28]
	v_mul_f64 v[48:49], v[37:38], v[27:28]
	v_fma_f64 v[25:26], v[25:26], v[27:28], -v[31:32]
	v_fma_f64 v[29:30], v[29:30], v[27:28], -v[33:34]
	;; [unrolled: 1-line block ×3, first 2 shown]
	v_add_f64 v[35:36], v[33:34], v[25:26]
	v_add_f64 v[44:45], v[35:36], -v[33:34]
	v_add_f64 v[50:51], v[31:32], v[35:36]
	v_add_f64 v[46:47], v[35:36], -v[44:45]
	v_add_f64 v[25:26], v[25:26], -v[44:45]
	v_add_f64 v[44:45], v[48:49], v[29:30]
	v_add_f64 v[31:32], v[50:51], -v[31:32]
	v_add_f64 v[33:34], v[33:34], -v[46:47]
	v_ldexp_f64 v[46:47], v[50:51], -2
	v_add_f64 v[52:53], v[44:45], -v[48:49]
	v_add_f64 v[31:32], v[35:36], -v[31:32]
	v_add_f64 v[25:26], v[25:26], v[33:34]
	v_fract_f64_e32 v[33:34], v[46:47]
	v_cmp_neq_f64_e64 vcc, |v[46:47]|, vcc
	v_add_f64 v[29:30], v[29:30], -v[52:53]
	v_add_f64 v[35:36], v[44:45], v[25:26]
	v_ldexp_f64 v[33:34], v[33:34], 2
	v_add_f64 v[46:47], v[31:32], v[35:36]
	v_cndmask_b32_e32 v34, 0, v34, vcc
	v_cndmask_b32_e32 v33, 0, v33, vcc
	v_add_f64 v[54:55], v[35:36], -v[44:45]
	v_add_f64 v[50:51], v[46:47], v[33:34]
	v_add_f64 v[31:32], v[46:47], -v[31:32]
	v_add_f64 v[56:57], v[35:36], -v[54:55]
	;; [unrolled: 1-line block ×3, first 2 shown]
	v_cmp_gt_f64_e32 vcc, 0, v[50:51]
	v_add_f64 v[50:51], v[44:45], -v[52:53]
	v_add_f64 v[31:32], v[35:36], -v[31:32]
	v_add_f64 v[44:45], v[44:45], -v[56:57]
	v_cndmask_b32_e32 v18, 0, v40, vcc
	v_add_f64 v[33:34], v[33:34], v[17:18]
	v_add_f64 v[50:51], v[48:49], -v[50:51]
	v_add_f64 v[25:26], v[25:26], v[44:45]
	v_add_f64 v[58:59], v[46:47], v[33:34]
	;; [unrolled: 1-line block ×3, first 2 shown]
	v_cvt_i32_f64_e32 v23, v[58:59]
	v_add_f64 v[25:26], v[29:30], v[25:26]
	v_cvt_f64_i32_e32 v[52:53], v23
	v_add_f64 v[33:34], v[33:34], -v[52:53]
	v_add_f64 v[25:26], v[27:28], v[25:26]
	v_add_f64 v[29:30], v[46:47], v[33:34]
	;; [unrolled: 1-line block ×3, first 2 shown]
	v_add_f64 v[27:28], v[29:30], -v[33:34]
	v_cmp_le_f64_e32 vcc, 0.5, v[29:30]
	v_add_f64 v[27:28], v[46:47], -v[27:28]
	v_cndmask_b32_e32 v18, 0, v41, vcc
	v_add_f64 v[25:26], v[25:26], v[27:28]
	v_add_f64 v[27:28], v[29:30], -v[17:18]
	v_add_f64 v[29:30], v[27:28], v[25:26]
	v_mul_f64 v[31:32], v[29:30], s[28:29]
	v_add_f64 v[27:28], v[29:30], -v[27:28]
	v_fma_f64 v[33:34], v[29:30], s[28:29], -v[31:32]
	v_add_f64 v[25:26], v[25:26], -v[27:28]
	v_fma_f64 v[27:28], v[29:30], s[86:87], v[33:34]
	v_addc_co_u32_e32 v33, vcc, 0, v23, vcc
	v_fma_f64 v[27:28], v[25:26], s[28:29], v[27:28]
	v_add_f64 v[25:26], v[31:32], v[27:28]
	v_add_f64 v[29:30], v[25:26], -v[31:32]
	v_add_f64 v[27:28], v[27:28], -v[29:30]
	s_andn2_saveexec_b64 s[66:67], s[66:67]
	s_cbranch_execz .LBB247_116
	s_branch .LBB247_115
.LBB247_114:                            ;   in Loop: Header=BB247_4 Depth=1
	s_andn2_saveexec_b64 s[66:67], s[66:67]
	s_cbranch_execz .LBB247_116
.LBB247_115:                            ;   in Loop: Header=BB247_4 Depth=1
	s_mov_b32 vcc_lo, 0x6dc9c883
	s_mov_b32 vcc_hi, 0x3fe45f30
	v_mul_f64 v[25:26], |v[11:12]|, vcc
	s_mov_b32 s34, s38
	s_mov_b32 vcc_lo, 0x252049c0
	s_mov_b32 vcc_hi, 0xb97b839a
	v_rndne_f64_e32 v[29:30], v[25:26]
	v_fma_f64 v[25:26], v[29:30], s[30:31], |v[11:12]|
	v_mul_f64 v[27:28], v[29:30], s[38:39]
	v_fma_f64 v[35:36], v[29:30], s[38:39], v[25:26]
	v_add_f64 v[31:32], v[25:26], v[27:28]
	v_add_f64 v[33:34], v[25:26], -v[31:32]
	v_add_f64 v[31:32], v[31:32], -v[35:36]
	v_add_f64 v[25:26], v[33:34], v[27:28]
	v_fma_f64 v[27:28], v[29:30], s[34:35], v[27:28]
	v_cvt_i32_f64_e32 v33, v[29:30]
	v_add_f64 v[25:26], v[31:32], v[25:26]
	v_add_f64 v[25:26], v[25:26], -v[27:28]
	v_fma_f64 v[27:28], v[29:30], vcc, v[25:26]
	v_add_f64 v[25:26], v[35:36], v[27:28]
	v_add_f64 v[31:32], v[25:26], -v[35:36]
	v_add_f64 v[27:28], v[27:28], -v[31:32]
.LBB247_116:                            ;   in Loop: Header=BB247_4 Depth=1
	s_or_b64 exec, exec, s[66:67]
                                        ; implicit-def: $vgpr23
                                        ; implicit-def: $vgpr29_vgpr30
                                        ; implicit-def: $vgpr31_vgpr32
	s_and_saveexec_b64 s[66:67], s[0:1]
	s_xor_b64 s[66:67], exec, s[66:67]
	s_cbranch_execz .LBB247_118
; %bb.117:                              ;   in Loop: Header=BB247_4 Depth=1
	v_trig_preop_f64 v[29:30], |v[11:12]|, 0
	s_mov_b32 s0, 0
	s_mov_b32 s1, 0x7b000000
	v_cmp_ge_f64_e64 vcc, |v[11:12]|, s[0:1]
	s_movk_i32 s0, 0xff80
	v_ldexp_f64 v[34:35], |v[11:12]|, s0
	v_trig_preop_f64 v[31:32], |v[11:12]|, 1
	v_and_b32_e32 v18, 0x7fffffff, v12
	s_mov_b32 s0, 0
	s_mov_b32 s1, 0x7ff00000
	;; [unrolled: 1-line block ×4, first 2 shown]
	v_cndmask_b32_e32 v35, v18, v35, vcc
	v_cndmask_b32_e32 v34, v11, v34, vcc
	v_mul_f64 v[44:45], v[29:30], v[34:35]
	v_mul_f64 v[36:37], v[31:32], v[34:35]
	v_fma_f64 v[29:30], v[29:30], v[34:35], -v[44:45]
	v_fma_f64 v[31:32], v[31:32], v[34:35], -v[36:37]
	v_add_f64 v[46:47], v[36:37], v[29:30]
	v_add_f64 v[54:55], v[46:47], -v[36:37]
	v_add_f64 v[48:49], v[44:45], v[46:47]
	v_add_f64 v[29:30], v[29:30], -v[54:55]
	v_add_f64 v[54:55], v[46:47], -v[54:55]
	v_ldexp_f64 v[50:51], v[48:49], -2
	v_add_f64 v[44:45], v[48:49], -v[44:45]
	v_add_f64 v[54:55], v[36:37], -v[54:55]
	v_trig_preop_f64 v[36:37], |v[11:12]|, 2
	v_fract_f64_e32 v[52:53], v[50:51]
	v_add_f64 v[44:45], v[46:47], -v[44:45]
	v_cmp_neq_f64_e64 vcc, |v[50:51]|, s[0:1]
	v_add_f64 v[29:30], v[29:30], v[54:55]
	v_mul_f64 v[54:55], v[36:37], v[34:35]
	v_add_f64 v[56:57], v[54:55], v[31:32]
	v_add_f64 v[58:59], v[56:57], v[29:30]
	v_add_f64 v[48:49], v[58:59], -v[56:57]
	v_add_f64 v[46:47], v[44:45], v[58:59]
	v_add_f64 v[29:30], v[29:30], -v[48:49]
	v_add_f64 v[48:49], v[58:59], -v[48:49]
	;; [unrolled: 1-line block ×5, first 2 shown]
	v_add_f64 v[29:30], v[29:30], v[48:49]
	v_add_f64 v[48:49], v[56:57], -v[54:55]
	v_add_f64 v[31:32], v[31:32], -v[48:49]
	v_add_f64 v[48:49], v[56:57], -v[48:49]
	v_add_f64 v[48:49], v[54:55], -v[48:49]
	v_add_f64 v[31:32], v[31:32], v[48:49]
	v_add_f64 v[29:30], v[31:32], v[29:30]
	v_fma_f64 v[31:32], v[36:37], v[34:35], -v[54:55]
	v_add_f64 v[29:30], v[31:32], v[29:30]
	v_ldexp_f64 v[31:32], v[52:53], 2
	v_add_f64 v[29:30], v[44:45], v[29:30]
	v_cndmask_b32_e32 v32, 0, v32, vcc
	v_cndmask_b32_e32 v31, 0, v31, vcc
	v_add_f64 v[34:35], v[46:47], v[31:32]
	v_cmp_gt_f64_e32 vcc, 0, v[34:35]
	v_cndmask_b32_e32 v18, 0, v40, vcc
	v_add_f64 v[31:32], v[31:32], v[17:18]
	v_add_f64 v[34:35], v[46:47], v[31:32]
	v_cvt_i32_f64_e32 v18, v[34:35]
	v_cvt_f64_i32_e32 v[34:35], v18
	v_add_f64 v[31:32], v[31:32], -v[34:35]
	v_add_f64 v[34:35], v[46:47], v[31:32]
	v_add_f64 v[31:32], v[34:35], -v[31:32]
	v_cmp_le_f64_e32 vcc, 0.5, v[34:35]
	v_add_f64 v[31:32], v[46:47], -v[31:32]
	v_addc_co_u32_e64 v23, s[0:1], 0, v18, vcc
	v_cndmask_b32_e32 v18, 0, v41, vcc
	v_add_f64 v[29:30], v[29:30], v[31:32]
	v_add_f64 v[31:32], v[34:35], -v[17:18]
	v_add_f64 v[34:35], v[31:32], v[29:30]
	v_add_f64 v[31:32], v[34:35], -v[31:32]
	v_add_f64 v[29:30], v[29:30], -v[31:32]
	v_mul_f64 v[31:32], v[34:35], s[28:29]
	v_fma_f64 v[36:37], v[34:35], s[28:29], -v[31:32]
	v_fma_f64 v[34:35], v[34:35], s[86:87], v[36:37]
	v_fma_f64 v[34:35], v[29:30], s[28:29], v[34:35]
	v_add_f64 v[29:30], v[31:32], v[34:35]
	v_add_f64 v[31:32], v[29:30], -v[31:32]
	v_add_f64 v[31:32], v[34:35], -v[31:32]
	s_andn2_saveexec_b64 s[0:1], s[66:67]
	s_cbranch_execnz .LBB247_119
	s_branch .LBB247_120
.LBB247_118:                            ;   in Loop: Header=BB247_4 Depth=1
	s_andn2_saveexec_b64 s[0:1], s[66:67]
	s_cbranch_execz .LBB247_120
.LBB247_119:                            ;   in Loop: Header=BB247_4 Depth=1
	s_mov_b32 s66, 0x6dc9c883
	s_mov_b32 s67, 0x3fe45f30
	v_mul_f64 v[29:30], |v[11:12]|, s[66:67]
	s_mov_b32 s34, s38
	s_mov_b32 s66, 0x252049c0
	;; [unrolled: 1-line block ×3, first 2 shown]
	v_rndne_f64_e32 v[34:35], v[29:30]
	v_fma_f64 v[29:30], v[34:35], s[30:31], |v[11:12]|
	v_mul_f64 v[31:32], v[34:35], s[38:39]
	v_cvt_i32_f64_e32 v23, v[34:35]
	v_fma_f64 v[46:47], v[34:35], s[38:39], v[29:30]
	v_add_f64 v[36:37], v[29:30], v[31:32]
	v_add_f64 v[44:45], v[29:30], -v[36:37]
	v_add_f64 v[36:37], v[36:37], -v[46:47]
	v_add_f64 v[29:30], v[44:45], v[31:32]
	v_fma_f64 v[31:32], v[34:35], s[34:35], v[31:32]
	v_add_f64 v[29:30], v[36:37], v[29:30]
	v_add_f64 v[29:30], v[29:30], -v[31:32]
	v_fma_f64 v[31:32], v[34:35], s[66:67], v[29:30]
	v_add_f64 v[29:30], v[46:47], v[31:32]
	v_add_f64 v[36:37], v[29:30], -v[46:47]
	v_add_f64 v[31:32], v[31:32], -v[36:37]
.LBB247_120:                            ;   in Loop: Header=BB247_4 Depth=1
	s_or_b64 exec, exec, s[0:1]
	s_mov_b32 s88, s42
	v_mul_f64 v[34:35], v[9:10], s[88:89]
	s_mov_b32 s91, s59
	s_mov_b32 s93, s11
	v_cmp_ngt_f64_e32 vcc, s[94:95], v[9:10]
	v_cmp_nlt_f64_e64 s[0:1], s[24:25], v[9:10]
	v_mul_f64 v[52:53], v[27:28], 0.5
	s_mov_b32 s60, s10
	v_rndne_f64_e32 v[34:35], v[34:35]
	v_fma_f64 v[36:37], v[34:35], s[44:45], -v[9:10]
	v_cvt_i32_f64_e32 v18, v[34:35]
	v_fma_f64 v[36:37], v[34:35], s[46:47], v[36:37]
	v_fma_f64 v[44:45], v[36:37], s[48:49], v[19:20]
	;; [unrolled: 1-line block ×10, first 2 shown]
	v_fma_f64 v[44:45], v[36:37], v[44:45], 1.0
	v_fma_f64 v[36:37], v[36:37], v[44:45], 1.0
	v_ldexp_f64 v[34:35], v[36:37], v18
	v_cndmask_b32_e32 v18, v42, v35, vcc
	s_and_b64 vcc, s[0:1], vcc
	v_cndmask_b32_e32 v9, 0, v34, vcc
	v_mul_f64 v[34:35], v[25:26], v[25:26]
	v_cndmask_b32_e64 v10, 0, v18, s[0:1]
	s_mov_b32 s0, 0x9037ab78
	s_mov_b32 s1, 0x3e21eeb6
	v_mov_b32_e32 v49, s1
	v_mov_b32_e32 v48, s0
	s_mov_b32 s0, 0xb42fdfa7
	s_mov_b32 s1, 0xbe5ae600
	v_mul_f64 v[36:37], v[34:35], 0.5
	v_fma_f64 v[50:51], v[34:35], s[68:69], v[48:49]
	v_add_f64 v[44:45], -v[36:37], 1.0
	v_fma_f64 v[50:51], v[34:35], v[50:51], s[70:71]
	v_add_f64 v[46:47], -v[44:45], 1.0
	v_fma_f64 v[50:51], v[34:35], v[50:51], s[72:73]
	v_add_f64 v[36:37], v[46:47], -v[36:37]
	v_fma_f64 v[50:51], v[34:35], v[50:51], s[74:75]
	v_mul_f64 v[46:47], v[34:35], v[34:35]
	v_fma_f64 v[36:37], v[25:26], -v[27:28], v[36:37]
	v_fma_f64 v[50:51], v[34:35], v[50:51], s[10:11]
	v_fma_f64 v[36:37], v[46:47], v[50:51], v[36:37]
	v_mul_f64 v[50:51], v[25:26], -v[34:35]
	v_add_f64 v[36:37], v[44:45], v[36:37]
	v_mov_b32_e32 v45, s1
	v_mov_b32_e32 v44, s0
	v_fma_f64 v[46:47], v[34:35], s[78:79], v[44:45]
	v_fma_f64 v[46:47], v[34:35], v[46:47], s[80:81]
	;; [unrolled: 1-line block ×5, first 2 shown]
	v_fma_f64 v[27:28], v[34:35], v[46:47], -v[27:28]
	v_fma_f64 v[27:28], v[50:51], s[60:61], v[27:28]
	v_add_f64 v[25:26], v[25:26], -v[27:28]
	v_xor_b32_e32 v18, 0x80000000, v26
	v_and_b32_e32 v26, 1, v33
	v_cmp_eq_u32_e32 vcc, 0, v26
	v_cndmask_b32_e32 v25, v25, v36, vcc
	v_cndmask_b32_e32 v18, v18, v37, vcc
	v_cmp_class_f64_e64 vcc, v[11:12], s77
	v_lshlrev_b32_e32 v26, 30, v33
	v_and_b32_e32 v26, 0x80000000, v26
	v_xor_b32_e32 v18, v18, v26
	v_cndmask_b32_e32 v11, 0, v25, vcc
	v_cndmask_b32_e32 v12, v43, v18, vcc
	v_mul_f64 v[25:26], v[9:10], v[11:12]
	v_mul_f64 v[11:12], v[29:30], v[29:30]
	v_and_b32_e32 v18, 1, v23
	v_cmp_eq_u32_e64 s[0:1], 0, v18
	v_lshlrev_b32_e32 v18, 30, v23
	v_xor_b32_e32 v18, v18, v24
	v_and_b32_e32 v18, 0x80000000, v18
	v_mul_f64 v[27:28], v[11:12], 0.5
	v_fma_f64 v[37:38], v[11:12], s[68:69], v[48:49]
	v_add_f64 v[33:34], -v[27:28], 1.0
	v_fma_f64 v[37:38], v[11:12], v[37:38], s[70:71]
	v_add_f64 v[35:36], -v[33:34], 1.0
	v_fma_f64 v[37:38], v[11:12], v[37:38], s[72:73]
	v_add_f64 v[27:28], v[35:36], -v[27:28]
	v_fma_f64 v[37:38], v[11:12], v[37:38], s[74:75]
	v_mul_f64 v[35:36], v[11:12], v[11:12]
	v_fma_f64 v[27:28], v[29:30], -v[31:32], v[27:28]
	v_fma_f64 v[37:38], v[11:12], v[37:38], s[10:11]
	v_fma_f64 v[27:28], v[35:36], v[37:38], v[27:28]
	v_mul_f64 v[35:36], v[29:30], -v[11:12]
	v_mul_f64 v[37:38], v[31:32], 0.5
	v_add_f64 v[27:28], v[33:34], v[27:28]
	v_fma_f64 v[33:34], v[11:12], s[78:79], v[44:45]
	v_fma_f64 v[33:34], v[11:12], v[33:34], s[80:81]
	;; [unrolled: 1-line block ×5, first 2 shown]
	v_fma_f64 v[11:12], v[11:12], v[33:34], -v[31:32]
	v_fma_f64 v[11:12], v[35:36], s[60:61], v[11:12]
	v_add_f64 v[11:12], v[29:30], -v[11:12]
	v_cndmask_b32_e64 v12, v28, v12, s[0:1]
	v_cndmask_b32_e64 v11, v27, v11, s[0:1]
	v_xor_b32_e32 v12, v12, v18
	v_cndmask_b32_e32 v11, 0, v11, vcc
	v_cndmask_b32_e32 v12, v43, v12, vcc
	v_mul_f64 v[23:24], v[9:10], v[11:12]
                                        ; implicit-def: $vgpr11_vgpr12
.LBB247_121:                            ;   in Loop: Header=BB247_4 Depth=1
	s_andn2_saveexec_b64 s[66:67], s[2:3]
	s_cbranch_execz .LBB247_131
; %bb.122:                              ;   in Loop: Header=BB247_4 Depth=1
	s_mov_b32 s0, 0
	s_mov_b32 s1, 0x41d00000
	v_cmp_nlt_f64_e64 s[0:1], |v[11:12]|, s[0:1]
                                        ; implicit-def: $vgpr37
                                        ; implicit-def: $vgpr25_vgpr26
                                        ; implicit-def: $vgpr31_vgpr32
	s_and_saveexec_b64 s[2:3], s[0:1]
	s_xor_b64 s[2:3], exec, s[2:3]
	s_cbranch_execz .LBB247_124
; %bb.123:                              ;   in Loop: Header=BB247_4 Depth=1
	v_trig_preop_f64 v[25:26], |v[11:12]|, 0
	s_mov_b32 vcc_lo, 0
	s_movk_i32 s28, 0xff80
	s_mov_b32 vcc_hi, 0x7b000000
	v_ldexp_f64 v[27:28], |v[11:12]|, s28
	v_cmp_ge_f64_e64 vcc, |v[11:12]|, vcc
	v_trig_preop_f64 v[29:30], |v[11:12]|, 1
	v_and_b32_e32 v18, 0x7fffffff, v12
	v_trig_preop_f64 v[37:38], |v[11:12]|, 2
	s_mov_b32 s28, s30
	s_mov_b32 s87, s35
	v_cndmask_b32_e32 v28, v18, v28, vcc
	v_cndmask_b32_e32 v27, v11, v27, vcc
	s_mov_b32 vcc_lo, 0
	v_mul_f64 v[31:32], v[25:26], v[27:28]
	s_mov_b32 vcc_hi, 0x7ff00000
	v_mul_f64 v[33:34], v[29:30], v[27:28]
	v_mul_f64 v[48:49], v[37:38], v[27:28]
	v_fma_f64 v[25:26], v[25:26], v[27:28], -v[31:32]
	v_fma_f64 v[29:30], v[29:30], v[27:28], -v[33:34]
	;; [unrolled: 1-line block ×3, first 2 shown]
	v_add_f64 v[35:36], v[33:34], v[25:26]
	v_add_f64 v[44:45], v[35:36], -v[33:34]
	v_add_f64 v[50:51], v[31:32], v[35:36]
	v_add_f64 v[46:47], v[35:36], -v[44:45]
	v_add_f64 v[25:26], v[25:26], -v[44:45]
	v_add_f64 v[44:45], v[48:49], v[29:30]
	v_add_f64 v[31:32], v[50:51], -v[31:32]
	v_add_f64 v[33:34], v[33:34], -v[46:47]
	v_ldexp_f64 v[46:47], v[50:51], -2
	v_add_f64 v[52:53], v[44:45], -v[48:49]
	v_add_f64 v[31:32], v[35:36], -v[31:32]
	v_add_f64 v[25:26], v[25:26], v[33:34]
	v_fract_f64_e32 v[33:34], v[46:47]
	v_cmp_neq_f64_e64 vcc, |v[46:47]|, vcc
	v_add_f64 v[29:30], v[29:30], -v[52:53]
	v_add_f64 v[35:36], v[44:45], v[25:26]
	v_ldexp_f64 v[33:34], v[33:34], 2
	v_add_f64 v[46:47], v[31:32], v[35:36]
	v_cndmask_b32_e32 v34, 0, v34, vcc
	v_cndmask_b32_e32 v33, 0, v33, vcc
	v_add_f64 v[54:55], v[35:36], -v[44:45]
	v_add_f64 v[50:51], v[46:47], v[33:34]
	v_add_f64 v[31:32], v[46:47], -v[31:32]
	v_add_f64 v[56:57], v[35:36], -v[54:55]
	;; [unrolled: 1-line block ×3, first 2 shown]
	v_cmp_gt_f64_e32 vcc, 0, v[50:51]
	v_add_f64 v[50:51], v[44:45], -v[52:53]
	v_add_f64 v[31:32], v[35:36], -v[31:32]
	;; [unrolled: 1-line block ×3, first 2 shown]
	v_cndmask_b32_e32 v18, 0, v40, vcc
	v_add_f64 v[33:34], v[33:34], v[17:18]
	v_add_f64 v[50:51], v[48:49], -v[50:51]
	v_add_f64 v[25:26], v[25:26], v[44:45]
	v_add_f64 v[58:59], v[46:47], v[33:34]
	;; [unrolled: 1-line block ×3, first 2 shown]
	v_cvt_i32_f64_e32 v23, v[58:59]
	v_add_f64 v[25:26], v[29:30], v[25:26]
	v_cvt_f64_i32_e32 v[52:53], v23
	v_add_f64 v[33:34], v[33:34], -v[52:53]
	v_add_f64 v[25:26], v[27:28], v[25:26]
	v_add_f64 v[29:30], v[46:47], v[33:34]
	;; [unrolled: 1-line block ×3, first 2 shown]
	v_add_f64 v[27:28], v[29:30], -v[33:34]
	v_cmp_le_f64_e32 vcc, 0.5, v[29:30]
	v_add_f64 v[27:28], v[46:47], -v[27:28]
	v_cndmask_b32_e32 v18, 0, v41, vcc
	v_addc_co_u32_e32 v37, vcc, 0, v23, vcc
	v_add_f64 v[25:26], v[25:26], v[27:28]
	v_add_f64 v[27:28], v[29:30], -v[17:18]
	v_add_f64 v[29:30], v[27:28], v[25:26]
	v_mul_f64 v[31:32], v[29:30], s[28:29]
	v_add_f64 v[27:28], v[29:30], -v[27:28]
	v_fma_f64 v[33:34], v[29:30], s[28:29], -v[31:32]
	v_add_f64 v[25:26], v[25:26], -v[27:28]
	v_fma_f64 v[27:28], v[29:30], s[86:87], v[33:34]
	v_fma_f64 v[27:28], v[25:26], s[28:29], v[27:28]
	v_add_f64 v[25:26], v[31:32], v[27:28]
	v_add_f64 v[29:30], v[25:26], -v[31:32]
	v_add_f64 v[31:32], v[27:28], -v[29:30]
	s_andn2_saveexec_b64 s[2:3], s[2:3]
	s_cbranch_execz .LBB247_126
	s_branch .LBB247_125
.LBB247_124:                            ;   in Loop: Header=BB247_4 Depth=1
	s_andn2_saveexec_b64 s[2:3], s[2:3]
	s_cbranch_execz .LBB247_126
.LBB247_125:                            ;   in Loop: Header=BB247_4 Depth=1
	s_mov_b32 vcc_lo, 0x6dc9c883
	s_mov_b32 vcc_hi, 0x3fe45f30
	v_mul_f64 v[25:26], |v[11:12]|, vcc
	s_mov_b32 s34, s38
	s_mov_b32 vcc_lo, 0x252049c0
	s_mov_b32 vcc_hi, 0xb97b839a
	v_rndne_f64_e32 v[27:28], v[25:26]
	v_fma_f64 v[25:26], v[27:28], s[30:31], |v[11:12]|
	v_mul_f64 v[29:30], v[27:28], s[38:39]
	v_cvt_i32_f64_e32 v37, v[27:28]
	v_fma_f64 v[35:36], v[27:28], s[38:39], v[25:26]
	v_add_f64 v[31:32], v[25:26], v[29:30]
	v_add_f64 v[33:34], v[25:26], -v[31:32]
	v_add_f64 v[31:32], v[31:32], -v[35:36]
	v_add_f64 v[25:26], v[33:34], v[29:30]
	v_fma_f64 v[29:30], v[27:28], s[34:35], v[29:30]
	v_add_f64 v[25:26], v[31:32], v[25:26]
	v_add_f64 v[25:26], v[25:26], -v[29:30]
	v_fma_f64 v[29:30], v[27:28], vcc, v[25:26]
	v_add_f64 v[25:26], v[35:36], v[29:30]
	v_add_f64 v[31:32], v[25:26], -v[35:36]
	v_add_f64 v[31:32], v[29:30], -v[31:32]
.LBB247_126:                            ;   in Loop: Header=BB247_4 Depth=1
	s_or_b64 exec, exec, s[2:3]
                                        ; implicit-def: $vgpr23
                                        ; implicit-def: $vgpr27_vgpr28
                                        ; implicit-def: $vgpr29_vgpr30
	s_and_saveexec_b64 s[2:3], s[0:1]
	s_xor_b64 s[2:3], exec, s[2:3]
	s_cbranch_execz .LBB247_128
; %bb.127:                              ;   in Loop: Header=BB247_4 Depth=1
	v_trig_preop_f64 v[27:28], |v[11:12]|, 0
	s_mov_b32 s0, 0
	s_mov_b32 s1, 0x7b000000
	v_cmp_ge_f64_e64 vcc, |v[11:12]|, s[0:1]
	s_movk_i32 s0, 0xff80
	v_ldexp_f64 v[33:34], |v[11:12]|, s0
	v_trig_preop_f64 v[29:30], |v[11:12]|, 1
	v_and_b32_e32 v18, 0x7fffffff, v12
	s_mov_b32 s0, 0
	s_mov_b32 s1, 0x7ff00000
	;; [unrolled: 1-line block ×4, first 2 shown]
	v_cndmask_b32_e32 v34, v18, v34, vcc
	v_cndmask_b32_e32 v33, v11, v33, vcc
	v_mul_f64 v[44:45], v[27:28], v[33:34]
	v_mul_f64 v[35:36], v[29:30], v[33:34]
	v_fma_f64 v[27:28], v[27:28], v[33:34], -v[44:45]
	v_fma_f64 v[29:30], v[29:30], v[33:34], -v[35:36]
	v_add_f64 v[46:47], v[35:36], v[27:28]
	v_add_f64 v[54:55], v[46:47], -v[35:36]
	v_add_f64 v[48:49], v[44:45], v[46:47]
	v_add_f64 v[27:28], v[27:28], -v[54:55]
	v_add_f64 v[54:55], v[46:47], -v[54:55]
	v_ldexp_f64 v[50:51], v[48:49], -2
	v_add_f64 v[44:45], v[48:49], -v[44:45]
	v_add_f64 v[54:55], v[35:36], -v[54:55]
	v_trig_preop_f64 v[35:36], |v[11:12]|, 2
	v_fract_f64_e32 v[52:53], v[50:51]
	v_add_f64 v[44:45], v[46:47], -v[44:45]
	v_cmp_neq_f64_e64 vcc, |v[50:51]|, s[0:1]
	v_add_f64 v[27:28], v[27:28], v[54:55]
	v_mul_f64 v[54:55], v[35:36], v[33:34]
	v_add_f64 v[56:57], v[54:55], v[29:30]
	v_add_f64 v[58:59], v[56:57], v[27:28]
	v_add_f64 v[48:49], v[58:59], -v[56:57]
	v_add_f64 v[46:47], v[44:45], v[58:59]
	v_add_f64 v[27:28], v[27:28], -v[48:49]
	v_add_f64 v[48:49], v[58:59], -v[48:49]
	;; [unrolled: 1-line block ×5, first 2 shown]
	v_add_f64 v[27:28], v[27:28], v[48:49]
	v_add_f64 v[48:49], v[56:57], -v[54:55]
	v_add_f64 v[29:30], v[29:30], -v[48:49]
	;; [unrolled: 1-line block ×4, first 2 shown]
	v_add_f64 v[29:30], v[29:30], v[48:49]
	v_add_f64 v[27:28], v[29:30], v[27:28]
	v_fma_f64 v[29:30], v[35:36], v[33:34], -v[54:55]
	v_add_f64 v[27:28], v[29:30], v[27:28]
	v_ldexp_f64 v[29:30], v[52:53], 2
	v_add_f64 v[27:28], v[44:45], v[27:28]
	v_cndmask_b32_e32 v30, 0, v30, vcc
	v_cndmask_b32_e32 v29, 0, v29, vcc
	v_add_f64 v[33:34], v[46:47], v[29:30]
	v_cmp_gt_f64_e32 vcc, 0, v[33:34]
	v_cndmask_b32_e32 v18, 0, v40, vcc
	v_add_f64 v[29:30], v[29:30], v[17:18]
	v_add_f64 v[33:34], v[46:47], v[29:30]
	v_cvt_i32_f64_e32 v18, v[33:34]
	v_cvt_f64_i32_e32 v[33:34], v18
	v_add_f64 v[29:30], v[29:30], -v[33:34]
	v_add_f64 v[33:34], v[46:47], v[29:30]
	v_add_f64 v[29:30], v[33:34], -v[29:30]
	v_cmp_le_f64_e32 vcc, 0.5, v[33:34]
	v_add_f64 v[29:30], v[46:47], -v[29:30]
	v_addc_co_u32_e64 v23, s[0:1], 0, v18, vcc
	v_cndmask_b32_e32 v18, 0, v41, vcc
	v_add_f64 v[27:28], v[27:28], v[29:30]
	v_add_f64 v[29:30], v[33:34], -v[17:18]
	v_add_f64 v[33:34], v[29:30], v[27:28]
	v_add_f64 v[29:30], v[33:34], -v[29:30]
	v_add_f64 v[27:28], v[27:28], -v[29:30]
	v_mul_f64 v[29:30], v[33:34], s[28:29]
	v_fma_f64 v[35:36], v[33:34], s[28:29], -v[29:30]
	v_fma_f64 v[33:34], v[33:34], s[86:87], v[35:36]
	v_fma_f64 v[33:34], v[27:28], s[28:29], v[33:34]
	v_add_f64 v[27:28], v[29:30], v[33:34]
	v_add_f64 v[29:30], v[27:28], -v[29:30]
	v_add_f64 v[29:30], v[33:34], -v[29:30]
	s_andn2_saveexec_b64 s[0:1], s[2:3]
	s_cbranch_execnz .LBB247_129
	s_branch .LBB247_130
.LBB247_128:                            ;   in Loop: Header=BB247_4 Depth=1
	s_andn2_saveexec_b64 s[0:1], s[2:3]
	s_cbranch_execz .LBB247_130
.LBB247_129:                            ;   in Loop: Header=BB247_4 Depth=1
	s_mov_b32 s2, 0x6dc9c883
	s_mov_b32 s3, 0x3fe45f30
	v_mul_f64 v[27:28], |v[11:12]|, s[2:3]
	s_mov_b32 s34, s38
	s_mov_b32 s2, 0x252049c0
	;; [unrolled: 1-line block ×3, first 2 shown]
	v_rndne_f64_e32 v[33:34], v[27:28]
	v_fma_f64 v[27:28], v[33:34], s[30:31], |v[11:12]|
	v_mul_f64 v[29:30], v[33:34], s[38:39]
	v_cvt_i32_f64_e32 v23, v[33:34]
	v_fma_f64 v[46:47], v[33:34], s[38:39], v[27:28]
	v_add_f64 v[35:36], v[27:28], v[29:30]
	v_add_f64 v[44:45], v[27:28], -v[35:36]
	v_add_f64 v[35:36], v[35:36], -v[46:47]
	v_add_f64 v[27:28], v[44:45], v[29:30]
	v_fma_f64 v[29:30], v[33:34], s[34:35], v[29:30]
	v_add_f64 v[27:28], v[35:36], v[27:28]
	v_add_f64 v[27:28], v[27:28], -v[29:30]
	v_fma_f64 v[29:30], v[33:34], s[2:3], v[27:28]
	v_add_f64 v[27:28], v[46:47], v[29:30]
	v_add_f64 v[35:36], v[27:28], -v[46:47]
	v_add_f64 v[29:30], v[29:30], -v[35:36]
.LBB247_130:                            ;   in Loop: Header=BB247_4 Depth=1
	s_or_b64 exec, exec, s[0:1]
	v_cmp_class_f64_e64 vcc, v[11:12], s77
	v_and_b32_e32 v11, 1, v37
	v_cmp_eq_u32_e64 s[0:1], 0, v11
	v_mul_f64 v[11:12], v[25:26], v[25:26]
	s_mov_b32 s2, 0x9037ab78
	s_mov_b32 s3, 0x3e21eeb6
	v_mov_b32_e32 v36, s3
	v_mov_b32_e32 v35, s2
	s_mov_b32 s2, 0xb42fdfa7
	s_mov_b32 s3, 0xbe5ae600
	s_mov_b32 s60, s10
	v_mul_f64 v[33:34], v[11:12], 0.5
	v_fma_f64 v[48:49], v[11:12], s[68:69], v[35:36]
	v_mul_f64 v[46:47], v[11:12], v[11:12]
	v_lshlrev_b32_e32 v18, 30, v37
	v_and_b32_e32 v18, 0x80000000, v18
	s_mov_b32 s91, s59
	s_mov_b32 s93, s11
	v_add_f64 v[44:45], -v[33:34], 1.0
	v_fma_f64 v[48:49], v[11:12], v[48:49], s[70:71]
	v_add_f64 v[50:51], -v[44:45], 1.0
	v_fma_f64 v[48:49], v[11:12], v[48:49], s[72:73]
	v_add_f64 v[33:34], v[50:51], -v[33:34]
	v_fma_f64 v[48:49], v[11:12], v[48:49], s[74:75]
	v_mul_f64 v[50:51], v[31:32], 0.5
	v_fma_f64 v[33:34], v[25:26], -v[31:32], v[33:34]
	v_fma_f64 v[48:49], v[11:12], v[48:49], s[10:11]
	v_fma_f64 v[33:34], v[46:47], v[48:49], v[33:34]
	v_mul_f64 v[46:47], v[25:26], -v[11:12]
	v_add_f64 v[44:45], v[44:45], v[33:34]
	v_mov_b32_e32 v34, s3
	v_mov_b32_e32 v33, s2
	v_fma_f64 v[48:49], v[11:12], s[78:79], v[33:34]
	s_mov_b32 s2, 0
	s_mov_b32 s3, 0xc090cc00
	v_fma_f64 v[48:49], v[11:12], v[48:49], s[80:81]
	v_fma_f64 v[48:49], v[11:12], v[48:49], s[82:83]
	;; [unrolled: 1-line block ×4, first 2 shown]
	v_fma_f64 v[11:12], v[11:12], v[48:49], -v[31:32]
	v_fma_f64 v[11:12], v[46:47], s[60:61], v[11:12]
	v_add_f64 v[11:12], v[25:26], -v[11:12]
	v_xor_b32_e32 v12, 0x80000000, v12
	v_cndmask_b32_e64 v11, v11, v44, s[0:1]
	v_cndmask_b32_e64 v12, v12, v45, s[0:1]
	s_mov_b32 s0, 0x19ba0da4
	s_mov_b32 s1, 0xc0937be3
	v_add_f64 v[9:10], -v[9:10], s[0:1]
	v_xor_b32_e32 v12, v12, v18
	v_cndmask_b32_e32 v25, 0, v11, vcc
	v_cndmask_b32_e32 v26, v43, v12, vcc
	s_mov_b32 s0, 0
	s_mov_b32 s1, 0x40900000
	v_mul_f64 v[11:12], v[9:10], s[42:43]
	v_cmp_nlt_f64_e64 s[0:1], s[0:1], v[9:10]
	v_cmp_ngt_f64_e64 s[2:3], s[2:3], v[9:10]
	v_rndne_f64_e32 v[11:12], v[11:12]
	v_fma_f64 v[31:32], v[11:12], s[44:45], v[9:10]
	v_fma_f64 v[31:32], v[11:12], s[46:47], v[31:32]
	v_cvt_i32_f64_e32 v11, v[11:12]
	v_fma_f64 v[37:38], v[31:32], s[48:49], v[19:20]
	v_fma_f64 v[37:38], v[31:32], v[37:38], s[50:51]
	;; [unrolled: 1-line block ×9, first 2 shown]
	v_fma_f64 v[37:38], v[31:32], v[37:38], 1.0
	v_fma_f64 v[31:32], v[31:32], v[37:38], 1.0
	v_ldexp_f64 v[11:12], v[31:32], v11
	v_cndmask_b32_e64 v12, v42, v12, s[0:1]
	v_cndmask_b32_e64 v18, 0, v12, s[2:3]
	s_and_b64 s[0:1], s[2:3], s[0:1]
	v_and_b32_e32 v9, 0xfffff, v18
	v_cndmask_b32_e64 v11, 0, v11, s[0:1]
	v_or_b32_e32 v12, 0x7fe00000, v9
	v_mul_f64 v[9:10], v[11:12], v[25:26]
	v_lshrrev_b32_e32 v18, 20, v18
	v_add_u32_e32 v31, 0xffffff09, v18
	v_lshrrev_b16_e32 v18, 15, v31
	v_add_u16_e32 v18, v31, v18
	v_ashrrev_i16_e32 v18, 1, v18
	v_bfe_i32 v32, v18, 0, 16
	v_lshl_add_u32 v18, v32, 20, v41
	v_mul_f64 v[25:26], v[9:10], v[17:18]
	v_sub_u32_e32 v9, v31, v32
	v_mul_f64 v[31:32], v[27:28], v[27:28]
	v_lshl_add_u32 v10, v9, 20, v41
	v_mov_b32_e32 v9, v17
	v_mul_f64 v[25:26], v[25:26], v[9:10]
	v_mul_f64 v[37:38], v[31:32], 0.5
	v_fma_f64 v[35:36], v[31:32], s[68:69], v[35:36]
	v_fma_f64 v[33:34], v[31:32], s[78:79], v[33:34]
	v_add_f64 v[44:45], -v[37:38], 1.0
	v_fma_f64 v[35:36], v[31:32], v[35:36], s[70:71]
	v_fma_f64 v[33:34], v[31:32], v[33:34], s[80:81]
	v_add_f64 v[46:47], -v[44:45], 1.0
	v_fma_f64 v[35:36], v[31:32], v[35:36], s[72:73]
	v_fma_f64 v[33:34], v[31:32], v[33:34], s[82:83]
	v_add_f64 v[37:38], v[46:47], -v[37:38]
	v_fma_f64 v[35:36], v[31:32], v[35:36], s[74:75]
	v_mul_f64 v[46:47], v[31:32], v[31:32]
	v_fma_f64 v[33:34], v[31:32], v[33:34], s[58:59]
	v_fma_f64 v[37:38], v[27:28], -v[29:30], v[37:38]
	v_fma_f64 v[35:36], v[31:32], v[35:36], s[10:11]
	v_fma_f64 v[35:36], v[46:47], v[35:36], v[37:38]
	v_mul_f64 v[37:38], v[27:28], -v[31:32]
	v_add_f64 v[35:36], v[44:45], v[35:36]
	v_mul_f64 v[44:45], v[29:30], 0.5
	v_fma_f64 v[33:34], v[37:38], v[33:34], v[44:45]
	v_fma_f64 v[29:30], v[31:32], v[33:34], -v[29:30]
	v_fma_f64 v[29:30], v[37:38], s[60:61], v[29:30]
	v_add_f64 v[27:28], v[27:28], -v[29:30]
	v_and_b32_e32 v29, 1, v23
	v_lshlrev_b32_e32 v23, 30, v23
	v_cmp_eq_u32_e64 s[0:1], 0, v29
	v_xor_b32_e32 v23, v23, v24
	v_and_b32_e32 v23, 0x80000000, v23
	v_cndmask_b32_e64 v28, v36, v28, s[0:1]
	v_cndmask_b32_e64 v27, v35, v27, s[0:1]
	v_xor_b32_e32 v24, v28, v23
	v_cndmask_b32_e32 v23, 0, v27, vcc
	v_cndmask_b32_e32 v24, v43, v24, vcc
	v_mul_f64 v[11:12], v[11:12], v[23:24]
	v_mul_f64 v[11:12], v[11:12], v[17:18]
	;; [unrolled: 1-line block ×3, first 2 shown]
.LBB247_131:                            ;   in Loop: Header=BB247_4 Depth=1
	s_or_b64 exec, exec, s[66:67]
                                        ; implicit-def: $vgpr27_vgpr28
                                        ; implicit-def: $vgpr9_vgpr10
                                        ; implicit-def: $vgpr18
.LBB247_132:                            ;   in Loop: Header=BB247_4 Depth=1
	s_andn2_saveexec_b64 s[2:3], s[40:41]
	s_cbranch_execz .LBB247_138
; %bb.133:                              ;   in Loop: Header=BB247_4 Depth=1
	v_add_f64 v[23:24], v[11:12], -v[11:12]
	s_mov_b32 s0, 0x7ff00000
	v_cmp_ne_u32_e32 vcc, 0, v9
	v_cmp_ne_u32_e64 s[0:1], s0, v18
	s_or_b64 s[0:1], vcc, s[0:1]
	s_and_saveexec_b64 s[40:41], s[0:1]
	s_xor_b64 s[0:1], exec, s[40:41]
; %bb.134:                              ;   in Loop: Header=BB247_4 Depth=1
                                        ; implicit-def: $vgpr27_vgpr28
                                        ; implicit-def: $vgpr9_vgpr10
; %bb.135:                              ;   in Loop: Header=BB247_4 Depth=1
	s_or_saveexec_b64 s[0:1], s[0:1]
	v_mov_b32_e32 v26, v24
	v_mov_b32_e32 v25, v23
	s_xor_b64 exec, exec, s[0:1]
; %bb.136:                              ;   in Loop: Header=BB247_4 Depth=1
	v_cmp_lt_i64_e32 vcc, -1, v[27:28]
	v_cndmask_b32_e32 v26, 0, v28, vcc
	v_cndmask_b32_e32 v25, 0, v9, vcc
	;; [unrolled: 1-line block ×4, first 2 shown]
; %bb.137:                              ;   in Loop: Header=BB247_4 Depth=1
	s_or_b64 exec, exec, s[0:1]
.LBB247_138:                            ;   in Loop: Header=BB247_4 Depth=1
	s_or_b64 exec, exec, s[2:3]
                                        ; implicit-def: $vgpr11_vgpr12
.LBB247_139:                            ;   in Loop: Header=BB247_4 Depth=1
	s_andn2_saveexec_b64 s[2:3], s[36:37]
	s_cbranch_execz .LBB247_149
; %bb.140:                              ;   in Loop: Header=BB247_4 Depth=1
	v_trig_preop_f64 v[31:32], |v[11:12]|, 0
	v_trig_preop_f64 v[25:26], |v[11:12]|, 1
	;; [unrolled: 1-line block ×3, first 2 shown]
	s_mov_b32 s0, 0
	s_mov_b32 s1, 0x41d00000
	v_cmp_nlt_f64_e64 s[36:37], |v[11:12]|, s[0:1]
	s_movk_i32 s0, 0xff80
	v_ldexp_f64 v[33:34], |v[11:12]|, s0
	v_and_b32_e32 v23, 0x7fffffff, v12
                                        ; implicit-def: $vgpr44
                                        ; implicit-def: $vgpr35_vgpr36
                                        ; implicit-def: $vgpr37_vgpr38
	s_and_saveexec_b64 s[0:1], s[36:37]
	s_xor_b64 s[40:41], exec, s[0:1]
	s_cbranch_execz .LBB247_142
; %bb.141:                              ;   in Loop: Header=BB247_4 Depth=1
	s_mov_b32 s0, 0
	s_mov_b32 s1, 0x7b000000
	v_cmp_ge_f64_e64 vcc, |v[11:12]|, s[0:1]
	s_mov_b32 s0, 0
	s_mov_b32 s1, 0x7ff00000
	;; [unrolled: 1-line block ×4, first 2 shown]
	v_cndmask_b32_e32 v28, v23, v34, vcc
	v_cndmask_b32_e32 v27, v11, v33, vcc
	v_mul_f64 v[35:36], v[31:32], v[27:28]
	v_mul_f64 v[29:30], v[25:26], v[27:28]
	v_fma_f64 v[37:38], v[31:32], v[27:28], -v[35:36]
	v_add_f64 v[44:45], v[29:30], v[37:38]
	v_add_f64 v[52:53], v[44:45], -v[29:30]
	v_add_f64 v[46:47], v[35:36], v[44:45]
	v_add_f64 v[37:38], v[37:38], -v[52:53]
	v_add_f64 v[52:53], v[44:45], -v[52:53]
	v_ldexp_f64 v[48:49], v[46:47], -2
	v_add_f64 v[35:36], v[46:47], -v[35:36]
	v_add_f64 v[52:53], v[29:30], -v[52:53]
	v_fma_f64 v[29:30], v[25:26], v[27:28], -v[29:30]
	v_add_f64 v[35:36], v[44:45], -v[35:36]
	v_fract_f64_e32 v[50:51], v[48:49]
	v_cmp_neq_f64_e64 vcc, |v[48:49]|, s[0:1]
	v_add_f64 v[37:38], v[37:38], v[52:53]
	v_mul_f64 v[52:53], v[9:10], v[27:28]
	v_add_f64 v[54:55], v[52:53], v[29:30]
	v_fma_f64 v[27:28], v[9:10], v[27:28], -v[52:53]
	v_add_f64 v[56:57], v[54:55], v[37:38]
	v_add_f64 v[46:47], v[56:57], -v[54:55]
	v_add_f64 v[44:45], v[35:36], v[56:57]
	v_add_f64 v[37:38], v[37:38], -v[46:47]
	v_add_f64 v[46:47], v[56:57], -v[46:47]
	;; [unrolled: 1-line block ×5, first 2 shown]
	v_add_f64 v[37:38], v[37:38], v[46:47]
	v_add_f64 v[46:47], v[54:55], -v[52:53]
	v_add_f64 v[29:30], v[29:30], -v[46:47]
	;; [unrolled: 1-line block ×4, first 2 shown]
	v_add_f64 v[29:30], v[29:30], v[46:47]
	v_add_f64 v[29:30], v[29:30], v[37:38]
	;; [unrolled: 1-line block ×3, first 2 shown]
	v_ldexp_f64 v[29:30], v[50:51], 2
	v_add_f64 v[27:28], v[35:36], v[27:28]
	v_cndmask_b32_e32 v30, 0, v30, vcc
	v_cndmask_b32_e32 v29, 0, v29, vcc
	v_add_f64 v[35:36], v[44:45], v[29:30]
	v_cmp_gt_f64_e32 vcc, 0, v[35:36]
	v_cndmask_b32_e32 v18, 0, v40, vcc
	v_add_f64 v[29:30], v[29:30], v[17:18]
	v_add_f64 v[35:36], v[44:45], v[29:30]
	v_cvt_i32_f64_e32 v18, v[35:36]
	v_cvt_f64_i32_e32 v[35:36], v18
	v_add_f64 v[29:30], v[29:30], -v[35:36]
	v_add_f64 v[35:36], v[44:45], v[29:30]
	v_add_f64 v[29:30], v[35:36], -v[29:30]
	v_cmp_le_f64_e32 vcc, 0.5, v[35:36]
	v_add_f64 v[29:30], v[44:45], -v[29:30]
	v_addc_co_u32_e64 v44, s[0:1], 0, v18, vcc
	v_cndmask_b32_e32 v18, 0, v41, vcc
	v_add_f64 v[27:28], v[27:28], v[29:30]
	v_add_f64 v[29:30], v[35:36], -v[17:18]
	v_add_f64 v[35:36], v[29:30], v[27:28]
	v_add_f64 v[29:30], v[35:36], -v[29:30]
	v_add_f64 v[27:28], v[27:28], -v[29:30]
	v_mul_f64 v[29:30], v[35:36], s[28:29]
	v_fma_f64 v[37:38], v[35:36], s[28:29], -v[29:30]
	v_fma_f64 v[35:36], v[35:36], s[86:87], v[37:38]
	v_fma_f64 v[27:28], v[27:28], s[28:29], v[35:36]
	v_add_f64 v[35:36], v[29:30], v[27:28]
	v_add_f64 v[29:30], v[35:36], -v[29:30]
	v_add_f64 v[37:38], v[27:28], -v[29:30]
	s_andn2_saveexec_b64 s[0:1], s[40:41]
	s_cbranch_execz .LBB247_144
	s_branch .LBB247_143
.LBB247_142:                            ;   in Loop: Header=BB247_4 Depth=1
	s_andn2_saveexec_b64 s[0:1], s[40:41]
	s_cbranch_execz .LBB247_144
.LBB247_143:                            ;   in Loop: Header=BB247_4 Depth=1
	s_mov_b32 s40, 0x6dc9c883
	s_mov_b32 s41, 0x3fe45f30
	v_mul_f64 v[27:28], |v[11:12]|, s[40:41]
	s_mov_b32 s34, s38
	s_mov_b32 s40, 0x252049c0
	;; [unrolled: 1-line block ×3, first 2 shown]
	v_rndne_f64_e32 v[27:28], v[27:28]
	v_fma_f64 v[29:30], v[27:28], s[30:31], |v[11:12]|
	v_mul_f64 v[35:36], v[27:28], s[38:39]
	v_add_f64 v[37:38], v[29:30], v[35:36]
	v_add_f64 v[44:45], v[29:30], -v[37:38]
	v_fma_f64 v[29:30], v[27:28], s[38:39], v[29:30]
	v_add_f64 v[44:45], v[44:45], v[35:36]
	v_add_f64 v[37:38], v[37:38], -v[29:30]
	v_fma_f64 v[35:36], v[27:28], s[34:35], v[35:36]
	v_add_f64 v[37:38], v[37:38], v[44:45]
	v_cvt_i32_f64_e32 v44, v[27:28]
	v_add_f64 v[35:36], v[37:38], -v[35:36]
	v_fma_f64 v[37:38], v[27:28], s[40:41], v[35:36]
	v_add_f64 v[35:36], v[29:30], v[37:38]
	v_add_f64 v[29:30], v[35:36], -v[29:30]
	v_add_f64 v[37:38], v[37:38], -v[29:30]
.LBB247_144:                            ;   in Loop: Header=BB247_4 Depth=1
	s_or_b64 exec, exec, s[0:1]
                                        ; implicit-def: $vgpr18
                                        ; implicit-def: $vgpr27_vgpr28
                                        ; implicit-def: $vgpr29_vgpr30
	s_and_saveexec_b64 s[0:1], s[36:37]
	s_xor_b64 s[0:1], exec, s[0:1]
	s_cbranch_execz .LBB247_146
; %bb.145:                              ;   in Loop: Header=BB247_4 Depth=1
	s_mov_b32 s36, 0
	s_mov_b32 s37, 0x7b000000
	v_cmp_ge_f64_e64 vcc, |v[11:12]|, s[36:37]
	s_mov_b32 s36, 0
	s_mov_b32 s37, 0x7ff00000
	;; [unrolled: 1-line block ×4, first 2 shown]
	v_cndmask_b32_e32 v28, v23, v34, vcc
	v_cndmask_b32_e32 v27, v11, v33, vcc
	v_mul_f64 v[29:30], v[31:32], v[27:28]
	v_mul_f64 v[33:34], v[25:26], v[27:28]
	;; [unrolled: 1-line block ×3, first 2 shown]
	v_fma_f64 v[31:32], v[31:32], v[27:28], -v[29:30]
	v_fma_f64 v[25:26], v[25:26], v[27:28], -v[33:34]
	;; [unrolled: 1-line block ×3, first 2 shown]
	v_add_f64 v[45:46], v[33:34], v[31:32]
	v_add_f64 v[47:48], v[45:46], -v[33:34]
	v_add_f64 v[53:54], v[29:30], v[45:46]
	v_add_f64 v[49:50], v[45:46], -v[47:48]
	v_add_f64 v[31:32], v[31:32], -v[47:48]
	v_add_f64 v[47:48], v[51:52], v[25:26]
	v_add_f64 v[29:30], v[53:54], -v[29:30]
	v_add_f64 v[33:34], v[33:34], -v[49:50]
	v_ldexp_f64 v[49:50], v[53:54], -2
	v_add_f64 v[55:56], v[47:48], -v[51:52]
	v_add_f64 v[29:30], v[45:46], -v[29:30]
	v_add_f64 v[31:32], v[31:32], v[33:34]
	v_fract_f64_e32 v[33:34], v[49:50]
	v_cmp_neq_f64_e64 vcc, |v[49:50]|, s[36:37]
	v_add_f64 v[25:26], v[25:26], -v[55:56]
	v_add_f64 v[45:46], v[47:48], v[31:32]
	v_ldexp_f64 v[33:34], v[33:34], 2
	v_add_f64 v[49:50], v[29:30], v[45:46]
	v_cndmask_b32_e32 v34, 0, v34, vcc
	v_cndmask_b32_e32 v33, 0, v33, vcc
	v_add_f64 v[57:58], v[45:46], -v[47:48]
	v_add_f64 v[53:54], v[49:50], v[33:34]
	v_add_f64 v[27:28], v[49:50], -v[29:30]
	v_add_f64 v[59:60], v[45:46], -v[57:58]
	;; [unrolled: 1-line block ×3, first 2 shown]
	v_cmp_gt_f64_e32 vcc, 0, v[53:54]
	v_add_f64 v[53:54], v[47:48], -v[55:56]
	v_add_f64 v[27:28], v[45:46], -v[27:28]
	;; [unrolled: 1-line block ×3, first 2 shown]
	v_cndmask_b32_e32 v18, 0, v40, vcc
	v_add_f64 v[33:34], v[33:34], v[17:18]
	v_add_f64 v[53:54], v[51:52], -v[53:54]
	v_add_f64 v[31:32], v[31:32], v[47:48]
	v_add_f64 v[61:62], v[49:50], v[33:34]
	;; [unrolled: 1-line block ×3, first 2 shown]
	v_cvt_i32_f64_e32 v23, v[61:62]
	v_add_f64 v[25:26], v[25:26], v[31:32]
	v_cvt_f64_i32_e32 v[55:56], v23
	v_add_f64 v[33:34], v[33:34], -v[55:56]
	v_add_f64 v[9:10], v[9:10], v[25:26]
	v_add_f64 v[29:30], v[49:50], v[33:34]
	;; [unrolled: 1-line block ×3, first 2 shown]
	v_add_f64 v[25:26], v[29:30], -v[33:34]
	v_cmp_le_f64_e32 vcc, 0.5, v[29:30]
	v_add_f64 v[25:26], v[49:50], -v[25:26]
	v_cndmask_b32_e32 v18, 0, v41, vcc
	v_add_f64 v[9:10], v[9:10], v[25:26]
	v_add_f64 v[25:26], v[29:30], -v[17:18]
	v_addc_co_u32_e32 v18, vcc, 0, v23, vcc
	v_add_f64 v[27:28], v[25:26], v[9:10]
	v_mul_f64 v[29:30], v[27:28], s[28:29]
	v_add_f64 v[25:26], v[27:28], -v[25:26]
	v_fma_f64 v[31:32], v[27:28], s[28:29], -v[29:30]
	v_add_f64 v[9:10], v[9:10], -v[25:26]
	v_fma_f64 v[25:26], v[27:28], s[86:87], v[31:32]
	v_fma_f64 v[9:10], v[9:10], s[28:29], v[25:26]
	v_add_f64 v[27:28], v[29:30], v[9:10]
	v_add_f64 v[25:26], v[27:28], -v[29:30]
	v_add_f64 v[29:30], v[9:10], -v[25:26]
	s_andn2_saveexec_b64 s[0:1], s[0:1]
	s_cbranch_execnz .LBB247_147
	s_branch .LBB247_148
.LBB247_146:                            ;   in Loop: Header=BB247_4 Depth=1
	s_andn2_saveexec_b64 s[0:1], s[0:1]
	s_cbranch_execz .LBB247_148
.LBB247_147:                            ;   in Loop: Header=BB247_4 Depth=1
	s_mov_b32 s36, 0x6dc9c883
	s_mov_b32 s37, 0x3fe45f30
	v_mul_f64 v[9:10], |v[11:12]|, s[36:37]
	s_mov_b32 s34, s38
	s_mov_b32 s36, 0x252049c0
	;; [unrolled: 1-line block ×3, first 2 shown]
	v_rndne_f64_e32 v[9:10], v[9:10]
	v_fma_f64 v[25:26], v[9:10], s[30:31], |v[11:12]|
	v_mul_f64 v[27:28], v[9:10], s[38:39]
	v_cvt_i32_f64_e32 v18, v[9:10]
	v_add_f64 v[29:30], v[25:26], v[27:28]
	v_add_f64 v[31:32], v[25:26], -v[29:30]
	v_fma_f64 v[25:26], v[9:10], s[38:39], v[25:26]
	v_add_f64 v[31:32], v[31:32], v[27:28]
	v_add_f64 v[29:30], v[29:30], -v[25:26]
	v_fma_f64 v[27:28], v[9:10], s[34:35], v[27:28]
	;; [unrolled: 3-line block ×3, first 2 shown]
	v_add_f64 v[27:28], v[25:26], v[29:30]
	v_add_f64 v[25:26], v[27:28], -v[25:26]
	v_add_f64 v[29:30], v[29:30], -v[25:26]
.LBB247_148:                            ;   in Loop: Header=BB247_4 Depth=1
	s_or_b64 exec, exec, s[0:1]
	v_mul_f64 v[9:10], v[35:36], v[35:36]
	s_mov_b32 s0, 0x9037ab78
	s_mov_b32 s1, 0x3e21eeb6
	v_mov_b32_e32 v46, s1
	v_mov_b32_e32 v45, s0
	s_mov_b32 s0, 0xb42fdfa7
	s_mov_b32 s1, 0xbe5ae600
	v_mul_f64 v[49:50], v[37:38], 0.5
	v_mul_f64 v[25:26], v[9:10], 0.5
	v_fma_f64 v[47:48], v[9:10], s[68:69], v[45:46]
	s_mov_b32 s60, s10
	v_and_b32_e32 v23, 1, v44
	v_cmp_eq_u32_e32 vcc, 0, v23
	v_lshlrev_b32_e32 v23, 30, v44
	v_and_b32_e32 v23, 0x80000000, v23
	v_add_f64 v[31:32], -v[25:26], 1.0
	v_fma_f64 v[47:48], v[9:10], v[47:48], s[70:71]
	v_add_f64 v[33:34], -v[31:32], 1.0
	v_fma_f64 v[47:48], v[9:10], v[47:48], s[72:73]
	v_add_f64 v[25:26], v[33:34], -v[25:26]
	v_fma_f64 v[47:48], v[9:10], v[47:48], s[74:75]
	v_mul_f64 v[33:34], v[9:10], v[9:10]
	v_fma_f64 v[25:26], v[35:36], -v[37:38], v[25:26]
	v_fma_f64 v[47:48], v[9:10], v[47:48], s[10:11]
	v_fma_f64 v[25:26], v[33:34], v[47:48], v[25:26]
	v_mul_f64 v[47:48], v[35:36], -v[9:10]
	v_add_f64 v[25:26], v[31:32], v[25:26]
	v_mov_b32_e32 v32, s1
	v_mov_b32_e32 v31, s0
	v_fma_f64 v[33:34], v[9:10], s[78:79], v[31:32]
	v_fma_f64 v[33:34], v[9:10], v[33:34], s[80:81]
	;; [unrolled: 1-line block ×5, first 2 shown]
	v_fma_f64 v[9:10], v[9:10], v[33:34], -v[37:38]
	v_fma_f64 v[9:10], v[47:48], s[60:61], v[9:10]
	v_add_f64 v[9:10], v[35:36], -v[9:10]
	v_xor_b32_e32 v10, 0x80000000, v10
	v_cndmask_b32_e32 v9, v9, v25, vcc
	v_cndmask_b32_e32 v10, v10, v26, vcc
	v_cmp_class_f64_e64 vcc, v[11:12], s77
	v_xor_b32_e32 v10, v10, v23
	v_and_b32_e32 v23, 1, v18
	v_cmp_eq_u32_e64 s[0:1], 0, v23
	v_cndmask_b32_e32 v25, 0, v9, vcc
	v_cndmask_b32_e32 v26, v43, v10, vcc
	v_mul_f64 v[9:10], v[27:28], v[27:28]
	v_mul_f64 v[11:12], v[9:10], 0.5
	v_fma_f64 v[37:38], v[9:10], s[68:69], v[45:46]
	v_fma_f64 v[31:32], v[9:10], s[78:79], v[31:32]
	v_add_f64 v[33:34], -v[11:12], 1.0
	v_fma_f64 v[37:38], v[9:10], v[37:38], s[70:71]
	v_fma_f64 v[31:32], v[9:10], v[31:32], s[80:81]
	v_add_f64 v[35:36], -v[33:34], 1.0
	v_fma_f64 v[37:38], v[9:10], v[37:38], s[72:73]
	v_fma_f64 v[31:32], v[9:10], v[31:32], s[82:83]
	v_add_f64 v[11:12], v[35:36], -v[11:12]
	v_fma_f64 v[37:38], v[9:10], v[37:38], s[74:75]
	v_mul_f64 v[35:36], v[9:10], v[9:10]
	v_fma_f64 v[31:32], v[9:10], v[31:32], s[58:59]
	v_fma_f64 v[11:12], v[27:28], -v[29:30], v[11:12]
	v_fma_f64 v[37:38], v[9:10], v[37:38], s[10:11]
	v_fma_f64 v[11:12], v[35:36], v[37:38], v[11:12]
	v_mul_f64 v[35:36], v[29:30], 0.5
	v_add_f64 v[11:12], v[33:34], v[11:12]
	v_mul_f64 v[33:34], v[27:28], -v[9:10]
	v_fma_f64 v[31:32], v[33:34], v[31:32], v[35:36]
	v_fma_f64 v[9:10], v[9:10], v[31:32], -v[29:30]
	v_fma_f64 v[9:10], v[33:34], s[60:61], v[9:10]
	v_add_f64 v[9:10], v[27:28], -v[9:10]
	v_cndmask_b32_e64 v9, v11, v9, s[0:1]
	v_lshlrev_b32_e32 v11, 30, v18
	v_xor_b32_e32 v11, v11, v24
	v_cndmask_b32_e64 v10, v12, v10, s[0:1]
	v_and_b32_e32 v11, 0x80000000, v11
	v_xor_b32_e32 v10, v10, v11
	v_cndmask_b32_e32 v23, 0, v9, vcc
	v_cndmask_b32_e32 v24, v43, v10, vcc
.LBB247_149:                            ;   in Loop: Header=BB247_4 Depth=1
	s_or_b64 exec, exec, s[2:3]
                                        ; implicit-def: $vgpr9_vgpr10
.LBB247_150:                            ;   in Loop: Header=BB247_4 Depth=1
	s_andn2_saveexec_b64 s[2:3], s[22:23]
	s_cbranch_execz .LBB247_152
; %bb.151:                              ;   in Loop: Header=BB247_4 Depth=1
	s_mov_b32 s88, s42
	v_mul_f64 v[11:12], v[9:10], s[88:89]
	s_mov_b32 s91, s59
	s_mov_b32 s93, s11
	v_cmp_ngt_f64_e32 vcc, s[94:95], v[9:10]
	v_cmp_nlt_f64_e64 s[0:1], s[24:25], v[9:10]
	v_rndne_f64_e32 v[11:12], v[11:12]
	v_fma_f64 v[25:26], v[11:12], s[44:45], -v[9:10]
	v_fma_f64 v[25:26], v[11:12], s[46:47], v[25:26]
	v_cvt_i32_f64_e32 v11, v[11:12]
	v_fma_f64 v[27:28], v[25:26], s[48:49], v[19:20]
	v_fma_f64 v[27:28], v[25:26], v[27:28], s[50:51]
	;; [unrolled: 1-line block ×9, first 2 shown]
	v_fma_f64 v[27:28], v[25:26], v[27:28], 1.0
	v_fma_f64 v[25:26], v[25:26], v[27:28], 1.0
	v_ldexp_f64 v[11:12], v[25:26], v11
	v_cndmask_b32_e32 v12, v42, v12, vcc
	s_and_b64 vcc, s[0:1], vcc
	v_cndmask_b32_e64 v26, 0, v12, s[0:1]
	v_cndmask_b32_e32 v25, 0, v11, vcc
.LBB247_152:                            ;   in Loop: Header=BB247_4 Depth=1
	s_or_b64 exec, exec, s[2:3]
	v_add_f64 v[25:26], s[12:13], v[25:26]
	v_add_f64 v[23:24], s[14:15], v[23:24]
	v_cmp_gt_f64_e32 vcc, 0, v[25:26]
	v_xor_b32_e32 v9, 0x80000000, v26
	v_xor_b32_e32 v10, 0x80000000, v24
	v_mov_b32_e32 v27, v25
	v_mov_b32_e32 v29, v23
	v_cndmask_b32_e32 v28, v26, v9, vcc
	v_cmp_gt_f64_e32 vcc, 0, v[23:24]
	v_cndmask_b32_e32 v30, v24, v10, vcc
	v_cmp_ge_f64_e32 vcc, v[27:28], v[29:30]
                                        ; implicit-def: $vgpr11_vgpr12
	s_and_saveexec_b64 s[0:1], vcc
	s_xor_b64 s[2:3], exec, s[0:1]
	s_cbranch_execz .LBB247_158
; %bb.153:                              ;   in Loop: Header=BB247_4 Depth=1
	v_cmp_neq_f64_e32 vcc, 0, v[25:26]
	v_cmp_neq_f64_e64 s[0:1], 0, v[23:24]
                                        ; implicit-def: $vgpr11_vgpr12
	s_or_b64 s[0:1], vcc, s[0:1]
	s_and_saveexec_b64 s[22:23], s[0:1]
	s_xor_b64 s[0:1], exec, s[22:23]
	s_cbranch_execz .LBB247_155
; %bb.154:                              ;   in Loop: Header=BB247_4 Depth=1
	v_div_scale_f64 v[9:10], s[22:23], v[25:26], v[25:26], v[23:24]
	v_rcp_f64_e32 v[11:12], v[9:10]
	v_fma_f64 v[27:28], -v[9:10], v[11:12], 1.0
	v_fma_f64 v[11:12], v[11:12], v[27:28], v[11:12]
	v_div_scale_f64 v[27:28], vcc, v[23:24], v[25:26], v[23:24]
	v_fma_f64 v[29:30], -v[9:10], v[11:12], 1.0
	v_fma_f64 v[11:12], v[11:12], v[29:30], v[11:12]
	v_mul_f64 v[29:30], v[27:28], v[11:12]
	v_fma_f64 v[9:10], -v[9:10], v[29:30], v[27:28]
	v_div_fmas_f64 v[9:10], v[9:10], v[11:12], v[29:30]
	v_div_fixup_f64 v[9:10], v[9:10], v[25:26], v[23:24]
	v_fma_f64 v[11:12], v[23:24], v[9:10], v[25:26]
	v_div_scale_f64 v[23:24], s[22:23], v[11:12], v[11:12], 1.0
	v_rcp_f64_e32 v[25:26], v[23:24]
	v_fma_f64 v[27:28], -v[23:24], v[25:26], 1.0
	v_fma_f64 v[25:26], v[25:26], v[27:28], v[25:26]
	v_div_scale_f64 v[27:28], vcc, 1.0, v[11:12], 1.0
	v_fma_f64 v[29:30], -v[23:24], v[25:26], 1.0
	v_fma_f64 v[25:26], v[25:26], v[29:30], v[25:26]
	v_mul_f64 v[29:30], v[27:28], v[25:26]
	v_fma_f64 v[23:24], -v[23:24], v[29:30], v[27:28]
	v_mov_b32_e32 v28, s15
	v_mov_b32_e32 v27, s14
	v_div_fmas_f64 v[23:24], v[23:24], v[25:26], v[29:30]
	v_mov_b32_e32 v26, s13
	v_mov_b32_e32 v25, s12
	v_fma_f64 v[25:26], s[14:15], v[9:10], v[25:26]
                                        ; implicit-def: $vgpr29_vgpr30
	v_div_fixup_f64 v[11:12], v[23:24], v[11:12], 1.0
	v_fma_f64 v[23:24], -s[12:13], v[9:10], v[27:28]
                                        ; implicit-def: $vgpr27_vgpr28
	v_mul_f64 v[9:10], v[25:26], v[11:12]
	v_mul_f64 v[11:12], v[23:24], v[11:12]
.LBB247_155:                            ;   in Loop: Header=BB247_4 Depth=1
	s_andn2_saveexec_b64 s[22:23], s[0:1]
	s_cbranch_execz .LBB247_157
; %bb.156:                              ;   in Loop: Header=BB247_4 Depth=1
	v_div_scale_f64 v[9:10], s[0:1], v[27:28], v[27:28], s[12:13]
	v_div_scale_f64 v[11:12], s[0:1], v[29:30], v[29:30], s[14:15]
	;; [unrolled: 1-line block ×3, first 2 shown]
	v_rcp_f64_e32 v[23:24], v[9:10]
	v_rcp_f64_e32 v[25:26], v[11:12]
	v_fma_f64 v[31:32], -v[9:10], v[23:24], 1.0
	v_fma_f64 v[33:34], -v[11:12], v[25:26], 1.0
	v_fma_f64 v[23:24], v[23:24], v[31:32], v[23:24]
	v_div_scale_f64 v[31:32], vcc, s[12:13], v[27:28], s[12:13]
	v_fma_f64 v[25:26], v[25:26], v[33:34], v[25:26]
	v_fma_f64 v[33:34], -v[9:10], v[23:24], 1.0
	v_fma_f64 v[37:38], -v[11:12], v[25:26], 1.0
	v_fma_f64 v[23:24], v[23:24], v[33:34], v[23:24]
	v_fma_f64 v[25:26], v[25:26], v[37:38], v[25:26]
	v_mul_f64 v[33:34], v[31:32], v[23:24]
	v_mul_f64 v[37:38], v[35:36], v[25:26]
	v_fma_f64 v[9:10], -v[9:10], v[33:34], v[31:32]
	v_fma_f64 v[11:12], -v[11:12], v[37:38], v[35:36]
	v_div_fmas_f64 v[9:10], v[9:10], v[23:24], v[33:34]
	s_mov_b64 vcc, s[0:1]
	v_div_fmas_f64 v[11:12], v[11:12], v[25:26], v[37:38]
	v_div_fixup_f64 v[9:10], v[9:10], v[27:28], s[12:13]
	v_div_fixup_f64 v[11:12], v[11:12], v[29:30], s[14:15]
.LBB247_157:                            ;   in Loop: Header=BB247_4 Depth=1
	s_or_b64 exec, exec, s[22:23]
                                        ; implicit-def: $vgpr23_vgpr24
                                        ; implicit-def: $vgpr25_vgpr26
.LBB247_158:                            ;   in Loop: Header=BB247_4 Depth=1
	s_andn2_saveexec_b64 s[0:1], s[2:3]
	s_cbranch_execz .LBB247_160
; %bb.159:                              ;   in Loop: Header=BB247_4 Depth=1
	v_div_scale_f64 v[9:10], s[2:3], v[23:24], v[23:24], v[25:26]
	v_rcp_f64_e32 v[11:12], v[9:10]
	v_fma_f64 v[27:28], -v[9:10], v[11:12], 1.0
	v_fma_f64 v[11:12], v[11:12], v[27:28], v[11:12]
	v_div_scale_f64 v[27:28], vcc, v[25:26], v[23:24], v[25:26]
	v_fma_f64 v[29:30], -v[9:10], v[11:12], 1.0
	v_fma_f64 v[11:12], v[11:12], v[29:30], v[11:12]
	v_mul_f64 v[29:30], v[27:28], v[11:12]
	v_fma_f64 v[9:10], -v[9:10], v[29:30], v[27:28]
	v_div_fmas_f64 v[9:10], v[9:10], v[11:12], v[29:30]
	v_div_fixup_f64 v[9:10], v[9:10], v[23:24], v[25:26]
	v_fma_f64 v[11:12], v[25:26], v[9:10], v[23:24]
	v_div_scale_f64 v[23:24], s[2:3], v[11:12], v[11:12], 1.0
	v_rcp_f64_e32 v[25:26], v[23:24]
	v_fma_f64 v[27:28], -v[23:24], v[25:26], 1.0
	v_fma_f64 v[25:26], v[25:26], v[27:28], v[25:26]
	v_div_scale_f64 v[27:28], vcc, 1.0, v[11:12], 1.0
	v_fma_f64 v[29:30], -v[23:24], v[25:26], 1.0
	v_fma_f64 v[25:26], v[25:26], v[29:30], v[25:26]
	v_mul_f64 v[29:30], v[27:28], v[25:26]
	v_fma_f64 v[23:24], -v[23:24], v[29:30], v[27:28]
	v_mov_b32_e32 v28, s13
	v_mov_b32_e32 v27, s12
	v_div_fmas_f64 v[23:24], v[23:24], v[25:26], v[29:30]
	v_mov_b32_e32 v26, s15
	v_mov_b32_e32 v25, s14
	v_fma_f64 v[25:26], s[12:13], v[9:10], v[25:26]
	v_div_fixup_f64 v[11:12], v[23:24], v[11:12], 1.0
	v_fma_f64 v[23:24], s[14:15], v[9:10], -v[27:28]
	v_mul_f64 v[9:10], v[25:26], v[11:12]
	v_mul_f64 v[11:12], v[23:24], v[11:12]
.LBB247_160:                            ;   in Loop: Header=BB247_4 Depth=1
	s_or_b64 exec, exec, s[0:1]
	v_xor_b32_e32 v24, 0x80000000, v4
	v_and_b32_e32 v29, 0x7fffffff, v24
	v_or_b32_e32 v18, v29, v3
	v_mov_b32_e32 v23, v3
	v_cmp_ne_u32_e32 vcc, 0, v18
                                        ; implicit-def: $vgpr25_vgpr26
	s_and_saveexec_b64 s[0:1], vcc
	s_xor_b64 s[22:23], exec, s[0:1]
	s_cbranch_execz .LBB247_202
; %bb.161:                              ;   in Loop: Header=BB247_4 Depth=1
	v_xor_b32_e32 v28, 0x80000000, v2
	v_and_b32_e32 v18, 0x7fffffff, v28
	v_or_b32_e32 v23, v18, v1
	v_mov_b32_e32 v27, v1
	v_cmp_ne_u32_e32 vcc, 0, v23
                                        ; implicit-def: $vgpr25_vgpr26
	s_and_saveexec_b64 s[0:1], vcc
	s_xor_b64 s[36:37], exec, s[0:1]
	s_cbranch_execz .LBB247_191
; %bb.162:                              ;   in Loop: Header=BB247_4 Depth=1
	s_mov_b32 s0, 0x7ff00000
	v_cmp_gt_u32_e32 vcc, s0, v29
                                        ; implicit-def: $vgpr25_vgpr26
	s_and_saveexec_b64 s[0:1], vcc
	s_xor_b64 s[40:41], exec, s[0:1]
	s_cbranch_execz .LBB247_184
; %bb.163:                              ;   in Loop: Header=BB247_4 Depth=1
	v_add_u32_e32 v18, 0xbf79d1be, v28
	s_mov_b32 s0, 0x108aa2
	v_cmp_lt_u32_e32 vcc, s0, v18
                                        ; implicit-def: $vgpr25_vgpr26
	s_and_saveexec_b64 s[0:1], vcc
	s_xor_b64 s[2:3], exec, s[0:1]
	s_cbranch_execz .LBB247_173
; %bb.164:                              ;   in Loop: Header=BB247_4 Depth=1
	s_mov_b32 s0, 0
	s_mov_b32 s1, 0x41d00000
	v_cmp_nlt_f64_e64 s[0:1], |v[3:4]|, s[0:1]
                                        ; implicit-def: $vgpr33
                                        ; implicit-def: $vgpr25_vgpr26
                                        ; implicit-def: $vgpr27_vgpr28
	s_and_saveexec_b64 s[66:67], s[0:1]
	s_xor_b64 s[66:67], exec, s[66:67]
	s_cbranch_execz .LBB247_166
; %bb.165:                              ;   in Loop: Header=BB247_4 Depth=1
	v_trig_preop_f64 v[25:26], |v[3:4]|, 0
	s_mov_b32 vcc_lo, 0
	s_movk_i32 s28, 0xff80
	s_mov_b32 vcc_hi, 0x7b000000
	v_ldexp_f64 v[27:28], |v[3:4]|, s28
	v_cmp_ge_f64_e64 vcc, |v[3:4]|, vcc
	v_trig_preop_f64 v[29:30], |v[3:4]|, 1
	v_and_b32_e32 v18, 0x7fffffff, v4
	v_trig_preop_f64 v[37:38], |v[3:4]|, 2
	s_mov_b32 s28, s30
	s_mov_b32 s87, s35
	v_cndmask_b32_e32 v28, v18, v28, vcc
	v_cndmask_b32_e32 v27, v3, v27, vcc
	s_mov_b32 vcc_lo, 0
	v_mul_f64 v[31:32], v[25:26], v[27:28]
	s_mov_b32 vcc_hi, 0x7ff00000
	v_mul_f64 v[33:34], v[29:30], v[27:28]
	v_mul_f64 v[48:49], v[37:38], v[27:28]
	v_fma_f64 v[25:26], v[25:26], v[27:28], -v[31:32]
	v_fma_f64 v[29:30], v[29:30], v[27:28], -v[33:34]
	;; [unrolled: 1-line block ×3, first 2 shown]
	v_add_f64 v[35:36], v[33:34], v[25:26]
	v_add_f64 v[44:45], v[35:36], -v[33:34]
	v_add_f64 v[50:51], v[31:32], v[35:36]
	v_add_f64 v[46:47], v[35:36], -v[44:45]
	v_add_f64 v[25:26], v[25:26], -v[44:45]
	v_add_f64 v[44:45], v[48:49], v[29:30]
	v_add_f64 v[31:32], v[50:51], -v[31:32]
	v_add_f64 v[33:34], v[33:34], -v[46:47]
	v_ldexp_f64 v[46:47], v[50:51], -2
	v_add_f64 v[52:53], v[44:45], -v[48:49]
	v_add_f64 v[31:32], v[35:36], -v[31:32]
	v_add_f64 v[25:26], v[25:26], v[33:34]
	v_fract_f64_e32 v[33:34], v[46:47]
	v_cmp_neq_f64_e64 vcc, |v[46:47]|, vcc
	v_add_f64 v[29:30], v[29:30], -v[52:53]
	v_add_f64 v[35:36], v[44:45], v[25:26]
	v_ldexp_f64 v[33:34], v[33:34], 2
	v_add_f64 v[46:47], v[31:32], v[35:36]
	v_cndmask_b32_e32 v34, 0, v34, vcc
	v_cndmask_b32_e32 v33, 0, v33, vcc
	v_add_f64 v[54:55], v[35:36], -v[44:45]
	v_add_f64 v[50:51], v[46:47], v[33:34]
	v_add_f64 v[31:32], v[46:47], -v[31:32]
	v_add_f64 v[56:57], v[35:36], -v[54:55]
	v_add_f64 v[25:26], v[25:26], -v[54:55]
	v_cmp_gt_f64_e32 vcc, 0, v[50:51]
	v_add_f64 v[50:51], v[44:45], -v[52:53]
	v_add_f64 v[31:32], v[35:36], -v[31:32]
	;; [unrolled: 1-line block ×3, first 2 shown]
	v_cndmask_b32_e32 v18, 0, v40, vcc
	v_add_f64 v[33:34], v[33:34], v[17:18]
	v_add_f64 v[50:51], v[48:49], -v[50:51]
	v_add_f64 v[25:26], v[25:26], v[44:45]
	v_add_f64 v[58:59], v[46:47], v[33:34]
	v_add_f64 v[29:30], v[29:30], v[50:51]
	v_cvt_i32_f64_e32 v23, v[58:59]
	v_add_f64 v[25:26], v[29:30], v[25:26]
	v_cvt_f64_i32_e32 v[52:53], v23
	v_add_f64 v[33:34], v[33:34], -v[52:53]
	v_add_f64 v[25:26], v[27:28], v[25:26]
	v_add_f64 v[29:30], v[46:47], v[33:34]
	;; [unrolled: 1-line block ×3, first 2 shown]
	v_add_f64 v[27:28], v[29:30], -v[33:34]
	v_cmp_le_f64_e32 vcc, 0.5, v[29:30]
	v_add_f64 v[27:28], v[46:47], -v[27:28]
	v_cndmask_b32_e32 v18, 0, v41, vcc
	v_add_f64 v[25:26], v[25:26], v[27:28]
	v_add_f64 v[27:28], v[29:30], -v[17:18]
	v_add_f64 v[29:30], v[27:28], v[25:26]
	v_mul_f64 v[31:32], v[29:30], s[28:29]
	v_add_f64 v[27:28], v[29:30], -v[27:28]
	v_fma_f64 v[33:34], v[29:30], s[28:29], -v[31:32]
	v_add_f64 v[25:26], v[25:26], -v[27:28]
	v_fma_f64 v[27:28], v[29:30], s[86:87], v[33:34]
	v_addc_co_u32_e32 v33, vcc, 0, v23, vcc
	v_fma_f64 v[27:28], v[25:26], s[28:29], v[27:28]
	v_add_f64 v[25:26], v[31:32], v[27:28]
	v_add_f64 v[29:30], v[25:26], -v[31:32]
	v_add_f64 v[27:28], v[27:28], -v[29:30]
	s_andn2_saveexec_b64 s[66:67], s[66:67]
	s_cbranch_execz .LBB247_168
	s_branch .LBB247_167
.LBB247_166:                            ;   in Loop: Header=BB247_4 Depth=1
	s_andn2_saveexec_b64 s[66:67], s[66:67]
	s_cbranch_execz .LBB247_168
.LBB247_167:                            ;   in Loop: Header=BB247_4 Depth=1
	s_mov_b32 vcc_lo, 0x6dc9c883
	s_mov_b32 vcc_hi, 0x3fe45f30
	v_mul_f64 v[25:26], |v[3:4]|, vcc
	s_mov_b32 s34, s38
	s_mov_b32 vcc_lo, 0x252049c0
	s_mov_b32 vcc_hi, 0xb97b839a
	v_rndne_f64_e32 v[29:30], v[25:26]
	v_fma_f64 v[25:26], v[29:30], s[30:31], |v[3:4]|
	v_mul_f64 v[27:28], v[29:30], s[38:39]
	v_fma_f64 v[35:36], v[29:30], s[38:39], v[25:26]
	v_add_f64 v[31:32], v[25:26], v[27:28]
	v_add_f64 v[33:34], v[25:26], -v[31:32]
	v_add_f64 v[31:32], v[31:32], -v[35:36]
	v_add_f64 v[25:26], v[33:34], v[27:28]
	v_fma_f64 v[27:28], v[29:30], s[34:35], v[27:28]
	v_cvt_i32_f64_e32 v33, v[29:30]
	v_add_f64 v[25:26], v[31:32], v[25:26]
	v_add_f64 v[25:26], v[25:26], -v[27:28]
	v_fma_f64 v[27:28], v[29:30], vcc, v[25:26]
	v_add_f64 v[25:26], v[35:36], v[27:28]
	v_add_f64 v[31:32], v[25:26], -v[35:36]
	v_add_f64 v[27:28], v[27:28], -v[31:32]
.LBB247_168:                            ;   in Loop: Header=BB247_4 Depth=1
	s_or_b64 exec, exec, s[66:67]
                                        ; implicit-def: $vgpr23
                                        ; implicit-def: $vgpr29_vgpr30
                                        ; implicit-def: $vgpr31_vgpr32
	s_and_saveexec_b64 s[66:67], s[0:1]
	s_xor_b64 s[66:67], exec, s[66:67]
	s_cbranch_execz .LBB247_170
; %bb.169:                              ;   in Loop: Header=BB247_4 Depth=1
	v_trig_preop_f64 v[29:30], |v[3:4]|, 0
	s_mov_b32 s0, 0
	s_mov_b32 s1, 0x7b000000
	v_cmp_ge_f64_e64 vcc, |v[3:4]|, s[0:1]
	s_movk_i32 s0, 0xff80
	v_ldexp_f64 v[34:35], |v[3:4]|, s0
	v_trig_preop_f64 v[31:32], |v[3:4]|, 1
	v_and_b32_e32 v18, 0x7fffffff, v4
	s_mov_b32 s0, 0
	s_mov_b32 s1, 0x7ff00000
	;; [unrolled: 1-line block ×4, first 2 shown]
	v_cndmask_b32_e32 v35, v18, v35, vcc
	v_cndmask_b32_e32 v34, v3, v34, vcc
	v_mul_f64 v[44:45], v[29:30], v[34:35]
	v_mul_f64 v[36:37], v[31:32], v[34:35]
	v_fma_f64 v[29:30], v[29:30], v[34:35], -v[44:45]
	v_fma_f64 v[31:32], v[31:32], v[34:35], -v[36:37]
	v_add_f64 v[46:47], v[36:37], v[29:30]
	v_add_f64 v[54:55], v[46:47], -v[36:37]
	v_add_f64 v[48:49], v[44:45], v[46:47]
	v_add_f64 v[29:30], v[29:30], -v[54:55]
	v_add_f64 v[54:55], v[46:47], -v[54:55]
	v_ldexp_f64 v[50:51], v[48:49], -2
	v_add_f64 v[44:45], v[48:49], -v[44:45]
	v_add_f64 v[54:55], v[36:37], -v[54:55]
	v_trig_preop_f64 v[36:37], |v[3:4]|, 2
	v_fract_f64_e32 v[52:53], v[50:51]
	v_add_f64 v[44:45], v[46:47], -v[44:45]
	v_cmp_neq_f64_e64 vcc, |v[50:51]|, s[0:1]
	v_add_f64 v[29:30], v[29:30], v[54:55]
	v_mul_f64 v[54:55], v[36:37], v[34:35]
	v_add_f64 v[56:57], v[54:55], v[31:32]
	v_add_f64 v[58:59], v[56:57], v[29:30]
	v_add_f64 v[48:49], v[58:59], -v[56:57]
	v_add_f64 v[46:47], v[44:45], v[58:59]
	v_add_f64 v[29:30], v[29:30], -v[48:49]
	v_add_f64 v[48:49], v[58:59], -v[48:49]
	;; [unrolled: 1-line block ×5, first 2 shown]
	v_add_f64 v[29:30], v[29:30], v[48:49]
	v_add_f64 v[48:49], v[56:57], -v[54:55]
	v_add_f64 v[31:32], v[31:32], -v[48:49]
	;; [unrolled: 1-line block ×4, first 2 shown]
	v_add_f64 v[31:32], v[31:32], v[48:49]
	v_add_f64 v[29:30], v[31:32], v[29:30]
	v_fma_f64 v[31:32], v[36:37], v[34:35], -v[54:55]
	v_add_f64 v[29:30], v[31:32], v[29:30]
	v_ldexp_f64 v[31:32], v[52:53], 2
	v_add_f64 v[29:30], v[44:45], v[29:30]
	v_cndmask_b32_e32 v32, 0, v32, vcc
	v_cndmask_b32_e32 v31, 0, v31, vcc
	v_add_f64 v[34:35], v[46:47], v[31:32]
	v_cmp_gt_f64_e32 vcc, 0, v[34:35]
	v_cndmask_b32_e32 v18, 0, v40, vcc
	v_add_f64 v[31:32], v[31:32], v[17:18]
	v_add_f64 v[34:35], v[46:47], v[31:32]
	v_cvt_i32_f64_e32 v18, v[34:35]
	v_cvt_f64_i32_e32 v[34:35], v18
	v_add_f64 v[31:32], v[31:32], -v[34:35]
	v_add_f64 v[34:35], v[46:47], v[31:32]
	v_add_f64 v[31:32], v[34:35], -v[31:32]
	v_cmp_le_f64_e32 vcc, 0.5, v[34:35]
	v_add_f64 v[31:32], v[46:47], -v[31:32]
	v_addc_co_u32_e64 v23, s[0:1], 0, v18, vcc
	v_cndmask_b32_e32 v18, 0, v41, vcc
	v_add_f64 v[29:30], v[29:30], v[31:32]
	v_add_f64 v[31:32], v[34:35], -v[17:18]
	v_add_f64 v[34:35], v[31:32], v[29:30]
	v_add_f64 v[31:32], v[34:35], -v[31:32]
	v_add_f64 v[29:30], v[29:30], -v[31:32]
	v_mul_f64 v[31:32], v[34:35], s[28:29]
	v_fma_f64 v[36:37], v[34:35], s[28:29], -v[31:32]
	v_fma_f64 v[34:35], v[34:35], s[86:87], v[36:37]
	v_fma_f64 v[34:35], v[29:30], s[28:29], v[34:35]
	v_add_f64 v[29:30], v[31:32], v[34:35]
	v_add_f64 v[31:32], v[29:30], -v[31:32]
	v_add_f64 v[31:32], v[34:35], -v[31:32]
	s_andn2_saveexec_b64 s[0:1], s[66:67]
	s_cbranch_execnz .LBB247_171
	s_branch .LBB247_172
.LBB247_170:                            ;   in Loop: Header=BB247_4 Depth=1
	s_andn2_saveexec_b64 s[0:1], s[66:67]
	s_cbranch_execz .LBB247_172
.LBB247_171:                            ;   in Loop: Header=BB247_4 Depth=1
	s_mov_b32 s66, 0x6dc9c883
	s_mov_b32 s67, 0x3fe45f30
	v_mul_f64 v[29:30], |v[3:4]|, s[66:67]
	s_mov_b32 s34, s38
	s_mov_b32 s66, 0x252049c0
	;; [unrolled: 1-line block ×3, first 2 shown]
	v_rndne_f64_e32 v[34:35], v[29:30]
	v_fma_f64 v[29:30], v[34:35], s[30:31], |v[3:4]|
	v_mul_f64 v[31:32], v[34:35], s[38:39]
	v_cvt_i32_f64_e32 v23, v[34:35]
	v_fma_f64 v[46:47], v[34:35], s[38:39], v[29:30]
	v_add_f64 v[36:37], v[29:30], v[31:32]
	v_add_f64 v[44:45], v[29:30], -v[36:37]
	v_add_f64 v[36:37], v[36:37], -v[46:47]
	v_add_f64 v[29:30], v[44:45], v[31:32]
	v_fma_f64 v[31:32], v[34:35], s[34:35], v[31:32]
	v_add_f64 v[29:30], v[36:37], v[29:30]
	v_add_f64 v[29:30], v[29:30], -v[31:32]
	v_fma_f64 v[31:32], v[34:35], s[66:67], v[29:30]
	v_add_f64 v[29:30], v[46:47], v[31:32]
	v_add_f64 v[36:37], v[29:30], -v[46:47]
	v_add_f64 v[31:32], v[31:32], -v[36:37]
.LBB247_172:                            ;   in Loop: Header=BB247_4 Depth=1
	s_or_b64 exec, exec, s[0:1]
	s_mov_b32 s88, s42
	v_mul_f64 v[34:35], v[1:2], s[88:89]
	s_mov_b32 s91, s59
	s_mov_b32 s93, s11
	v_cmp_ngt_f64_e32 vcc, s[94:95], v[1:2]
	v_cmp_nlt_f64_e64 s[0:1], s[24:25], v[1:2]
	v_mul_f64 v[52:53], v[27:28], 0.5
	s_mov_b32 s60, s10
	v_rndne_f64_e32 v[34:35], v[34:35]
	v_fma_f64 v[36:37], v[34:35], s[44:45], -v[1:2]
	v_cvt_i32_f64_e32 v18, v[34:35]
	v_fma_f64 v[36:37], v[34:35], s[46:47], v[36:37]
	v_fma_f64 v[44:45], v[36:37], s[48:49], v[19:20]
	;; [unrolled: 1-line block ×10, first 2 shown]
	v_fma_f64 v[44:45], v[36:37], v[44:45], 1.0
	v_fma_f64 v[36:37], v[36:37], v[44:45], 1.0
	v_ldexp_f64 v[34:35], v[36:37], v18
	v_cndmask_b32_e32 v18, v42, v35, vcc
	s_and_b64 vcc, s[0:1], vcc
	v_cndmask_b32_e32 v1, 0, v34, vcc
	v_mul_f64 v[34:35], v[25:26], v[25:26]
	v_cndmask_b32_e64 v2, 0, v18, s[0:1]
	s_mov_b32 s0, 0x9037ab78
	s_mov_b32 s1, 0x3e21eeb6
	v_mov_b32_e32 v49, s1
	v_mov_b32_e32 v48, s0
	s_mov_b32 s0, 0xb42fdfa7
	s_mov_b32 s1, 0xbe5ae600
	v_mul_f64 v[36:37], v[34:35], 0.5
	v_fma_f64 v[50:51], v[34:35], s[68:69], v[48:49]
	v_add_f64 v[44:45], -v[36:37], 1.0
	v_fma_f64 v[50:51], v[34:35], v[50:51], s[70:71]
	v_add_f64 v[46:47], -v[44:45], 1.0
	v_fma_f64 v[50:51], v[34:35], v[50:51], s[72:73]
	v_add_f64 v[36:37], v[46:47], -v[36:37]
	v_fma_f64 v[50:51], v[34:35], v[50:51], s[74:75]
	v_mul_f64 v[46:47], v[34:35], v[34:35]
	v_fma_f64 v[36:37], v[25:26], -v[27:28], v[36:37]
	v_fma_f64 v[50:51], v[34:35], v[50:51], s[10:11]
	v_fma_f64 v[36:37], v[46:47], v[50:51], v[36:37]
	v_mul_f64 v[50:51], v[25:26], -v[34:35]
	v_add_f64 v[36:37], v[44:45], v[36:37]
	v_mov_b32_e32 v45, s1
	v_mov_b32_e32 v44, s0
	v_fma_f64 v[46:47], v[34:35], s[78:79], v[44:45]
	v_fma_f64 v[46:47], v[34:35], v[46:47], s[80:81]
	v_fma_f64 v[46:47], v[34:35], v[46:47], s[82:83]
	v_fma_f64 v[46:47], v[34:35], v[46:47], s[58:59]
	v_fma_f64 v[46:47], v[50:51], v[46:47], v[52:53]
	v_fma_f64 v[27:28], v[34:35], v[46:47], -v[27:28]
	v_fma_f64 v[27:28], v[50:51], s[60:61], v[27:28]
	v_add_f64 v[25:26], v[25:26], -v[27:28]
	v_xor_b32_e32 v18, 0x80000000, v26
	v_and_b32_e32 v26, 1, v33
	v_cmp_eq_u32_e32 vcc, 0, v26
	v_cndmask_b32_e32 v25, v25, v36, vcc
	v_cndmask_b32_e32 v18, v18, v37, vcc
	v_cmp_class_f64_e64 vcc, v[3:4], s77
	v_lshlrev_b32_e32 v26, 30, v33
	v_and_b32_e32 v26, 0x80000000, v26
	v_xor_b32_e32 v18, v18, v26
	v_cndmask_b32_e32 v3, 0, v25, vcc
	v_cndmask_b32_e32 v4, v43, v18, vcc
	v_mul_f64 v[25:26], v[1:2], v[3:4]
	v_mul_f64 v[3:4], v[29:30], v[29:30]
	v_and_b32_e32 v18, 1, v23
	v_cmp_eq_u32_e64 s[0:1], 0, v18
	v_lshlrev_b32_e32 v18, 30, v23
	v_xor_b32_e32 v18, v18, v24
	v_and_b32_e32 v18, 0x80000000, v18
	v_mul_f64 v[27:28], v[3:4], 0.5
	v_fma_f64 v[37:38], v[3:4], s[68:69], v[48:49]
	v_add_f64 v[33:34], -v[27:28], 1.0
	v_fma_f64 v[37:38], v[3:4], v[37:38], s[70:71]
	v_add_f64 v[35:36], -v[33:34], 1.0
	v_fma_f64 v[37:38], v[3:4], v[37:38], s[72:73]
	v_add_f64 v[27:28], v[35:36], -v[27:28]
	v_fma_f64 v[37:38], v[3:4], v[37:38], s[74:75]
	v_mul_f64 v[35:36], v[3:4], v[3:4]
	v_fma_f64 v[27:28], v[29:30], -v[31:32], v[27:28]
	v_fma_f64 v[37:38], v[3:4], v[37:38], s[10:11]
	v_fma_f64 v[27:28], v[35:36], v[37:38], v[27:28]
	v_mul_f64 v[35:36], v[29:30], -v[3:4]
	v_mul_f64 v[37:38], v[31:32], 0.5
	v_add_f64 v[27:28], v[33:34], v[27:28]
	v_fma_f64 v[33:34], v[3:4], s[78:79], v[44:45]
	v_fma_f64 v[33:34], v[3:4], v[33:34], s[80:81]
	;; [unrolled: 1-line block ×5, first 2 shown]
	v_fma_f64 v[3:4], v[3:4], v[33:34], -v[31:32]
	v_fma_f64 v[3:4], v[35:36], s[60:61], v[3:4]
	v_add_f64 v[3:4], v[29:30], -v[3:4]
	v_cndmask_b32_e64 v4, v28, v4, s[0:1]
	v_cndmask_b32_e64 v3, v27, v3, s[0:1]
	v_xor_b32_e32 v4, v4, v18
	v_cndmask_b32_e32 v3, 0, v3, vcc
	v_cndmask_b32_e32 v4, v43, v4, vcc
	v_mul_f64 v[23:24], v[1:2], v[3:4]
                                        ; implicit-def: $vgpr3_vgpr4
.LBB247_173:                            ;   in Loop: Header=BB247_4 Depth=1
	s_andn2_saveexec_b64 s[66:67], s[2:3]
	s_cbranch_execz .LBB247_183
; %bb.174:                              ;   in Loop: Header=BB247_4 Depth=1
	s_mov_b32 s0, 0
	s_mov_b32 s1, 0x41d00000
	v_cmp_nlt_f64_e64 s[0:1], |v[3:4]|, s[0:1]
                                        ; implicit-def: $vgpr37
                                        ; implicit-def: $vgpr25_vgpr26
                                        ; implicit-def: $vgpr31_vgpr32
	s_and_saveexec_b64 s[2:3], s[0:1]
	s_xor_b64 s[2:3], exec, s[2:3]
	s_cbranch_execz .LBB247_176
; %bb.175:                              ;   in Loop: Header=BB247_4 Depth=1
	v_trig_preop_f64 v[25:26], |v[3:4]|, 0
	s_mov_b32 vcc_lo, 0
	s_movk_i32 s28, 0xff80
	s_mov_b32 vcc_hi, 0x7b000000
	v_ldexp_f64 v[27:28], |v[3:4]|, s28
	v_cmp_ge_f64_e64 vcc, |v[3:4]|, vcc
	v_trig_preop_f64 v[29:30], |v[3:4]|, 1
	v_and_b32_e32 v18, 0x7fffffff, v4
	v_trig_preop_f64 v[37:38], |v[3:4]|, 2
	s_mov_b32 s28, s30
	s_mov_b32 s87, s35
	v_cndmask_b32_e32 v28, v18, v28, vcc
	v_cndmask_b32_e32 v27, v3, v27, vcc
	s_mov_b32 vcc_lo, 0
	v_mul_f64 v[31:32], v[25:26], v[27:28]
	s_mov_b32 vcc_hi, 0x7ff00000
	v_mul_f64 v[33:34], v[29:30], v[27:28]
	v_mul_f64 v[48:49], v[37:38], v[27:28]
	v_fma_f64 v[25:26], v[25:26], v[27:28], -v[31:32]
	v_fma_f64 v[29:30], v[29:30], v[27:28], -v[33:34]
	;; [unrolled: 1-line block ×3, first 2 shown]
	v_add_f64 v[35:36], v[33:34], v[25:26]
	v_add_f64 v[44:45], v[35:36], -v[33:34]
	v_add_f64 v[50:51], v[31:32], v[35:36]
	v_add_f64 v[46:47], v[35:36], -v[44:45]
	v_add_f64 v[25:26], v[25:26], -v[44:45]
	v_add_f64 v[44:45], v[48:49], v[29:30]
	v_add_f64 v[31:32], v[50:51], -v[31:32]
	v_add_f64 v[33:34], v[33:34], -v[46:47]
	v_ldexp_f64 v[46:47], v[50:51], -2
	v_add_f64 v[52:53], v[44:45], -v[48:49]
	v_add_f64 v[31:32], v[35:36], -v[31:32]
	v_add_f64 v[25:26], v[25:26], v[33:34]
	v_fract_f64_e32 v[33:34], v[46:47]
	v_cmp_neq_f64_e64 vcc, |v[46:47]|, vcc
	v_add_f64 v[29:30], v[29:30], -v[52:53]
	v_add_f64 v[35:36], v[44:45], v[25:26]
	v_ldexp_f64 v[33:34], v[33:34], 2
	v_add_f64 v[46:47], v[31:32], v[35:36]
	v_cndmask_b32_e32 v34, 0, v34, vcc
	v_cndmask_b32_e32 v33, 0, v33, vcc
	v_add_f64 v[54:55], v[35:36], -v[44:45]
	v_add_f64 v[50:51], v[46:47], v[33:34]
	v_add_f64 v[31:32], v[46:47], -v[31:32]
	v_add_f64 v[56:57], v[35:36], -v[54:55]
	;; [unrolled: 1-line block ×3, first 2 shown]
	v_cmp_gt_f64_e32 vcc, 0, v[50:51]
	v_add_f64 v[50:51], v[44:45], -v[52:53]
	v_add_f64 v[31:32], v[35:36], -v[31:32]
	;; [unrolled: 1-line block ×3, first 2 shown]
	v_cndmask_b32_e32 v18, 0, v40, vcc
	v_add_f64 v[33:34], v[33:34], v[17:18]
	v_add_f64 v[50:51], v[48:49], -v[50:51]
	v_add_f64 v[25:26], v[25:26], v[44:45]
	v_add_f64 v[58:59], v[46:47], v[33:34]
	;; [unrolled: 1-line block ×3, first 2 shown]
	v_cvt_i32_f64_e32 v23, v[58:59]
	v_add_f64 v[25:26], v[29:30], v[25:26]
	v_cvt_f64_i32_e32 v[52:53], v23
	v_add_f64 v[33:34], v[33:34], -v[52:53]
	v_add_f64 v[25:26], v[27:28], v[25:26]
	v_add_f64 v[29:30], v[46:47], v[33:34]
	;; [unrolled: 1-line block ×3, first 2 shown]
	v_add_f64 v[27:28], v[29:30], -v[33:34]
	v_cmp_le_f64_e32 vcc, 0.5, v[29:30]
	v_add_f64 v[27:28], v[46:47], -v[27:28]
	v_cndmask_b32_e32 v18, 0, v41, vcc
	v_addc_co_u32_e32 v37, vcc, 0, v23, vcc
	v_add_f64 v[25:26], v[25:26], v[27:28]
	v_add_f64 v[27:28], v[29:30], -v[17:18]
	v_add_f64 v[29:30], v[27:28], v[25:26]
	v_mul_f64 v[31:32], v[29:30], s[28:29]
	v_add_f64 v[27:28], v[29:30], -v[27:28]
	v_fma_f64 v[33:34], v[29:30], s[28:29], -v[31:32]
	v_add_f64 v[25:26], v[25:26], -v[27:28]
	v_fma_f64 v[27:28], v[29:30], s[86:87], v[33:34]
	v_fma_f64 v[27:28], v[25:26], s[28:29], v[27:28]
	v_add_f64 v[25:26], v[31:32], v[27:28]
	v_add_f64 v[29:30], v[25:26], -v[31:32]
	v_add_f64 v[31:32], v[27:28], -v[29:30]
	s_andn2_saveexec_b64 s[2:3], s[2:3]
	s_cbranch_execz .LBB247_178
	s_branch .LBB247_177
.LBB247_176:                            ;   in Loop: Header=BB247_4 Depth=1
	s_andn2_saveexec_b64 s[2:3], s[2:3]
	s_cbranch_execz .LBB247_178
.LBB247_177:                            ;   in Loop: Header=BB247_4 Depth=1
	s_mov_b32 vcc_lo, 0x6dc9c883
	s_mov_b32 vcc_hi, 0x3fe45f30
	v_mul_f64 v[25:26], |v[3:4]|, vcc
	s_mov_b32 s34, s38
	s_mov_b32 vcc_lo, 0x252049c0
	s_mov_b32 vcc_hi, 0xb97b839a
	v_rndne_f64_e32 v[27:28], v[25:26]
	v_fma_f64 v[25:26], v[27:28], s[30:31], |v[3:4]|
	v_mul_f64 v[29:30], v[27:28], s[38:39]
	v_cvt_i32_f64_e32 v37, v[27:28]
	v_fma_f64 v[35:36], v[27:28], s[38:39], v[25:26]
	v_add_f64 v[31:32], v[25:26], v[29:30]
	v_add_f64 v[33:34], v[25:26], -v[31:32]
	v_add_f64 v[31:32], v[31:32], -v[35:36]
	v_add_f64 v[25:26], v[33:34], v[29:30]
	v_fma_f64 v[29:30], v[27:28], s[34:35], v[29:30]
	v_add_f64 v[25:26], v[31:32], v[25:26]
	v_add_f64 v[25:26], v[25:26], -v[29:30]
	v_fma_f64 v[29:30], v[27:28], vcc, v[25:26]
	v_add_f64 v[25:26], v[35:36], v[29:30]
	v_add_f64 v[31:32], v[25:26], -v[35:36]
	v_add_f64 v[31:32], v[29:30], -v[31:32]
.LBB247_178:                            ;   in Loop: Header=BB247_4 Depth=1
	s_or_b64 exec, exec, s[2:3]
                                        ; implicit-def: $vgpr23
                                        ; implicit-def: $vgpr27_vgpr28
                                        ; implicit-def: $vgpr29_vgpr30
	s_and_saveexec_b64 s[2:3], s[0:1]
	s_xor_b64 s[2:3], exec, s[2:3]
	s_cbranch_execz .LBB247_180
; %bb.179:                              ;   in Loop: Header=BB247_4 Depth=1
	v_trig_preop_f64 v[27:28], |v[3:4]|, 0
	s_mov_b32 s0, 0
	s_mov_b32 s1, 0x7b000000
	v_cmp_ge_f64_e64 vcc, |v[3:4]|, s[0:1]
	s_movk_i32 s0, 0xff80
	v_ldexp_f64 v[33:34], |v[3:4]|, s0
	v_trig_preop_f64 v[29:30], |v[3:4]|, 1
	v_and_b32_e32 v18, 0x7fffffff, v4
	s_mov_b32 s0, 0
	s_mov_b32 s1, 0x7ff00000
	;; [unrolled: 1-line block ×4, first 2 shown]
	v_cndmask_b32_e32 v34, v18, v34, vcc
	v_cndmask_b32_e32 v33, v3, v33, vcc
	v_mul_f64 v[44:45], v[27:28], v[33:34]
	v_mul_f64 v[35:36], v[29:30], v[33:34]
	v_fma_f64 v[27:28], v[27:28], v[33:34], -v[44:45]
	v_fma_f64 v[29:30], v[29:30], v[33:34], -v[35:36]
	v_add_f64 v[46:47], v[35:36], v[27:28]
	v_add_f64 v[54:55], v[46:47], -v[35:36]
	v_add_f64 v[48:49], v[44:45], v[46:47]
	v_add_f64 v[27:28], v[27:28], -v[54:55]
	v_add_f64 v[54:55], v[46:47], -v[54:55]
	v_ldexp_f64 v[50:51], v[48:49], -2
	v_add_f64 v[44:45], v[48:49], -v[44:45]
	v_add_f64 v[54:55], v[35:36], -v[54:55]
	v_trig_preop_f64 v[35:36], |v[3:4]|, 2
	v_fract_f64_e32 v[52:53], v[50:51]
	v_add_f64 v[44:45], v[46:47], -v[44:45]
	v_cmp_neq_f64_e64 vcc, |v[50:51]|, s[0:1]
	v_add_f64 v[27:28], v[27:28], v[54:55]
	v_mul_f64 v[54:55], v[35:36], v[33:34]
	v_add_f64 v[56:57], v[54:55], v[29:30]
	v_add_f64 v[58:59], v[56:57], v[27:28]
	v_add_f64 v[48:49], v[58:59], -v[56:57]
	v_add_f64 v[46:47], v[44:45], v[58:59]
	v_add_f64 v[27:28], v[27:28], -v[48:49]
	v_add_f64 v[48:49], v[58:59], -v[48:49]
	;; [unrolled: 1-line block ×5, first 2 shown]
	v_add_f64 v[27:28], v[27:28], v[48:49]
	v_add_f64 v[48:49], v[56:57], -v[54:55]
	v_add_f64 v[29:30], v[29:30], -v[48:49]
	;; [unrolled: 1-line block ×4, first 2 shown]
	v_add_f64 v[29:30], v[29:30], v[48:49]
	v_add_f64 v[27:28], v[29:30], v[27:28]
	v_fma_f64 v[29:30], v[35:36], v[33:34], -v[54:55]
	v_add_f64 v[27:28], v[29:30], v[27:28]
	v_ldexp_f64 v[29:30], v[52:53], 2
	v_add_f64 v[27:28], v[44:45], v[27:28]
	v_cndmask_b32_e32 v30, 0, v30, vcc
	v_cndmask_b32_e32 v29, 0, v29, vcc
	v_add_f64 v[33:34], v[46:47], v[29:30]
	v_cmp_gt_f64_e32 vcc, 0, v[33:34]
	v_cndmask_b32_e32 v18, 0, v40, vcc
	v_add_f64 v[29:30], v[29:30], v[17:18]
	v_add_f64 v[33:34], v[46:47], v[29:30]
	v_cvt_i32_f64_e32 v18, v[33:34]
	v_cvt_f64_i32_e32 v[33:34], v18
	v_add_f64 v[29:30], v[29:30], -v[33:34]
	v_add_f64 v[33:34], v[46:47], v[29:30]
	v_add_f64 v[29:30], v[33:34], -v[29:30]
	v_cmp_le_f64_e32 vcc, 0.5, v[33:34]
	v_add_f64 v[29:30], v[46:47], -v[29:30]
	v_addc_co_u32_e64 v23, s[0:1], 0, v18, vcc
	v_cndmask_b32_e32 v18, 0, v41, vcc
	v_add_f64 v[27:28], v[27:28], v[29:30]
	v_add_f64 v[29:30], v[33:34], -v[17:18]
	v_add_f64 v[33:34], v[29:30], v[27:28]
	v_add_f64 v[29:30], v[33:34], -v[29:30]
	v_add_f64 v[27:28], v[27:28], -v[29:30]
	v_mul_f64 v[29:30], v[33:34], s[28:29]
	v_fma_f64 v[35:36], v[33:34], s[28:29], -v[29:30]
	v_fma_f64 v[33:34], v[33:34], s[86:87], v[35:36]
	v_fma_f64 v[33:34], v[27:28], s[28:29], v[33:34]
	v_add_f64 v[27:28], v[29:30], v[33:34]
	v_add_f64 v[29:30], v[27:28], -v[29:30]
	v_add_f64 v[29:30], v[33:34], -v[29:30]
	s_andn2_saveexec_b64 s[0:1], s[2:3]
	s_cbranch_execnz .LBB247_181
	s_branch .LBB247_182
.LBB247_180:                            ;   in Loop: Header=BB247_4 Depth=1
	s_andn2_saveexec_b64 s[0:1], s[2:3]
	s_cbranch_execz .LBB247_182
.LBB247_181:                            ;   in Loop: Header=BB247_4 Depth=1
	s_mov_b32 s2, 0x6dc9c883
	s_mov_b32 s3, 0x3fe45f30
	v_mul_f64 v[27:28], |v[3:4]|, s[2:3]
	s_mov_b32 s34, s38
	s_mov_b32 s2, 0x252049c0
	;; [unrolled: 1-line block ×3, first 2 shown]
	v_rndne_f64_e32 v[33:34], v[27:28]
	v_fma_f64 v[27:28], v[33:34], s[30:31], |v[3:4]|
	v_mul_f64 v[29:30], v[33:34], s[38:39]
	v_cvt_i32_f64_e32 v23, v[33:34]
	v_fma_f64 v[46:47], v[33:34], s[38:39], v[27:28]
	v_add_f64 v[35:36], v[27:28], v[29:30]
	v_add_f64 v[44:45], v[27:28], -v[35:36]
	v_add_f64 v[35:36], v[35:36], -v[46:47]
	v_add_f64 v[27:28], v[44:45], v[29:30]
	v_fma_f64 v[29:30], v[33:34], s[34:35], v[29:30]
	v_add_f64 v[27:28], v[35:36], v[27:28]
	v_add_f64 v[27:28], v[27:28], -v[29:30]
	v_fma_f64 v[29:30], v[33:34], s[2:3], v[27:28]
	v_add_f64 v[27:28], v[46:47], v[29:30]
	v_add_f64 v[35:36], v[27:28], -v[46:47]
	v_add_f64 v[29:30], v[29:30], -v[35:36]
.LBB247_182:                            ;   in Loop: Header=BB247_4 Depth=1
	s_or_b64 exec, exec, s[0:1]
	v_cmp_class_f64_e64 vcc, v[3:4], s77
	v_and_b32_e32 v3, 1, v37
	v_cmp_eq_u32_e64 s[0:1], 0, v3
	v_mul_f64 v[3:4], v[25:26], v[25:26]
	s_mov_b32 s2, 0x9037ab78
	s_mov_b32 s3, 0x3e21eeb6
	v_mov_b32_e32 v36, s3
	v_mov_b32_e32 v35, s2
	s_mov_b32 s2, 0xb42fdfa7
	s_mov_b32 s3, 0xbe5ae600
	;; [unrolled: 1-line block ×3, first 2 shown]
	v_mul_f64 v[33:34], v[3:4], 0.5
	v_fma_f64 v[48:49], v[3:4], s[68:69], v[35:36]
	v_mul_f64 v[46:47], v[3:4], v[3:4]
	v_lshlrev_b32_e32 v18, 30, v37
	v_and_b32_e32 v18, 0x80000000, v18
	s_mov_b32 s91, s59
	s_mov_b32 s93, s11
	v_add_f64 v[44:45], -v[33:34], 1.0
	v_fma_f64 v[48:49], v[3:4], v[48:49], s[70:71]
	v_add_f64 v[50:51], -v[44:45], 1.0
	v_fma_f64 v[48:49], v[3:4], v[48:49], s[72:73]
	v_add_f64 v[33:34], v[50:51], -v[33:34]
	v_fma_f64 v[48:49], v[3:4], v[48:49], s[74:75]
	v_mul_f64 v[50:51], v[31:32], 0.5
	v_fma_f64 v[33:34], v[25:26], -v[31:32], v[33:34]
	v_fma_f64 v[48:49], v[3:4], v[48:49], s[10:11]
	v_fma_f64 v[33:34], v[46:47], v[48:49], v[33:34]
	v_mul_f64 v[46:47], v[25:26], -v[3:4]
	v_add_f64 v[44:45], v[44:45], v[33:34]
	v_mov_b32_e32 v34, s3
	v_mov_b32_e32 v33, s2
	v_fma_f64 v[48:49], v[3:4], s[78:79], v[33:34]
	s_mov_b32 s2, 0
	s_mov_b32 s3, 0xc090cc00
	v_fma_f64 v[48:49], v[3:4], v[48:49], s[80:81]
	v_fma_f64 v[48:49], v[3:4], v[48:49], s[82:83]
	;; [unrolled: 1-line block ×4, first 2 shown]
	v_fma_f64 v[3:4], v[3:4], v[48:49], -v[31:32]
	v_fma_f64 v[3:4], v[46:47], s[60:61], v[3:4]
	v_add_f64 v[3:4], v[25:26], -v[3:4]
	v_xor_b32_e32 v4, 0x80000000, v4
	v_cndmask_b32_e64 v3, v3, v44, s[0:1]
	v_cndmask_b32_e64 v4, v4, v45, s[0:1]
	s_mov_b32 s0, 0x19ba0da4
	s_mov_b32 s1, 0xc0937be3
	v_add_f64 v[1:2], -v[1:2], s[0:1]
	v_xor_b32_e32 v4, v4, v18
	v_cndmask_b32_e32 v25, 0, v3, vcc
	v_cndmask_b32_e32 v26, v43, v4, vcc
	s_mov_b32 s0, 0
	s_mov_b32 s1, 0x40900000
	v_mul_f64 v[3:4], v[1:2], s[42:43]
	v_cmp_nlt_f64_e64 s[0:1], s[0:1], v[1:2]
	v_cmp_ngt_f64_e64 s[2:3], s[2:3], v[1:2]
	v_rndne_f64_e32 v[3:4], v[3:4]
	v_fma_f64 v[31:32], v[3:4], s[44:45], v[1:2]
	v_fma_f64 v[31:32], v[3:4], s[46:47], v[31:32]
	v_cvt_i32_f64_e32 v3, v[3:4]
	v_fma_f64 v[37:38], v[31:32], s[48:49], v[19:20]
	v_fma_f64 v[37:38], v[31:32], v[37:38], s[50:51]
	;; [unrolled: 1-line block ×9, first 2 shown]
	v_fma_f64 v[37:38], v[31:32], v[37:38], 1.0
	v_fma_f64 v[31:32], v[31:32], v[37:38], 1.0
	v_ldexp_f64 v[3:4], v[31:32], v3
	v_cndmask_b32_e64 v4, v42, v4, s[0:1]
	v_cndmask_b32_e64 v18, 0, v4, s[2:3]
	s_and_b64 s[0:1], s[2:3], s[0:1]
	v_and_b32_e32 v1, 0xfffff, v18
	v_cndmask_b32_e64 v3, 0, v3, s[0:1]
	v_or_b32_e32 v4, 0x7fe00000, v1
	v_mul_f64 v[1:2], v[3:4], v[25:26]
	v_lshrrev_b32_e32 v18, 20, v18
	v_add_u32_e32 v31, 0xffffff09, v18
	v_lshrrev_b16_e32 v18, 15, v31
	v_add_u16_e32 v18, v31, v18
	v_ashrrev_i16_e32 v18, 1, v18
	v_bfe_i32 v32, v18, 0, 16
	v_lshl_add_u32 v18, v32, 20, v41
	v_mul_f64 v[25:26], v[1:2], v[17:18]
	v_sub_u32_e32 v1, v31, v32
	v_mul_f64 v[31:32], v[27:28], v[27:28]
	v_lshl_add_u32 v2, v1, 20, v41
	v_mov_b32_e32 v1, v17
	v_mul_f64 v[25:26], v[25:26], v[1:2]
	v_mul_f64 v[37:38], v[31:32], 0.5
	v_fma_f64 v[35:36], v[31:32], s[68:69], v[35:36]
	v_fma_f64 v[33:34], v[31:32], s[78:79], v[33:34]
	v_add_f64 v[44:45], -v[37:38], 1.0
	v_fma_f64 v[35:36], v[31:32], v[35:36], s[70:71]
	v_fma_f64 v[33:34], v[31:32], v[33:34], s[80:81]
	v_add_f64 v[46:47], -v[44:45], 1.0
	v_fma_f64 v[35:36], v[31:32], v[35:36], s[72:73]
	v_fma_f64 v[33:34], v[31:32], v[33:34], s[82:83]
	v_add_f64 v[37:38], v[46:47], -v[37:38]
	v_fma_f64 v[35:36], v[31:32], v[35:36], s[74:75]
	v_mul_f64 v[46:47], v[31:32], v[31:32]
	v_fma_f64 v[33:34], v[31:32], v[33:34], s[58:59]
	v_fma_f64 v[37:38], v[27:28], -v[29:30], v[37:38]
	v_fma_f64 v[35:36], v[31:32], v[35:36], s[10:11]
	v_fma_f64 v[35:36], v[46:47], v[35:36], v[37:38]
	v_mul_f64 v[37:38], v[27:28], -v[31:32]
	v_add_f64 v[35:36], v[44:45], v[35:36]
	v_mul_f64 v[44:45], v[29:30], 0.5
	v_fma_f64 v[33:34], v[37:38], v[33:34], v[44:45]
	v_fma_f64 v[29:30], v[31:32], v[33:34], -v[29:30]
	v_fma_f64 v[29:30], v[37:38], s[60:61], v[29:30]
	v_add_f64 v[27:28], v[27:28], -v[29:30]
	v_and_b32_e32 v29, 1, v23
	v_lshlrev_b32_e32 v23, 30, v23
	v_cmp_eq_u32_e64 s[0:1], 0, v29
	v_xor_b32_e32 v23, v23, v24
	v_and_b32_e32 v23, 0x80000000, v23
	v_cndmask_b32_e64 v28, v36, v28, s[0:1]
	v_cndmask_b32_e64 v27, v35, v27, s[0:1]
	v_xor_b32_e32 v24, v28, v23
	v_cndmask_b32_e32 v23, 0, v27, vcc
	v_cndmask_b32_e32 v24, v43, v24, vcc
	v_mul_f64 v[3:4], v[3:4], v[23:24]
	v_mul_f64 v[3:4], v[3:4], v[17:18]
	;; [unrolled: 1-line block ×3, first 2 shown]
.LBB247_183:                            ;   in Loop: Header=BB247_4 Depth=1
	s_or_b64 exec, exec, s[66:67]
                                        ; implicit-def: $vgpr27_vgpr28
                                        ; implicit-def: $vgpr1_vgpr2
                                        ; implicit-def: $vgpr18
.LBB247_184:                            ;   in Loop: Header=BB247_4 Depth=1
	s_andn2_saveexec_b64 s[2:3], s[40:41]
	s_cbranch_execz .LBB247_190
; %bb.185:                              ;   in Loop: Header=BB247_4 Depth=1
	v_add_f64 v[23:24], v[3:4], -v[3:4]
	s_mov_b32 s0, 0x7ff00000
	v_cmp_ne_u32_e32 vcc, 0, v1
	v_cmp_ne_u32_e64 s[0:1], s0, v18
	s_or_b64 s[0:1], vcc, s[0:1]
	s_and_saveexec_b64 s[40:41], s[0:1]
	s_xor_b64 s[0:1], exec, s[40:41]
; %bb.186:                              ;   in Loop: Header=BB247_4 Depth=1
                                        ; implicit-def: $vgpr27_vgpr28
                                        ; implicit-def: $vgpr1_vgpr2
; %bb.187:                              ;   in Loop: Header=BB247_4 Depth=1
	s_or_saveexec_b64 s[0:1], s[0:1]
	v_mov_b32_e32 v26, v24
	v_mov_b32_e32 v25, v23
	s_xor_b64 exec, exec, s[0:1]
; %bb.188:                              ;   in Loop: Header=BB247_4 Depth=1
	v_cmp_lt_i64_e32 vcc, -1, v[27:28]
	v_cndmask_b32_e32 v26, 0, v28, vcc
	v_cndmask_b32_e32 v25, 0, v1, vcc
	;; [unrolled: 1-line block ×4, first 2 shown]
; %bb.189:                              ;   in Loop: Header=BB247_4 Depth=1
	s_or_b64 exec, exec, s[0:1]
.LBB247_190:                            ;   in Loop: Header=BB247_4 Depth=1
	s_or_b64 exec, exec, s[2:3]
                                        ; implicit-def: $vgpr3_vgpr4
.LBB247_191:                            ;   in Loop: Header=BB247_4 Depth=1
	s_andn2_saveexec_b64 s[2:3], s[36:37]
	s_cbranch_execz .LBB247_201
; %bb.192:                              ;   in Loop: Header=BB247_4 Depth=1
	v_trig_preop_f64 v[31:32], |v[3:4]|, 0
	v_trig_preop_f64 v[25:26], |v[3:4]|, 1
	;; [unrolled: 1-line block ×3, first 2 shown]
	s_mov_b32 s0, 0
	s_mov_b32 s1, 0x41d00000
	v_cmp_nlt_f64_e64 s[36:37], |v[3:4]|, s[0:1]
	s_movk_i32 s0, 0xff80
	v_ldexp_f64 v[33:34], |v[3:4]|, s0
	v_and_b32_e32 v23, 0x7fffffff, v4
                                        ; implicit-def: $vgpr44
                                        ; implicit-def: $vgpr35_vgpr36
                                        ; implicit-def: $vgpr37_vgpr38
	s_and_saveexec_b64 s[0:1], s[36:37]
	s_xor_b64 s[40:41], exec, s[0:1]
	s_cbranch_execz .LBB247_194
; %bb.193:                              ;   in Loop: Header=BB247_4 Depth=1
	s_mov_b32 s0, 0
	s_mov_b32 s1, 0x7b000000
	v_cmp_ge_f64_e64 vcc, |v[3:4]|, s[0:1]
	s_mov_b32 s0, 0
	s_mov_b32 s1, 0x7ff00000
	s_mov_b32 s28, s30
	s_mov_b32 s87, s35
	v_cndmask_b32_e32 v28, v23, v34, vcc
	v_cndmask_b32_e32 v27, v3, v33, vcc
	v_mul_f64 v[35:36], v[31:32], v[27:28]
	v_mul_f64 v[29:30], v[25:26], v[27:28]
	v_fma_f64 v[37:38], v[31:32], v[27:28], -v[35:36]
	v_add_f64 v[44:45], v[29:30], v[37:38]
	v_add_f64 v[52:53], v[44:45], -v[29:30]
	v_add_f64 v[46:47], v[35:36], v[44:45]
	v_add_f64 v[37:38], v[37:38], -v[52:53]
	v_add_f64 v[52:53], v[44:45], -v[52:53]
	v_ldexp_f64 v[48:49], v[46:47], -2
	v_add_f64 v[35:36], v[46:47], -v[35:36]
	v_add_f64 v[52:53], v[29:30], -v[52:53]
	v_fma_f64 v[29:30], v[25:26], v[27:28], -v[29:30]
	v_add_f64 v[35:36], v[44:45], -v[35:36]
	v_fract_f64_e32 v[50:51], v[48:49]
	v_cmp_neq_f64_e64 vcc, |v[48:49]|, s[0:1]
	v_add_f64 v[37:38], v[37:38], v[52:53]
	v_mul_f64 v[52:53], v[1:2], v[27:28]
	v_add_f64 v[54:55], v[52:53], v[29:30]
	v_fma_f64 v[27:28], v[1:2], v[27:28], -v[52:53]
	v_add_f64 v[56:57], v[54:55], v[37:38]
	v_add_f64 v[46:47], v[56:57], -v[54:55]
	v_add_f64 v[44:45], v[35:36], v[56:57]
	v_add_f64 v[37:38], v[37:38], -v[46:47]
	v_add_f64 v[46:47], v[56:57], -v[46:47]
	;; [unrolled: 1-line block ×5, first 2 shown]
	v_add_f64 v[37:38], v[37:38], v[46:47]
	v_add_f64 v[46:47], v[54:55], -v[52:53]
	v_add_f64 v[29:30], v[29:30], -v[46:47]
	;; [unrolled: 1-line block ×4, first 2 shown]
	v_add_f64 v[29:30], v[29:30], v[46:47]
	v_add_f64 v[29:30], v[29:30], v[37:38]
	v_add_f64 v[27:28], v[27:28], v[29:30]
	v_ldexp_f64 v[29:30], v[50:51], 2
	v_add_f64 v[27:28], v[35:36], v[27:28]
	v_cndmask_b32_e32 v30, 0, v30, vcc
	v_cndmask_b32_e32 v29, 0, v29, vcc
	v_add_f64 v[35:36], v[44:45], v[29:30]
	v_cmp_gt_f64_e32 vcc, 0, v[35:36]
	v_cndmask_b32_e32 v18, 0, v40, vcc
	v_add_f64 v[29:30], v[29:30], v[17:18]
	v_add_f64 v[35:36], v[44:45], v[29:30]
	v_cvt_i32_f64_e32 v18, v[35:36]
	v_cvt_f64_i32_e32 v[35:36], v18
	v_add_f64 v[29:30], v[29:30], -v[35:36]
	v_add_f64 v[35:36], v[44:45], v[29:30]
	v_add_f64 v[29:30], v[35:36], -v[29:30]
	v_cmp_le_f64_e32 vcc, 0.5, v[35:36]
	v_add_f64 v[29:30], v[44:45], -v[29:30]
	v_addc_co_u32_e64 v44, s[0:1], 0, v18, vcc
	v_cndmask_b32_e32 v18, 0, v41, vcc
	v_add_f64 v[27:28], v[27:28], v[29:30]
	v_add_f64 v[29:30], v[35:36], -v[17:18]
	v_add_f64 v[35:36], v[29:30], v[27:28]
	v_add_f64 v[29:30], v[35:36], -v[29:30]
	v_add_f64 v[27:28], v[27:28], -v[29:30]
	v_mul_f64 v[29:30], v[35:36], s[28:29]
	v_fma_f64 v[37:38], v[35:36], s[28:29], -v[29:30]
	v_fma_f64 v[35:36], v[35:36], s[86:87], v[37:38]
	v_fma_f64 v[27:28], v[27:28], s[28:29], v[35:36]
	v_add_f64 v[35:36], v[29:30], v[27:28]
	v_add_f64 v[29:30], v[35:36], -v[29:30]
	v_add_f64 v[37:38], v[27:28], -v[29:30]
	s_andn2_saveexec_b64 s[0:1], s[40:41]
	s_cbranch_execz .LBB247_196
	s_branch .LBB247_195
.LBB247_194:                            ;   in Loop: Header=BB247_4 Depth=1
	s_andn2_saveexec_b64 s[0:1], s[40:41]
	s_cbranch_execz .LBB247_196
.LBB247_195:                            ;   in Loop: Header=BB247_4 Depth=1
	s_mov_b32 s40, 0x6dc9c883
	s_mov_b32 s41, 0x3fe45f30
	v_mul_f64 v[27:28], |v[3:4]|, s[40:41]
	s_mov_b32 s34, s38
	s_mov_b32 s40, 0x252049c0
	;; [unrolled: 1-line block ×3, first 2 shown]
	v_rndne_f64_e32 v[27:28], v[27:28]
	v_fma_f64 v[29:30], v[27:28], s[30:31], |v[3:4]|
	v_mul_f64 v[35:36], v[27:28], s[38:39]
	v_add_f64 v[37:38], v[29:30], v[35:36]
	v_add_f64 v[44:45], v[29:30], -v[37:38]
	v_fma_f64 v[29:30], v[27:28], s[38:39], v[29:30]
	v_add_f64 v[44:45], v[44:45], v[35:36]
	v_add_f64 v[37:38], v[37:38], -v[29:30]
	v_fma_f64 v[35:36], v[27:28], s[34:35], v[35:36]
	v_add_f64 v[37:38], v[37:38], v[44:45]
	v_cvt_i32_f64_e32 v44, v[27:28]
	v_add_f64 v[35:36], v[37:38], -v[35:36]
	v_fma_f64 v[37:38], v[27:28], s[40:41], v[35:36]
	v_add_f64 v[35:36], v[29:30], v[37:38]
	v_add_f64 v[29:30], v[35:36], -v[29:30]
	v_add_f64 v[37:38], v[37:38], -v[29:30]
.LBB247_196:                            ;   in Loop: Header=BB247_4 Depth=1
	s_or_b64 exec, exec, s[0:1]
                                        ; implicit-def: $vgpr18
                                        ; implicit-def: $vgpr27_vgpr28
                                        ; implicit-def: $vgpr29_vgpr30
	s_and_saveexec_b64 s[0:1], s[36:37]
	s_xor_b64 s[0:1], exec, s[0:1]
	s_cbranch_execz .LBB247_198
; %bb.197:                              ;   in Loop: Header=BB247_4 Depth=1
	s_mov_b32 s36, 0
	s_mov_b32 s37, 0x7b000000
	v_cmp_ge_f64_e64 vcc, |v[3:4]|, s[36:37]
	s_mov_b32 s36, 0
	s_mov_b32 s37, 0x7ff00000
	;; [unrolled: 1-line block ×4, first 2 shown]
	v_cndmask_b32_e32 v28, v23, v34, vcc
	v_cndmask_b32_e32 v27, v3, v33, vcc
	v_mul_f64 v[29:30], v[31:32], v[27:28]
	v_mul_f64 v[33:34], v[25:26], v[27:28]
	;; [unrolled: 1-line block ×3, first 2 shown]
	v_fma_f64 v[31:32], v[31:32], v[27:28], -v[29:30]
	v_fma_f64 v[25:26], v[25:26], v[27:28], -v[33:34]
	;; [unrolled: 1-line block ×3, first 2 shown]
	v_add_f64 v[45:46], v[33:34], v[31:32]
	v_add_f64 v[47:48], v[45:46], -v[33:34]
	v_add_f64 v[53:54], v[29:30], v[45:46]
	v_add_f64 v[49:50], v[45:46], -v[47:48]
	v_add_f64 v[31:32], v[31:32], -v[47:48]
	v_add_f64 v[47:48], v[51:52], v[25:26]
	v_add_f64 v[29:30], v[53:54], -v[29:30]
	v_add_f64 v[33:34], v[33:34], -v[49:50]
	v_ldexp_f64 v[49:50], v[53:54], -2
	v_add_f64 v[55:56], v[47:48], -v[51:52]
	v_add_f64 v[29:30], v[45:46], -v[29:30]
	v_add_f64 v[31:32], v[31:32], v[33:34]
	v_fract_f64_e32 v[33:34], v[49:50]
	v_cmp_neq_f64_e64 vcc, |v[49:50]|, s[36:37]
	v_add_f64 v[25:26], v[25:26], -v[55:56]
	v_add_f64 v[45:46], v[47:48], v[31:32]
	v_ldexp_f64 v[33:34], v[33:34], 2
	v_add_f64 v[49:50], v[29:30], v[45:46]
	v_cndmask_b32_e32 v34, 0, v34, vcc
	v_cndmask_b32_e32 v33, 0, v33, vcc
	v_add_f64 v[57:58], v[45:46], -v[47:48]
	v_add_f64 v[53:54], v[49:50], v[33:34]
	v_add_f64 v[27:28], v[49:50], -v[29:30]
	v_add_f64 v[59:60], v[45:46], -v[57:58]
	;; [unrolled: 1-line block ×3, first 2 shown]
	v_cmp_gt_f64_e32 vcc, 0, v[53:54]
	v_add_f64 v[53:54], v[47:48], -v[55:56]
	v_add_f64 v[27:28], v[45:46], -v[27:28]
	;; [unrolled: 1-line block ×3, first 2 shown]
	v_cndmask_b32_e32 v18, 0, v40, vcc
	v_add_f64 v[33:34], v[33:34], v[17:18]
	v_add_f64 v[53:54], v[51:52], -v[53:54]
	v_add_f64 v[31:32], v[31:32], v[47:48]
	v_add_f64 v[61:62], v[49:50], v[33:34]
	;; [unrolled: 1-line block ×3, first 2 shown]
	v_cvt_i32_f64_e32 v23, v[61:62]
	v_add_f64 v[25:26], v[25:26], v[31:32]
	v_cvt_f64_i32_e32 v[55:56], v23
	v_add_f64 v[33:34], v[33:34], -v[55:56]
	v_add_f64 v[1:2], v[1:2], v[25:26]
	v_add_f64 v[29:30], v[49:50], v[33:34]
	;; [unrolled: 1-line block ×3, first 2 shown]
	v_add_f64 v[25:26], v[29:30], -v[33:34]
	v_cmp_le_f64_e32 vcc, 0.5, v[29:30]
	v_add_f64 v[25:26], v[49:50], -v[25:26]
	v_cndmask_b32_e32 v18, 0, v41, vcc
	v_add_f64 v[1:2], v[1:2], v[25:26]
	v_add_f64 v[25:26], v[29:30], -v[17:18]
	v_addc_co_u32_e32 v18, vcc, 0, v23, vcc
	v_add_f64 v[27:28], v[25:26], v[1:2]
	v_mul_f64 v[29:30], v[27:28], s[28:29]
	v_add_f64 v[25:26], v[27:28], -v[25:26]
	v_fma_f64 v[31:32], v[27:28], s[28:29], -v[29:30]
	v_add_f64 v[1:2], v[1:2], -v[25:26]
	v_fma_f64 v[25:26], v[27:28], s[86:87], v[31:32]
	v_fma_f64 v[1:2], v[1:2], s[28:29], v[25:26]
	v_add_f64 v[27:28], v[29:30], v[1:2]
	v_add_f64 v[25:26], v[27:28], -v[29:30]
	v_add_f64 v[29:30], v[1:2], -v[25:26]
	s_andn2_saveexec_b64 s[0:1], s[0:1]
	s_cbranch_execnz .LBB247_199
	s_branch .LBB247_200
.LBB247_198:                            ;   in Loop: Header=BB247_4 Depth=1
	s_andn2_saveexec_b64 s[0:1], s[0:1]
	s_cbranch_execz .LBB247_200
.LBB247_199:                            ;   in Loop: Header=BB247_4 Depth=1
	s_mov_b32 s36, 0x6dc9c883
	s_mov_b32 s37, 0x3fe45f30
	v_mul_f64 v[1:2], |v[3:4]|, s[36:37]
	s_mov_b32 s34, s38
	s_mov_b32 s36, 0x252049c0
	;; [unrolled: 1-line block ×3, first 2 shown]
	v_rndne_f64_e32 v[1:2], v[1:2]
	v_fma_f64 v[25:26], v[1:2], s[30:31], |v[3:4]|
	v_mul_f64 v[27:28], v[1:2], s[38:39]
	v_cvt_i32_f64_e32 v18, v[1:2]
	v_add_f64 v[29:30], v[25:26], v[27:28]
	v_add_f64 v[31:32], v[25:26], -v[29:30]
	v_fma_f64 v[25:26], v[1:2], s[38:39], v[25:26]
	v_add_f64 v[31:32], v[31:32], v[27:28]
	v_add_f64 v[29:30], v[29:30], -v[25:26]
	v_fma_f64 v[27:28], v[1:2], s[34:35], v[27:28]
	;; [unrolled: 3-line block ×3, first 2 shown]
	v_add_f64 v[27:28], v[25:26], v[29:30]
	v_add_f64 v[25:26], v[27:28], -v[25:26]
	v_add_f64 v[29:30], v[29:30], -v[25:26]
.LBB247_200:                            ;   in Loop: Header=BB247_4 Depth=1
	s_or_b64 exec, exec, s[0:1]
	v_mul_f64 v[1:2], v[35:36], v[35:36]
	s_mov_b32 s0, 0x9037ab78
	s_mov_b32 s1, 0x3e21eeb6
	v_mov_b32_e32 v46, s1
	v_mov_b32_e32 v45, s0
	s_mov_b32 s0, 0xb42fdfa7
	s_mov_b32 s1, 0xbe5ae600
	v_mul_f64 v[49:50], v[37:38], 0.5
	v_mul_f64 v[25:26], v[1:2], 0.5
	v_fma_f64 v[47:48], v[1:2], s[68:69], v[45:46]
	s_mov_b32 s60, s10
	v_and_b32_e32 v23, 1, v44
	v_cmp_eq_u32_e32 vcc, 0, v23
	v_lshlrev_b32_e32 v23, 30, v44
	v_and_b32_e32 v23, 0x80000000, v23
	v_add_f64 v[31:32], -v[25:26], 1.0
	v_fma_f64 v[47:48], v[1:2], v[47:48], s[70:71]
	v_add_f64 v[33:34], -v[31:32], 1.0
	v_fma_f64 v[47:48], v[1:2], v[47:48], s[72:73]
	v_add_f64 v[25:26], v[33:34], -v[25:26]
	v_fma_f64 v[47:48], v[1:2], v[47:48], s[74:75]
	v_mul_f64 v[33:34], v[1:2], v[1:2]
	v_fma_f64 v[25:26], v[35:36], -v[37:38], v[25:26]
	v_fma_f64 v[47:48], v[1:2], v[47:48], s[10:11]
	v_fma_f64 v[25:26], v[33:34], v[47:48], v[25:26]
	v_mul_f64 v[47:48], v[35:36], -v[1:2]
	v_add_f64 v[25:26], v[31:32], v[25:26]
	v_mov_b32_e32 v32, s1
	v_mov_b32_e32 v31, s0
	v_fma_f64 v[33:34], v[1:2], s[78:79], v[31:32]
	v_fma_f64 v[33:34], v[1:2], v[33:34], s[80:81]
	v_fma_f64 v[33:34], v[1:2], v[33:34], s[82:83]
	v_fma_f64 v[33:34], v[1:2], v[33:34], s[58:59]
	v_fma_f64 v[33:34], v[47:48], v[33:34], v[49:50]
	v_fma_f64 v[1:2], v[1:2], v[33:34], -v[37:38]
	v_fma_f64 v[1:2], v[47:48], s[60:61], v[1:2]
	v_add_f64 v[1:2], v[35:36], -v[1:2]
	v_xor_b32_e32 v2, 0x80000000, v2
	v_cndmask_b32_e32 v1, v1, v25, vcc
	v_cndmask_b32_e32 v2, v2, v26, vcc
	v_cmp_class_f64_e64 vcc, v[3:4], s77
	v_xor_b32_e32 v2, v2, v23
	v_and_b32_e32 v23, 1, v18
	v_cmp_eq_u32_e64 s[0:1], 0, v23
	v_cndmask_b32_e32 v25, 0, v1, vcc
	v_cndmask_b32_e32 v26, v43, v2, vcc
	v_mul_f64 v[1:2], v[27:28], v[27:28]
	v_mul_f64 v[3:4], v[1:2], 0.5
	v_fma_f64 v[37:38], v[1:2], s[68:69], v[45:46]
	v_fma_f64 v[31:32], v[1:2], s[78:79], v[31:32]
	v_add_f64 v[33:34], -v[3:4], 1.0
	v_fma_f64 v[37:38], v[1:2], v[37:38], s[70:71]
	v_fma_f64 v[31:32], v[1:2], v[31:32], s[80:81]
	v_add_f64 v[35:36], -v[33:34], 1.0
	v_fma_f64 v[37:38], v[1:2], v[37:38], s[72:73]
	v_fma_f64 v[31:32], v[1:2], v[31:32], s[82:83]
	v_add_f64 v[3:4], v[35:36], -v[3:4]
	v_fma_f64 v[37:38], v[1:2], v[37:38], s[74:75]
	v_mul_f64 v[35:36], v[1:2], v[1:2]
	v_fma_f64 v[31:32], v[1:2], v[31:32], s[58:59]
	v_fma_f64 v[3:4], v[27:28], -v[29:30], v[3:4]
	v_fma_f64 v[37:38], v[1:2], v[37:38], s[10:11]
	v_fma_f64 v[3:4], v[35:36], v[37:38], v[3:4]
	v_mul_f64 v[35:36], v[29:30], 0.5
	v_add_f64 v[3:4], v[33:34], v[3:4]
	v_mul_f64 v[33:34], v[27:28], -v[1:2]
	v_fma_f64 v[31:32], v[33:34], v[31:32], v[35:36]
	v_fma_f64 v[1:2], v[1:2], v[31:32], -v[29:30]
	v_fma_f64 v[1:2], v[33:34], s[60:61], v[1:2]
	v_add_f64 v[1:2], v[27:28], -v[1:2]
	v_cndmask_b32_e64 v1, v3, v1, s[0:1]
	v_lshlrev_b32_e32 v3, 30, v18
	v_xor_b32_e32 v3, v3, v24
	v_cndmask_b32_e64 v2, v4, v2, s[0:1]
	v_and_b32_e32 v3, 0x80000000, v3
	v_xor_b32_e32 v2, v2, v3
	v_cndmask_b32_e32 v23, 0, v1, vcc
	v_cndmask_b32_e32 v24, v43, v2, vcc
.LBB247_201:                            ;   in Loop: Header=BB247_4 Depth=1
	s_or_b64 exec, exec, s[2:3]
                                        ; implicit-def: $vgpr1_vgpr2
.LBB247_202:                            ;   in Loop: Header=BB247_4 Depth=1
	s_andn2_saveexec_b64 s[2:3], s[22:23]
	s_cbranch_execz .LBB247_204
; %bb.203:                              ;   in Loop: Header=BB247_4 Depth=1
	s_mov_b32 s88, s42
	v_mul_f64 v[3:4], v[1:2], s[88:89]
	s_mov_b32 s91, s59
	s_mov_b32 s93, s11
	v_cmp_ngt_f64_e32 vcc, s[94:95], v[1:2]
	v_cmp_nlt_f64_e64 s[0:1], s[24:25], v[1:2]
	v_rndne_f64_e32 v[3:4], v[3:4]
	v_fma_f64 v[25:26], v[3:4], s[44:45], -v[1:2]
	v_fma_f64 v[25:26], v[3:4], s[46:47], v[25:26]
	v_cvt_i32_f64_e32 v3, v[3:4]
	v_fma_f64 v[27:28], v[25:26], s[48:49], v[19:20]
	v_fma_f64 v[27:28], v[25:26], v[27:28], s[50:51]
	;; [unrolled: 1-line block ×9, first 2 shown]
	v_fma_f64 v[27:28], v[25:26], v[27:28], 1.0
	v_fma_f64 v[25:26], v[25:26], v[27:28], 1.0
	v_ldexp_f64 v[3:4], v[25:26], v3
	v_cndmask_b32_e32 v4, v42, v4, vcc
	s_and_b64 vcc, s[0:1], vcc
	v_cndmask_b32_e64 v26, 0, v4, s[0:1]
	v_cndmask_b32_e32 v25, 0, v3, vcc
.LBB247_204:                            ;   in Loop: Header=BB247_4 Depth=1
	s_or_b64 exec, exec, s[2:3]
	v_add_f64 v[25:26], s[12:13], v[25:26]
	v_add_f64 v[23:24], s[14:15], v[23:24]
	v_cmp_gt_f64_e32 vcc, 0, v[25:26]
	v_xor_b32_e32 v1, 0x80000000, v26
	v_xor_b32_e32 v2, 0x80000000, v24
	v_mov_b32_e32 v27, v25
	v_mov_b32_e32 v29, v23
	v_cndmask_b32_e32 v28, v26, v1, vcc
	v_cmp_gt_f64_e32 vcc, 0, v[23:24]
	v_cndmask_b32_e32 v30, v24, v2, vcc
	v_cmp_ge_f64_e32 vcc, v[27:28], v[29:30]
                                        ; implicit-def: $vgpr3_vgpr4
	s_and_saveexec_b64 s[0:1], vcc
	s_xor_b64 s[2:3], exec, s[0:1]
	s_cbranch_execz .LBB247_210
; %bb.205:                              ;   in Loop: Header=BB247_4 Depth=1
	v_cmp_neq_f64_e32 vcc, 0, v[25:26]
	v_cmp_neq_f64_e64 s[0:1], 0, v[23:24]
                                        ; implicit-def: $vgpr3_vgpr4
	s_or_b64 s[0:1], vcc, s[0:1]
	s_and_saveexec_b64 s[22:23], s[0:1]
	s_xor_b64 s[0:1], exec, s[22:23]
	s_cbranch_execz .LBB247_207
; %bb.206:                              ;   in Loop: Header=BB247_4 Depth=1
	v_div_scale_f64 v[1:2], s[22:23], v[25:26], v[25:26], v[23:24]
	v_rcp_f64_e32 v[3:4], v[1:2]
	v_fma_f64 v[27:28], -v[1:2], v[3:4], 1.0
	v_fma_f64 v[3:4], v[3:4], v[27:28], v[3:4]
	v_div_scale_f64 v[27:28], vcc, v[23:24], v[25:26], v[23:24]
	v_fma_f64 v[29:30], -v[1:2], v[3:4], 1.0
	v_fma_f64 v[3:4], v[3:4], v[29:30], v[3:4]
	v_mul_f64 v[29:30], v[27:28], v[3:4]
	v_fma_f64 v[1:2], -v[1:2], v[29:30], v[27:28]
	v_div_fmas_f64 v[1:2], v[1:2], v[3:4], v[29:30]
	v_div_fixup_f64 v[1:2], v[1:2], v[25:26], v[23:24]
	v_fma_f64 v[3:4], v[23:24], v[1:2], v[25:26]
	v_div_scale_f64 v[23:24], s[22:23], v[3:4], v[3:4], 1.0
	v_rcp_f64_e32 v[25:26], v[23:24]
	v_fma_f64 v[27:28], -v[23:24], v[25:26], 1.0
	v_fma_f64 v[25:26], v[25:26], v[27:28], v[25:26]
	v_div_scale_f64 v[27:28], vcc, 1.0, v[3:4], 1.0
	v_fma_f64 v[29:30], -v[23:24], v[25:26], 1.0
	v_fma_f64 v[25:26], v[25:26], v[29:30], v[25:26]
	v_mul_f64 v[29:30], v[27:28], v[25:26]
	v_fma_f64 v[23:24], -v[23:24], v[29:30], v[27:28]
	v_mov_b32_e32 v28, s15
	v_mov_b32_e32 v27, s14
	v_div_fmas_f64 v[23:24], v[23:24], v[25:26], v[29:30]
	v_mov_b32_e32 v26, s13
	v_mov_b32_e32 v25, s12
	v_fma_f64 v[25:26], s[14:15], v[1:2], v[25:26]
                                        ; implicit-def: $vgpr29_vgpr30
	v_div_fixup_f64 v[3:4], v[23:24], v[3:4], 1.0
	v_fma_f64 v[23:24], -s[12:13], v[1:2], v[27:28]
                                        ; implicit-def: $vgpr27_vgpr28
	v_mul_f64 v[1:2], v[25:26], v[3:4]
	v_mul_f64 v[3:4], v[23:24], v[3:4]
.LBB247_207:                            ;   in Loop: Header=BB247_4 Depth=1
	s_andn2_saveexec_b64 s[22:23], s[0:1]
	s_cbranch_execz .LBB247_209
; %bb.208:                              ;   in Loop: Header=BB247_4 Depth=1
	v_div_scale_f64 v[1:2], s[0:1], v[27:28], v[27:28], s[12:13]
	v_div_scale_f64 v[3:4], s[0:1], v[29:30], v[29:30], s[14:15]
	;; [unrolled: 1-line block ×3, first 2 shown]
	v_rcp_f64_e32 v[23:24], v[1:2]
	v_rcp_f64_e32 v[25:26], v[3:4]
	v_fma_f64 v[31:32], -v[1:2], v[23:24], 1.0
	v_fma_f64 v[33:34], -v[3:4], v[25:26], 1.0
	v_fma_f64 v[23:24], v[23:24], v[31:32], v[23:24]
	v_div_scale_f64 v[31:32], vcc, s[12:13], v[27:28], s[12:13]
	v_fma_f64 v[25:26], v[25:26], v[33:34], v[25:26]
	v_fma_f64 v[33:34], -v[1:2], v[23:24], 1.0
	v_fma_f64 v[37:38], -v[3:4], v[25:26], 1.0
	v_fma_f64 v[23:24], v[23:24], v[33:34], v[23:24]
	v_fma_f64 v[25:26], v[25:26], v[37:38], v[25:26]
	v_mul_f64 v[33:34], v[31:32], v[23:24]
	v_mul_f64 v[37:38], v[35:36], v[25:26]
	v_fma_f64 v[1:2], -v[1:2], v[33:34], v[31:32]
	v_fma_f64 v[3:4], -v[3:4], v[37:38], v[35:36]
	v_div_fmas_f64 v[1:2], v[1:2], v[23:24], v[33:34]
	s_mov_b64 vcc, s[0:1]
	v_div_fmas_f64 v[3:4], v[3:4], v[25:26], v[37:38]
	v_div_fixup_f64 v[1:2], v[1:2], v[27:28], s[12:13]
	v_div_fixup_f64 v[3:4], v[3:4], v[29:30], s[14:15]
.LBB247_209:                            ;   in Loop: Header=BB247_4 Depth=1
	s_or_b64 exec, exec, s[22:23]
                                        ; implicit-def: $vgpr23_vgpr24
                                        ; implicit-def: $vgpr25_vgpr26
.LBB247_210:                            ;   in Loop: Header=BB247_4 Depth=1
	s_andn2_saveexec_b64 s[0:1], s[2:3]
	s_cbranch_execz .LBB247_3
; %bb.211:                              ;   in Loop: Header=BB247_4 Depth=1
	v_div_scale_f64 v[1:2], s[2:3], v[23:24], v[23:24], v[25:26]
	v_rcp_f64_e32 v[3:4], v[1:2]
	v_fma_f64 v[27:28], -v[1:2], v[3:4], 1.0
	v_fma_f64 v[3:4], v[3:4], v[27:28], v[3:4]
	v_div_scale_f64 v[27:28], vcc, v[25:26], v[23:24], v[25:26]
	v_fma_f64 v[29:30], -v[1:2], v[3:4], 1.0
	v_fma_f64 v[3:4], v[3:4], v[29:30], v[3:4]
	v_mul_f64 v[29:30], v[27:28], v[3:4]
	v_fma_f64 v[1:2], -v[1:2], v[29:30], v[27:28]
	v_div_fmas_f64 v[1:2], v[1:2], v[3:4], v[29:30]
	v_div_fixup_f64 v[1:2], v[1:2], v[23:24], v[25:26]
	v_fma_f64 v[3:4], v[25:26], v[1:2], v[23:24]
	v_div_scale_f64 v[23:24], s[2:3], v[3:4], v[3:4], 1.0
	v_rcp_f64_e32 v[25:26], v[23:24]
	v_fma_f64 v[27:28], -v[23:24], v[25:26], 1.0
	v_fma_f64 v[25:26], v[25:26], v[27:28], v[25:26]
	v_div_scale_f64 v[27:28], vcc, 1.0, v[3:4], 1.0
	v_fma_f64 v[29:30], -v[23:24], v[25:26], 1.0
	v_fma_f64 v[25:26], v[25:26], v[29:30], v[25:26]
	v_mul_f64 v[29:30], v[27:28], v[25:26]
	v_fma_f64 v[23:24], -v[23:24], v[29:30], v[27:28]
	v_mov_b32_e32 v28, s13
	v_mov_b32_e32 v27, s12
	v_div_fmas_f64 v[23:24], v[23:24], v[25:26], v[29:30]
	v_mov_b32_e32 v26, s15
	v_mov_b32_e32 v25, s14
	v_fma_f64 v[25:26], s[12:13], v[1:2], v[25:26]
	v_div_fixup_f64 v[3:4], v[23:24], v[3:4], 1.0
	v_fma_f64 v[23:24], s[14:15], v[1:2], -v[27:28]
	v_mul_f64 v[1:2], v[25:26], v[3:4]
	v_mul_f64 v[3:4], v[23:24], v[3:4]
	s_branch .LBB247_3
.LBB247_212:
	v_readlane_b32 s0, v65, 0
	v_readlane_b32 s1, v65, 1
	s_or_b64 exec, exec, s[0:1]
	s_mov_b64 s[0:1], 0
.LBB247_213:
	s_andn2_b64 vcc, exec, s[0:1]
	s_cbranch_vccnz .LBB247_441
; %bb.214:
	v_cmp_lt_i64_e64 s[0:1], s[6:7], 1
	s_and_b64 vcc, exec, s[0:1]
	s_cbranch_vccnz .LBB247_441
; %bb.215:
	v_mov_b32_e32 v1, 0x10000
	v_mov_b32_e32 v2, 0
	s_load_dword s2, s[4:5], 0xc6c
	v_cmp_lt_i64_e32 vcc, s[6:7], v[1:2]
	s_mov_b32 s24, 0x54442d18
	s_and_b64 s[0:1], vcc, exec
	s_cselect_b32 s1, s7, 0
	s_cselect_b32 s0, s6, 0x10000
	v_cmp_lt_u64_e32 vcc, s[6:7], v[1:2]
	v_writelane_b32 v65, s0, 0
	s_waitcnt lgkmcnt(0)
	s_and_b32 s33, s2, 0xffff
	v_writelane_b32 v65, s1, 1
	s_and_b64 s[0:1], vcc, exec
	s_cselect_b32 s23, s7, 0
	s_cselect_b32 s22, s6, 0x10000
	s_lshl_b32 s0, s33, 1
	s_mov_b32 s28, 0x33145c00
	s_mov_b32 s34, 0x652b82fe
	;; [unrolled: 1-line block ×22, first 2 shown]
	v_mov_b32_e32 v17, 0
	v_writelane_b32 v65, s0, 2
	s_lshl_b32 s0, s33, 2
	s_mov_b32 s25, 0xbff921fb
	s_mov_b32 s29, 0xbc91a626
	;; [unrolled: 1-line block ×21, first 2 shown]
	v_mov_b32_e32 v43, 0x40100000
	v_mov_b32_e32 v44, 0x3ff00000
	;; [unrolled: 1-line block ×6, first 2 shown]
	s_mov_b64 s[78:79], 0
	s_mov_b32 s87, 0x3ff921fb
	s_mov_b32 s89, 0x3c91a626
	;; [unrolled: 1-line block ×9, first 2 shown]
	v_writelane_b32 v65, s0, 3
	s_branch .LBB247_217
.LBB247_216:                            ;   in Loop: Header=BB247_217 Depth=1
	s_or_b64 exec, exec, s[0:1]
	v_readlane_b32 s0, v65, 3
	s_add_u32 s78, s78, s0
	v_readlane_b32 s0, v65, 0
	v_readlane_b32 s1, v65, 1
	v_mov_b32_e32 v2, s1
	s_addc_u32 s79, s79, 0
	v_mov_b32_e32 v1, s0
	v_cmp_ge_i64_e32 vcc, s[78:79], v[1:2]
	s_cbranch_vccnz .LBB247_441
.LBB247_217:                            ; =>This Inner Loop Header: Depth=1
	v_mov_b32_e32 v1, s79
	v_add_co_u32_e32 v21, vcc, s78, v0
	v_addc_co_u32_e32 v22, vcc, 0, v1, vcc
	v_cmp_gt_u64_e64 s[0:1], s[22:23], v[21:22]
	v_mov_b32_e32 v15, 0
	v_mov_b32_e32 v7, 0
	;; [unrolled: 1-line block ×6, first 2 shown]
	s_and_saveexec_b64 s[2:3], s[0:1]
	s_cbranch_execz .LBB247_219
; %bb.218:                              ;   in Loop: Header=BB247_217 Depth=1
	v_lshlrev_b64 v[1:2], 4, v[21:22]
	v_mov_b32_e32 v3, s27
	v_add_co_u32_e32 v1, vcc, s26, v1
	v_addc_co_u32_e32 v2, vcc, v3, v2, vcc
	global_load_dwordx4 v[5:8], v[1:2], off
.LBB247_219:                            ;   in Loop: Header=BB247_217 Depth=1
	s_or_b64 exec, exec, s[2:3]
	v_add_co_u32_e32 v23, vcc, s33, v21
	v_addc_co_u32_e32 v24, vcc, 0, v22, vcc
	v_cmp_gt_u64_e64 s[2:3], s[22:23], v[23:24]
	v_mov_b32_e32 v13, 0
	v_mov_b32_e32 v14, 0
	s_and_saveexec_b64 s[4:5], s[2:3]
	s_cbranch_execz .LBB247_221
; %bb.220:                              ;   in Loop: Header=BB247_217 Depth=1
	v_lshlrev_b64 v[1:2], 4, v[23:24]
	v_mov_b32_e32 v3, s27
	v_add_co_u32_e32 v1, vcc, s26, v1
	v_addc_co_u32_e32 v2, vcc, v3, v2, vcc
	global_load_dwordx4 v[13:16], v[1:2], off
.LBB247_221:                            ;   in Loop: Header=BB247_217 Depth=1
	s_or_b64 exec, exec, s[4:5]
	v_readlane_b32 s4, v65, 2
	v_add_co_u32_e32 v25, vcc, s4, v21
	v_addc_co_u32_e32 v26, vcc, 0, v22, vcc
	v_cmp_gt_u64_e64 s[4:5], s[22:23], v[25:26]
	v_mov_b32_e32 v3, 0
	v_mov_b32_e32 v11, 0
	;; [unrolled: 1-line block ×6, first 2 shown]
	s_and_saveexec_b64 s[6:7], s[4:5]
	s_cbranch_execz .LBB247_223
; %bb.222:                              ;   in Loop: Header=BB247_217 Depth=1
	v_lshlrev_b64 v[1:2], 4, v[25:26]
	v_mov_b32_e32 v9, s27
	v_add_co_u32_e32 v1, vcc, s26, v1
	v_addc_co_u32_e32 v2, vcc, v9, v2, vcc
	global_load_dwordx4 v[9:12], v[1:2], off
.LBB247_223:                            ;   in Loop: Header=BB247_217 Depth=1
	s_or_b64 exec, exec, s[6:7]
	s_mul_i32 s6, s33, 3
	v_add_co_u32_e32 v27, vcc, s6, v21
	v_addc_co_u32_e32 v28, vcc, 0, v22, vcc
	v_cmp_gt_u64_e64 s[6:7], s[22:23], v[27:28]
	v_mov_b32_e32 v1, 0
	v_mov_b32_e32 v2, 0
	s_and_saveexec_b64 s[8:9], s[6:7]
	s_cbranch_execz .LBB247_225
; %bb.224:                              ;   in Loop: Header=BB247_217 Depth=1
	v_lshlrev_b64 v[1:2], 4, v[27:28]
	v_mov_b32_e32 v3, s27
	v_add_co_u32_e32 v1, vcc, s26, v1
	v_addc_co_u32_e32 v2, vcc, v3, v2, vcc
	global_load_dwordx4 v[1:4], v[1:2], off
.LBB247_225:                            ;   in Loop: Header=BB247_217 Depth=1
	s_or_b64 exec, exec, s[8:9]
	s_waitcnt vmcnt(0)
	v_xor_b32_e32 v30, 0x80000000, v8
	v_and_b32_e32 v35, 0x7fffffff, v30
	v_or_b32_e32 v18, v35, v7
	v_mov_b32_e32 v29, v7
	v_cmp_ne_u32_e32 vcc, 0, v18
                                        ; implicit-def: $vgpr31_vgpr32
	s_and_saveexec_b64 s[8:9], vcc
	s_xor_b64 s[82:83], exec, s[8:9]
	s_cbranch_execz .LBB247_266
; %bb.226:                              ;   in Loop: Header=BB247_217 Depth=1
	v_xor_b32_e32 v34, 0x80000000, v6
	v_and_b32_e32 v18, 0x7fffffff, v34
	v_or_b32_e32 v29, v18, v5
	v_mov_b32_e32 v33, v5
	v_cmp_ne_u32_e32 vcc, 0, v29
                                        ; implicit-def: $vgpr31_vgpr32
	s_and_saveexec_b64 s[8:9], vcc
	s_xor_b64 s[18:19], exec, s[8:9]
	s_cbranch_execz .LBB247_255
; %bb.227:                              ;   in Loop: Header=BB247_217 Depth=1
	s_mov_b32 s8, 0x7ff00000
	v_cmp_gt_u32_e32 vcc, s8, v35
                                        ; implicit-def: $vgpr31_vgpr32
	s_and_saveexec_b64 s[8:9], vcc
	s_xor_b64 s[58:59], exec, s[8:9]
	s_cbranch_execz .LBB247_248
; %bb.228:                              ;   in Loop: Header=BB247_217 Depth=1
	v_add_u32_e32 v18, 0xbf79d1be, v34
	s_mov_b32 s8, 0x108aa2
	v_cmp_lt_u32_e32 vcc, s8, v18
                                        ; implicit-def: $vgpr31_vgpr32
	s_and_saveexec_b64 s[8:9], vcc
	s_xor_b64 s[10:11], exec, s[8:9]
	s_cbranch_execz .LBB247_238
; %bb.229:                              ;   in Loop: Header=BB247_217 Depth=1
	s_mov_b32 s8, 0
	s_mov_b32 s9, 0x41d00000
	v_cmp_nlt_f64_e64 s[68:69], |v[7:8]|, s[8:9]
                                        ; implicit-def: $vgpr41
                                        ; implicit-def: $vgpr31_vgpr32
                                        ; implicit-def: $vgpr35_vgpr36
	s_and_saveexec_b64 s[8:9], s[68:69]
	s_xor_b64 s[20:21], exec, s[8:9]
	s_cbranch_execz .LBB247_231
; %bb.230:                              ;   in Loop: Header=BB247_217 Depth=1
	v_trig_preop_f64 v[31:32], |v[7:8]|, 0
	s_mov_b32 s8, 0
	s_mov_b32 s9, 0x7b000000
	v_cmp_ge_f64_e64 vcc, |v[7:8]|, s[8:9]
	s_movk_i32 s8, 0xff80
	v_ldexp_f64 v[35:36], |v[7:8]|, s8
	v_trig_preop_f64 v[33:34], |v[7:8]|, 1
	v_and_b32_e32 v18, 0x7fffffff, v8
	s_mov_b32 s8, 0
	s_mov_b32 s9, 0x7ff00000
	;; [unrolled: 1-line block ×4, first 2 shown]
	v_cndmask_b32_e32 v36, v18, v36, vcc
	v_cndmask_b32_e32 v35, v7, v35, vcc
	v_mul_f64 v[39:40], v[31:32], v[35:36]
	v_mul_f64 v[37:38], v[33:34], v[35:36]
	v_fma_f64 v[31:32], v[31:32], v[35:36], -v[39:40]
	v_fma_f64 v[33:34], v[33:34], v[35:36], -v[37:38]
	v_add_f64 v[41:42], v[37:38], v[31:32]
	v_add_f64 v[53:54], v[41:42], -v[37:38]
	v_add_f64 v[47:48], v[39:40], v[41:42]
	v_add_f64 v[31:32], v[31:32], -v[53:54]
	v_add_f64 v[53:54], v[41:42], -v[53:54]
	v_ldexp_f64 v[49:50], v[47:48], -2
	v_add_f64 v[39:40], v[47:48], -v[39:40]
	v_add_f64 v[53:54], v[37:38], -v[53:54]
	v_trig_preop_f64 v[37:38], |v[7:8]|, 2
	v_fract_f64_e32 v[51:52], v[49:50]
	v_add_f64 v[39:40], v[41:42], -v[39:40]
	v_cmp_neq_f64_e64 vcc, |v[49:50]|, s[8:9]
	v_add_f64 v[31:32], v[31:32], v[53:54]
	v_mul_f64 v[53:54], v[37:38], v[35:36]
	v_add_f64 v[55:56], v[53:54], v[33:34]
	v_add_f64 v[57:58], v[55:56], v[31:32]
	v_add_f64 v[47:48], v[57:58], -v[55:56]
	v_add_f64 v[41:42], v[39:40], v[57:58]
	v_add_f64 v[31:32], v[31:32], -v[47:48]
	v_add_f64 v[47:48], v[57:58], -v[47:48]
	;; [unrolled: 1-line block ×5, first 2 shown]
	v_add_f64 v[31:32], v[31:32], v[47:48]
	v_add_f64 v[47:48], v[55:56], -v[53:54]
	v_add_f64 v[33:34], v[33:34], -v[47:48]
	;; [unrolled: 1-line block ×4, first 2 shown]
	v_add_f64 v[33:34], v[33:34], v[47:48]
	v_add_f64 v[31:32], v[33:34], v[31:32]
	v_fma_f64 v[33:34], v[37:38], v[35:36], -v[53:54]
	v_add_f64 v[31:32], v[33:34], v[31:32]
	v_ldexp_f64 v[33:34], v[51:52], 2
	v_add_f64 v[31:32], v[39:40], v[31:32]
	v_cndmask_b32_e32 v34, 0, v34, vcc
	v_cndmask_b32_e32 v33, 0, v33, vcc
	v_add_f64 v[35:36], v[41:42], v[33:34]
	v_cmp_gt_f64_e32 vcc, 0, v[35:36]
	v_cndmask_b32_e32 v18, 0, v43, vcc
	v_add_f64 v[33:34], v[33:34], v[17:18]
	v_add_f64 v[35:36], v[41:42], v[33:34]
	v_cvt_i32_f64_e32 v18, v[35:36]
	v_cvt_f64_i32_e32 v[35:36], v18
	v_add_f64 v[33:34], v[33:34], -v[35:36]
	v_add_f64 v[35:36], v[41:42], v[33:34]
	v_add_f64 v[33:34], v[35:36], -v[33:34]
	v_cmp_le_f64_e32 vcc, 0.5, v[35:36]
	v_add_f64 v[33:34], v[41:42], -v[33:34]
	v_addc_co_u32_e64 v41, s[8:9], 0, v18, vcc
	v_cndmask_b32_e32 v18, 0, v44, vcc
	v_add_f64 v[31:32], v[31:32], v[33:34]
	v_add_f64 v[33:34], v[35:36], -v[17:18]
	v_add_f64 v[35:36], v[33:34], v[31:32]
	v_add_f64 v[33:34], v[35:36], -v[33:34]
	v_add_f64 v[31:32], v[31:32], -v[33:34]
	v_mul_f64 v[33:34], v[35:36], s[86:87]
	v_fma_f64 v[37:38], v[35:36], s[86:87], -v[33:34]
	v_fma_f64 v[35:36], v[35:36], s[90:91], v[37:38]
	v_fma_f64 v[35:36], v[31:32], s[86:87], v[35:36]
	v_add_f64 v[31:32], v[33:34], v[35:36]
	v_add_f64 v[33:34], v[31:32], -v[33:34]
	v_add_f64 v[35:36], v[35:36], -v[33:34]
	s_andn2_saveexec_b64 s[8:9], s[20:21]
	s_cbranch_execz .LBB247_233
	s_branch .LBB247_232
.LBB247_231:                            ;   in Loop: Header=BB247_217 Depth=1
	s_andn2_saveexec_b64 s[8:9], s[20:21]
	s_cbranch_execz .LBB247_233
.LBB247_232:                            ;   in Loop: Header=BB247_217 Depth=1
	s_mov_b32 s20, 0x6dc9c883
	s_mov_b32 s21, 0x3fe45f30
	v_mul_f64 v[31:32], |v[7:8]|, s[20:21]
	s_mov_b32 s88, s28
	s_mov_b32 s20, 0x252049c0
	s_mov_b32 s21, 0xb97b839a
	v_rndne_f64_e32 v[33:34], v[31:32]
	v_fma_f64 v[31:32], v[33:34], s[24:25], |v[7:8]|
	v_mul_f64 v[35:36], v[33:34], s[28:29]
	v_fma_f64 v[41:42], v[33:34], s[28:29], v[31:32]
	v_add_f64 v[37:38], v[31:32], v[35:36]
	v_add_f64 v[39:40], v[31:32], -v[37:38]
	v_add_f64 v[37:38], v[37:38], -v[41:42]
	v_add_f64 v[31:32], v[39:40], v[35:36]
	v_fma_f64 v[35:36], v[33:34], s[88:89], v[35:36]
	v_add_f64 v[31:32], v[37:38], v[31:32]
	v_add_f64 v[31:32], v[31:32], -v[35:36]
	v_fma_f64 v[35:36], v[33:34], s[20:21], v[31:32]
	v_add_f64 v[31:32], v[41:42], v[35:36]
	v_add_f64 v[37:38], v[31:32], -v[41:42]
	v_cvt_i32_f64_e32 v41, v[33:34]
	v_add_f64 v[35:36], v[35:36], -v[37:38]
.LBB247_233:                            ;   in Loop: Header=BB247_217 Depth=1
	s_or_b64 exec, exec, s[8:9]
                                        ; implicit-def: $vgpr29
                                        ; implicit-def: $vgpr33_vgpr34
                                        ; implicit-def: $vgpr37_vgpr38
	s_and_saveexec_b64 s[8:9], s[68:69]
	s_xor_b64 s[20:21], exec, s[8:9]
	s_cbranch_execz .LBB247_235
; %bb.234:                              ;   in Loop: Header=BB247_217 Depth=1
	v_trig_preop_f64 v[33:34], |v[7:8]|, 0
	s_mov_b32 s8, 0
	s_mov_b32 s9, 0x7b000000
	v_cmp_ge_f64_e64 vcc, |v[7:8]|, s[8:9]
	s_movk_i32 s8, 0xff80
	v_ldexp_f64 v[39:40], |v[7:8]|, s8
	v_trig_preop_f64 v[37:38], |v[7:8]|, 1
	v_and_b32_e32 v18, 0x7fffffff, v8
	s_mov_b32 s8, 0
	s_mov_b32 s9, 0x7ff00000
	;; [unrolled: 1-line block ×4, first 2 shown]
	v_cndmask_b32_e32 v40, v18, v40, vcc
	v_cndmask_b32_e32 v39, v7, v39, vcc
	v_mul_f64 v[49:50], v[33:34], v[39:40]
	v_mul_f64 v[47:48], v[37:38], v[39:40]
	v_fma_f64 v[33:34], v[33:34], v[39:40], -v[49:50]
	v_fma_f64 v[37:38], v[37:38], v[39:40], -v[47:48]
	v_add_f64 v[51:52], v[47:48], v[33:34]
	v_add_f64 v[59:60], v[51:52], -v[47:48]
	v_add_f64 v[53:54], v[49:50], v[51:52]
	v_add_f64 v[33:34], v[33:34], -v[59:60]
	v_add_f64 v[59:60], v[51:52], -v[59:60]
	v_ldexp_f64 v[55:56], v[53:54], -2
	v_add_f64 v[49:50], v[53:54], -v[49:50]
	v_add_f64 v[59:60], v[47:48], -v[59:60]
	v_trig_preop_f64 v[47:48], |v[7:8]|, 2
	v_fract_f64_e32 v[57:58], v[55:56]
	v_add_f64 v[49:50], v[51:52], -v[49:50]
	v_cmp_neq_f64_e64 vcc, |v[55:56]|, s[8:9]
	v_add_f64 v[33:34], v[33:34], v[59:60]
	v_mul_f64 v[59:60], v[47:48], v[39:40]
	v_add_f64 v[61:62], v[59:60], v[37:38]
	v_add_f64 v[63:64], v[61:62], v[33:34]
	v_add_f64 v[53:54], v[63:64], -v[61:62]
	v_add_f64 v[51:52], v[49:50], v[63:64]
	v_add_f64 v[33:34], v[33:34], -v[53:54]
	v_add_f64 v[53:54], v[63:64], -v[53:54]
	v_add_f64 v[49:50], v[51:52], -v[49:50]
	v_add_f64 v[53:54], v[61:62], -v[53:54]
	v_add_f64 v[49:50], v[63:64], -v[49:50]
	v_add_f64 v[33:34], v[33:34], v[53:54]
	v_add_f64 v[53:54], v[61:62], -v[59:60]
	v_add_f64 v[37:38], v[37:38], -v[53:54]
	;; [unrolled: 1-line block ×4, first 2 shown]
	v_add_f64 v[37:38], v[37:38], v[53:54]
	v_add_f64 v[33:34], v[37:38], v[33:34]
	v_fma_f64 v[37:38], v[47:48], v[39:40], -v[59:60]
	v_add_f64 v[33:34], v[37:38], v[33:34]
	v_ldexp_f64 v[37:38], v[57:58], 2
	v_add_f64 v[33:34], v[49:50], v[33:34]
	v_cndmask_b32_e32 v38, 0, v38, vcc
	v_cndmask_b32_e32 v37, 0, v37, vcc
	v_add_f64 v[39:40], v[51:52], v[37:38]
	v_cmp_gt_f64_e32 vcc, 0, v[39:40]
	v_cndmask_b32_e32 v18, 0, v43, vcc
	v_add_f64 v[37:38], v[37:38], v[17:18]
	v_add_f64 v[39:40], v[51:52], v[37:38]
	v_cvt_i32_f64_e32 v18, v[39:40]
	v_cvt_f64_i32_e32 v[39:40], v18
	v_add_f64 v[37:38], v[37:38], -v[39:40]
	v_add_f64 v[39:40], v[51:52], v[37:38]
	v_add_f64 v[37:38], v[39:40], -v[37:38]
	v_cmp_le_f64_e32 vcc, 0.5, v[39:40]
	v_add_f64 v[37:38], v[51:52], -v[37:38]
	v_addc_co_u32_e64 v29, s[8:9], 0, v18, vcc
	v_cndmask_b32_e32 v18, 0, v44, vcc
	v_add_f64 v[33:34], v[33:34], v[37:38]
	v_add_f64 v[37:38], v[39:40], -v[17:18]
	v_add_f64 v[39:40], v[37:38], v[33:34]
	v_add_f64 v[37:38], v[39:40], -v[37:38]
	v_add_f64 v[33:34], v[33:34], -v[37:38]
	v_mul_f64 v[37:38], v[39:40], s[86:87]
	v_fma_f64 v[47:48], v[39:40], s[86:87], -v[37:38]
	v_fma_f64 v[39:40], v[39:40], s[90:91], v[47:48]
	v_fma_f64 v[39:40], v[33:34], s[86:87], v[39:40]
	v_add_f64 v[33:34], v[37:38], v[39:40]
	v_add_f64 v[37:38], v[33:34], -v[37:38]
	v_add_f64 v[37:38], v[39:40], -v[37:38]
	s_andn2_saveexec_b64 s[8:9], s[20:21]
	s_cbranch_execnz .LBB247_236
	s_branch .LBB247_237
.LBB247_235:                            ;   in Loop: Header=BB247_217 Depth=1
	s_andn2_saveexec_b64 s[8:9], s[20:21]
	s_cbranch_execz .LBB247_237
.LBB247_236:                            ;   in Loop: Header=BB247_217 Depth=1
	s_mov_b32 s20, 0x6dc9c883
	s_mov_b32 s21, 0x3fe45f30
	v_mul_f64 v[33:34], |v[7:8]|, s[20:21]
	s_mov_b32 s88, s28
	s_mov_b32 s20, 0x252049c0
	;; [unrolled: 1-line block ×3, first 2 shown]
	v_rndne_f64_e32 v[39:40], v[33:34]
	v_fma_f64 v[33:34], v[39:40], s[24:25], |v[7:8]|
	v_mul_f64 v[37:38], v[39:40], s[28:29]
	v_cvt_i32_f64_e32 v29, v[39:40]
	v_fma_f64 v[51:52], v[39:40], s[28:29], v[33:34]
	v_add_f64 v[47:48], v[33:34], v[37:38]
	v_add_f64 v[49:50], v[33:34], -v[47:48]
	v_add_f64 v[47:48], v[47:48], -v[51:52]
	v_add_f64 v[33:34], v[49:50], v[37:38]
	v_fma_f64 v[37:38], v[39:40], s[88:89], v[37:38]
	v_add_f64 v[33:34], v[47:48], v[33:34]
	v_add_f64 v[33:34], v[33:34], -v[37:38]
	v_fma_f64 v[37:38], v[39:40], s[20:21], v[33:34]
	v_add_f64 v[33:34], v[51:52], v[37:38]
	v_add_f64 v[47:48], v[33:34], -v[51:52]
	v_add_f64 v[37:38], v[37:38], -v[47:48]
.LBB247_237:                            ;   in Loop: Header=BB247_217 Depth=1
	s_or_b64 exec, exec, s[8:9]
	s_mov_b32 s92, s34
	v_mul_f64 v[39:40], v[5:6], s[92:93]
	s_mov_b32 s95, s51
	s_mov_b32 s53, s81
	v_cmp_ngt_f64_e32 vcc, s[16:17], v[5:6]
	v_cmp_nlt_f64_e64 s[8:9], s[30:31], v[5:6]
	v_mul_f64 v[57:58], v[35:36], 0.5
	s_mov_b32 s76, s80
	v_rndne_f64_e32 v[39:40], v[39:40]
	v_fma_f64 v[47:48], v[39:40], s[36:37], -v[5:6]
	v_cvt_i32_f64_e32 v18, v[39:40]
	v_fma_f64 v[47:48], v[39:40], s[38:39], v[47:48]
	v_fma_f64 v[49:50], v[47:48], s[40:41], v[19:20]
	;; [unrolled: 1-line block ×10, first 2 shown]
	v_fma_f64 v[49:50], v[47:48], v[49:50], 1.0
	v_fma_f64 v[47:48], v[47:48], v[49:50], 1.0
	v_ldexp_f64 v[39:40], v[47:48], v18
	v_mul_f64 v[47:48], v[31:32], v[31:32]
	v_cndmask_b32_e32 v18, v45, v40, vcc
	s_and_b64 vcc, s[8:9], vcc
	v_cndmask_b32_e64 v6, 0, v18, s[8:9]
	s_mov_b32 s8, 0x9037ab78
	s_mov_b32 s9, 0x3e21eeb6
	v_mov_b32_e32 v54, s9
	v_mov_b32_e32 v53, s8
	v_cndmask_b32_e32 v5, 0, v39, vcc
	v_mul_f64 v[39:40], v[47:48], 0.5
	v_fma_f64 v[55:56], v[47:48], s[60:61], v[53:54]
	s_mov_b32 s8, 0xb42fdfa7
	s_mov_b32 s9, 0xbe5ae600
	v_add_f64 v[49:50], -v[39:40], 1.0
	v_fma_f64 v[55:56], v[47:48], v[55:56], s[62:63]
	v_add_f64 v[51:52], -v[49:50], 1.0
	v_fma_f64 v[55:56], v[47:48], v[55:56], s[64:65]
	v_add_f64 v[39:40], v[51:52], -v[39:40]
	v_fma_f64 v[55:56], v[47:48], v[55:56], s[66:67]
	v_mul_f64 v[51:52], v[47:48], v[47:48]
	v_fma_f64 v[39:40], v[31:32], -v[35:36], v[39:40]
	v_fma_f64 v[55:56], v[47:48], v[55:56], s[80:81]
	v_fma_f64 v[39:40], v[51:52], v[55:56], v[39:40]
	v_mul_f64 v[55:56], v[31:32], -v[47:48]
	v_add_f64 v[49:50], v[49:50], v[39:40]
	v_mov_b32_e32 v40, s9
	v_mov_b32_e32 v39, s8
	v_fma_f64 v[51:52], v[47:48], s[70:71], v[39:40]
	s_movk_i32 s8, 0x1f8
	v_fma_f64 v[51:52], v[47:48], v[51:52], s[72:73]
	v_fma_f64 v[51:52], v[47:48], v[51:52], s[74:75]
	;; [unrolled: 1-line block ×4, first 2 shown]
	v_fma_f64 v[35:36], v[47:48], v[51:52], -v[35:36]
	v_fma_f64 v[35:36], v[55:56], s[76:77], v[35:36]
	v_add_f64 v[31:32], v[31:32], -v[35:36]
	v_mul_f64 v[35:36], v[33:34], v[33:34]
	v_xor_b32_e32 v18, 0x80000000, v32
	v_and_b32_e32 v32, 1, v41
	v_cmp_eq_u32_e32 vcc, 0, v32
	v_cndmask_b32_e32 v31, v31, v49, vcc
	v_cndmask_b32_e32 v18, v18, v50, vcc
	v_cmp_class_f64_e64 vcc, v[7:8], s8
	v_lshlrev_b32_e32 v32, 30, v41
	v_and_b32_e32 v32, 0x80000000, v32
	v_xor_b32_e32 v18, v18, v32
	v_fma_f64 v[49:50], v[35:36], s[60:61], v[53:54]
	v_fma_f64 v[39:40], v[35:36], s[70:71], v[39:40]
	v_cndmask_b32_e32 v7, 0, v31, vcc
	v_cndmask_b32_e32 v8, v46, v18, vcc
	v_mul_f64 v[31:32], v[5:6], v[7:8]
	v_mul_f64 v[7:8], v[35:36], 0.5
	v_fma_f64 v[49:50], v[35:36], v[49:50], s[62:63]
	v_fma_f64 v[39:40], v[35:36], v[39:40], s[72:73]
	v_and_b32_e32 v18, 1, v29
	v_cmp_eq_u32_e64 s[8:9], 0, v18
	v_lshlrev_b32_e32 v18, 30, v29
	v_xor_b32_e32 v18, v18, v30
	v_and_b32_e32 v18, 0x80000000, v18
	v_add_f64 v[41:42], -v[7:8], 1.0
	v_fma_f64 v[49:50], v[35:36], v[49:50], s[64:65]
	v_fma_f64 v[39:40], v[35:36], v[39:40], s[74:75]
	v_add_f64 v[47:48], -v[41:42], 1.0
	v_fma_f64 v[49:50], v[35:36], v[49:50], s[66:67]
	v_fma_f64 v[39:40], v[35:36], v[39:40], s[50:51]
	v_add_f64 v[7:8], v[47:48], -v[7:8]
	v_mul_f64 v[47:48], v[35:36], v[35:36]
	v_fma_f64 v[49:50], v[35:36], v[49:50], s[80:81]
	v_fma_f64 v[7:8], v[33:34], -v[37:38], v[7:8]
	v_fma_f64 v[7:8], v[47:48], v[49:50], v[7:8]
	v_mul_f64 v[47:48], v[37:38], 0.5
	v_add_f64 v[7:8], v[41:42], v[7:8]
	v_mul_f64 v[41:42], v[33:34], -v[35:36]
	v_fma_f64 v[39:40], v[41:42], v[39:40], v[47:48]
	v_fma_f64 v[35:36], v[35:36], v[39:40], -v[37:38]
	v_fma_f64 v[35:36], v[41:42], s[76:77], v[35:36]
	v_add_f64 v[33:34], v[33:34], -v[35:36]
	v_cndmask_b32_e64 v8, v8, v34, s[8:9]
	v_cndmask_b32_e64 v7, v7, v33, s[8:9]
	v_xor_b32_e32 v8, v8, v18
	v_cndmask_b32_e32 v7, 0, v7, vcc
	v_cndmask_b32_e32 v8, v46, v8, vcc
	v_mul_f64 v[29:30], v[5:6], v[7:8]
                                        ; implicit-def: $vgpr7_vgpr8
.LBB247_238:                            ;   in Loop: Header=BB247_217 Depth=1
	s_andn2_saveexec_b64 s[68:69], s[10:11]
	s_cbranch_execz .LBB247_282
; %bb.239:                              ;   in Loop: Header=BB247_217 Depth=1
	s_mov_b32 s8, 0
	s_mov_b32 s9, 0x41d00000
	v_cmp_nlt_f64_e64 s[10:11], |v[7:8]|, s[8:9]
                                        ; implicit-def: $vgpr47
                                        ; implicit-def: $vgpr31_vgpr32
                                        ; implicit-def: $vgpr39_vgpr40
	s_and_saveexec_b64 s[8:9], s[10:11]
	s_xor_b64 s[20:21], exec, s[8:9]
	s_cbranch_execz .LBB247_241
; %bb.240:                              ;   in Loop: Header=BB247_217 Depth=1
	v_trig_preop_f64 v[31:32], |v[7:8]|, 0
	s_mov_b32 s8, 0
	s_mov_b32 s9, 0x7b000000
	v_cmp_ge_f64_e64 vcc, |v[7:8]|, s[8:9]
	s_movk_i32 s8, 0xff80
	v_ldexp_f64 v[35:36], |v[7:8]|, s8
	v_trig_preop_f64 v[33:34], |v[7:8]|, 1
	v_and_b32_e32 v18, 0x7fffffff, v8
	s_mov_b32 s8, 0
	s_mov_b32 s9, 0x7ff00000
	;; [unrolled: 1-line block ×4, first 2 shown]
	v_cndmask_b32_e32 v36, v18, v36, vcc
	v_cndmask_b32_e32 v35, v7, v35, vcc
	v_mul_f64 v[39:40], v[31:32], v[35:36]
	v_mul_f64 v[37:38], v[33:34], v[35:36]
	v_fma_f64 v[31:32], v[31:32], v[35:36], -v[39:40]
	v_fma_f64 v[33:34], v[33:34], v[35:36], -v[37:38]
	v_add_f64 v[41:42], v[37:38], v[31:32]
	v_add_f64 v[53:54], v[41:42], -v[37:38]
	v_add_f64 v[47:48], v[39:40], v[41:42]
	v_add_f64 v[31:32], v[31:32], -v[53:54]
	v_add_f64 v[53:54], v[41:42], -v[53:54]
	v_ldexp_f64 v[49:50], v[47:48], -2
	v_add_f64 v[39:40], v[47:48], -v[39:40]
	v_add_f64 v[53:54], v[37:38], -v[53:54]
	v_trig_preop_f64 v[37:38], |v[7:8]|, 2
	v_fract_f64_e32 v[51:52], v[49:50]
	v_add_f64 v[39:40], v[41:42], -v[39:40]
	v_cmp_neq_f64_e64 vcc, |v[49:50]|, s[8:9]
	v_add_f64 v[31:32], v[31:32], v[53:54]
	v_mul_f64 v[53:54], v[37:38], v[35:36]
	v_add_f64 v[55:56], v[53:54], v[33:34]
	v_add_f64 v[57:58], v[55:56], v[31:32]
	v_add_f64 v[47:48], v[57:58], -v[55:56]
	v_add_f64 v[41:42], v[39:40], v[57:58]
	v_add_f64 v[31:32], v[31:32], -v[47:48]
	v_add_f64 v[47:48], v[57:58], -v[47:48]
	;; [unrolled: 1-line block ×5, first 2 shown]
	v_add_f64 v[31:32], v[31:32], v[47:48]
	v_add_f64 v[47:48], v[55:56], -v[53:54]
	v_add_f64 v[33:34], v[33:34], -v[47:48]
	;; [unrolled: 1-line block ×4, first 2 shown]
	v_add_f64 v[33:34], v[33:34], v[47:48]
	v_add_f64 v[31:32], v[33:34], v[31:32]
	v_fma_f64 v[33:34], v[37:38], v[35:36], -v[53:54]
	v_add_f64 v[31:32], v[33:34], v[31:32]
	v_ldexp_f64 v[33:34], v[51:52], 2
	v_add_f64 v[31:32], v[39:40], v[31:32]
	v_cndmask_b32_e32 v34, 0, v34, vcc
	v_cndmask_b32_e32 v33, 0, v33, vcc
	v_add_f64 v[35:36], v[41:42], v[33:34]
	v_cmp_gt_f64_e32 vcc, 0, v[35:36]
	v_cndmask_b32_e32 v18, 0, v43, vcc
	v_add_f64 v[33:34], v[33:34], v[17:18]
	v_add_f64 v[35:36], v[41:42], v[33:34]
	v_cvt_i32_f64_e32 v18, v[35:36]
	v_cvt_f64_i32_e32 v[35:36], v18
	v_add_f64 v[33:34], v[33:34], -v[35:36]
	v_add_f64 v[35:36], v[41:42], v[33:34]
	v_add_f64 v[33:34], v[35:36], -v[33:34]
	v_cmp_le_f64_e32 vcc, 0.5, v[35:36]
	v_add_f64 v[33:34], v[41:42], -v[33:34]
	v_addc_co_u32_e64 v47, s[8:9], 0, v18, vcc
	v_cndmask_b32_e32 v18, 0, v44, vcc
	v_add_f64 v[31:32], v[31:32], v[33:34]
	v_add_f64 v[33:34], v[35:36], -v[17:18]
	v_add_f64 v[35:36], v[33:34], v[31:32]
	v_add_f64 v[33:34], v[35:36], -v[33:34]
	v_add_f64 v[31:32], v[31:32], -v[33:34]
	v_mul_f64 v[33:34], v[35:36], s[86:87]
	v_fma_f64 v[37:38], v[35:36], s[86:87], -v[33:34]
	v_fma_f64 v[35:36], v[35:36], s[90:91], v[37:38]
	v_fma_f64 v[35:36], v[31:32], s[86:87], v[35:36]
	v_add_f64 v[31:32], v[33:34], v[35:36]
	v_add_f64 v[33:34], v[31:32], -v[33:34]
	v_add_f64 v[39:40], v[35:36], -v[33:34]
	s_andn2_saveexec_b64 s[8:9], s[20:21]
	s_cbranch_execz .LBB247_243
	s_branch .LBB247_242
.LBB247_241:                            ;   in Loop: Header=BB247_217 Depth=1
	s_andn2_saveexec_b64 s[8:9], s[20:21]
	s_cbranch_execz .LBB247_243
.LBB247_242:                            ;   in Loop: Header=BB247_217 Depth=1
	s_mov_b32 s20, 0x6dc9c883
	s_mov_b32 s21, 0x3fe45f30
	v_mul_f64 v[31:32], |v[7:8]|, s[20:21]
	s_mov_b32 s88, s28
	s_mov_b32 s20, 0x252049c0
	;; [unrolled: 1-line block ×3, first 2 shown]
	v_rndne_f64_e32 v[33:34], v[31:32]
	v_fma_f64 v[31:32], v[33:34], s[24:25], |v[7:8]|
	v_mul_f64 v[35:36], v[33:34], s[28:29]
	v_cvt_i32_f64_e32 v47, v[33:34]
	v_fma_f64 v[41:42], v[33:34], s[28:29], v[31:32]
	v_add_f64 v[37:38], v[31:32], v[35:36]
	v_add_f64 v[39:40], v[31:32], -v[37:38]
	v_add_f64 v[37:38], v[37:38], -v[41:42]
	v_add_f64 v[31:32], v[39:40], v[35:36]
	v_fma_f64 v[35:36], v[33:34], s[88:89], v[35:36]
	v_add_f64 v[31:32], v[37:38], v[31:32]
	v_add_f64 v[31:32], v[31:32], -v[35:36]
	v_fma_f64 v[35:36], v[33:34], s[20:21], v[31:32]
	v_add_f64 v[31:32], v[41:42], v[35:36]
	v_add_f64 v[37:38], v[31:32], -v[41:42]
	v_add_f64 v[39:40], v[35:36], -v[37:38]
.LBB247_243:                            ;   in Loop: Header=BB247_217 Depth=1
	s_or_b64 exec, exec, s[8:9]
                                        ; implicit-def: $vgpr29
                                        ; implicit-def: $vgpr33_vgpr34
                                        ; implicit-def: $vgpr35_vgpr36
	s_and_saveexec_b64 s[8:9], s[10:11]
	s_xor_b64 s[10:11], exec, s[8:9]
	s_cbranch_execz .LBB247_245
; %bb.244:                              ;   in Loop: Header=BB247_217 Depth=1
	v_trig_preop_f64 v[33:34], |v[7:8]|, 0
	s_mov_b32 s8, 0
	s_mov_b32 s9, 0x7b000000
	v_cmp_ge_f64_e64 vcc, |v[7:8]|, s[8:9]
	s_movk_i32 s8, 0xff80
	v_ldexp_f64 v[37:38], |v[7:8]|, s8
	v_trig_preop_f64 v[35:36], |v[7:8]|, 1
	v_and_b32_e32 v18, 0x7fffffff, v8
	s_mov_b32 s8, 0
	s_mov_b32 s9, 0x7ff00000
	;; [unrolled: 1-line block ×4, first 2 shown]
	v_cndmask_b32_e32 v38, v18, v38, vcc
	v_cndmask_b32_e32 v37, v7, v37, vcc
	v_mul_f64 v[48:49], v[33:34], v[37:38]
	v_mul_f64 v[41:42], v[35:36], v[37:38]
	v_fma_f64 v[33:34], v[33:34], v[37:38], -v[48:49]
	v_fma_f64 v[35:36], v[35:36], v[37:38], -v[41:42]
	v_add_f64 v[50:51], v[41:42], v[33:34]
	v_add_f64 v[58:59], v[50:51], -v[41:42]
	v_add_f64 v[52:53], v[48:49], v[50:51]
	v_add_f64 v[33:34], v[33:34], -v[58:59]
	v_add_f64 v[58:59], v[50:51], -v[58:59]
	v_ldexp_f64 v[54:55], v[52:53], -2
	v_add_f64 v[48:49], v[52:53], -v[48:49]
	v_add_f64 v[58:59], v[41:42], -v[58:59]
	v_trig_preop_f64 v[41:42], |v[7:8]|, 2
	v_fract_f64_e32 v[56:57], v[54:55]
	v_add_f64 v[48:49], v[50:51], -v[48:49]
	v_cmp_neq_f64_e64 vcc, |v[54:55]|, s[8:9]
	v_add_f64 v[33:34], v[33:34], v[58:59]
	v_mul_f64 v[58:59], v[41:42], v[37:38]
	v_add_f64 v[60:61], v[58:59], v[35:36]
	v_add_f64 v[62:63], v[60:61], v[33:34]
	v_add_f64 v[52:53], v[62:63], -v[60:61]
	v_add_f64 v[50:51], v[48:49], v[62:63]
	v_add_f64 v[33:34], v[33:34], -v[52:53]
	v_add_f64 v[52:53], v[62:63], -v[52:53]
	;; [unrolled: 1-line block ×5, first 2 shown]
	v_add_f64 v[33:34], v[33:34], v[52:53]
	v_add_f64 v[52:53], v[60:61], -v[58:59]
	v_add_f64 v[35:36], v[35:36], -v[52:53]
	;; [unrolled: 1-line block ×4, first 2 shown]
	v_add_f64 v[35:36], v[35:36], v[52:53]
	v_add_f64 v[33:34], v[35:36], v[33:34]
	v_fma_f64 v[35:36], v[41:42], v[37:38], -v[58:59]
	v_add_f64 v[33:34], v[35:36], v[33:34]
	v_ldexp_f64 v[35:36], v[56:57], 2
	v_add_f64 v[33:34], v[48:49], v[33:34]
	v_cndmask_b32_e32 v36, 0, v36, vcc
	v_cndmask_b32_e32 v35, 0, v35, vcc
	v_add_f64 v[37:38], v[50:51], v[35:36]
	v_cmp_gt_f64_e32 vcc, 0, v[37:38]
	v_cndmask_b32_e32 v18, 0, v43, vcc
	v_add_f64 v[35:36], v[35:36], v[17:18]
	v_add_f64 v[37:38], v[50:51], v[35:36]
	v_cvt_i32_f64_e32 v18, v[37:38]
	v_cvt_f64_i32_e32 v[37:38], v18
	v_add_f64 v[35:36], v[35:36], -v[37:38]
	v_add_f64 v[37:38], v[50:51], v[35:36]
	v_add_f64 v[35:36], v[37:38], -v[35:36]
	v_cmp_le_f64_e32 vcc, 0.5, v[37:38]
	v_add_f64 v[35:36], v[50:51], -v[35:36]
	v_addc_co_u32_e64 v29, s[8:9], 0, v18, vcc
	v_cndmask_b32_e32 v18, 0, v44, vcc
	v_add_f64 v[33:34], v[33:34], v[35:36]
	v_add_f64 v[35:36], v[37:38], -v[17:18]
	v_add_f64 v[37:38], v[35:36], v[33:34]
	v_add_f64 v[35:36], v[37:38], -v[35:36]
	v_add_f64 v[33:34], v[33:34], -v[35:36]
	v_mul_f64 v[35:36], v[37:38], s[86:87]
	v_fma_f64 v[41:42], v[37:38], s[86:87], -v[35:36]
	v_fma_f64 v[37:38], v[37:38], s[90:91], v[41:42]
	v_fma_f64 v[37:38], v[33:34], s[86:87], v[37:38]
	v_add_f64 v[33:34], v[35:36], v[37:38]
	v_add_f64 v[35:36], v[33:34], -v[35:36]
	v_add_f64 v[35:36], v[37:38], -v[35:36]
	s_andn2_saveexec_b64 s[8:9], s[10:11]
	s_cbranch_execnz .LBB247_246
	s_branch .LBB247_247
.LBB247_245:                            ;   in Loop: Header=BB247_217 Depth=1
	s_andn2_saveexec_b64 s[8:9], s[10:11]
	s_cbranch_execz .LBB247_247
.LBB247_246:                            ;   in Loop: Header=BB247_217 Depth=1
	s_mov_b32 s10, 0x6dc9c883
	s_mov_b32 s11, 0x3fe45f30
	v_mul_f64 v[33:34], |v[7:8]|, s[10:11]
	s_mov_b32 s88, s28
	s_mov_b32 s10, 0x252049c0
	;; [unrolled: 1-line block ×3, first 2 shown]
	v_rndne_f64_e32 v[37:38], v[33:34]
	v_fma_f64 v[33:34], v[37:38], s[24:25], |v[7:8]|
	v_mul_f64 v[35:36], v[37:38], s[28:29]
	v_cvt_i32_f64_e32 v29, v[37:38]
	v_fma_f64 v[50:51], v[37:38], s[28:29], v[33:34]
	v_add_f64 v[41:42], v[33:34], v[35:36]
	v_add_f64 v[48:49], v[33:34], -v[41:42]
	v_add_f64 v[41:42], v[41:42], -v[50:51]
	v_add_f64 v[33:34], v[48:49], v[35:36]
	v_fma_f64 v[35:36], v[37:38], s[88:89], v[35:36]
	v_add_f64 v[33:34], v[41:42], v[33:34]
	v_add_f64 v[33:34], v[33:34], -v[35:36]
	v_fma_f64 v[35:36], v[37:38], s[10:11], v[33:34]
	v_add_f64 v[33:34], v[50:51], v[35:36]
	v_add_f64 v[41:42], v[33:34], -v[50:51]
	v_add_f64 v[35:36], v[35:36], -v[41:42]
.LBB247_247:                            ;   in Loop: Header=BB247_217 Depth=1
	s_or_b64 exec, exec, s[8:9]
	s_movk_i32 s8, 0x1f8
	v_cmp_class_f64_e64 vcc, v[7:8], s8
	v_and_b32_e32 v7, 1, v47
	v_cmp_eq_u32_e64 s[8:9], 0, v7
	v_mul_f64 v[7:8], v[31:32], v[31:32]
	s_mov_b32 s10, 0x9037ab78
	s_mov_b32 s11, 0x3e21eeb6
	v_mov_b32_e32 v42, s11
	v_mov_b32_e32 v41, s10
	s_mov_b32 s10, 0xb42fdfa7
	s_mov_b32 s11, 0xbe5ae600
	;; [unrolled: 1-line block ×3, first 2 shown]
	v_mul_f64 v[37:38], v[7:8], 0.5
	v_fma_f64 v[52:53], v[7:8], s[60:61], v[41:42]
	v_mul_f64 v[50:51], v[7:8], v[7:8]
	v_lshlrev_b32_e32 v18, 30, v47
	v_and_b32_e32 v18, 0x80000000, v18
	s_mov_b32 s95, s51
	s_mov_b32 s53, s81
	v_add_f64 v[48:49], -v[37:38], 1.0
	v_fma_f64 v[52:53], v[7:8], v[52:53], s[62:63]
	v_add_f64 v[54:55], -v[48:49], 1.0
	v_fma_f64 v[52:53], v[7:8], v[52:53], s[64:65]
	v_add_f64 v[37:38], v[54:55], -v[37:38]
	v_fma_f64 v[52:53], v[7:8], v[52:53], s[66:67]
	v_mul_f64 v[54:55], v[39:40], 0.5
	v_fma_f64 v[37:38], v[31:32], -v[39:40], v[37:38]
	v_fma_f64 v[52:53], v[7:8], v[52:53], s[80:81]
	v_fma_f64 v[37:38], v[50:51], v[52:53], v[37:38]
	v_mul_f64 v[50:51], v[31:32], -v[7:8]
	v_add_f64 v[48:49], v[48:49], v[37:38]
	v_mov_b32_e32 v38, s11
	v_mov_b32_e32 v37, s10
	v_fma_f64 v[52:53], v[7:8], s[70:71], v[37:38]
	s_mov_b32 s10, 0
	s_mov_b32 s11, 0xc090cc00
	v_fma_f64 v[52:53], v[7:8], v[52:53], s[72:73]
	v_fma_f64 v[52:53], v[7:8], v[52:53], s[74:75]
	;; [unrolled: 1-line block ×4, first 2 shown]
	v_fma_f64 v[7:8], v[7:8], v[52:53], -v[39:40]
	v_fma_f64 v[7:8], v[50:51], s[76:77], v[7:8]
	v_add_f64 v[7:8], v[31:32], -v[7:8]
	v_xor_b32_e32 v8, 0x80000000, v8
	v_cndmask_b32_e64 v7, v7, v48, s[8:9]
	v_cndmask_b32_e64 v8, v8, v49, s[8:9]
	s_mov_b32 s8, 0x19ba0da4
	s_mov_b32 s9, 0xc0937be3
	v_add_f64 v[5:6], -v[5:6], s[8:9]
	v_xor_b32_e32 v8, v8, v18
	v_cndmask_b32_e32 v31, 0, v7, vcc
	v_cndmask_b32_e32 v32, v46, v8, vcc
	s_mov_b32 s8, 0
	s_mov_b32 s9, 0x40900000
	v_mul_f64 v[7:8], v[5:6], s[34:35]
	v_cmp_nlt_f64_e64 s[8:9], s[8:9], v[5:6]
	v_cmp_ngt_f64_e64 s[10:11], s[10:11], v[5:6]
	v_rndne_f64_e32 v[7:8], v[7:8]
	v_fma_f64 v[39:40], v[7:8], s[36:37], v[5:6]
	v_fma_f64 v[39:40], v[7:8], s[38:39], v[39:40]
	v_cvt_i32_f64_e32 v7, v[7:8]
	v_fma_f64 v[47:48], v[39:40], s[40:41], v[19:20]
	v_fma_f64 v[47:48], v[39:40], v[47:48], s[42:43]
	;; [unrolled: 1-line block ×9, first 2 shown]
	v_fma_f64 v[47:48], v[39:40], v[47:48], 1.0
	v_fma_f64 v[39:40], v[39:40], v[47:48], 1.0
	v_mul_f64 v[47:48], v[33:34], v[33:34]
	v_ldexp_f64 v[7:8], v[39:40], v7
	v_fma_f64 v[41:42], v[47:48], s[60:61], v[41:42]
	v_fma_f64 v[37:38], v[47:48], s[70:71], v[37:38]
	v_cndmask_b32_e64 v8, v45, v8, s[8:9]
	v_cndmask_b32_e64 v18, 0, v8, s[10:11]
	s_and_b64 s[8:9], s[10:11], s[8:9]
	v_and_b32_e32 v5, 0xfffff, v18
	v_cndmask_b32_e64 v7, 0, v7, s[8:9]
	v_or_b32_e32 v8, 0x7fe00000, v5
	v_mul_f64 v[5:6], v[7:8], v[31:32]
	v_lshrrev_b32_e32 v18, 20, v18
	v_add_u32_e32 v39, 0xffffff09, v18
	v_lshrrev_b16_e32 v18, 15, v39
	v_add_u16_e32 v18, v39, v18
	v_ashrrev_i16_e32 v18, 1, v18
	v_bfe_i32 v40, v18, 0, 16
	v_lshl_add_u32 v18, v40, 20, v44
	v_mul_f64 v[31:32], v[5:6], v[17:18]
	v_sub_u32_e32 v5, v39, v40
	v_mul_f64 v[39:40], v[47:48], 0.5
	v_fma_f64 v[41:42], v[47:48], v[41:42], s[62:63]
	v_fma_f64 v[37:38], v[47:48], v[37:38], s[72:73]
	v_lshl_add_u32 v6, v5, 20, v44
	v_mov_b32_e32 v5, v17
	v_mul_f64 v[31:32], v[31:32], v[5:6]
	v_add_f64 v[49:50], -v[39:40], 1.0
	v_fma_f64 v[41:42], v[47:48], v[41:42], s[64:65]
	v_fma_f64 v[37:38], v[47:48], v[37:38], s[74:75]
	v_add_f64 v[51:52], -v[49:50], 1.0
	v_fma_f64 v[41:42], v[47:48], v[41:42], s[66:67]
	v_fma_f64 v[37:38], v[47:48], v[37:38], s[50:51]
	v_add_f64 v[39:40], v[51:52], -v[39:40]
	v_mul_f64 v[51:52], v[47:48], v[47:48]
	v_fma_f64 v[41:42], v[47:48], v[41:42], s[80:81]
	v_fma_f64 v[39:40], v[33:34], -v[35:36], v[39:40]
	v_fma_f64 v[39:40], v[51:52], v[41:42], v[39:40]
	v_mul_f64 v[41:42], v[33:34], -v[47:48]
	v_add_f64 v[39:40], v[49:50], v[39:40]
	v_mul_f64 v[49:50], v[35:36], 0.5
	v_fma_f64 v[37:38], v[41:42], v[37:38], v[49:50]
	v_fma_f64 v[35:36], v[47:48], v[37:38], -v[35:36]
	v_fma_f64 v[35:36], v[41:42], s[76:77], v[35:36]
	v_add_f64 v[33:34], v[33:34], -v[35:36]
	v_and_b32_e32 v35, 1, v29
	v_lshlrev_b32_e32 v29, 30, v29
	v_cmp_eq_u32_e64 s[8:9], 0, v35
	v_xor_b32_e32 v29, v29, v30
	v_and_b32_e32 v29, 0x80000000, v29
	v_cndmask_b32_e64 v34, v40, v34, s[8:9]
	v_cndmask_b32_e64 v33, v39, v33, s[8:9]
	v_xor_b32_e32 v30, v34, v29
	v_cndmask_b32_e32 v29, 0, v33, vcc
	v_cndmask_b32_e32 v30, v46, v30, vcc
	v_mul_f64 v[7:8], v[7:8], v[29:30]
	v_mul_f64 v[7:8], v[7:8], v[17:18]
	;; [unrolled: 1-line block ×3, first 2 shown]
	s_or_b64 exec, exec, s[68:69]
                                        ; implicit-def: $vgpr33_vgpr34
                                        ; implicit-def: $vgpr7_vgpr8
                                        ; implicit-def: $vgpr18
.LBB247_248:                            ;   in Loop: Header=BB247_217 Depth=1
	s_andn2_saveexec_b64 s[10:11], s[58:59]
	s_cbranch_execz .LBB247_254
.LBB247_249:                            ;   in Loop: Header=BB247_217 Depth=1
	s_mov_b32 s8, 0x7ff00000
	v_cmp_ne_u32_e32 vcc, 0, v5
	v_cmp_ne_u32_e64 s[8:9], s8, v18
	s_or_b64 s[8:9], vcc, s[8:9]
                                        ; implicit-def: $vgpr29_vgpr30
	s_and_saveexec_b64 s[20:21], s[8:9]
	s_xor_b64 s[8:9], exec, s[20:21]
; %bb.250:                              ;   in Loop: Header=BB247_217 Depth=1
	v_add_f64 v[29:30], v[7:8], -v[7:8]
                                        ; implicit-def: $vgpr33_vgpr34
                                        ; implicit-def: $vgpr7_vgpr8
; %bb.251:                              ;   in Loop: Header=BB247_217 Depth=1
	s_or_saveexec_b64 s[8:9], s[8:9]
	v_mov_b32_e32 v32, v30
	v_mov_b32_e32 v31, v29
	s_xor_b64 exec, exec, s[8:9]
	s_cbranch_execz .LBB247_253
; %bb.252:                              ;   in Loop: Header=BB247_217 Depth=1
	v_add_f64 v[6:7], v[7:8], -v[7:8]
	v_cmp_lt_i64_e32 vcc, -1, v[33:34]
	v_cndmask_b32_e32 v32, 0, v34, vcc
	v_cndmask_b32_e32 v31, 0, v5, vcc
	;; [unrolled: 1-line block ×4, first 2 shown]
.LBB247_253:                            ;   in Loop: Header=BB247_217 Depth=1
	s_or_b64 exec, exec, s[8:9]
.LBB247_254:                            ;   in Loop: Header=BB247_217 Depth=1
	s_or_b64 exec, exec, s[10:11]
                                        ; implicit-def: $vgpr7_vgpr8
.LBB247_255:                            ;   in Loop: Header=BB247_217 Depth=1
	s_andn2_saveexec_b64 s[10:11], s[18:19]
	s_cbranch_execz .LBB247_265
; %bb.256:                              ;   in Loop: Header=BB247_217 Depth=1
	s_mov_b32 s8, 0
	s_mov_b32 s9, 0x41d00000
	v_cmp_nlt_f64_e64 s[8:9], |v[7:8]|, s[8:9]
                                        ; implicit-def: $vgpr39
                                        ; implicit-def: $vgpr31_vgpr32
                                        ; implicit-def: $vgpr33_vgpr34
	s_and_saveexec_b64 s[18:19], s[8:9]
	s_xor_b64 s[18:19], exec, s[18:19]
	s_cbranch_execz .LBB247_258
; %bb.257:                              ;   in Loop: Header=BB247_217 Depth=1
	v_trig_preop_f64 v[5:6], |v[7:8]|, 0
	s_movk_i32 s20, 0xff80
	v_ldexp_f64 v[31:32], |v[7:8]|, s20
	s_mov_b32 s20, 0
	s_mov_b32 s21, 0x7b000000
	v_cmp_ge_f64_e64 vcc, |v[7:8]|, s[20:21]
	v_trig_preop_f64 v[33:34], |v[7:8]|, 1
	v_and_b32_e32 v18, 0x7fffffff, v8
	v_trig_preop_f64 v[41:42], |v[7:8]|, 2
	s_mov_b32 s20, 0
	s_mov_b32 s21, 0x7ff00000
	;; [unrolled: 1-line block ×4, first 2 shown]
	v_cndmask_b32_e32 v32, v18, v32, vcc
	v_cndmask_b32_e32 v31, v7, v31, vcc
	v_mul_f64 v[35:36], v[5:6], v[31:32]
	v_mul_f64 v[37:38], v[33:34], v[31:32]
	;; [unrolled: 1-line block ×3, first 2 shown]
	v_fma_f64 v[5:6], v[5:6], v[31:32], -v[35:36]
	v_fma_f64 v[33:34], v[33:34], v[31:32], -v[37:38]
	;; [unrolled: 1-line block ×3, first 2 shown]
	v_add_f64 v[39:40], v[37:38], v[5:6]
	v_add_f64 v[47:48], v[39:40], -v[37:38]
	v_add_f64 v[53:54], v[35:36], v[39:40]
	v_add_f64 v[49:50], v[39:40], -v[47:48]
	v_add_f64 v[5:6], v[5:6], -v[47:48]
	v_add_f64 v[47:48], v[51:52], v[33:34]
	v_add_f64 v[35:36], v[53:54], -v[35:36]
	v_add_f64 v[37:38], v[37:38], -v[49:50]
	v_ldexp_f64 v[49:50], v[53:54], -2
	v_add_f64 v[55:56], v[47:48], -v[51:52]
	v_add_f64 v[35:36], v[39:40], -v[35:36]
	v_add_f64 v[5:6], v[5:6], v[37:38]
	v_fract_f64_e32 v[37:38], v[49:50]
	v_cmp_neq_f64_e64 vcc, |v[49:50]|, s[20:21]
	v_add_f64 v[33:34], v[33:34], -v[55:56]
	v_add_f64 v[39:40], v[47:48], v[5:6]
	v_ldexp_f64 v[37:38], v[37:38], 2
	v_add_f64 v[49:50], v[35:36], v[39:40]
	v_cndmask_b32_e32 v38, 0, v38, vcc
	v_cndmask_b32_e32 v37, 0, v37, vcc
	v_add_f64 v[57:58], v[39:40], -v[47:48]
	v_add_f64 v[53:54], v[49:50], v[37:38]
	v_add_f64 v[35:36], v[49:50], -v[35:36]
	v_add_f64 v[59:60], v[39:40], -v[57:58]
	;; [unrolled: 1-line block ×3, first 2 shown]
	v_cmp_gt_f64_e32 vcc, 0, v[53:54]
	v_add_f64 v[53:54], v[47:48], -v[55:56]
	v_add_f64 v[35:36], v[39:40], -v[35:36]
	;; [unrolled: 1-line block ×3, first 2 shown]
	v_cndmask_b32_e32 v18, 0, v43, vcc
	v_add_f64 v[37:38], v[37:38], v[17:18]
	v_add_f64 v[53:54], v[51:52], -v[53:54]
	v_add_f64 v[5:6], v[5:6], v[47:48]
	v_add_f64 v[61:62], v[49:50], v[37:38]
	;; [unrolled: 1-line block ×3, first 2 shown]
	v_cvt_i32_f64_e32 v29, v[61:62]
	v_add_f64 v[5:6], v[33:34], v[5:6]
	v_cvt_f64_i32_e32 v[55:56], v29
	v_add_f64 v[37:38], v[37:38], -v[55:56]
	v_add_f64 v[5:6], v[31:32], v[5:6]
	v_add_f64 v[33:34], v[49:50], v[37:38]
	;; [unrolled: 1-line block ×3, first 2 shown]
	v_add_f64 v[31:32], v[33:34], -v[37:38]
	v_cmp_le_f64_e32 vcc, 0.5, v[33:34]
	v_add_f64 v[31:32], v[49:50], -v[31:32]
	v_cndmask_b32_e32 v18, 0, v44, vcc
	v_addc_co_u32_e32 v39, vcc, 0, v29, vcc
	v_add_f64 v[5:6], v[5:6], v[31:32]
	v_add_f64 v[31:32], v[33:34], -v[17:18]
	v_add_f64 v[33:34], v[31:32], v[5:6]
	v_mul_f64 v[35:36], v[33:34], s[86:87]
	v_add_f64 v[31:32], v[33:34], -v[31:32]
	v_fma_f64 v[37:38], v[33:34], s[86:87], -v[35:36]
	v_add_f64 v[5:6], v[5:6], -v[31:32]
	v_fma_f64 v[31:32], v[33:34], s[90:91], v[37:38]
	v_fma_f64 v[5:6], v[5:6], s[86:87], v[31:32]
	v_add_f64 v[31:32], v[35:36], v[5:6]
	v_add_f64 v[33:34], v[31:32], -v[35:36]
	v_add_f64 v[33:34], v[5:6], -v[33:34]
	s_andn2_saveexec_b64 s[18:19], s[18:19]
	s_cbranch_execz .LBB247_260
	s_branch .LBB247_259
.LBB247_258:                            ;   in Loop: Header=BB247_217 Depth=1
	s_andn2_saveexec_b64 s[18:19], s[18:19]
	s_cbranch_execz .LBB247_260
.LBB247_259:                            ;   in Loop: Header=BB247_217 Depth=1
	s_mov_b32 s20, 0x6dc9c883
	s_mov_b32 s21, 0x3fe45f30
	v_mul_f64 v[5:6], |v[7:8]|, s[20:21]
	s_mov_b32 s88, s28
	s_mov_b32 s20, 0x252049c0
	;; [unrolled: 1-line block ×3, first 2 shown]
	v_rndne_f64_e32 v[5:6], v[5:6]
	v_fma_f64 v[31:32], v[5:6], s[24:25], |v[7:8]|
	v_mul_f64 v[33:34], v[5:6], s[28:29]
	v_fma_f64 v[39:40], v[5:6], s[28:29], v[31:32]
	v_add_f64 v[35:36], v[31:32], v[33:34]
	v_add_f64 v[37:38], v[31:32], -v[35:36]
	v_add_f64 v[35:36], v[35:36], -v[39:40]
	v_add_f64 v[31:32], v[37:38], v[33:34]
	v_fma_f64 v[33:34], v[5:6], s[88:89], v[33:34]
	v_add_f64 v[31:32], v[35:36], v[31:32]
	v_add_f64 v[31:32], v[31:32], -v[33:34]
	v_fma_f64 v[33:34], v[5:6], s[20:21], v[31:32]
	v_add_f64 v[31:32], v[39:40], v[33:34]
	v_add_f64 v[35:36], v[31:32], -v[39:40]
	v_cvt_i32_f64_e32 v39, v[5:6]
	v_add_f64 v[33:34], v[33:34], -v[35:36]
.LBB247_260:                            ;   in Loop: Header=BB247_217 Depth=1
	s_or_b64 exec, exec, s[18:19]
                                        ; implicit-def: $vgpr29
                                        ; implicit-def: $vgpr5_vgpr6
                                        ; implicit-def: $vgpr35_vgpr36
	s_and_saveexec_b64 s[18:19], s[8:9]
	s_xor_b64 s[18:19], exec, s[18:19]
	s_cbranch_execz .LBB247_262
; %bb.261:                              ;   in Loop: Header=BB247_217 Depth=1
	v_trig_preop_f64 v[5:6], |v[7:8]|, 0
	s_mov_b32 s8, 0
	s_mov_b32 s9, 0x7b000000
	v_cmp_ge_f64_e64 vcc, |v[7:8]|, s[8:9]
	s_movk_i32 s8, 0xff80
	v_ldexp_f64 v[37:38], |v[7:8]|, s8
	v_trig_preop_f64 v[35:36], |v[7:8]|, 1
	v_and_b32_e32 v18, 0x7fffffff, v8
	s_mov_b32 s8, 0
	s_mov_b32 s9, 0x7ff00000
	;; [unrolled: 1-line block ×4, first 2 shown]
	v_cndmask_b32_e32 v38, v18, v38, vcc
	v_cndmask_b32_e32 v37, v7, v37, vcc
	v_mul_f64 v[47:48], v[5:6], v[37:38]
	v_mul_f64 v[40:41], v[35:36], v[37:38]
	v_fma_f64 v[5:6], v[5:6], v[37:38], -v[47:48]
	v_fma_f64 v[35:36], v[35:36], v[37:38], -v[40:41]
	v_add_f64 v[49:50], v[40:41], v[5:6]
	v_add_f64 v[57:58], v[49:50], -v[40:41]
	v_add_f64 v[51:52], v[47:48], v[49:50]
	v_add_f64 v[5:6], v[5:6], -v[57:58]
	v_add_f64 v[57:58], v[49:50], -v[57:58]
	v_ldexp_f64 v[53:54], v[51:52], -2
	v_add_f64 v[47:48], v[51:52], -v[47:48]
	v_add_f64 v[57:58], v[40:41], -v[57:58]
	v_trig_preop_f64 v[40:41], |v[7:8]|, 2
	v_fract_f64_e32 v[55:56], v[53:54]
	v_add_f64 v[47:48], v[49:50], -v[47:48]
	v_cmp_neq_f64_e64 vcc, |v[53:54]|, s[8:9]
	v_add_f64 v[5:6], v[5:6], v[57:58]
	v_mul_f64 v[57:58], v[40:41], v[37:38]
	v_add_f64 v[59:60], v[57:58], v[35:36]
	v_add_f64 v[61:62], v[59:60], v[5:6]
	v_add_f64 v[51:52], v[61:62], -v[59:60]
	v_add_f64 v[49:50], v[47:48], v[61:62]
	v_add_f64 v[5:6], v[5:6], -v[51:52]
	v_add_f64 v[51:52], v[61:62], -v[51:52]
	v_add_f64 v[47:48], v[49:50], -v[47:48]
	v_add_f64 v[51:52], v[59:60], -v[51:52]
	v_add_f64 v[47:48], v[61:62], -v[47:48]
	v_add_f64 v[5:6], v[5:6], v[51:52]
	v_add_f64 v[51:52], v[59:60], -v[57:58]
	v_add_f64 v[35:36], v[35:36], -v[51:52]
	;; [unrolled: 1-line block ×4, first 2 shown]
	v_add_f64 v[35:36], v[35:36], v[51:52]
	v_add_f64 v[5:6], v[35:36], v[5:6]
	v_fma_f64 v[35:36], v[40:41], v[37:38], -v[57:58]
	v_add_f64 v[5:6], v[35:36], v[5:6]
	v_ldexp_f64 v[35:36], v[55:56], 2
	v_add_f64 v[5:6], v[47:48], v[5:6]
	v_cndmask_b32_e32 v36, 0, v36, vcc
	v_cndmask_b32_e32 v35, 0, v35, vcc
	v_add_f64 v[37:38], v[49:50], v[35:36]
	v_cmp_gt_f64_e32 vcc, 0, v[37:38]
	v_cndmask_b32_e32 v18, 0, v43, vcc
	v_add_f64 v[35:36], v[35:36], v[17:18]
	v_add_f64 v[37:38], v[49:50], v[35:36]
	v_cvt_i32_f64_e32 v18, v[37:38]
	v_cvt_f64_i32_e32 v[37:38], v18
	v_add_f64 v[35:36], v[35:36], -v[37:38]
	v_add_f64 v[37:38], v[49:50], v[35:36]
	v_add_f64 v[35:36], v[37:38], -v[35:36]
	v_cmp_le_f64_e32 vcc, 0.5, v[37:38]
	v_add_f64 v[35:36], v[49:50], -v[35:36]
	v_addc_co_u32_e64 v29, s[8:9], 0, v18, vcc
	v_cndmask_b32_e32 v18, 0, v44, vcc
	v_add_f64 v[5:6], v[5:6], v[35:36]
	v_add_f64 v[35:36], v[37:38], -v[17:18]
	v_add_f64 v[37:38], v[35:36], v[5:6]
	v_add_f64 v[35:36], v[37:38], -v[35:36]
	v_add_f64 v[5:6], v[5:6], -v[35:36]
	v_mul_f64 v[35:36], v[37:38], s[86:87]
	v_fma_f64 v[40:41], v[37:38], s[86:87], -v[35:36]
	v_fma_f64 v[37:38], v[37:38], s[90:91], v[40:41]
	v_fma_f64 v[37:38], v[5:6], s[86:87], v[37:38]
	v_add_f64 v[5:6], v[35:36], v[37:38]
	v_add_f64 v[35:36], v[5:6], -v[35:36]
	v_add_f64 v[35:36], v[37:38], -v[35:36]
	s_andn2_saveexec_b64 s[8:9], s[18:19]
	s_cbranch_execnz .LBB247_263
	s_branch .LBB247_264
.LBB247_262:                            ;   in Loop: Header=BB247_217 Depth=1
	s_andn2_saveexec_b64 s[8:9], s[18:19]
	s_cbranch_execz .LBB247_264
.LBB247_263:                            ;   in Loop: Header=BB247_217 Depth=1
	s_mov_b32 s18, 0x6dc9c883
	s_mov_b32 s19, 0x3fe45f30
	v_mul_f64 v[5:6], |v[7:8]|, s[18:19]
	s_mov_b32 s88, s28
	s_mov_b32 s18, 0x252049c0
	;; [unrolled: 1-line block ×3, first 2 shown]
	v_rndne_f64_e32 v[37:38], v[5:6]
	v_fma_f64 v[5:6], v[37:38], s[24:25], |v[7:8]|
	v_mul_f64 v[35:36], v[37:38], s[28:29]
	v_cvt_i32_f64_e32 v29, v[37:38]
	v_fma_f64 v[49:50], v[37:38], s[28:29], v[5:6]
	v_add_f64 v[40:41], v[5:6], v[35:36]
	v_add_f64 v[47:48], v[5:6], -v[40:41]
	v_add_f64 v[40:41], v[40:41], -v[49:50]
	v_add_f64 v[5:6], v[47:48], v[35:36]
	v_fma_f64 v[35:36], v[37:38], s[88:89], v[35:36]
	v_add_f64 v[5:6], v[40:41], v[5:6]
	v_add_f64 v[5:6], v[5:6], -v[35:36]
	v_fma_f64 v[35:36], v[37:38], s[18:19], v[5:6]
	v_add_f64 v[5:6], v[49:50], v[35:36]
	v_add_f64 v[40:41], v[5:6], -v[49:50]
	v_add_f64 v[35:36], v[35:36], -v[40:41]
.LBB247_264:                            ;   in Loop: Header=BB247_217 Depth=1
	s_or_b64 exec, exec, s[8:9]
	v_mul_f64 v[40:41], v[31:32], v[31:32]
	s_mov_b32 s8, 0x9037ab78
	s_mov_b32 s9, 0x3e21eeb6
	v_mov_b32_e32 v52, s9
	v_mov_b32_e32 v51, s8
	s_mov_b32 s8, 0xb42fdfa7
	s_mov_b32 s9, 0xbe5ae600
	v_mul_f64 v[55:56], v[33:34], 0.5
	v_mul_f64 v[37:38], v[40:41], 0.5
	v_fma_f64 v[53:54], v[40:41], s[60:61], v[51:52]
	s_mov_b32 s76, s80
	v_add_f64 v[47:48], -v[37:38], 1.0
	v_fma_f64 v[53:54], v[40:41], v[53:54], s[62:63]
	v_add_f64 v[49:50], -v[47:48], 1.0
	v_fma_f64 v[53:54], v[40:41], v[53:54], s[64:65]
	v_add_f64 v[37:38], v[49:50], -v[37:38]
	v_fma_f64 v[53:54], v[40:41], v[53:54], s[66:67]
	v_mul_f64 v[49:50], v[40:41], v[40:41]
	v_fma_f64 v[37:38], v[31:32], -v[33:34], v[37:38]
	v_fma_f64 v[53:54], v[40:41], v[53:54], s[80:81]
	v_fma_f64 v[37:38], v[49:50], v[53:54], v[37:38]
	v_mul_f64 v[53:54], v[31:32], -v[40:41]
	v_add_f64 v[47:48], v[47:48], v[37:38]
	v_mov_b32_e32 v38, s9
	v_mov_b32_e32 v37, s8
	v_fma_f64 v[49:50], v[40:41], s[70:71], v[37:38]
	s_movk_i32 s8, 0x1f8
	v_fma_f64 v[49:50], v[40:41], v[49:50], s[72:73]
	v_fma_f64 v[49:50], v[40:41], v[49:50], s[74:75]
	;; [unrolled: 1-line block ×4, first 2 shown]
	v_fma_f64 v[33:34], v[40:41], v[49:50], -v[33:34]
	v_fma_f64 v[33:34], v[53:54], s[76:77], v[33:34]
	v_add_f64 v[31:32], v[31:32], -v[33:34]
	v_xor_b32_e32 v18, 0x80000000, v32
	v_and_b32_e32 v32, 1, v39
	v_cmp_eq_u32_e32 vcc, 0, v32
	v_cndmask_b32_e32 v31, v31, v47, vcc
	v_cndmask_b32_e32 v18, v18, v48, vcc
	v_cmp_class_f64_e64 vcc, v[7:8], s8
	v_mul_f64 v[7:8], v[5:6], v[5:6]
	v_lshlrev_b32_e32 v32, 30, v39
	v_and_b32_e32 v32, 0x80000000, v32
	v_xor_b32_e32 v18, v18, v32
	v_cndmask_b32_e32 v31, 0, v31, vcc
	v_mul_f64 v[33:34], v[7:8], 0.5
	v_fma_f64 v[47:48], v[7:8], s[60:61], v[51:52]
	v_fma_f64 v[37:38], v[7:8], s[70:71], v[37:38]
	v_cndmask_b32_e32 v32, v46, v18, vcc
	v_add_f64 v[39:40], -v[33:34], 1.0
	v_fma_f64 v[47:48], v[7:8], v[47:48], s[62:63]
	v_fma_f64 v[37:38], v[7:8], v[37:38], s[72:73]
	v_add_f64 v[41:42], -v[39:40], 1.0
	v_fma_f64 v[47:48], v[7:8], v[47:48], s[64:65]
	v_fma_f64 v[37:38], v[7:8], v[37:38], s[74:75]
	v_add_f64 v[33:34], v[41:42], -v[33:34]
	v_fma_f64 v[47:48], v[7:8], v[47:48], s[66:67]
	v_mul_f64 v[41:42], v[7:8], v[7:8]
	v_fma_f64 v[37:38], v[7:8], v[37:38], s[50:51]
	v_fma_f64 v[33:34], v[5:6], -v[35:36], v[33:34]
	v_fma_f64 v[47:48], v[7:8], v[47:48], s[80:81]
	v_fma_f64 v[33:34], v[41:42], v[47:48], v[33:34]
	v_mul_f64 v[41:42], v[35:36], 0.5
	v_add_f64 v[33:34], v[39:40], v[33:34]
	v_mul_f64 v[39:40], v[5:6], -v[7:8]
	v_fma_f64 v[37:38], v[39:40], v[37:38], v[41:42]
	v_fma_f64 v[7:8], v[7:8], v[37:38], -v[35:36]
	v_fma_f64 v[7:8], v[39:40], s[76:77], v[7:8]
	v_add_f64 v[5:6], v[5:6], -v[7:8]
	v_and_b32_e32 v7, 1, v29
	v_cmp_eq_u32_e64 s[8:9], 0, v7
	v_lshlrev_b32_e32 v7, 30, v29
	v_xor_b32_e32 v7, v7, v30
	v_and_b32_e32 v7, 0x80000000, v7
	v_cndmask_b32_e64 v6, v34, v6, s[8:9]
	v_cndmask_b32_e64 v5, v33, v5, s[8:9]
	v_xor_b32_e32 v6, v6, v7
	v_cndmask_b32_e32 v29, 0, v5, vcc
	v_cndmask_b32_e32 v30, v46, v6, vcc
.LBB247_265:                            ;   in Loop: Header=BB247_217 Depth=1
	s_or_b64 exec, exec, s[10:11]
                                        ; implicit-def: $vgpr5_vgpr6
.LBB247_266:                            ;   in Loop: Header=BB247_217 Depth=1
	s_andn2_saveexec_b64 s[10:11], s[82:83]
	s_cbranch_execz .LBB247_268
; %bb.267:                              ;   in Loop: Header=BB247_217 Depth=1
	s_mov_b32 s92, s34
	v_mul_f64 v[7:8], v[5:6], s[92:93]
	s_mov_b32 s95, s51
	s_mov_b32 s53, s81
	v_cmp_ngt_f64_e32 vcc, s[16:17], v[5:6]
	v_cmp_nlt_f64_e64 s[8:9], s[30:31], v[5:6]
	v_rndne_f64_e32 v[7:8], v[7:8]
	v_fma_f64 v[31:32], v[7:8], s[36:37], -v[5:6]
	v_fma_f64 v[31:32], v[7:8], s[38:39], v[31:32]
	v_cvt_i32_f64_e32 v7, v[7:8]
	v_fma_f64 v[33:34], v[31:32], s[40:41], v[19:20]
	v_fma_f64 v[33:34], v[31:32], v[33:34], s[42:43]
	;; [unrolled: 1-line block ×9, first 2 shown]
	v_fma_f64 v[33:34], v[31:32], v[33:34], 1.0
	v_fma_f64 v[31:32], v[31:32], v[33:34], 1.0
	v_ldexp_f64 v[7:8], v[31:32], v7
	v_cndmask_b32_e32 v8, v45, v8, vcc
	s_and_b64 vcc, s[8:9], vcc
	v_cndmask_b32_e64 v32, 0, v8, s[8:9]
	v_cndmask_b32_e32 v31, 0, v7, vcc
.LBB247_268:                            ;   in Loop: Header=BB247_217 Depth=1
	s_or_b64 exec, exec, s[10:11]
	v_add_f64 v[31:32], s[12:13], v[31:32]
	v_add_f64 v[29:30], s[14:15], v[29:30]
	v_cmp_gt_f64_e32 vcc, 0, v[31:32]
	v_xor_b32_e32 v5, 0x80000000, v32
	v_xor_b32_e32 v6, 0x80000000, v30
	v_mov_b32_e32 v33, v31
	v_mov_b32_e32 v35, v29
	v_cndmask_b32_e32 v34, v32, v5, vcc
	v_cmp_gt_f64_e32 vcc, 0, v[29:30]
	v_cndmask_b32_e32 v36, v30, v6, vcc
	v_cmp_ge_f64_e32 vcc, v[33:34], v[35:36]
                                        ; implicit-def: $vgpr7_vgpr8
	s_and_saveexec_b64 s[8:9], vcc
	s_xor_b64 s[10:11], exec, s[8:9]
	s_cbranch_execz .LBB247_274
; %bb.269:                              ;   in Loop: Header=BB247_217 Depth=1
	v_cmp_neq_f64_e32 vcc, 0, v[31:32]
	v_cmp_neq_f64_e64 s[8:9], 0, v[29:30]
                                        ; implicit-def: $vgpr7_vgpr8
	s_or_b64 s[8:9], vcc, s[8:9]
	s_and_saveexec_b64 s[18:19], s[8:9]
	s_xor_b64 s[8:9], exec, s[18:19]
	s_cbranch_execz .LBB247_271
; %bb.270:                              ;   in Loop: Header=BB247_217 Depth=1
	v_div_scale_f64 v[5:6], s[18:19], v[31:32], v[31:32], v[29:30]
	v_rcp_f64_e32 v[7:8], v[5:6]
	v_fma_f64 v[33:34], -v[5:6], v[7:8], 1.0
	v_fma_f64 v[7:8], v[7:8], v[33:34], v[7:8]
	v_div_scale_f64 v[33:34], vcc, v[29:30], v[31:32], v[29:30]
	v_fma_f64 v[35:36], -v[5:6], v[7:8], 1.0
	v_fma_f64 v[7:8], v[7:8], v[35:36], v[7:8]
	v_mul_f64 v[35:36], v[33:34], v[7:8]
	v_fma_f64 v[5:6], -v[5:6], v[35:36], v[33:34]
	v_div_fmas_f64 v[5:6], v[5:6], v[7:8], v[35:36]
	v_div_fixup_f64 v[5:6], v[5:6], v[31:32], v[29:30]
	v_fma_f64 v[7:8], v[29:30], v[5:6], v[31:32]
	v_div_scale_f64 v[29:30], s[18:19], v[7:8], v[7:8], 1.0
	v_rcp_f64_e32 v[31:32], v[29:30]
	v_fma_f64 v[33:34], -v[29:30], v[31:32], 1.0
	v_fma_f64 v[31:32], v[31:32], v[33:34], v[31:32]
	v_div_scale_f64 v[33:34], vcc, 1.0, v[7:8], 1.0
	v_fma_f64 v[35:36], -v[29:30], v[31:32], 1.0
	v_fma_f64 v[31:32], v[31:32], v[35:36], v[31:32]
	v_mul_f64 v[35:36], v[33:34], v[31:32]
	v_fma_f64 v[29:30], -v[29:30], v[35:36], v[33:34]
	v_mov_b32_e32 v34, s15
	v_mov_b32_e32 v33, s14
	v_div_fmas_f64 v[29:30], v[29:30], v[31:32], v[35:36]
	v_mov_b32_e32 v32, s13
	v_mov_b32_e32 v31, s12
	v_fma_f64 v[31:32], s[14:15], v[5:6], v[31:32]
                                        ; implicit-def: $vgpr35_vgpr36
	v_div_fixup_f64 v[7:8], v[29:30], v[7:8], 1.0
	v_fma_f64 v[29:30], -s[12:13], v[5:6], v[33:34]
                                        ; implicit-def: $vgpr33_vgpr34
	v_mul_f64 v[5:6], v[31:32], v[7:8]
	v_mul_f64 v[7:8], v[29:30], v[7:8]
.LBB247_271:                            ;   in Loop: Header=BB247_217 Depth=1
	s_andn2_saveexec_b64 s[18:19], s[8:9]
	s_cbranch_execz .LBB247_273
; %bb.272:                              ;   in Loop: Header=BB247_217 Depth=1
	v_div_scale_f64 v[5:6], s[8:9], v[33:34], v[33:34], s[12:13]
	v_div_scale_f64 v[7:8], s[8:9], v[35:36], v[35:36], s[14:15]
	;; [unrolled: 1-line block ×3, first 2 shown]
	v_rcp_f64_e32 v[29:30], v[5:6]
	v_rcp_f64_e32 v[31:32], v[7:8]
	v_fma_f64 v[37:38], -v[5:6], v[29:30], 1.0
	v_fma_f64 v[39:40], -v[7:8], v[31:32], 1.0
	v_fma_f64 v[29:30], v[29:30], v[37:38], v[29:30]
	v_div_scale_f64 v[37:38], vcc, s[12:13], v[33:34], s[12:13]
	v_fma_f64 v[31:32], v[31:32], v[39:40], v[31:32]
	v_fma_f64 v[39:40], -v[5:6], v[29:30], 1.0
	v_fma_f64 v[47:48], -v[7:8], v[31:32], 1.0
	v_fma_f64 v[29:30], v[29:30], v[39:40], v[29:30]
	v_fma_f64 v[31:32], v[31:32], v[47:48], v[31:32]
	v_mul_f64 v[39:40], v[37:38], v[29:30]
	v_mul_f64 v[47:48], v[41:42], v[31:32]
	v_fma_f64 v[5:6], -v[5:6], v[39:40], v[37:38]
	v_fma_f64 v[7:8], -v[7:8], v[47:48], v[41:42]
	v_div_fmas_f64 v[5:6], v[5:6], v[29:30], v[39:40]
	s_mov_b64 vcc, s[8:9]
	v_div_fmas_f64 v[7:8], v[7:8], v[31:32], v[47:48]
	v_div_fixup_f64 v[5:6], v[5:6], v[33:34], s[12:13]
	v_div_fixup_f64 v[7:8], v[7:8], v[35:36], s[14:15]
.LBB247_273:                            ;   in Loop: Header=BB247_217 Depth=1
	s_or_b64 exec, exec, s[18:19]
                                        ; implicit-def: $vgpr29_vgpr30
                                        ; implicit-def: $vgpr31_vgpr32
.LBB247_274:                            ;   in Loop: Header=BB247_217 Depth=1
	s_andn2_saveexec_b64 s[8:9], s[10:11]
	s_cbranch_execz .LBB247_276
; %bb.275:                              ;   in Loop: Header=BB247_217 Depth=1
	v_div_scale_f64 v[5:6], s[10:11], v[29:30], v[29:30], v[31:32]
	v_rcp_f64_e32 v[7:8], v[5:6]
	v_fma_f64 v[33:34], -v[5:6], v[7:8], 1.0
	v_fma_f64 v[7:8], v[7:8], v[33:34], v[7:8]
	v_div_scale_f64 v[33:34], vcc, v[31:32], v[29:30], v[31:32]
	v_fma_f64 v[35:36], -v[5:6], v[7:8], 1.0
	v_fma_f64 v[7:8], v[7:8], v[35:36], v[7:8]
	v_mul_f64 v[35:36], v[33:34], v[7:8]
	v_fma_f64 v[5:6], -v[5:6], v[35:36], v[33:34]
	v_div_fmas_f64 v[5:6], v[5:6], v[7:8], v[35:36]
	v_div_fixup_f64 v[5:6], v[5:6], v[29:30], v[31:32]
	v_fma_f64 v[7:8], v[31:32], v[5:6], v[29:30]
	v_div_scale_f64 v[29:30], s[10:11], v[7:8], v[7:8], 1.0
	v_rcp_f64_e32 v[31:32], v[29:30]
	v_fma_f64 v[33:34], -v[29:30], v[31:32], 1.0
	v_fma_f64 v[31:32], v[31:32], v[33:34], v[31:32]
	v_div_scale_f64 v[33:34], vcc, 1.0, v[7:8], 1.0
	v_fma_f64 v[35:36], -v[29:30], v[31:32], 1.0
	v_fma_f64 v[31:32], v[31:32], v[35:36], v[31:32]
	v_mul_f64 v[35:36], v[33:34], v[31:32]
	v_fma_f64 v[29:30], -v[29:30], v[35:36], v[33:34]
	v_mov_b32_e32 v34, s13
	v_mov_b32_e32 v33, s12
	v_div_fmas_f64 v[29:30], v[29:30], v[31:32], v[35:36]
	v_mov_b32_e32 v32, s15
	v_mov_b32_e32 v31, s14
	v_fma_f64 v[31:32], s[12:13], v[5:6], v[31:32]
	v_div_fixup_f64 v[7:8], v[29:30], v[7:8], 1.0
	v_fma_f64 v[29:30], s[14:15], v[5:6], -v[33:34]
	v_mul_f64 v[5:6], v[31:32], v[7:8]
	v_mul_f64 v[7:8], v[29:30], v[7:8]
.LBB247_276:                            ;   in Loop: Header=BB247_217 Depth=1
	s_or_b64 exec, exec, s[8:9]
	v_xor_b32_e32 v30, 0x80000000, v16
	v_and_b32_e32 v35, 0x7fffffff, v30
	v_or_b32_e32 v18, v35, v15
	v_mov_b32_e32 v29, v15
	v_cmp_ne_u32_e32 vcc, 0, v18
                                        ; implicit-def: $vgpr31_vgpr32
	s_and_saveexec_b64 s[8:9], vcc
	s_xor_b64 s[82:83], exec, s[8:9]
	s_cbranch_execz .LBB247_319
; %bb.277:                              ;   in Loop: Header=BB247_217 Depth=1
	v_xor_b32_e32 v34, 0x80000000, v14
	v_and_b32_e32 v18, 0x7fffffff, v34
	v_or_b32_e32 v29, v18, v13
	v_mov_b32_e32 v33, v13
	v_cmp_ne_u32_e32 vcc, 0, v29
                                        ; implicit-def: $vgpr31_vgpr32
	s_and_saveexec_b64 s[8:9], vcc
	s_xor_b64 s[18:19], exec, s[8:9]
	s_cbranch_execz .LBB247_308
; %bb.278:                              ;   in Loop: Header=BB247_217 Depth=1
	s_mov_b32 s8, 0x7ff00000
	v_cmp_gt_u32_e32 vcc, s8, v35
                                        ; implicit-def: $vgpr31_vgpr32
	s_and_saveexec_b64 s[8:9], vcc
	s_xor_b64 s[58:59], exec, s[8:9]
	s_cbranch_execz .LBB247_301
; %bb.279:                              ;   in Loop: Header=BB247_217 Depth=1
	v_add_u32_e32 v18, 0xbf79d1be, v34
	s_mov_b32 s8, 0x108aa2
	v_cmp_lt_u32_e32 vcc, s8, v18
                                        ; implicit-def: $vgpr31_vgpr32
	s_and_saveexec_b64 s[8:9], vcc
	s_xor_b64 s[10:11], exec, s[8:9]
	s_cbranch_execz .LBB247_290
; %bb.280:                              ;   in Loop: Header=BB247_217 Depth=1
	s_mov_b32 s8, 0
	s_mov_b32 s9, 0x41d00000
	v_cmp_nlt_f64_e64 s[68:69], |v[15:16]|, s[8:9]
                                        ; implicit-def: $vgpr41
                                        ; implicit-def: $vgpr31_vgpr32
                                        ; implicit-def: $vgpr35_vgpr36
	s_and_saveexec_b64 s[8:9], s[68:69]
	s_xor_b64 s[20:21], exec, s[8:9]
	s_cbranch_execz .LBB247_283
; %bb.281:                              ;   in Loop: Header=BB247_217 Depth=1
	v_trig_preop_f64 v[31:32], |v[15:16]|, 0
	s_mov_b32 s8, 0
	s_mov_b32 s9, 0x7b000000
	v_cmp_ge_f64_e64 vcc, |v[15:16]|, s[8:9]
	s_movk_i32 s8, 0xff80
	v_ldexp_f64 v[35:36], |v[15:16]|, s8
	v_trig_preop_f64 v[33:34], |v[15:16]|, 1
	v_and_b32_e32 v18, 0x7fffffff, v16
	s_mov_b32 s8, 0
	s_mov_b32 s9, 0x7ff00000
	;; [unrolled: 1-line block ×4, first 2 shown]
	v_cndmask_b32_e32 v36, v18, v36, vcc
	v_cndmask_b32_e32 v35, v15, v35, vcc
	v_mul_f64 v[39:40], v[31:32], v[35:36]
	v_mul_f64 v[37:38], v[33:34], v[35:36]
	v_fma_f64 v[31:32], v[31:32], v[35:36], -v[39:40]
	v_fma_f64 v[33:34], v[33:34], v[35:36], -v[37:38]
	v_add_f64 v[41:42], v[37:38], v[31:32]
	v_add_f64 v[53:54], v[41:42], -v[37:38]
	v_add_f64 v[47:48], v[39:40], v[41:42]
	v_add_f64 v[31:32], v[31:32], -v[53:54]
	v_add_f64 v[53:54], v[41:42], -v[53:54]
	v_ldexp_f64 v[49:50], v[47:48], -2
	v_add_f64 v[39:40], v[47:48], -v[39:40]
	v_add_f64 v[53:54], v[37:38], -v[53:54]
	v_trig_preop_f64 v[37:38], |v[15:16]|, 2
	v_fract_f64_e32 v[51:52], v[49:50]
	v_add_f64 v[39:40], v[41:42], -v[39:40]
	v_cmp_neq_f64_e64 vcc, |v[49:50]|, s[8:9]
	v_add_f64 v[31:32], v[31:32], v[53:54]
	v_mul_f64 v[53:54], v[37:38], v[35:36]
	v_add_f64 v[55:56], v[53:54], v[33:34]
	v_add_f64 v[57:58], v[55:56], v[31:32]
	v_add_f64 v[47:48], v[57:58], -v[55:56]
	v_add_f64 v[41:42], v[39:40], v[57:58]
	v_add_f64 v[31:32], v[31:32], -v[47:48]
	v_add_f64 v[47:48], v[57:58], -v[47:48]
	;; [unrolled: 1-line block ×5, first 2 shown]
	v_add_f64 v[31:32], v[31:32], v[47:48]
	v_add_f64 v[47:48], v[55:56], -v[53:54]
	v_add_f64 v[33:34], v[33:34], -v[47:48]
	;; [unrolled: 1-line block ×4, first 2 shown]
	v_add_f64 v[33:34], v[33:34], v[47:48]
	v_add_f64 v[31:32], v[33:34], v[31:32]
	v_fma_f64 v[33:34], v[37:38], v[35:36], -v[53:54]
	v_add_f64 v[31:32], v[33:34], v[31:32]
	v_ldexp_f64 v[33:34], v[51:52], 2
	v_add_f64 v[31:32], v[39:40], v[31:32]
	v_cndmask_b32_e32 v34, 0, v34, vcc
	v_cndmask_b32_e32 v33, 0, v33, vcc
	v_add_f64 v[35:36], v[41:42], v[33:34]
	v_cmp_gt_f64_e32 vcc, 0, v[35:36]
	v_cndmask_b32_e32 v18, 0, v43, vcc
	v_add_f64 v[33:34], v[33:34], v[17:18]
	v_add_f64 v[35:36], v[41:42], v[33:34]
	v_cvt_i32_f64_e32 v18, v[35:36]
	v_cvt_f64_i32_e32 v[35:36], v18
	v_add_f64 v[33:34], v[33:34], -v[35:36]
	v_add_f64 v[35:36], v[41:42], v[33:34]
	v_add_f64 v[33:34], v[35:36], -v[33:34]
	v_cmp_le_f64_e32 vcc, 0.5, v[35:36]
	v_add_f64 v[33:34], v[41:42], -v[33:34]
	v_addc_co_u32_e64 v41, s[8:9], 0, v18, vcc
	v_cndmask_b32_e32 v18, 0, v44, vcc
	v_add_f64 v[31:32], v[31:32], v[33:34]
	v_add_f64 v[33:34], v[35:36], -v[17:18]
	v_add_f64 v[35:36], v[33:34], v[31:32]
	v_add_f64 v[33:34], v[35:36], -v[33:34]
	v_add_f64 v[31:32], v[31:32], -v[33:34]
	v_mul_f64 v[33:34], v[35:36], s[86:87]
	v_fma_f64 v[37:38], v[35:36], s[86:87], -v[33:34]
	v_fma_f64 v[35:36], v[35:36], s[90:91], v[37:38]
	v_fma_f64 v[35:36], v[31:32], s[86:87], v[35:36]
	v_add_f64 v[31:32], v[33:34], v[35:36]
	v_add_f64 v[33:34], v[31:32], -v[33:34]
	v_add_f64 v[35:36], v[35:36], -v[33:34]
	s_andn2_saveexec_b64 s[8:9], s[20:21]
	s_cbranch_execz .LBB247_285
	s_branch .LBB247_284
.LBB247_282:                            ;   in Loop: Header=BB247_217 Depth=1
	s_or_b64 exec, exec, s[68:69]
                                        ; implicit-def: $vgpr33_vgpr34
                                        ; implicit-def: $vgpr7_vgpr8
                                        ; implicit-def: $vgpr18
	s_andn2_saveexec_b64 s[10:11], s[58:59]
	s_cbranch_execnz .LBB247_249
	s_branch .LBB247_254
.LBB247_283:                            ;   in Loop: Header=BB247_217 Depth=1
	s_andn2_saveexec_b64 s[8:9], s[20:21]
	s_cbranch_execz .LBB247_285
.LBB247_284:                            ;   in Loop: Header=BB247_217 Depth=1
	s_mov_b32 s20, 0x6dc9c883
	s_mov_b32 s21, 0x3fe45f30
	v_mul_f64 v[31:32], |v[15:16]|, s[20:21]
	s_mov_b32 s88, s28
	s_mov_b32 s20, 0x252049c0
	;; [unrolled: 1-line block ×3, first 2 shown]
	v_rndne_f64_e32 v[33:34], v[31:32]
	v_fma_f64 v[31:32], v[33:34], s[24:25], |v[15:16]|
	v_mul_f64 v[35:36], v[33:34], s[28:29]
	v_fma_f64 v[41:42], v[33:34], s[28:29], v[31:32]
	v_add_f64 v[37:38], v[31:32], v[35:36]
	v_add_f64 v[39:40], v[31:32], -v[37:38]
	v_add_f64 v[37:38], v[37:38], -v[41:42]
	v_add_f64 v[31:32], v[39:40], v[35:36]
	v_fma_f64 v[35:36], v[33:34], s[88:89], v[35:36]
	v_add_f64 v[31:32], v[37:38], v[31:32]
	v_add_f64 v[31:32], v[31:32], -v[35:36]
	v_fma_f64 v[35:36], v[33:34], s[20:21], v[31:32]
	v_add_f64 v[31:32], v[41:42], v[35:36]
	v_add_f64 v[37:38], v[31:32], -v[41:42]
	v_cvt_i32_f64_e32 v41, v[33:34]
	v_add_f64 v[35:36], v[35:36], -v[37:38]
.LBB247_285:                            ;   in Loop: Header=BB247_217 Depth=1
	s_or_b64 exec, exec, s[8:9]
                                        ; implicit-def: $vgpr29
                                        ; implicit-def: $vgpr33_vgpr34
                                        ; implicit-def: $vgpr37_vgpr38
	s_and_saveexec_b64 s[8:9], s[68:69]
	s_xor_b64 s[20:21], exec, s[8:9]
	s_cbranch_execz .LBB247_287
; %bb.286:                              ;   in Loop: Header=BB247_217 Depth=1
	v_trig_preop_f64 v[33:34], |v[15:16]|, 0
	s_mov_b32 s8, 0
	s_mov_b32 s9, 0x7b000000
	v_cmp_ge_f64_e64 vcc, |v[15:16]|, s[8:9]
	s_movk_i32 s8, 0xff80
	v_ldexp_f64 v[39:40], |v[15:16]|, s8
	v_trig_preop_f64 v[37:38], |v[15:16]|, 1
	v_and_b32_e32 v18, 0x7fffffff, v16
	s_mov_b32 s8, 0
	s_mov_b32 s9, 0x7ff00000
	;; [unrolled: 1-line block ×4, first 2 shown]
	v_cndmask_b32_e32 v40, v18, v40, vcc
	v_cndmask_b32_e32 v39, v15, v39, vcc
	v_mul_f64 v[49:50], v[33:34], v[39:40]
	v_mul_f64 v[47:48], v[37:38], v[39:40]
	v_fma_f64 v[33:34], v[33:34], v[39:40], -v[49:50]
	v_fma_f64 v[37:38], v[37:38], v[39:40], -v[47:48]
	v_add_f64 v[51:52], v[47:48], v[33:34]
	v_add_f64 v[59:60], v[51:52], -v[47:48]
	v_add_f64 v[53:54], v[49:50], v[51:52]
	v_add_f64 v[33:34], v[33:34], -v[59:60]
	v_add_f64 v[59:60], v[51:52], -v[59:60]
	v_ldexp_f64 v[55:56], v[53:54], -2
	v_add_f64 v[49:50], v[53:54], -v[49:50]
	v_add_f64 v[59:60], v[47:48], -v[59:60]
	v_trig_preop_f64 v[47:48], |v[15:16]|, 2
	v_fract_f64_e32 v[57:58], v[55:56]
	v_add_f64 v[49:50], v[51:52], -v[49:50]
	v_cmp_neq_f64_e64 vcc, |v[55:56]|, s[8:9]
	v_add_f64 v[33:34], v[33:34], v[59:60]
	v_mul_f64 v[59:60], v[47:48], v[39:40]
	v_add_f64 v[61:62], v[59:60], v[37:38]
	v_add_f64 v[63:64], v[61:62], v[33:34]
	v_add_f64 v[53:54], v[63:64], -v[61:62]
	v_add_f64 v[51:52], v[49:50], v[63:64]
	v_add_f64 v[33:34], v[33:34], -v[53:54]
	v_add_f64 v[53:54], v[63:64], -v[53:54]
	;; [unrolled: 1-line block ×5, first 2 shown]
	v_add_f64 v[33:34], v[33:34], v[53:54]
	v_add_f64 v[53:54], v[61:62], -v[59:60]
	v_add_f64 v[37:38], v[37:38], -v[53:54]
	;; [unrolled: 1-line block ×4, first 2 shown]
	v_add_f64 v[37:38], v[37:38], v[53:54]
	v_add_f64 v[33:34], v[37:38], v[33:34]
	v_fma_f64 v[37:38], v[47:48], v[39:40], -v[59:60]
	v_add_f64 v[33:34], v[37:38], v[33:34]
	v_ldexp_f64 v[37:38], v[57:58], 2
	v_add_f64 v[33:34], v[49:50], v[33:34]
	v_cndmask_b32_e32 v38, 0, v38, vcc
	v_cndmask_b32_e32 v37, 0, v37, vcc
	v_add_f64 v[39:40], v[51:52], v[37:38]
	v_cmp_gt_f64_e32 vcc, 0, v[39:40]
	v_cndmask_b32_e32 v18, 0, v43, vcc
	v_add_f64 v[37:38], v[37:38], v[17:18]
	v_add_f64 v[39:40], v[51:52], v[37:38]
	v_cvt_i32_f64_e32 v18, v[39:40]
	v_cvt_f64_i32_e32 v[39:40], v18
	v_add_f64 v[37:38], v[37:38], -v[39:40]
	v_add_f64 v[39:40], v[51:52], v[37:38]
	v_add_f64 v[37:38], v[39:40], -v[37:38]
	v_cmp_le_f64_e32 vcc, 0.5, v[39:40]
	v_add_f64 v[37:38], v[51:52], -v[37:38]
	v_addc_co_u32_e64 v29, s[8:9], 0, v18, vcc
	v_cndmask_b32_e32 v18, 0, v44, vcc
	v_add_f64 v[33:34], v[33:34], v[37:38]
	v_add_f64 v[37:38], v[39:40], -v[17:18]
	v_add_f64 v[39:40], v[37:38], v[33:34]
	v_add_f64 v[37:38], v[39:40], -v[37:38]
	v_add_f64 v[33:34], v[33:34], -v[37:38]
	v_mul_f64 v[37:38], v[39:40], s[86:87]
	v_fma_f64 v[47:48], v[39:40], s[86:87], -v[37:38]
	v_fma_f64 v[39:40], v[39:40], s[90:91], v[47:48]
	v_fma_f64 v[39:40], v[33:34], s[86:87], v[39:40]
	v_add_f64 v[33:34], v[37:38], v[39:40]
	v_add_f64 v[37:38], v[33:34], -v[37:38]
	v_add_f64 v[37:38], v[39:40], -v[37:38]
	s_andn2_saveexec_b64 s[8:9], s[20:21]
	s_cbranch_execnz .LBB247_288
	s_branch .LBB247_289
.LBB247_287:                            ;   in Loop: Header=BB247_217 Depth=1
	s_andn2_saveexec_b64 s[8:9], s[20:21]
	s_cbranch_execz .LBB247_289
.LBB247_288:                            ;   in Loop: Header=BB247_217 Depth=1
	s_mov_b32 s20, 0x6dc9c883
	s_mov_b32 s21, 0x3fe45f30
	v_mul_f64 v[33:34], |v[15:16]|, s[20:21]
	s_mov_b32 s88, s28
	s_mov_b32 s20, 0x252049c0
	;; [unrolled: 1-line block ×3, first 2 shown]
	v_rndne_f64_e32 v[39:40], v[33:34]
	v_fma_f64 v[33:34], v[39:40], s[24:25], |v[15:16]|
	v_mul_f64 v[37:38], v[39:40], s[28:29]
	v_cvt_i32_f64_e32 v29, v[39:40]
	v_fma_f64 v[51:52], v[39:40], s[28:29], v[33:34]
	v_add_f64 v[47:48], v[33:34], v[37:38]
	v_add_f64 v[49:50], v[33:34], -v[47:48]
	v_add_f64 v[47:48], v[47:48], -v[51:52]
	v_add_f64 v[33:34], v[49:50], v[37:38]
	v_fma_f64 v[37:38], v[39:40], s[88:89], v[37:38]
	v_add_f64 v[33:34], v[47:48], v[33:34]
	v_add_f64 v[33:34], v[33:34], -v[37:38]
	v_fma_f64 v[37:38], v[39:40], s[20:21], v[33:34]
	v_add_f64 v[33:34], v[51:52], v[37:38]
	v_add_f64 v[47:48], v[33:34], -v[51:52]
	v_add_f64 v[37:38], v[37:38], -v[47:48]
.LBB247_289:                            ;   in Loop: Header=BB247_217 Depth=1
	s_or_b64 exec, exec, s[8:9]
	s_mov_b32 s92, s34
	v_mul_f64 v[39:40], v[13:14], s[92:93]
	s_mov_b32 s95, s51
	s_mov_b32 s53, s81
	v_cmp_ngt_f64_e32 vcc, s[16:17], v[13:14]
	v_cmp_nlt_f64_e64 s[8:9], s[30:31], v[13:14]
	v_mul_f64 v[57:58], v[35:36], 0.5
	s_mov_b32 s76, s80
	v_rndne_f64_e32 v[39:40], v[39:40]
	v_fma_f64 v[47:48], v[39:40], s[36:37], -v[13:14]
	v_cvt_i32_f64_e32 v18, v[39:40]
	v_fma_f64 v[47:48], v[39:40], s[38:39], v[47:48]
	v_fma_f64 v[49:50], v[47:48], s[40:41], v[19:20]
	;; [unrolled: 1-line block ×10, first 2 shown]
	v_fma_f64 v[49:50], v[47:48], v[49:50], 1.0
	v_fma_f64 v[47:48], v[47:48], v[49:50], 1.0
	v_ldexp_f64 v[39:40], v[47:48], v18
	v_mul_f64 v[47:48], v[31:32], v[31:32]
	v_cndmask_b32_e32 v18, v45, v40, vcc
	s_and_b64 vcc, s[8:9], vcc
	v_cndmask_b32_e64 v14, 0, v18, s[8:9]
	s_mov_b32 s8, 0x9037ab78
	s_mov_b32 s9, 0x3e21eeb6
	v_mov_b32_e32 v54, s9
	v_mov_b32_e32 v53, s8
	v_cndmask_b32_e32 v13, 0, v39, vcc
	v_mul_f64 v[39:40], v[47:48], 0.5
	v_fma_f64 v[55:56], v[47:48], s[60:61], v[53:54]
	s_mov_b32 s8, 0xb42fdfa7
	s_mov_b32 s9, 0xbe5ae600
	v_add_f64 v[49:50], -v[39:40], 1.0
	v_fma_f64 v[55:56], v[47:48], v[55:56], s[62:63]
	v_add_f64 v[51:52], -v[49:50], 1.0
	v_fma_f64 v[55:56], v[47:48], v[55:56], s[64:65]
	v_add_f64 v[39:40], v[51:52], -v[39:40]
	v_fma_f64 v[55:56], v[47:48], v[55:56], s[66:67]
	v_mul_f64 v[51:52], v[47:48], v[47:48]
	v_fma_f64 v[39:40], v[31:32], -v[35:36], v[39:40]
	v_fma_f64 v[55:56], v[47:48], v[55:56], s[80:81]
	v_fma_f64 v[39:40], v[51:52], v[55:56], v[39:40]
	v_mul_f64 v[55:56], v[31:32], -v[47:48]
	v_add_f64 v[49:50], v[49:50], v[39:40]
	v_mov_b32_e32 v40, s9
	v_mov_b32_e32 v39, s8
	v_fma_f64 v[51:52], v[47:48], s[70:71], v[39:40]
	s_movk_i32 s8, 0x1f8
	v_fma_f64 v[51:52], v[47:48], v[51:52], s[72:73]
	v_fma_f64 v[51:52], v[47:48], v[51:52], s[74:75]
	;; [unrolled: 1-line block ×4, first 2 shown]
	v_fma_f64 v[35:36], v[47:48], v[51:52], -v[35:36]
	v_fma_f64 v[35:36], v[55:56], s[76:77], v[35:36]
	v_add_f64 v[31:32], v[31:32], -v[35:36]
	v_mul_f64 v[35:36], v[33:34], v[33:34]
	v_xor_b32_e32 v18, 0x80000000, v32
	v_and_b32_e32 v32, 1, v41
	v_cmp_eq_u32_e32 vcc, 0, v32
	v_cndmask_b32_e32 v31, v31, v49, vcc
	v_cndmask_b32_e32 v18, v18, v50, vcc
	v_cmp_class_f64_e64 vcc, v[15:16], s8
	v_lshlrev_b32_e32 v32, 30, v41
	v_and_b32_e32 v32, 0x80000000, v32
	v_xor_b32_e32 v18, v18, v32
	v_fma_f64 v[49:50], v[35:36], s[60:61], v[53:54]
	v_fma_f64 v[39:40], v[35:36], s[70:71], v[39:40]
	v_cndmask_b32_e32 v15, 0, v31, vcc
	v_cndmask_b32_e32 v16, v46, v18, vcc
	v_mul_f64 v[31:32], v[13:14], v[15:16]
	v_mul_f64 v[15:16], v[35:36], 0.5
	v_fma_f64 v[49:50], v[35:36], v[49:50], s[62:63]
	v_fma_f64 v[39:40], v[35:36], v[39:40], s[72:73]
	v_and_b32_e32 v18, 1, v29
	v_cmp_eq_u32_e64 s[8:9], 0, v18
	v_lshlrev_b32_e32 v18, 30, v29
	v_xor_b32_e32 v18, v18, v30
	v_and_b32_e32 v18, 0x80000000, v18
	v_add_f64 v[41:42], -v[15:16], 1.0
	v_fma_f64 v[49:50], v[35:36], v[49:50], s[64:65]
	v_fma_f64 v[39:40], v[35:36], v[39:40], s[74:75]
	v_add_f64 v[47:48], -v[41:42], 1.0
	v_fma_f64 v[49:50], v[35:36], v[49:50], s[66:67]
	v_fma_f64 v[39:40], v[35:36], v[39:40], s[50:51]
	v_add_f64 v[15:16], v[47:48], -v[15:16]
	v_mul_f64 v[47:48], v[35:36], v[35:36]
	v_fma_f64 v[49:50], v[35:36], v[49:50], s[80:81]
	v_fma_f64 v[15:16], v[33:34], -v[37:38], v[15:16]
	v_fma_f64 v[15:16], v[47:48], v[49:50], v[15:16]
	v_mul_f64 v[47:48], v[37:38], 0.5
	v_add_f64 v[15:16], v[41:42], v[15:16]
	v_mul_f64 v[41:42], v[33:34], -v[35:36]
	v_fma_f64 v[39:40], v[41:42], v[39:40], v[47:48]
	v_fma_f64 v[35:36], v[35:36], v[39:40], -v[37:38]
	v_fma_f64 v[35:36], v[41:42], s[76:77], v[35:36]
	v_add_f64 v[33:34], v[33:34], -v[35:36]
	v_cndmask_b32_e64 v16, v16, v34, s[8:9]
	v_cndmask_b32_e64 v15, v15, v33, s[8:9]
	v_xor_b32_e32 v16, v16, v18
	v_cndmask_b32_e32 v15, 0, v15, vcc
	v_cndmask_b32_e32 v16, v46, v16, vcc
	v_mul_f64 v[29:30], v[13:14], v[15:16]
                                        ; implicit-def: $vgpr15_vgpr16
.LBB247_290:                            ;   in Loop: Header=BB247_217 Depth=1
	s_andn2_saveexec_b64 s[68:69], s[10:11]
	s_cbranch_execz .LBB247_300
; %bb.291:                              ;   in Loop: Header=BB247_217 Depth=1
	s_mov_b32 s8, 0
	s_mov_b32 s9, 0x41d00000
	v_cmp_nlt_f64_e64 s[10:11], |v[15:16]|, s[8:9]
                                        ; implicit-def: $vgpr47
                                        ; implicit-def: $vgpr31_vgpr32
                                        ; implicit-def: $vgpr39_vgpr40
	s_and_saveexec_b64 s[8:9], s[10:11]
	s_xor_b64 s[20:21], exec, s[8:9]
	s_cbranch_execz .LBB247_293
; %bb.292:                              ;   in Loop: Header=BB247_217 Depth=1
	v_trig_preop_f64 v[31:32], |v[15:16]|, 0
	s_mov_b32 s8, 0
	s_mov_b32 s9, 0x7b000000
	v_cmp_ge_f64_e64 vcc, |v[15:16]|, s[8:9]
	s_movk_i32 s8, 0xff80
	v_ldexp_f64 v[35:36], |v[15:16]|, s8
	v_trig_preop_f64 v[33:34], |v[15:16]|, 1
	v_and_b32_e32 v18, 0x7fffffff, v16
	s_mov_b32 s8, 0
	s_mov_b32 s9, 0x7ff00000
	;; [unrolled: 1-line block ×4, first 2 shown]
	v_cndmask_b32_e32 v36, v18, v36, vcc
	v_cndmask_b32_e32 v35, v15, v35, vcc
	v_mul_f64 v[39:40], v[31:32], v[35:36]
	v_mul_f64 v[37:38], v[33:34], v[35:36]
	v_fma_f64 v[31:32], v[31:32], v[35:36], -v[39:40]
	v_fma_f64 v[33:34], v[33:34], v[35:36], -v[37:38]
	v_add_f64 v[41:42], v[37:38], v[31:32]
	v_add_f64 v[53:54], v[41:42], -v[37:38]
	v_add_f64 v[47:48], v[39:40], v[41:42]
	v_add_f64 v[31:32], v[31:32], -v[53:54]
	v_add_f64 v[53:54], v[41:42], -v[53:54]
	v_ldexp_f64 v[49:50], v[47:48], -2
	v_add_f64 v[39:40], v[47:48], -v[39:40]
	v_add_f64 v[53:54], v[37:38], -v[53:54]
	v_trig_preop_f64 v[37:38], |v[15:16]|, 2
	v_fract_f64_e32 v[51:52], v[49:50]
	v_add_f64 v[39:40], v[41:42], -v[39:40]
	v_cmp_neq_f64_e64 vcc, |v[49:50]|, s[8:9]
	v_add_f64 v[31:32], v[31:32], v[53:54]
	v_mul_f64 v[53:54], v[37:38], v[35:36]
	v_add_f64 v[55:56], v[53:54], v[33:34]
	v_add_f64 v[57:58], v[55:56], v[31:32]
	v_add_f64 v[47:48], v[57:58], -v[55:56]
	v_add_f64 v[41:42], v[39:40], v[57:58]
	v_add_f64 v[31:32], v[31:32], -v[47:48]
	v_add_f64 v[47:48], v[57:58], -v[47:48]
	;; [unrolled: 1-line block ×5, first 2 shown]
	v_add_f64 v[31:32], v[31:32], v[47:48]
	v_add_f64 v[47:48], v[55:56], -v[53:54]
	v_add_f64 v[33:34], v[33:34], -v[47:48]
	;; [unrolled: 1-line block ×4, first 2 shown]
	v_add_f64 v[33:34], v[33:34], v[47:48]
	v_add_f64 v[31:32], v[33:34], v[31:32]
	v_fma_f64 v[33:34], v[37:38], v[35:36], -v[53:54]
	v_add_f64 v[31:32], v[33:34], v[31:32]
	v_ldexp_f64 v[33:34], v[51:52], 2
	v_add_f64 v[31:32], v[39:40], v[31:32]
	v_cndmask_b32_e32 v34, 0, v34, vcc
	v_cndmask_b32_e32 v33, 0, v33, vcc
	v_add_f64 v[35:36], v[41:42], v[33:34]
	v_cmp_gt_f64_e32 vcc, 0, v[35:36]
	v_cndmask_b32_e32 v18, 0, v43, vcc
	v_add_f64 v[33:34], v[33:34], v[17:18]
	v_add_f64 v[35:36], v[41:42], v[33:34]
	v_cvt_i32_f64_e32 v18, v[35:36]
	v_cvt_f64_i32_e32 v[35:36], v18
	v_add_f64 v[33:34], v[33:34], -v[35:36]
	v_add_f64 v[35:36], v[41:42], v[33:34]
	v_add_f64 v[33:34], v[35:36], -v[33:34]
	v_cmp_le_f64_e32 vcc, 0.5, v[35:36]
	v_add_f64 v[33:34], v[41:42], -v[33:34]
	v_addc_co_u32_e64 v47, s[8:9], 0, v18, vcc
	v_cndmask_b32_e32 v18, 0, v44, vcc
	v_add_f64 v[31:32], v[31:32], v[33:34]
	v_add_f64 v[33:34], v[35:36], -v[17:18]
	v_add_f64 v[35:36], v[33:34], v[31:32]
	v_add_f64 v[33:34], v[35:36], -v[33:34]
	v_add_f64 v[31:32], v[31:32], -v[33:34]
	v_mul_f64 v[33:34], v[35:36], s[86:87]
	v_fma_f64 v[37:38], v[35:36], s[86:87], -v[33:34]
	v_fma_f64 v[35:36], v[35:36], s[90:91], v[37:38]
	v_fma_f64 v[35:36], v[31:32], s[86:87], v[35:36]
	v_add_f64 v[31:32], v[33:34], v[35:36]
	v_add_f64 v[33:34], v[31:32], -v[33:34]
	v_add_f64 v[39:40], v[35:36], -v[33:34]
	s_andn2_saveexec_b64 s[8:9], s[20:21]
	s_cbranch_execz .LBB247_295
	s_branch .LBB247_294
.LBB247_293:                            ;   in Loop: Header=BB247_217 Depth=1
	s_andn2_saveexec_b64 s[8:9], s[20:21]
	s_cbranch_execz .LBB247_295
.LBB247_294:                            ;   in Loop: Header=BB247_217 Depth=1
	s_mov_b32 s20, 0x6dc9c883
	s_mov_b32 s21, 0x3fe45f30
	v_mul_f64 v[31:32], |v[15:16]|, s[20:21]
	s_mov_b32 s88, s28
	s_mov_b32 s20, 0x252049c0
	;; [unrolled: 1-line block ×3, first 2 shown]
	v_rndne_f64_e32 v[33:34], v[31:32]
	v_fma_f64 v[31:32], v[33:34], s[24:25], |v[15:16]|
	v_mul_f64 v[35:36], v[33:34], s[28:29]
	v_cvt_i32_f64_e32 v47, v[33:34]
	v_fma_f64 v[41:42], v[33:34], s[28:29], v[31:32]
	v_add_f64 v[37:38], v[31:32], v[35:36]
	v_add_f64 v[39:40], v[31:32], -v[37:38]
	v_add_f64 v[37:38], v[37:38], -v[41:42]
	v_add_f64 v[31:32], v[39:40], v[35:36]
	v_fma_f64 v[35:36], v[33:34], s[88:89], v[35:36]
	v_add_f64 v[31:32], v[37:38], v[31:32]
	v_add_f64 v[31:32], v[31:32], -v[35:36]
	v_fma_f64 v[35:36], v[33:34], s[20:21], v[31:32]
	v_add_f64 v[31:32], v[41:42], v[35:36]
	v_add_f64 v[37:38], v[31:32], -v[41:42]
	v_add_f64 v[39:40], v[35:36], -v[37:38]
.LBB247_295:                            ;   in Loop: Header=BB247_217 Depth=1
	s_or_b64 exec, exec, s[8:9]
                                        ; implicit-def: $vgpr29
                                        ; implicit-def: $vgpr33_vgpr34
                                        ; implicit-def: $vgpr35_vgpr36
	s_and_saveexec_b64 s[8:9], s[10:11]
	s_xor_b64 s[10:11], exec, s[8:9]
	s_cbranch_execz .LBB247_297
; %bb.296:                              ;   in Loop: Header=BB247_217 Depth=1
	v_trig_preop_f64 v[33:34], |v[15:16]|, 0
	s_mov_b32 s8, 0
	s_mov_b32 s9, 0x7b000000
	v_cmp_ge_f64_e64 vcc, |v[15:16]|, s[8:9]
	s_movk_i32 s8, 0xff80
	v_ldexp_f64 v[37:38], |v[15:16]|, s8
	v_trig_preop_f64 v[35:36], |v[15:16]|, 1
	v_and_b32_e32 v18, 0x7fffffff, v16
	s_mov_b32 s8, 0
	s_mov_b32 s9, 0x7ff00000
	;; [unrolled: 1-line block ×4, first 2 shown]
	v_cndmask_b32_e32 v38, v18, v38, vcc
	v_cndmask_b32_e32 v37, v15, v37, vcc
	v_mul_f64 v[48:49], v[33:34], v[37:38]
	v_mul_f64 v[41:42], v[35:36], v[37:38]
	v_fma_f64 v[33:34], v[33:34], v[37:38], -v[48:49]
	v_fma_f64 v[35:36], v[35:36], v[37:38], -v[41:42]
	v_add_f64 v[50:51], v[41:42], v[33:34]
	v_add_f64 v[58:59], v[50:51], -v[41:42]
	v_add_f64 v[52:53], v[48:49], v[50:51]
	v_add_f64 v[33:34], v[33:34], -v[58:59]
	v_add_f64 v[58:59], v[50:51], -v[58:59]
	v_ldexp_f64 v[54:55], v[52:53], -2
	v_add_f64 v[48:49], v[52:53], -v[48:49]
	v_add_f64 v[58:59], v[41:42], -v[58:59]
	v_trig_preop_f64 v[41:42], |v[15:16]|, 2
	v_fract_f64_e32 v[56:57], v[54:55]
	v_add_f64 v[48:49], v[50:51], -v[48:49]
	v_cmp_neq_f64_e64 vcc, |v[54:55]|, s[8:9]
	v_add_f64 v[33:34], v[33:34], v[58:59]
	v_mul_f64 v[58:59], v[41:42], v[37:38]
	v_add_f64 v[60:61], v[58:59], v[35:36]
	v_add_f64 v[62:63], v[60:61], v[33:34]
	v_add_f64 v[52:53], v[62:63], -v[60:61]
	v_add_f64 v[50:51], v[48:49], v[62:63]
	v_add_f64 v[33:34], v[33:34], -v[52:53]
	v_add_f64 v[52:53], v[62:63], -v[52:53]
	;; [unrolled: 1-line block ×5, first 2 shown]
	v_add_f64 v[33:34], v[33:34], v[52:53]
	v_add_f64 v[52:53], v[60:61], -v[58:59]
	v_add_f64 v[35:36], v[35:36], -v[52:53]
	;; [unrolled: 1-line block ×4, first 2 shown]
	v_add_f64 v[35:36], v[35:36], v[52:53]
	v_add_f64 v[33:34], v[35:36], v[33:34]
	v_fma_f64 v[35:36], v[41:42], v[37:38], -v[58:59]
	v_add_f64 v[33:34], v[35:36], v[33:34]
	v_ldexp_f64 v[35:36], v[56:57], 2
	v_add_f64 v[33:34], v[48:49], v[33:34]
	v_cndmask_b32_e32 v36, 0, v36, vcc
	v_cndmask_b32_e32 v35, 0, v35, vcc
	v_add_f64 v[37:38], v[50:51], v[35:36]
	v_cmp_gt_f64_e32 vcc, 0, v[37:38]
	v_cndmask_b32_e32 v18, 0, v43, vcc
	v_add_f64 v[35:36], v[35:36], v[17:18]
	v_add_f64 v[37:38], v[50:51], v[35:36]
	v_cvt_i32_f64_e32 v18, v[37:38]
	v_cvt_f64_i32_e32 v[37:38], v18
	v_add_f64 v[35:36], v[35:36], -v[37:38]
	v_add_f64 v[37:38], v[50:51], v[35:36]
	v_add_f64 v[35:36], v[37:38], -v[35:36]
	v_cmp_le_f64_e32 vcc, 0.5, v[37:38]
	v_add_f64 v[35:36], v[50:51], -v[35:36]
	v_addc_co_u32_e64 v29, s[8:9], 0, v18, vcc
	v_cndmask_b32_e32 v18, 0, v44, vcc
	v_add_f64 v[33:34], v[33:34], v[35:36]
	v_add_f64 v[35:36], v[37:38], -v[17:18]
	v_add_f64 v[37:38], v[35:36], v[33:34]
	v_add_f64 v[35:36], v[37:38], -v[35:36]
	v_add_f64 v[33:34], v[33:34], -v[35:36]
	v_mul_f64 v[35:36], v[37:38], s[86:87]
	v_fma_f64 v[41:42], v[37:38], s[86:87], -v[35:36]
	v_fma_f64 v[37:38], v[37:38], s[90:91], v[41:42]
	v_fma_f64 v[37:38], v[33:34], s[86:87], v[37:38]
	v_add_f64 v[33:34], v[35:36], v[37:38]
	v_add_f64 v[35:36], v[33:34], -v[35:36]
	v_add_f64 v[35:36], v[37:38], -v[35:36]
	s_andn2_saveexec_b64 s[8:9], s[10:11]
	s_cbranch_execnz .LBB247_298
	s_branch .LBB247_299
.LBB247_297:                            ;   in Loop: Header=BB247_217 Depth=1
	s_andn2_saveexec_b64 s[8:9], s[10:11]
	s_cbranch_execz .LBB247_299
.LBB247_298:                            ;   in Loop: Header=BB247_217 Depth=1
	s_mov_b32 s10, 0x6dc9c883
	s_mov_b32 s11, 0x3fe45f30
	v_mul_f64 v[33:34], |v[15:16]|, s[10:11]
	s_mov_b32 s88, s28
	s_mov_b32 s10, 0x252049c0
	;; [unrolled: 1-line block ×3, first 2 shown]
	v_rndne_f64_e32 v[37:38], v[33:34]
	v_fma_f64 v[33:34], v[37:38], s[24:25], |v[15:16]|
	v_mul_f64 v[35:36], v[37:38], s[28:29]
	v_cvt_i32_f64_e32 v29, v[37:38]
	v_fma_f64 v[50:51], v[37:38], s[28:29], v[33:34]
	v_add_f64 v[41:42], v[33:34], v[35:36]
	v_add_f64 v[48:49], v[33:34], -v[41:42]
	v_add_f64 v[41:42], v[41:42], -v[50:51]
	v_add_f64 v[33:34], v[48:49], v[35:36]
	v_fma_f64 v[35:36], v[37:38], s[88:89], v[35:36]
	v_add_f64 v[33:34], v[41:42], v[33:34]
	v_add_f64 v[33:34], v[33:34], -v[35:36]
	v_fma_f64 v[35:36], v[37:38], s[10:11], v[33:34]
	v_add_f64 v[33:34], v[50:51], v[35:36]
	v_add_f64 v[41:42], v[33:34], -v[50:51]
	v_add_f64 v[35:36], v[35:36], -v[41:42]
.LBB247_299:                            ;   in Loop: Header=BB247_217 Depth=1
	s_or_b64 exec, exec, s[8:9]
	s_movk_i32 s8, 0x1f8
	v_cmp_class_f64_e64 vcc, v[15:16], s8
	v_and_b32_e32 v15, 1, v47
	v_cmp_eq_u32_e64 s[8:9], 0, v15
	v_mul_f64 v[15:16], v[31:32], v[31:32]
	s_mov_b32 s10, 0x9037ab78
	s_mov_b32 s11, 0x3e21eeb6
	v_mov_b32_e32 v42, s11
	v_mov_b32_e32 v41, s10
	s_mov_b32 s10, 0xb42fdfa7
	s_mov_b32 s11, 0xbe5ae600
	;; [unrolled: 1-line block ×3, first 2 shown]
	v_mul_f64 v[37:38], v[15:16], 0.5
	v_fma_f64 v[52:53], v[15:16], s[60:61], v[41:42]
	v_mul_f64 v[50:51], v[15:16], v[15:16]
	v_lshlrev_b32_e32 v18, 30, v47
	v_and_b32_e32 v18, 0x80000000, v18
	s_mov_b32 s95, s51
	s_mov_b32 s53, s81
	v_add_f64 v[48:49], -v[37:38], 1.0
	v_fma_f64 v[52:53], v[15:16], v[52:53], s[62:63]
	v_add_f64 v[54:55], -v[48:49], 1.0
	v_fma_f64 v[52:53], v[15:16], v[52:53], s[64:65]
	v_add_f64 v[37:38], v[54:55], -v[37:38]
	v_fma_f64 v[52:53], v[15:16], v[52:53], s[66:67]
	v_mul_f64 v[54:55], v[39:40], 0.5
	v_fma_f64 v[37:38], v[31:32], -v[39:40], v[37:38]
	v_fma_f64 v[52:53], v[15:16], v[52:53], s[80:81]
	v_fma_f64 v[37:38], v[50:51], v[52:53], v[37:38]
	v_mul_f64 v[50:51], v[31:32], -v[15:16]
	v_add_f64 v[48:49], v[48:49], v[37:38]
	v_mov_b32_e32 v38, s11
	v_mov_b32_e32 v37, s10
	v_fma_f64 v[52:53], v[15:16], s[70:71], v[37:38]
	s_mov_b32 s10, 0
	s_mov_b32 s11, 0xc090cc00
	v_fma_f64 v[52:53], v[15:16], v[52:53], s[72:73]
	v_fma_f64 v[52:53], v[15:16], v[52:53], s[74:75]
	v_fma_f64 v[52:53], v[15:16], v[52:53], s[50:51]
	v_fma_f64 v[52:53], v[50:51], v[52:53], v[54:55]
	v_fma_f64 v[15:16], v[15:16], v[52:53], -v[39:40]
	v_fma_f64 v[15:16], v[50:51], s[76:77], v[15:16]
	v_add_f64 v[15:16], v[31:32], -v[15:16]
	v_xor_b32_e32 v16, 0x80000000, v16
	v_cndmask_b32_e64 v15, v15, v48, s[8:9]
	v_cndmask_b32_e64 v16, v16, v49, s[8:9]
	s_mov_b32 s8, 0x19ba0da4
	s_mov_b32 s9, 0xc0937be3
	v_add_f64 v[13:14], -v[13:14], s[8:9]
	v_xor_b32_e32 v16, v16, v18
	v_cndmask_b32_e32 v31, 0, v15, vcc
	v_cndmask_b32_e32 v32, v46, v16, vcc
	s_mov_b32 s8, 0
	s_mov_b32 s9, 0x40900000
	v_mul_f64 v[15:16], v[13:14], s[34:35]
	v_cmp_nlt_f64_e64 s[8:9], s[8:9], v[13:14]
	v_cmp_ngt_f64_e64 s[10:11], s[10:11], v[13:14]
	v_rndne_f64_e32 v[15:16], v[15:16]
	v_fma_f64 v[39:40], v[15:16], s[36:37], v[13:14]
	v_fma_f64 v[39:40], v[15:16], s[38:39], v[39:40]
	v_cvt_i32_f64_e32 v15, v[15:16]
	v_fma_f64 v[47:48], v[39:40], s[40:41], v[19:20]
	v_fma_f64 v[47:48], v[39:40], v[47:48], s[42:43]
	;; [unrolled: 1-line block ×9, first 2 shown]
	v_fma_f64 v[47:48], v[39:40], v[47:48], 1.0
	v_fma_f64 v[39:40], v[39:40], v[47:48], 1.0
	v_mul_f64 v[47:48], v[33:34], v[33:34]
	v_ldexp_f64 v[15:16], v[39:40], v15
	v_fma_f64 v[41:42], v[47:48], s[60:61], v[41:42]
	v_fma_f64 v[37:38], v[47:48], s[70:71], v[37:38]
	v_cndmask_b32_e64 v16, v45, v16, s[8:9]
	v_cndmask_b32_e64 v18, 0, v16, s[10:11]
	s_and_b64 s[8:9], s[10:11], s[8:9]
	v_and_b32_e32 v13, 0xfffff, v18
	v_cndmask_b32_e64 v15, 0, v15, s[8:9]
	v_or_b32_e32 v16, 0x7fe00000, v13
	v_mul_f64 v[13:14], v[15:16], v[31:32]
	v_lshrrev_b32_e32 v18, 20, v18
	v_add_u32_e32 v39, 0xffffff09, v18
	v_lshrrev_b16_e32 v18, 15, v39
	v_add_u16_e32 v18, v39, v18
	v_ashrrev_i16_e32 v18, 1, v18
	v_bfe_i32 v40, v18, 0, 16
	v_lshl_add_u32 v18, v40, 20, v44
	v_mul_f64 v[31:32], v[13:14], v[17:18]
	v_sub_u32_e32 v13, v39, v40
	v_mul_f64 v[39:40], v[47:48], 0.5
	v_fma_f64 v[41:42], v[47:48], v[41:42], s[62:63]
	v_fma_f64 v[37:38], v[47:48], v[37:38], s[72:73]
	v_lshl_add_u32 v14, v13, 20, v44
	v_mov_b32_e32 v13, v17
	v_mul_f64 v[31:32], v[31:32], v[13:14]
	v_add_f64 v[49:50], -v[39:40], 1.0
	v_fma_f64 v[41:42], v[47:48], v[41:42], s[64:65]
	v_fma_f64 v[37:38], v[47:48], v[37:38], s[74:75]
	v_add_f64 v[51:52], -v[49:50], 1.0
	v_fma_f64 v[41:42], v[47:48], v[41:42], s[66:67]
	v_fma_f64 v[37:38], v[47:48], v[37:38], s[50:51]
	v_add_f64 v[39:40], v[51:52], -v[39:40]
	v_mul_f64 v[51:52], v[47:48], v[47:48]
	v_fma_f64 v[41:42], v[47:48], v[41:42], s[80:81]
	v_fma_f64 v[39:40], v[33:34], -v[35:36], v[39:40]
	v_fma_f64 v[39:40], v[51:52], v[41:42], v[39:40]
	v_mul_f64 v[41:42], v[33:34], -v[47:48]
	v_add_f64 v[39:40], v[49:50], v[39:40]
	v_mul_f64 v[49:50], v[35:36], 0.5
	v_fma_f64 v[37:38], v[41:42], v[37:38], v[49:50]
	v_fma_f64 v[35:36], v[47:48], v[37:38], -v[35:36]
	v_fma_f64 v[35:36], v[41:42], s[76:77], v[35:36]
	v_add_f64 v[33:34], v[33:34], -v[35:36]
	v_and_b32_e32 v35, 1, v29
	v_lshlrev_b32_e32 v29, 30, v29
	v_cmp_eq_u32_e64 s[8:9], 0, v35
	v_xor_b32_e32 v29, v29, v30
	v_and_b32_e32 v29, 0x80000000, v29
	v_cndmask_b32_e64 v34, v40, v34, s[8:9]
	v_cndmask_b32_e64 v33, v39, v33, s[8:9]
	v_xor_b32_e32 v30, v34, v29
	v_cndmask_b32_e32 v29, 0, v33, vcc
	v_cndmask_b32_e32 v30, v46, v30, vcc
	v_mul_f64 v[15:16], v[15:16], v[29:30]
	v_mul_f64 v[15:16], v[15:16], v[17:18]
	v_mul_f64 v[29:30], v[15:16], v[13:14]
.LBB247_300:                            ;   in Loop: Header=BB247_217 Depth=1
	s_or_b64 exec, exec, s[68:69]
                                        ; implicit-def: $vgpr33_vgpr34
                                        ; implicit-def: $vgpr15_vgpr16
                                        ; implicit-def: $vgpr18
.LBB247_301:                            ;   in Loop: Header=BB247_217 Depth=1
	s_andn2_saveexec_b64 s[10:11], s[58:59]
	s_cbranch_execz .LBB247_307
; %bb.302:                              ;   in Loop: Header=BB247_217 Depth=1
	s_mov_b32 s8, 0x7ff00000
	v_cmp_ne_u32_e32 vcc, 0, v13
	v_cmp_ne_u32_e64 s[8:9], s8, v18
	s_or_b64 s[8:9], vcc, s[8:9]
                                        ; implicit-def: $vgpr29_vgpr30
	s_and_saveexec_b64 s[20:21], s[8:9]
	s_xor_b64 s[8:9], exec, s[20:21]
; %bb.303:                              ;   in Loop: Header=BB247_217 Depth=1
	v_add_f64 v[29:30], v[15:16], -v[15:16]
                                        ; implicit-def: $vgpr33_vgpr34
                                        ; implicit-def: $vgpr15_vgpr16
; %bb.304:                              ;   in Loop: Header=BB247_217 Depth=1
	s_or_saveexec_b64 s[8:9], s[8:9]
	v_mov_b32_e32 v32, v30
	v_mov_b32_e32 v31, v29
	s_xor_b64 exec, exec, s[8:9]
	s_cbranch_execz .LBB247_306
; %bb.305:                              ;   in Loop: Header=BB247_217 Depth=1
	v_add_f64 v[14:15], v[15:16], -v[15:16]
	v_cmp_lt_i64_e32 vcc, -1, v[33:34]
	v_cndmask_b32_e32 v32, 0, v34, vcc
	v_cndmask_b32_e32 v31, 0, v13, vcc
	v_cndmask_b32_e32 v30, 0, v15, vcc
	v_cndmask_b32_e32 v29, 0, v14, vcc
.LBB247_306:                            ;   in Loop: Header=BB247_217 Depth=1
	s_or_b64 exec, exec, s[8:9]
.LBB247_307:                            ;   in Loop: Header=BB247_217 Depth=1
	s_or_b64 exec, exec, s[10:11]
                                        ; implicit-def: $vgpr15_vgpr16
.LBB247_308:                            ;   in Loop: Header=BB247_217 Depth=1
	s_andn2_saveexec_b64 s[10:11], s[18:19]
	s_cbranch_execz .LBB247_318
; %bb.309:                              ;   in Loop: Header=BB247_217 Depth=1
	s_mov_b32 s8, 0
	s_mov_b32 s9, 0x41d00000
	v_cmp_nlt_f64_e64 s[8:9], |v[15:16]|, s[8:9]
                                        ; implicit-def: $vgpr39
                                        ; implicit-def: $vgpr31_vgpr32
                                        ; implicit-def: $vgpr33_vgpr34
	s_and_saveexec_b64 s[18:19], s[8:9]
	s_xor_b64 s[18:19], exec, s[18:19]
	s_cbranch_execz .LBB247_311
; %bb.310:                              ;   in Loop: Header=BB247_217 Depth=1
	v_trig_preop_f64 v[13:14], |v[15:16]|, 0
	s_movk_i32 s20, 0xff80
	v_ldexp_f64 v[31:32], |v[15:16]|, s20
	s_mov_b32 s20, 0
	s_mov_b32 s21, 0x7b000000
	v_cmp_ge_f64_e64 vcc, |v[15:16]|, s[20:21]
	v_trig_preop_f64 v[33:34], |v[15:16]|, 1
	v_and_b32_e32 v18, 0x7fffffff, v16
	v_trig_preop_f64 v[41:42], |v[15:16]|, 2
	s_mov_b32 s20, 0
	s_mov_b32 s21, 0x7ff00000
	;; [unrolled: 1-line block ×4, first 2 shown]
	v_cndmask_b32_e32 v32, v18, v32, vcc
	v_cndmask_b32_e32 v31, v15, v31, vcc
	v_mul_f64 v[35:36], v[13:14], v[31:32]
	v_mul_f64 v[37:38], v[33:34], v[31:32]
	;; [unrolled: 1-line block ×3, first 2 shown]
	v_fma_f64 v[13:14], v[13:14], v[31:32], -v[35:36]
	v_fma_f64 v[33:34], v[33:34], v[31:32], -v[37:38]
	;; [unrolled: 1-line block ×3, first 2 shown]
	v_add_f64 v[39:40], v[37:38], v[13:14]
	v_add_f64 v[47:48], v[39:40], -v[37:38]
	v_add_f64 v[53:54], v[35:36], v[39:40]
	v_add_f64 v[49:50], v[39:40], -v[47:48]
	v_add_f64 v[13:14], v[13:14], -v[47:48]
	v_add_f64 v[47:48], v[51:52], v[33:34]
	v_add_f64 v[35:36], v[53:54], -v[35:36]
	v_add_f64 v[37:38], v[37:38], -v[49:50]
	v_ldexp_f64 v[49:50], v[53:54], -2
	v_add_f64 v[55:56], v[47:48], -v[51:52]
	v_add_f64 v[35:36], v[39:40], -v[35:36]
	v_add_f64 v[13:14], v[13:14], v[37:38]
	v_fract_f64_e32 v[37:38], v[49:50]
	v_cmp_neq_f64_e64 vcc, |v[49:50]|, s[20:21]
	v_add_f64 v[33:34], v[33:34], -v[55:56]
	v_add_f64 v[39:40], v[47:48], v[13:14]
	v_ldexp_f64 v[37:38], v[37:38], 2
	v_add_f64 v[49:50], v[35:36], v[39:40]
	v_cndmask_b32_e32 v38, 0, v38, vcc
	v_cndmask_b32_e32 v37, 0, v37, vcc
	v_add_f64 v[57:58], v[39:40], -v[47:48]
	v_add_f64 v[53:54], v[49:50], v[37:38]
	v_add_f64 v[35:36], v[49:50], -v[35:36]
	v_add_f64 v[59:60], v[39:40], -v[57:58]
	;; [unrolled: 1-line block ×3, first 2 shown]
	v_cmp_gt_f64_e32 vcc, 0, v[53:54]
	v_add_f64 v[53:54], v[47:48], -v[55:56]
	v_add_f64 v[35:36], v[39:40], -v[35:36]
	v_add_f64 v[47:48], v[47:48], -v[59:60]
	v_cndmask_b32_e32 v18, 0, v43, vcc
	v_add_f64 v[37:38], v[37:38], v[17:18]
	v_add_f64 v[53:54], v[51:52], -v[53:54]
	v_add_f64 v[13:14], v[13:14], v[47:48]
	v_add_f64 v[61:62], v[49:50], v[37:38]
	;; [unrolled: 1-line block ×3, first 2 shown]
	v_cvt_i32_f64_e32 v29, v[61:62]
	v_add_f64 v[13:14], v[33:34], v[13:14]
	v_cvt_f64_i32_e32 v[55:56], v29
	v_add_f64 v[37:38], v[37:38], -v[55:56]
	v_add_f64 v[13:14], v[31:32], v[13:14]
	v_add_f64 v[33:34], v[49:50], v[37:38]
	;; [unrolled: 1-line block ×3, first 2 shown]
	v_add_f64 v[31:32], v[33:34], -v[37:38]
	v_cmp_le_f64_e32 vcc, 0.5, v[33:34]
	v_add_f64 v[31:32], v[49:50], -v[31:32]
	v_cndmask_b32_e32 v18, 0, v44, vcc
	v_addc_co_u32_e32 v39, vcc, 0, v29, vcc
	v_add_f64 v[13:14], v[13:14], v[31:32]
	v_add_f64 v[31:32], v[33:34], -v[17:18]
	v_add_f64 v[33:34], v[31:32], v[13:14]
	v_mul_f64 v[35:36], v[33:34], s[86:87]
	v_add_f64 v[31:32], v[33:34], -v[31:32]
	v_fma_f64 v[37:38], v[33:34], s[86:87], -v[35:36]
	v_add_f64 v[13:14], v[13:14], -v[31:32]
	v_fma_f64 v[31:32], v[33:34], s[90:91], v[37:38]
	v_fma_f64 v[13:14], v[13:14], s[86:87], v[31:32]
	v_add_f64 v[31:32], v[35:36], v[13:14]
	v_add_f64 v[33:34], v[31:32], -v[35:36]
	v_add_f64 v[33:34], v[13:14], -v[33:34]
	s_andn2_saveexec_b64 s[18:19], s[18:19]
	s_cbranch_execz .LBB247_313
	s_branch .LBB247_312
.LBB247_311:                            ;   in Loop: Header=BB247_217 Depth=1
	s_andn2_saveexec_b64 s[18:19], s[18:19]
	s_cbranch_execz .LBB247_313
.LBB247_312:                            ;   in Loop: Header=BB247_217 Depth=1
	s_mov_b32 s20, 0x6dc9c883
	s_mov_b32 s21, 0x3fe45f30
	v_mul_f64 v[13:14], |v[15:16]|, s[20:21]
	s_mov_b32 s88, s28
	s_mov_b32 s20, 0x252049c0
	;; [unrolled: 1-line block ×3, first 2 shown]
	v_rndne_f64_e32 v[13:14], v[13:14]
	v_fma_f64 v[31:32], v[13:14], s[24:25], |v[15:16]|
	v_mul_f64 v[33:34], v[13:14], s[28:29]
	v_fma_f64 v[39:40], v[13:14], s[28:29], v[31:32]
	v_add_f64 v[35:36], v[31:32], v[33:34]
	v_add_f64 v[37:38], v[31:32], -v[35:36]
	v_add_f64 v[35:36], v[35:36], -v[39:40]
	v_add_f64 v[31:32], v[37:38], v[33:34]
	v_fma_f64 v[33:34], v[13:14], s[88:89], v[33:34]
	v_add_f64 v[31:32], v[35:36], v[31:32]
	v_add_f64 v[31:32], v[31:32], -v[33:34]
	v_fma_f64 v[33:34], v[13:14], s[20:21], v[31:32]
	v_add_f64 v[31:32], v[39:40], v[33:34]
	v_add_f64 v[35:36], v[31:32], -v[39:40]
	v_cvt_i32_f64_e32 v39, v[13:14]
	v_add_f64 v[33:34], v[33:34], -v[35:36]
.LBB247_313:                            ;   in Loop: Header=BB247_217 Depth=1
	s_or_b64 exec, exec, s[18:19]
                                        ; implicit-def: $vgpr29
                                        ; implicit-def: $vgpr13_vgpr14
                                        ; implicit-def: $vgpr35_vgpr36
	s_and_saveexec_b64 s[18:19], s[8:9]
	s_xor_b64 s[18:19], exec, s[18:19]
	s_cbranch_execz .LBB247_315
; %bb.314:                              ;   in Loop: Header=BB247_217 Depth=1
	v_trig_preop_f64 v[13:14], |v[15:16]|, 0
	s_mov_b32 s8, 0
	s_mov_b32 s9, 0x7b000000
	v_cmp_ge_f64_e64 vcc, |v[15:16]|, s[8:9]
	s_movk_i32 s8, 0xff80
	v_ldexp_f64 v[37:38], |v[15:16]|, s8
	v_trig_preop_f64 v[35:36], |v[15:16]|, 1
	v_and_b32_e32 v18, 0x7fffffff, v16
	s_mov_b32 s8, 0
	s_mov_b32 s9, 0x7ff00000
	;; [unrolled: 1-line block ×4, first 2 shown]
	v_cndmask_b32_e32 v38, v18, v38, vcc
	v_cndmask_b32_e32 v37, v15, v37, vcc
	v_mul_f64 v[47:48], v[13:14], v[37:38]
	v_mul_f64 v[40:41], v[35:36], v[37:38]
	v_fma_f64 v[13:14], v[13:14], v[37:38], -v[47:48]
	v_fma_f64 v[35:36], v[35:36], v[37:38], -v[40:41]
	v_add_f64 v[49:50], v[40:41], v[13:14]
	v_add_f64 v[57:58], v[49:50], -v[40:41]
	v_add_f64 v[51:52], v[47:48], v[49:50]
	v_add_f64 v[13:14], v[13:14], -v[57:58]
	v_add_f64 v[57:58], v[49:50], -v[57:58]
	v_ldexp_f64 v[53:54], v[51:52], -2
	v_add_f64 v[47:48], v[51:52], -v[47:48]
	v_add_f64 v[57:58], v[40:41], -v[57:58]
	v_trig_preop_f64 v[40:41], |v[15:16]|, 2
	v_fract_f64_e32 v[55:56], v[53:54]
	v_add_f64 v[47:48], v[49:50], -v[47:48]
	v_cmp_neq_f64_e64 vcc, |v[53:54]|, s[8:9]
	v_add_f64 v[13:14], v[13:14], v[57:58]
	v_mul_f64 v[57:58], v[40:41], v[37:38]
	v_add_f64 v[59:60], v[57:58], v[35:36]
	v_add_f64 v[61:62], v[59:60], v[13:14]
	v_add_f64 v[51:52], v[61:62], -v[59:60]
	v_add_f64 v[49:50], v[47:48], v[61:62]
	v_add_f64 v[13:14], v[13:14], -v[51:52]
	v_add_f64 v[51:52], v[61:62], -v[51:52]
	;; [unrolled: 1-line block ×5, first 2 shown]
	v_add_f64 v[13:14], v[13:14], v[51:52]
	v_add_f64 v[51:52], v[59:60], -v[57:58]
	v_add_f64 v[35:36], v[35:36], -v[51:52]
	;; [unrolled: 1-line block ×4, first 2 shown]
	v_add_f64 v[35:36], v[35:36], v[51:52]
	v_add_f64 v[13:14], v[35:36], v[13:14]
	v_fma_f64 v[35:36], v[40:41], v[37:38], -v[57:58]
	v_add_f64 v[13:14], v[35:36], v[13:14]
	v_ldexp_f64 v[35:36], v[55:56], 2
	v_add_f64 v[13:14], v[47:48], v[13:14]
	v_cndmask_b32_e32 v36, 0, v36, vcc
	v_cndmask_b32_e32 v35, 0, v35, vcc
	v_add_f64 v[37:38], v[49:50], v[35:36]
	v_cmp_gt_f64_e32 vcc, 0, v[37:38]
	v_cndmask_b32_e32 v18, 0, v43, vcc
	v_add_f64 v[35:36], v[35:36], v[17:18]
	v_add_f64 v[37:38], v[49:50], v[35:36]
	v_cvt_i32_f64_e32 v18, v[37:38]
	v_cvt_f64_i32_e32 v[37:38], v18
	v_add_f64 v[35:36], v[35:36], -v[37:38]
	v_add_f64 v[37:38], v[49:50], v[35:36]
	v_add_f64 v[35:36], v[37:38], -v[35:36]
	v_cmp_le_f64_e32 vcc, 0.5, v[37:38]
	v_add_f64 v[35:36], v[49:50], -v[35:36]
	v_addc_co_u32_e64 v29, s[8:9], 0, v18, vcc
	v_cndmask_b32_e32 v18, 0, v44, vcc
	v_add_f64 v[13:14], v[13:14], v[35:36]
	v_add_f64 v[35:36], v[37:38], -v[17:18]
	v_add_f64 v[37:38], v[35:36], v[13:14]
	v_add_f64 v[35:36], v[37:38], -v[35:36]
	v_add_f64 v[13:14], v[13:14], -v[35:36]
	v_mul_f64 v[35:36], v[37:38], s[86:87]
	v_fma_f64 v[40:41], v[37:38], s[86:87], -v[35:36]
	v_fma_f64 v[37:38], v[37:38], s[90:91], v[40:41]
	v_fma_f64 v[37:38], v[13:14], s[86:87], v[37:38]
	v_add_f64 v[13:14], v[35:36], v[37:38]
	v_add_f64 v[35:36], v[13:14], -v[35:36]
	v_add_f64 v[35:36], v[37:38], -v[35:36]
	s_andn2_saveexec_b64 s[8:9], s[18:19]
	s_cbranch_execnz .LBB247_316
	s_branch .LBB247_317
.LBB247_315:                            ;   in Loop: Header=BB247_217 Depth=1
	s_andn2_saveexec_b64 s[8:9], s[18:19]
	s_cbranch_execz .LBB247_317
.LBB247_316:                            ;   in Loop: Header=BB247_217 Depth=1
	s_mov_b32 s18, 0x6dc9c883
	s_mov_b32 s19, 0x3fe45f30
	v_mul_f64 v[13:14], |v[15:16]|, s[18:19]
	s_mov_b32 s88, s28
	s_mov_b32 s18, 0x252049c0
	;; [unrolled: 1-line block ×3, first 2 shown]
	v_rndne_f64_e32 v[37:38], v[13:14]
	v_fma_f64 v[13:14], v[37:38], s[24:25], |v[15:16]|
	v_mul_f64 v[35:36], v[37:38], s[28:29]
	v_cvt_i32_f64_e32 v29, v[37:38]
	v_fma_f64 v[49:50], v[37:38], s[28:29], v[13:14]
	v_add_f64 v[40:41], v[13:14], v[35:36]
	v_add_f64 v[47:48], v[13:14], -v[40:41]
	v_add_f64 v[40:41], v[40:41], -v[49:50]
	v_add_f64 v[13:14], v[47:48], v[35:36]
	v_fma_f64 v[35:36], v[37:38], s[88:89], v[35:36]
	v_add_f64 v[13:14], v[40:41], v[13:14]
	v_add_f64 v[13:14], v[13:14], -v[35:36]
	v_fma_f64 v[35:36], v[37:38], s[18:19], v[13:14]
	v_add_f64 v[13:14], v[49:50], v[35:36]
	v_add_f64 v[40:41], v[13:14], -v[49:50]
	v_add_f64 v[35:36], v[35:36], -v[40:41]
.LBB247_317:                            ;   in Loop: Header=BB247_217 Depth=1
	s_or_b64 exec, exec, s[8:9]
	v_mul_f64 v[40:41], v[31:32], v[31:32]
	s_mov_b32 s8, 0x9037ab78
	s_mov_b32 s9, 0x3e21eeb6
	v_mov_b32_e32 v52, s9
	v_mov_b32_e32 v51, s8
	s_mov_b32 s8, 0xb42fdfa7
	s_mov_b32 s9, 0xbe5ae600
	v_mul_f64 v[55:56], v[33:34], 0.5
	v_mul_f64 v[37:38], v[40:41], 0.5
	v_fma_f64 v[53:54], v[40:41], s[60:61], v[51:52]
	s_mov_b32 s76, s80
	v_add_f64 v[47:48], -v[37:38], 1.0
	v_fma_f64 v[53:54], v[40:41], v[53:54], s[62:63]
	v_add_f64 v[49:50], -v[47:48], 1.0
	v_fma_f64 v[53:54], v[40:41], v[53:54], s[64:65]
	v_add_f64 v[37:38], v[49:50], -v[37:38]
	v_fma_f64 v[53:54], v[40:41], v[53:54], s[66:67]
	v_mul_f64 v[49:50], v[40:41], v[40:41]
	v_fma_f64 v[37:38], v[31:32], -v[33:34], v[37:38]
	v_fma_f64 v[53:54], v[40:41], v[53:54], s[80:81]
	v_fma_f64 v[37:38], v[49:50], v[53:54], v[37:38]
	v_mul_f64 v[53:54], v[31:32], -v[40:41]
	v_add_f64 v[47:48], v[47:48], v[37:38]
	v_mov_b32_e32 v38, s9
	v_mov_b32_e32 v37, s8
	v_fma_f64 v[49:50], v[40:41], s[70:71], v[37:38]
	s_movk_i32 s8, 0x1f8
	v_fma_f64 v[49:50], v[40:41], v[49:50], s[72:73]
	v_fma_f64 v[49:50], v[40:41], v[49:50], s[74:75]
	;; [unrolled: 1-line block ×4, first 2 shown]
	v_fma_f64 v[33:34], v[40:41], v[49:50], -v[33:34]
	v_fma_f64 v[33:34], v[53:54], s[76:77], v[33:34]
	v_add_f64 v[31:32], v[31:32], -v[33:34]
	v_xor_b32_e32 v18, 0x80000000, v32
	v_and_b32_e32 v32, 1, v39
	v_cmp_eq_u32_e32 vcc, 0, v32
	v_cndmask_b32_e32 v31, v31, v47, vcc
	v_cndmask_b32_e32 v18, v18, v48, vcc
	v_cmp_class_f64_e64 vcc, v[15:16], s8
	v_mul_f64 v[15:16], v[13:14], v[13:14]
	v_lshlrev_b32_e32 v32, 30, v39
	v_and_b32_e32 v32, 0x80000000, v32
	v_xor_b32_e32 v18, v18, v32
	v_cndmask_b32_e32 v31, 0, v31, vcc
	v_mul_f64 v[33:34], v[15:16], 0.5
	v_fma_f64 v[47:48], v[15:16], s[60:61], v[51:52]
	v_fma_f64 v[37:38], v[15:16], s[70:71], v[37:38]
	v_cndmask_b32_e32 v32, v46, v18, vcc
	v_add_f64 v[39:40], -v[33:34], 1.0
	v_fma_f64 v[47:48], v[15:16], v[47:48], s[62:63]
	v_fma_f64 v[37:38], v[15:16], v[37:38], s[72:73]
	v_add_f64 v[41:42], -v[39:40], 1.0
	v_fma_f64 v[47:48], v[15:16], v[47:48], s[64:65]
	v_fma_f64 v[37:38], v[15:16], v[37:38], s[74:75]
	v_add_f64 v[33:34], v[41:42], -v[33:34]
	v_fma_f64 v[47:48], v[15:16], v[47:48], s[66:67]
	v_mul_f64 v[41:42], v[15:16], v[15:16]
	v_fma_f64 v[37:38], v[15:16], v[37:38], s[50:51]
	v_fma_f64 v[33:34], v[13:14], -v[35:36], v[33:34]
	v_fma_f64 v[47:48], v[15:16], v[47:48], s[80:81]
	v_fma_f64 v[33:34], v[41:42], v[47:48], v[33:34]
	v_mul_f64 v[41:42], v[35:36], 0.5
	v_add_f64 v[33:34], v[39:40], v[33:34]
	v_mul_f64 v[39:40], v[13:14], -v[15:16]
	v_fma_f64 v[37:38], v[39:40], v[37:38], v[41:42]
	v_fma_f64 v[15:16], v[15:16], v[37:38], -v[35:36]
	v_fma_f64 v[15:16], v[39:40], s[76:77], v[15:16]
	v_add_f64 v[13:14], v[13:14], -v[15:16]
	v_and_b32_e32 v15, 1, v29
	v_cmp_eq_u32_e64 s[8:9], 0, v15
	v_lshlrev_b32_e32 v15, 30, v29
	v_xor_b32_e32 v15, v15, v30
	v_and_b32_e32 v15, 0x80000000, v15
	v_cndmask_b32_e64 v14, v34, v14, s[8:9]
	v_cndmask_b32_e64 v13, v33, v13, s[8:9]
	v_xor_b32_e32 v14, v14, v15
	v_cndmask_b32_e32 v29, 0, v13, vcc
	v_cndmask_b32_e32 v30, v46, v14, vcc
.LBB247_318:                            ;   in Loop: Header=BB247_217 Depth=1
	s_or_b64 exec, exec, s[10:11]
                                        ; implicit-def: $vgpr13_vgpr14
.LBB247_319:                            ;   in Loop: Header=BB247_217 Depth=1
	s_andn2_saveexec_b64 s[10:11], s[82:83]
	s_cbranch_execz .LBB247_321
; %bb.320:                              ;   in Loop: Header=BB247_217 Depth=1
	s_mov_b32 s92, s34
	v_mul_f64 v[15:16], v[13:14], s[92:93]
	s_mov_b32 s95, s51
	s_mov_b32 s53, s81
	v_cmp_ngt_f64_e32 vcc, s[16:17], v[13:14]
	v_cmp_nlt_f64_e64 s[8:9], s[30:31], v[13:14]
	v_rndne_f64_e32 v[15:16], v[15:16]
	v_fma_f64 v[31:32], v[15:16], s[36:37], -v[13:14]
	v_fma_f64 v[31:32], v[15:16], s[38:39], v[31:32]
	v_cvt_i32_f64_e32 v15, v[15:16]
	v_fma_f64 v[33:34], v[31:32], s[40:41], v[19:20]
	v_fma_f64 v[33:34], v[31:32], v[33:34], s[42:43]
	v_fma_f64 v[33:34], v[31:32], v[33:34], s[44:45]
	v_fma_f64 v[33:34], v[31:32], v[33:34], s[46:47]
	v_fma_f64 v[33:34], v[31:32], v[33:34], s[48:49]
	v_fma_f64 v[33:34], v[31:32], v[33:34], s[94:95]
	v_fma_f64 v[33:34], v[31:32], v[33:34], s[52:53]
	v_fma_f64 v[33:34], v[31:32], v[33:34], s[54:55]
	v_fma_f64 v[33:34], v[31:32], v[33:34], s[56:57]
	v_fma_f64 v[33:34], v[31:32], v[33:34], 1.0
	v_fma_f64 v[31:32], v[31:32], v[33:34], 1.0
	v_ldexp_f64 v[15:16], v[31:32], v15
	v_cndmask_b32_e32 v16, v45, v16, vcc
	s_and_b64 vcc, s[8:9], vcc
	v_cndmask_b32_e64 v32, 0, v16, s[8:9]
	v_cndmask_b32_e32 v31, 0, v15, vcc
.LBB247_321:                            ;   in Loop: Header=BB247_217 Depth=1
	s_or_b64 exec, exec, s[10:11]
	v_add_f64 v[31:32], s[12:13], v[31:32]
	v_add_f64 v[29:30], s[14:15], v[29:30]
	v_cmp_gt_f64_e32 vcc, 0, v[31:32]
	v_xor_b32_e32 v13, 0x80000000, v32
	v_xor_b32_e32 v14, 0x80000000, v30
	v_mov_b32_e32 v33, v31
	v_mov_b32_e32 v35, v29
	v_cndmask_b32_e32 v34, v32, v13, vcc
	v_cmp_gt_f64_e32 vcc, 0, v[29:30]
	v_cndmask_b32_e32 v36, v30, v14, vcc
	v_cmp_ge_f64_e32 vcc, v[33:34], v[35:36]
                                        ; implicit-def: $vgpr15_vgpr16
	s_and_saveexec_b64 s[8:9], vcc
	s_xor_b64 s[10:11], exec, s[8:9]
	s_cbranch_execz .LBB247_327
; %bb.322:                              ;   in Loop: Header=BB247_217 Depth=1
	v_cmp_neq_f64_e32 vcc, 0, v[31:32]
	v_cmp_neq_f64_e64 s[8:9], 0, v[29:30]
                                        ; implicit-def: $vgpr15_vgpr16
	s_or_b64 s[8:9], vcc, s[8:9]
	s_and_saveexec_b64 s[18:19], s[8:9]
	s_xor_b64 s[8:9], exec, s[18:19]
	s_cbranch_execz .LBB247_324
; %bb.323:                              ;   in Loop: Header=BB247_217 Depth=1
	v_div_scale_f64 v[13:14], s[18:19], v[31:32], v[31:32], v[29:30]
	v_rcp_f64_e32 v[15:16], v[13:14]
	v_fma_f64 v[33:34], -v[13:14], v[15:16], 1.0
	v_fma_f64 v[15:16], v[15:16], v[33:34], v[15:16]
	v_div_scale_f64 v[33:34], vcc, v[29:30], v[31:32], v[29:30]
	v_fma_f64 v[35:36], -v[13:14], v[15:16], 1.0
	v_fma_f64 v[15:16], v[15:16], v[35:36], v[15:16]
	v_mul_f64 v[35:36], v[33:34], v[15:16]
	v_fma_f64 v[13:14], -v[13:14], v[35:36], v[33:34]
	v_div_fmas_f64 v[13:14], v[13:14], v[15:16], v[35:36]
	v_div_fixup_f64 v[13:14], v[13:14], v[31:32], v[29:30]
	v_fma_f64 v[15:16], v[29:30], v[13:14], v[31:32]
	v_div_scale_f64 v[29:30], s[18:19], v[15:16], v[15:16], 1.0
	v_rcp_f64_e32 v[31:32], v[29:30]
	v_fma_f64 v[33:34], -v[29:30], v[31:32], 1.0
	v_fma_f64 v[31:32], v[31:32], v[33:34], v[31:32]
	v_div_scale_f64 v[33:34], vcc, 1.0, v[15:16], 1.0
	v_fma_f64 v[35:36], -v[29:30], v[31:32], 1.0
	v_fma_f64 v[31:32], v[31:32], v[35:36], v[31:32]
	v_mul_f64 v[35:36], v[33:34], v[31:32]
	v_fma_f64 v[29:30], -v[29:30], v[35:36], v[33:34]
	v_mov_b32_e32 v34, s15
	v_mov_b32_e32 v33, s14
	v_div_fmas_f64 v[29:30], v[29:30], v[31:32], v[35:36]
	v_mov_b32_e32 v32, s13
	v_mov_b32_e32 v31, s12
	v_fma_f64 v[31:32], s[14:15], v[13:14], v[31:32]
                                        ; implicit-def: $vgpr35_vgpr36
	v_div_fixup_f64 v[15:16], v[29:30], v[15:16], 1.0
	v_fma_f64 v[29:30], -s[12:13], v[13:14], v[33:34]
                                        ; implicit-def: $vgpr33_vgpr34
	v_mul_f64 v[13:14], v[31:32], v[15:16]
	v_mul_f64 v[15:16], v[29:30], v[15:16]
.LBB247_324:                            ;   in Loop: Header=BB247_217 Depth=1
	s_andn2_saveexec_b64 s[18:19], s[8:9]
	s_cbranch_execz .LBB247_326
; %bb.325:                              ;   in Loop: Header=BB247_217 Depth=1
	v_div_scale_f64 v[13:14], s[8:9], v[33:34], v[33:34], s[12:13]
	v_div_scale_f64 v[15:16], s[8:9], v[35:36], v[35:36], s[14:15]
	;; [unrolled: 1-line block ×3, first 2 shown]
	v_rcp_f64_e32 v[29:30], v[13:14]
	v_rcp_f64_e32 v[31:32], v[15:16]
	v_fma_f64 v[37:38], -v[13:14], v[29:30], 1.0
	v_fma_f64 v[39:40], -v[15:16], v[31:32], 1.0
	v_fma_f64 v[29:30], v[29:30], v[37:38], v[29:30]
	v_div_scale_f64 v[37:38], vcc, s[12:13], v[33:34], s[12:13]
	v_fma_f64 v[31:32], v[31:32], v[39:40], v[31:32]
	v_fma_f64 v[39:40], -v[13:14], v[29:30], 1.0
	v_fma_f64 v[47:48], -v[15:16], v[31:32], 1.0
	v_fma_f64 v[29:30], v[29:30], v[39:40], v[29:30]
	v_fma_f64 v[31:32], v[31:32], v[47:48], v[31:32]
	v_mul_f64 v[39:40], v[37:38], v[29:30]
	v_mul_f64 v[47:48], v[41:42], v[31:32]
	v_fma_f64 v[13:14], -v[13:14], v[39:40], v[37:38]
	v_fma_f64 v[15:16], -v[15:16], v[47:48], v[41:42]
	v_div_fmas_f64 v[13:14], v[13:14], v[29:30], v[39:40]
	s_mov_b64 vcc, s[8:9]
	v_div_fmas_f64 v[15:16], v[15:16], v[31:32], v[47:48]
	v_div_fixup_f64 v[13:14], v[13:14], v[33:34], s[12:13]
	v_div_fixup_f64 v[15:16], v[15:16], v[35:36], s[14:15]
.LBB247_326:                            ;   in Loop: Header=BB247_217 Depth=1
	s_or_b64 exec, exec, s[18:19]
                                        ; implicit-def: $vgpr29_vgpr30
                                        ; implicit-def: $vgpr31_vgpr32
.LBB247_327:                            ;   in Loop: Header=BB247_217 Depth=1
	s_andn2_saveexec_b64 s[8:9], s[10:11]
	s_cbranch_execz .LBB247_329
; %bb.328:                              ;   in Loop: Header=BB247_217 Depth=1
	v_div_scale_f64 v[13:14], s[10:11], v[29:30], v[29:30], v[31:32]
	v_rcp_f64_e32 v[15:16], v[13:14]
	v_fma_f64 v[33:34], -v[13:14], v[15:16], 1.0
	v_fma_f64 v[15:16], v[15:16], v[33:34], v[15:16]
	v_div_scale_f64 v[33:34], vcc, v[31:32], v[29:30], v[31:32]
	v_fma_f64 v[35:36], -v[13:14], v[15:16], 1.0
	v_fma_f64 v[15:16], v[15:16], v[35:36], v[15:16]
	v_mul_f64 v[35:36], v[33:34], v[15:16]
	v_fma_f64 v[13:14], -v[13:14], v[35:36], v[33:34]
	v_div_fmas_f64 v[13:14], v[13:14], v[15:16], v[35:36]
	v_div_fixup_f64 v[13:14], v[13:14], v[29:30], v[31:32]
	v_fma_f64 v[15:16], v[31:32], v[13:14], v[29:30]
	v_div_scale_f64 v[29:30], s[10:11], v[15:16], v[15:16], 1.0
	v_rcp_f64_e32 v[31:32], v[29:30]
	v_fma_f64 v[33:34], -v[29:30], v[31:32], 1.0
	v_fma_f64 v[31:32], v[31:32], v[33:34], v[31:32]
	v_div_scale_f64 v[33:34], vcc, 1.0, v[15:16], 1.0
	v_fma_f64 v[35:36], -v[29:30], v[31:32], 1.0
	v_fma_f64 v[31:32], v[31:32], v[35:36], v[31:32]
	v_mul_f64 v[35:36], v[33:34], v[31:32]
	v_fma_f64 v[29:30], -v[29:30], v[35:36], v[33:34]
	v_mov_b32_e32 v34, s13
	v_mov_b32_e32 v33, s12
	v_div_fmas_f64 v[29:30], v[29:30], v[31:32], v[35:36]
	v_mov_b32_e32 v32, s15
	v_mov_b32_e32 v31, s14
	v_fma_f64 v[31:32], s[12:13], v[13:14], v[31:32]
	v_div_fixup_f64 v[15:16], v[29:30], v[15:16], 1.0
	v_fma_f64 v[29:30], s[14:15], v[13:14], -v[33:34]
	v_mul_f64 v[13:14], v[31:32], v[15:16]
	v_mul_f64 v[15:16], v[29:30], v[15:16]
.LBB247_329:                            ;   in Loop: Header=BB247_217 Depth=1
	s_or_b64 exec, exec, s[8:9]
	v_xor_b32_e32 v30, 0x80000000, v12
	v_and_b32_e32 v35, 0x7fffffff, v30
	v_or_b32_e32 v18, v35, v11
	v_mov_b32_e32 v29, v11
	v_cmp_ne_u32_e32 vcc, 0, v18
                                        ; implicit-def: $vgpr31_vgpr32
	s_and_saveexec_b64 s[8:9], vcc
	s_xor_b64 s[82:83], exec, s[8:9]
	s_cbranch_execz .LBB247_371
; %bb.330:                              ;   in Loop: Header=BB247_217 Depth=1
	v_xor_b32_e32 v34, 0x80000000, v10
	v_and_b32_e32 v18, 0x7fffffff, v34
	v_or_b32_e32 v29, v18, v9
	v_mov_b32_e32 v33, v9
	v_cmp_ne_u32_e32 vcc, 0, v29
                                        ; implicit-def: $vgpr31_vgpr32
	s_and_saveexec_b64 s[8:9], vcc
	s_xor_b64 s[18:19], exec, s[8:9]
	s_cbranch_execz .LBB247_360
; %bb.331:                              ;   in Loop: Header=BB247_217 Depth=1
	s_mov_b32 s8, 0x7ff00000
	v_cmp_gt_u32_e32 vcc, s8, v35
                                        ; implicit-def: $vgpr31_vgpr32
	s_and_saveexec_b64 s[8:9], vcc
	s_xor_b64 s[58:59], exec, s[8:9]
	s_cbranch_execz .LBB247_353
; %bb.332:                              ;   in Loop: Header=BB247_217 Depth=1
	v_add_u32_e32 v18, 0xbf79d1be, v34
	s_mov_b32 s8, 0x108aa2
	v_cmp_lt_u32_e32 vcc, s8, v18
                                        ; implicit-def: $vgpr31_vgpr32
	s_and_saveexec_b64 s[8:9], vcc
	s_xor_b64 s[10:11], exec, s[8:9]
	s_cbranch_execz .LBB247_342
; %bb.333:                              ;   in Loop: Header=BB247_217 Depth=1
	s_mov_b32 s8, 0
	s_mov_b32 s9, 0x41d00000
	v_cmp_nlt_f64_e64 s[68:69], |v[11:12]|, s[8:9]
                                        ; implicit-def: $vgpr41
                                        ; implicit-def: $vgpr31_vgpr32
                                        ; implicit-def: $vgpr35_vgpr36
	s_and_saveexec_b64 s[8:9], s[68:69]
	s_xor_b64 s[20:21], exec, s[8:9]
	s_cbranch_execz .LBB247_335
; %bb.334:                              ;   in Loop: Header=BB247_217 Depth=1
	v_trig_preop_f64 v[31:32], |v[11:12]|, 0
	s_mov_b32 s8, 0
	s_mov_b32 s9, 0x7b000000
	v_cmp_ge_f64_e64 vcc, |v[11:12]|, s[8:9]
	s_movk_i32 s8, 0xff80
	v_ldexp_f64 v[35:36], |v[11:12]|, s8
	v_trig_preop_f64 v[33:34], |v[11:12]|, 1
	v_and_b32_e32 v18, 0x7fffffff, v12
	s_mov_b32 s8, 0
	s_mov_b32 s9, 0x7ff00000
	;; [unrolled: 1-line block ×4, first 2 shown]
	v_cndmask_b32_e32 v36, v18, v36, vcc
	v_cndmask_b32_e32 v35, v11, v35, vcc
	v_mul_f64 v[39:40], v[31:32], v[35:36]
	v_mul_f64 v[37:38], v[33:34], v[35:36]
	v_fma_f64 v[31:32], v[31:32], v[35:36], -v[39:40]
	v_fma_f64 v[33:34], v[33:34], v[35:36], -v[37:38]
	v_add_f64 v[41:42], v[37:38], v[31:32]
	v_add_f64 v[53:54], v[41:42], -v[37:38]
	v_add_f64 v[47:48], v[39:40], v[41:42]
	v_add_f64 v[31:32], v[31:32], -v[53:54]
	v_add_f64 v[53:54], v[41:42], -v[53:54]
	v_ldexp_f64 v[49:50], v[47:48], -2
	v_add_f64 v[39:40], v[47:48], -v[39:40]
	v_add_f64 v[53:54], v[37:38], -v[53:54]
	v_trig_preop_f64 v[37:38], |v[11:12]|, 2
	v_fract_f64_e32 v[51:52], v[49:50]
	v_add_f64 v[39:40], v[41:42], -v[39:40]
	v_cmp_neq_f64_e64 vcc, |v[49:50]|, s[8:9]
	v_add_f64 v[31:32], v[31:32], v[53:54]
	v_mul_f64 v[53:54], v[37:38], v[35:36]
	v_add_f64 v[55:56], v[53:54], v[33:34]
	v_add_f64 v[57:58], v[55:56], v[31:32]
	v_add_f64 v[47:48], v[57:58], -v[55:56]
	v_add_f64 v[41:42], v[39:40], v[57:58]
	v_add_f64 v[31:32], v[31:32], -v[47:48]
	v_add_f64 v[47:48], v[57:58], -v[47:48]
	;; [unrolled: 1-line block ×5, first 2 shown]
	v_add_f64 v[31:32], v[31:32], v[47:48]
	v_add_f64 v[47:48], v[55:56], -v[53:54]
	v_add_f64 v[33:34], v[33:34], -v[47:48]
	;; [unrolled: 1-line block ×4, first 2 shown]
	v_add_f64 v[33:34], v[33:34], v[47:48]
	v_add_f64 v[31:32], v[33:34], v[31:32]
	v_fma_f64 v[33:34], v[37:38], v[35:36], -v[53:54]
	v_add_f64 v[31:32], v[33:34], v[31:32]
	v_ldexp_f64 v[33:34], v[51:52], 2
	v_add_f64 v[31:32], v[39:40], v[31:32]
	v_cndmask_b32_e32 v34, 0, v34, vcc
	v_cndmask_b32_e32 v33, 0, v33, vcc
	v_add_f64 v[35:36], v[41:42], v[33:34]
	v_cmp_gt_f64_e32 vcc, 0, v[35:36]
	v_cndmask_b32_e32 v18, 0, v43, vcc
	v_add_f64 v[33:34], v[33:34], v[17:18]
	v_add_f64 v[35:36], v[41:42], v[33:34]
	v_cvt_i32_f64_e32 v18, v[35:36]
	v_cvt_f64_i32_e32 v[35:36], v18
	v_add_f64 v[33:34], v[33:34], -v[35:36]
	v_add_f64 v[35:36], v[41:42], v[33:34]
	v_add_f64 v[33:34], v[35:36], -v[33:34]
	v_cmp_le_f64_e32 vcc, 0.5, v[35:36]
	v_add_f64 v[33:34], v[41:42], -v[33:34]
	v_addc_co_u32_e64 v41, s[8:9], 0, v18, vcc
	v_cndmask_b32_e32 v18, 0, v44, vcc
	v_add_f64 v[31:32], v[31:32], v[33:34]
	v_add_f64 v[33:34], v[35:36], -v[17:18]
	v_add_f64 v[35:36], v[33:34], v[31:32]
	v_add_f64 v[33:34], v[35:36], -v[33:34]
	v_add_f64 v[31:32], v[31:32], -v[33:34]
	v_mul_f64 v[33:34], v[35:36], s[86:87]
	v_fma_f64 v[37:38], v[35:36], s[86:87], -v[33:34]
	v_fma_f64 v[35:36], v[35:36], s[90:91], v[37:38]
	v_fma_f64 v[35:36], v[31:32], s[86:87], v[35:36]
	v_add_f64 v[31:32], v[33:34], v[35:36]
	v_add_f64 v[33:34], v[31:32], -v[33:34]
	v_add_f64 v[35:36], v[35:36], -v[33:34]
	s_andn2_saveexec_b64 s[8:9], s[20:21]
	s_cbranch_execz .LBB247_337
	s_branch .LBB247_336
.LBB247_335:                            ;   in Loop: Header=BB247_217 Depth=1
	s_andn2_saveexec_b64 s[8:9], s[20:21]
	s_cbranch_execz .LBB247_337
.LBB247_336:                            ;   in Loop: Header=BB247_217 Depth=1
	s_mov_b32 s20, 0x6dc9c883
	s_mov_b32 s21, 0x3fe45f30
	v_mul_f64 v[31:32], |v[11:12]|, s[20:21]
	s_mov_b32 s88, s28
	s_mov_b32 s20, 0x252049c0
	;; [unrolled: 1-line block ×3, first 2 shown]
	v_rndne_f64_e32 v[33:34], v[31:32]
	v_fma_f64 v[31:32], v[33:34], s[24:25], |v[11:12]|
	v_mul_f64 v[35:36], v[33:34], s[28:29]
	v_fma_f64 v[41:42], v[33:34], s[28:29], v[31:32]
	v_add_f64 v[37:38], v[31:32], v[35:36]
	v_add_f64 v[39:40], v[31:32], -v[37:38]
	v_add_f64 v[37:38], v[37:38], -v[41:42]
	v_add_f64 v[31:32], v[39:40], v[35:36]
	v_fma_f64 v[35:36], v[33:34], s[88:89], v[35:36]
	v_add_f64 v[31:32], v[37:38], v[31:32]
	v_add_f64 v[31:32], v[31:32], -v[35:36]
	v_fma_f64 v[35:36], v[33:34], s[20:21], v[31:32]
	v_add_f64 v[31:32], v[41:42], v[35:36]
	v_add_f64 v[37:38], v[31:32], -v[41:42]
	v_cvt_i32_f64_e32 v41, v[33:34]
	v_add_f64 v[35:36], v[35:36], -v[37:38]
.LBB247_337:                            ;   in Loop: Header=BB247_217 Depth=1
	s_or_b64 exec, exec, s[8:9]
                                        ; implicit-def: $vgpr29
                                        ; implicit-def: $vgpr33_vgpr34
                                        ; implicit-def: $vgpr37_vgpr38
	s_and_saveexec_b64 s[8:9], s[68:69]
	s_xor_b64 s[20:21], exec, s[8:9]
	s_cbranch_execz .LBB247_339
; %bb.338:                              ;   in Loop: Header=BB247_217 Depth=1
	v_trig_preop_f64 v[33:34], |v[11:12]|, 0
	s_mov_b32 s8, 0
	s_mov_b32 s9, 0x7b000000
	v_cmp_ge_f64_e64 vcc, |v[11:12]|, s[8:9]
	s_movk_i32 s8, 0xff80
	v_ldexp_f64 v[39:40], |v[11:12]|, s8
	v_trig_preop_f64 v[37:38], |v[11:12]|, 1
	v_and_b32_e32 v18, 0x7fffffff, v12
	s_mov_b32 s8, 0
	s_mov_b32 s9, 0x7ff00000
	;; [unrolled: 1-line block ×4, first 2 shown]
	v_cndmask_b32_e32 v40, v18, v40, vcc
	v_cndmask_b32_e32 v39, v11, v39, vcc
	v_mul_f64 v[49:50], v[33:34], v[39:40]
	v_mul_f64 v[47:48], v[37:38], v[39:40]
	v_fma_f64 v[33:34], v[33:34], v[39:40], -v[49:50]
	v_fma_f64 v[37:38], v[37:38], v[39:40], -v[47:48]
	v_add_f64 v[51:52], v[47:48], v[33:34]
	v_add_f64 v[59:60], v[51:52], -v[47:48]
	v_add_f64 v[53:54], v[49:50], v[51:52]
	v_add_f64 v[33:34], v[33:34], -v[59:60]
	v_add_f64 v[59:60], v[51:52], -v[59:60]
	v_ldexp_f64 v[55:56], v[53:54], -2
	v_add_f64 v[49:50], v[53:54], -v[49:50]
	v_add_f64 v[59:60], v[47:48], -v[59:60]
	v_trig_preop_f64 v[47:48], |v[11:12]|, 2
	v_fract_f64_e32 v[57:58], v[55:56]
	v_add_f64 v[49:50], v[51:52], -v[49:50]
	v_cmp_neq_f64_e64 vcc, |v[55:56]|, s[8:9]
	v_add_f64 v[33:34], v[33:34], v[59:60]
	v_mul_f64 v[59:60], v[47:48], v[39:40]
	v_add_f64 v[61:62], v[59:60], v[37:38]
	v_add_f64 v[63:64], v[61:62], v[33:34]
	v_add_f64 v[53:54], v[63:64], -v[61:62]
	v_add_f64 v[51:52], v[49:50], v[63:64]
	v_add_f64 v[33:34], v[33:34], -v[53:54]
	v_add_f64 v[53:54], v[63:64], -v[53:54]
	;; [unrolled: 1-line block ×5, first 2 shown]
	v_add_f64 v[33:34], v[33:34], v[53:54]
	v_add_f64 v[53:54], v[61:62], -v[59:60]
	v_add_f64 v[37:38], v[37:38], -v[53:54]
	;; [unrolled: 1-line block ×4, first 2 shown]
	v_add_f64 v[37:38], v[37:38], v[53:54]
	v_add_f64 v[33:34], v[37:38], v[33:34]
	v_fma_f64 v[37:38], v[47:48], v[39:40], -v[59:60]
	v_add_f64 v[33:34], v[37:38], v[33:34]
	v_ldexp_f64 v[37:38], v[57:58], 2
	v_add_f64 v[33:34], v[49:50], v[33:34]
	v_cndmask_b32_e32 v38, 0, v38, vcc
	v_cndmask_b32_e32 v37, 0, v37, vcc
	v_add_f64 v[39:40], v[51:52], v[37:38]
	v_cmp_gt_f64_e32 vcc, 0, v[39:40]
	v_cndmask_b32_e32 v18, 0, v43, vcc
	v_add_f64 v[37:38], v[37:38], v[17:18]
	v_add_f64 v[39:40], v[51:52], v[37:38]
	v_cvt_i32_f64_e32 v18, v[39:40]
	v_cvt_f64_i32_e32 v[39:40], v18
	v_add_f64 v[37:38], v[37:38], -v[39:40]
	v_add_f64 v[39:40], v[51:52], v[37:38]
	v_add_f64 v[37:38], v[39:40], -v[37:38]
	v_cmp_le_f64_e32 vcc, 0.5, v[39:40]
	v_add_f64 v[37:38], v[51:52], -v[37:38]
	v_addc_co_u32_e64 v29, s[8:9], 0, v18, vcc
	v_cndmask_b32_e32 v18, 0, v44, vcc
	v_add_f64 v[33:34], v[33:34], v[37:38]
	v_add_f64 v[37:38], v[39:40], -v[17:18]
	v_add_f64 v[39:40], v[37:38], v[33:34]
	v_add_f64 v[37:38], v[39:40], -v[37:38]
	v_add_f64 v[33:34], v[33:34], -v[37:38]
	v_mul_f64 v[37:38], v[39:40], s[86:87]
	v_fma_f64 v[47:48], v[39:40], s[86:87], -v[37:38]
	v_fma_f64 v[39:40], v[39:40], s[90:91], v[47:48]
	v_fma_f64 v[39:40], v[33:34], s[86:87], v[39:40]
	v_add_f64 v[33:34], v[37:38], v[39:40]
	v_add_f64 v[37:38], v[33:34], -v[37:38]
	v_add_f64 v[37:38], v[39:40], -v[37:38]
	s_andn2_saveexec_b64 s[8:9], s[20:21]
	s_cbranch_execnz .LBB247_340
	s_branch .LBB247_341
.LBB247_339:                            ;   in Loop: Header=BB247_217 Depth=1
	s_andn2_saveexec_b64 s[8:9], s[20:21]
	s_cbranch_execz .LBB247_341
.LBB247_340:                            ;   in Loop: Header=BB247_217 Depth=1
	s_mov_b32 s20, 0x6dc9c883
	s_mov_b32 s21, 0x3fe45f30
	v_mul_f64 v[33:34], |v[11:12]|, s[20:21]
	s_mov_b32 s88, s28
	s_mov_b32 s20, 0x252049c0
	;; [unrolled: 1-line block ×3, first 2 shown]
	v_rndne_f64_e32 v[39:40], v[33:34]
	v_fma_f64 v[33:34], v[39:40], s[24:25], |v[11:12]|
	v_mul_f64 v[37:38], v[39:40], s[28:29]
	v_cvt_i32_f64_e32 v29, v[39:40]
	v_fma_f64 v[51:52], v[39:40], s[28:29], v[33:34]
	v_add_f64 v[47:48], v[33:34], v[37:38]
	v_add_f64 v[49:50], v[33:34], -v[47:48]
	v_add_f64 v[47:48], v[47:48], -v[51:52]
	v_add_f64 v[33:34], v[49:50], v[37:38]
	v_fma_f64 v[37:38], v[39:40], s[88:89], v[37:38]
	v_add_f64 v[33:34], v[47:48], v[33:34]
	v_add_f64 v[33:34], v[33:34], -v[37:38]
	v_fma_f64 v[37:38], v[39:40], s[20:21], v[33:34]
	v_add_f64 v[33:34], v[51:52], v[37:38]
	v_add_f64 v[47:48], v[33:34], -v[51:52]
	v_add_f64 v[37:38], v[37:38], -v[47:48]
.LBB247_341:                            ;   in Loop: Header=BB247_217 Depth=1
	s_or_b64 exec, exec, s[8:9]
	s_mov_b32 s92, s34
	v_mul_f64 v[39:40], v[9:10], s[92:93]
	s_mov_b32 s95, s51
	s_mov_b32 s53, s81
	v_cmp_ngt_f64_e32 vcc, s[16:17], v[9:10]
	v_cmp_nlt_f64_e64 s[8:9], s[30:31], v[9:10]
	v_mul_f64 v[57:58], v[35:36], 0.5
	s_mov_b32 s76, s80
	v_rndne_f64_e32 v[39:40], v[39:40]
	v_fma_f64 v[47:48], v[39:40], s[36:37], -v[9:10]
	v_cvt_i32_f64_e32 v18, v[39:40]
	v_fma_f64 v[47:48], v[39:40], s[38:39], v[47:48]
	v_fma_f64 v[49:50], v[47:48], s[40:41], v[19:20]
	;; [unrolled: 1-line block ×10, first 2 shown]
	v_fma_f64 v[49:50], v[47:48], v[49:50], 1.0
	v_fma_f64 v[47:48], v[47:48], v[49:50], 1.0
	v_ldexp_f64 v[39:40], v[47:48], v18
	v_mul_f64 v[47:48], v[31:32], v[31:32]
	v_cndmask_b32_e32 v18, v45, v40, vcc
	s_and_b64 vcc, s[8:9], vcc
	v_cndmask_b32_e64 v10, 0, v18, s[8:9]
	s_mov_b32 s8, 0x9037ab78
	s_mov_b32 s9, 0x3e21eeb6
	v_mov_b32_e32 v54, s9
	v_mov_b32_e32 v53, s8
	v_cndmask_b32_e32 v9, 0, v39, vcc
	v_mul_f64 v[39:40], v[47:48], 0.5
	v_fma_f64 v[55:56], v[47:48], s[60:61], v[53:54]
	s_mov_b32 s8, 0xb42fdfa7
	s_mov_b32 s9, 0xbe5ae600
	v_add_f64 v[49:50], -v[39:40], 1.0
	v_fma_f64 v[55:56], v[47:48], v[55:56], s[62:63]
	v_add_f64 v[51:52], -v[49:50], 1.0
	v_fma_f64 v[55:56], v[47:48], v[55:56], s[64:65]
	v_add_f64 v[39:40], v[51:52], -v[39:40]
	v_fma_f64 v[55:56], v[47:48], v[55:56], s[66:67]
	v_mul_f64 v[51:52], v[47:48], v[47:48]
	v_fma_f64 v[39:40], v[31:32], -v[35:36], v[39:40]
	v_fma_f64 v[55:56], v[47:48], v[55:56], s[80:81]
	v_fma_f64 v[39:40], v[51:52], v[55:56], v[39:40]
	v_mul_f64 v[55:56], v[31:32], -v[47:48]
	v_add_f64 v[49:50], v[49:50], v[39:40]
	v_mov_b32_e32 v40, s9
	v_mov_b32_e32 v39, s8
	v_fma_f64 v[51:52], v[47:48], s[70:71], v[39:40]
	s_movk_i32 s8, 0x1f8
	v_fma_f64 v[51:52], v[47:48], v[51:52], s[72:73]
	v_fma_f64 v[51:52], v[47:48], v[51:52], s[74:75]
	;; [unrolled: 1-line block ×4, first 2 shown]
	v_fma_f64 v[35:36], v[47:48], v[51:52], -v[35:36]
	v_fma_f64 v[35:36], v[55:56], s[76:77], v[35:36]
	v_add_f64 v[31:32], v[31:32], -v[35:36]
	v_mul_f64 v[35:36], v[33:34], v[33:34]
	v_xor_b32_e32 v18, 0x80000000, v32
	v_and_b32_e32 v32, 1, v41
	v_cmp_eq_u32_e32 vcc, 0, v32
	v_cndmask_b32_e32 v31, v31, v49, vcc
	v_cndmask_b32_e32 v18, v18, v50, vcc
	v_cmp_class_f64_e64 vcc, v[11:12], s8
	v_lshlrev_b32_e32 v32, 30, v41
	v_and_b32_e32 v32, 0x80000000, v32
	v_xor_b32_e32 v18, v18, v32
	v_fma_f64 v[49:50], v[35:36], s[60:61], v[53:54]
	v_fma_f64 v[39:40], v[35:36], s[70:71], v[39:40]
	v_cndmask_b32_e32 v11, 0, v31, vcc
	v_cndmask_b32_e32 v12, v46, v18, vcc
	v_mul_f64 v[31:32], v[9:10], v[11:12]
	v_mul_f64 v[11:12], v[35:36], 0.5
	v_fma_f64 v[49:50], v[35:36], v[49:50], s[62:63]
	v_fma_f64 v[39:40], v[35:36], v[39:40], s[72:73]
	v_and_b32_e32 v18, 1, v29
	v_cmp_eq_u32_e64 s[8:9], 0, v18
	v_lshlrev_b32_e32 v18, 30, v29
	v_xor_b32_e32 v18, v18, v30
	v_and_b32_e32 v18, 0x80000000, v18
	v_add_f64 v[41:42], -v[11:12], 1.0
	v_fma_f64 v[49:50], v[35:36], v[49:50], s[64:65]
	v_fma_f64 v[39:40], v[35:36], v[39:40], s[74:75]
	v_add_f64 v[47:48], -v[41:42], 1.0
	v_fma_f64 v[49:50], v[35:36], v[49:50], s[66:67]
	v_fma_f64 v[39:40], v[35:36], v[39:40], s[50:51]
	v_add_f64 v[11:12], v[47:48], -v[11:12]
	v_mul_f64 v[47:48], v[35:36], v[35:36]
	v_fma_f64 v[49:50], v[35:36], v[49:50], s[80:81]
	v_fma_f64 v[11:12], v[33:34], -v[37:38], v[11:12]
	v_fma_f64 v[11:12], v[47:48], v[49:50], v[11:12]
	v_mul_f64 v[47:48], v[37:38], 0.5
	v_add_f64 v[11:12], v[41:42], v[11:12]
	v_mul_f64 v[41:42], v[33:34], -v[35:36]
	v_fma_f64 v[39:40], v[41:42], v[39:40], v[47:48]
	v_fma_f64 v[35:36], v[35:36], v[39:40], -v[37:38]
	v_fma_f64 v[35:36], v[41:42], s[76:77], v[35:36]
	v_add_f64 v[33:34], v[33:34], -v[35:36]
	v_cndmask_b32_e64 v12, v12, v34, s[8:9]
	v_cndmask_b32_e64 v11, v11, v33, s[8:9]
	v_xor_b32_e32 v12, v12, v18
	v_cndmask_b32_e32 v11, 0, v11, vcc
	v_cndmask_b32_e32 v12, v46, v12, vcc
	v_mul_f64 v[29:30], v[9:10], v[11:12]
                                        ; implicit-def: $vgpr11_vgpr12
.LBB247_342:                            ;   in Loop: Header=BB247_217 Depth=1
	s_andn2_saveexec_b64 s[68:69], s[10:11]
	s_cbranch_execz .LBB247_352
; %bb.343:                              ;   in Loop: Header=BB247_217 Depth=1
	s_mov_b32 s8, 0
	s_mov_b32 s9, 0x41d00000
	v_cmp_nlt_f64_e64 s[10:11], |v[11:12]|, s[8:9]
                                        ; implicit-def: $vgpr47
                                        ; implicit-def: $vgpr31_vgpr32
                                        ; implicit-def: $vgpr39_vgpr40
	s_and_saveexec_b64 s[8:9], s[10:11]
	s_xor_b64 s[20:21], exec, s[8:9]
	s_cbranch_execz .LBB247_345
; %bb.344:                              ;   in Loop: Header=BB247_217 Depth=1
	v_trig_preop_f64 v[31:32], |v[11:12]|, 0
	s_mov_b32 s8, 0
	s_mov_b32 s9, 0x7b000000
	v_cmp_ge_f64_e64 vcc, |v[11:12]|, s[8:9]
	s_movk_i32 s8, 0xff80
	v_ldexp_f64 v[35:36], |v[11:12]|, s8
	v_trig_preop_f64 v[33:34], |v[11:12]|, 1
	v_and_b32_e32 v18, 0x7fffffff, v12
	s_mov_b32 s8, 0
	s_mov_b32 s9, 0x7ff00000
	;; [unrolled: 1-line block ×4, first 2 shown]
	v_cndmask_b32_e32 v36, v18, v36, vcc
	v_cndmask_b32_e32 v35, v11, v35, vcc
	v_mul_f64 v[39:40], v[31:32], v[35:36]
	v_mul_f64 v[37:38], v[33:34], v[35:36]
	v_fma_f64 v[31:32], v[31:32], v[35:36], -v[39:40]
	v_fma_f64 v[33:34], v[33:34], v[35:36], -v[37:38]
	v_add_f64 v[41:42], v[37:38], v[31:32]
	v_add_f64 v[53:54], v[41:42], -v[37:38]
	v_add_f64 v[47:48], v[39:40], v[41:42]
	v_add_f64 v[31:32], v[31:32], -v[53:54]
	v_add_f64 v[53:54], v[41:42], -v[53:54]
	v_ldexp_f64 v[49:50], v[47:48], -2
	v_add_f64 v[39:40], v[47:48], -v[39:40]
	v_add_f64 v[53:54], v[37:38], -v[53:54]
	v_trig_preop_f64 v[37:38], |v[11:12]|, 2
	v_fract_f64_e32 v[51:52], v[49:50]
	v_add_f64 v[39:40], v[41:42], -v[39:40]
	v_cmp_neq_f64_e64 vcc, |v[49:50]|, s[8:9]
	v_add_f64 v[31:32], v[31:32], v[53:54]
	v_mul_f64 v[53:54], v[37:38], v[35:36]
	v_add_f64 v[55:56], v[53:54], v[33:34]
	v_add_f64 v[57:58], v[55:56], v[31:32]
	v_add_f64 v[47:48], v[57:58], -v[55:56]
	v_add_f64 v[41:42], v[39:40], v[57:58]
	v_add_f64 v[31:32], v[31:32], -v[47:48]
	v_add_f64 v[47:48], v[57:58], -v[47:48]
	;; [unrolled: 1-line block ×5, first 2 shown]
	v_add_f64 v[31:32], v[31:32], v[47:48]
	v_add_f64 v[47:48], v[55:56], -v[53:54]
	v_add_f64 v[33:34], v[33:34], -v[47:48]
	;; [unrolled: 1-line block ×4, first 2 shown]
	v_add_f64 v[33:34], v[33:34], v[47:48]
	v_add_f64 v[31:32], v[33:34], v[31:32]
	v_fma_f64 v[33:34], v[37:38], v[35:36], -v[53:54]
	v_add_f64 v[31:32], v[33:34], v[31:32]
	v_ldexp_f64 v[33:34], v[51:52], 2
	v_add_f64 v[31:32], v[39:40], v[31:32]
	v_cndmask_b32_e32 v34, 0, v34, vcc
	v_cndmask_b32_e32 v33, 0, v33, vcc
	v_add_f64 v[35:36], v[41:42], v[33:34]
	v_cmp_gt_f64_e32 vcc, 0, v[35:36]
	v_cndmask_b32_e32 v18, 0, v43, vcc
	v_add_f64 v[33:34], v[33:34], v[17:18]
	v_add_f64 v[35:36], v[41:42], v[33:34]
	v_cvt_i32_f64_e32 v18, v[35:36]
	v_cvt_f64_i32_e32 v[35:36], v18
	v_add_f64 v[33:34], v[33:34], -v[35:36]
	v_add_f64 v[35:36], v[41:42], v[33:34]
	v_add_f64 v[33:34], v[35:36], -v[33:34]
	v_cmp_le_f64_e32 vcc, 0.5, v[35:36]
	v_add_f64 v[33:34], v[41:42], -v[33:34]
	v_addc_co_u32_e64 v47, s[8:9], 0, v18, vcc
	v_cndmask_b32_e32 v18, 0, v44, vcc
	v_add_f64 v[31:32], v[31:32], v[33:34]
	v_add_f64 v[33:34], v[35:36], -v[17:18]
	v_add_f64 v[35:36], v[33:34], v[31:32]
	v_add_f64 v[33:34], v[35:36], -v[33:34]
	v_add_f64 v[31:32], v[31:32], -v[33:34]
	v_mul_f64 v[33:34], v[35:36], s[86:87]
	v_fma_f64 v[37:38], v[35:36], s[86:87], -v[33:34]
	v_fma_f64 v[35:36], v[35:36], s[90:91], v[37:38]
	v_fma_f64 v[35:36], v[31:32], s[86:87], v[35:36]
	v_add_f64 v[31:32], v[33:34], v[35:36]
	v_add_f64 v[33:34], v[31:32], -v[33:34]
	v_add_f64 v[39:40], v[35:36], -v[33:34]
	s_andn2_saveexec_b64 s[8:9], s[20:21]
	s_cbranch_execz .LBB247_347
	s_branch .LBB247_346
.LBB247_345:                            ;   in Loop: Header=BB247_217 Depth=1
	s_andn2_saveexec_b64 s[8:9], s[20:21]
	s_cbranch_execz .LBB247_347
.LBB247_346:                            ;   in Loop: Header=BB247_217 Depth=1
	s_mov_b32 s20, 0x6dc9c883
	s_mov_b32 s21, 0x3fe45f30
	v_mul_f64 v[31:32], |v[11:12]|, s[20:21]
	s_mov_b32 s88, s28
	s_mov_b32 s20, 0x252049c0
	;; [unrolled: 1-line block ×3, first 2 shown]
	v_rndne_f64_e32 v[33:34], v[31:32]
	v_fma_f64 v[31:32], v[33:34], s[24:25], |v[11:12]|
	v_mul_f64 v[35:36], v[33:34], s[28:29]
	v_cvt_i32_f64_e32 v47, v[33:34]
	v_fma_f64 v[41:42], v[33:34], s[28:29], v[31:32]
	v_add_f64 v[37:38], v[31:32], v[35:36]
	v_add_f64 v[39:40], v[31:32], -v[37:38]
	v_add_f64 v[37:38], v[37:38], -v[41:42]
	v_add_f64 v[31:32], v[39:40], v[35:36]
	v_fma_f64 v[35:36], v[33:34], s[88:89], v[35:36]
	v_add_f64 v[31:32], v[37:38], v[31:32]
	v_add_f64 v[31:32], v[31:32], -v[35:36]
	v_fma_f64 v[35:36], v[33:34], s[20:21], v[31:32]
	v_add_f64 v[31:32], v[41:42], v[35:36]
	v_add_f64 v[37:38], v[31:32], -v[41:42]
	v_add_f64 v[39:40], v[35:36], -v[37:38]
.LBB247_347:                            ;   in Loop: Header=BB247_217 Depth=1
	s_or_b64 exec, exec, s[8:9]
                                        ; implicit-def: $vgpr29
                                        ; implicit-def: $vgpr33_vgpr34
                                        ; implicit-def: $vgpr35_vgpr36
	s_and_saveexec_b64 s[8:9], s[10:11]
	s_xor_b64 s[10:11], exec, s[8:9]
	s_cbranch_execz .LBB247_349
; %bb.348:                              ;   in Loop: Header=BB247_217 Depth=1
	v_trig_preop_f64 v[33:34], |v[11:12]|, 0
	s_mov_b32 s8, 0
	s_mov_b32 s9, 0x7b000000
	v_cmp_ge_f64_e64 vcc, |v[11:12]|, s[8:9]
	s_movk_i32 s8, 0xff80
	v_ldexp_f64 v[37:38], |v[11:12]|, s8
	v_trig_preop_f64 v[35:36], |v[11:12]|, 1
	v_and_b32_e32 v18, 0x7fffffff, v12
	s_mov_b32 s8, 0
	s_mov_b32 s9, 0x7ff00000
	;; [unrolled: 1-line block ×4, first 2 shown]
	v_cndmask_b32_e32 v38, v18, v38, vcc
	v_cndmask_b32_e32 v37, v11, v37, vcc
	v_mul_f64 v[48:49], v[33:34], v[37:38]
	v_mul_f64 v[41:42], v[35:36], v[37:38]
	v_fma_f64 v[33:34], v[33:34], v[37:38], -v[48:49]
	v_fma_f64 v[35:36], v[35:36], v[37:38], -v[41:42]
	v_add_f64 v[50:51], v[41:42], v[33:34]
	v_add_f64 v[58:59], v[50:51], -v[41:42]
	v_add_f64 v[52:53], v[48:49], v[50:51]
	v_add_f64 v[33:34], v[33:34], -v[58:59]
	v_add_f64 v[58:59], v[50:51], -v[58:59]
	v_ldexp_f64 v[54:55], v[52:53], -2
	v_add_f64 v[48:49], v[52:53], -v[48:49]
	v_add_f64 v[58:59], v[41:42], -v[58:59]
	v_trig_preop_f64 v[41:42], |v[11:12]|, 2
	v_fract_f64_e32 v[56:57], v[54:55]
	v_add_f64 v[48:49], v[50:51], -v[48:49]
	v_cmp_neq_f64_e64 vcc, |v[54:55]|, s[8:9]
	v_add_f64 v[33:34], v[33:34], v[58:59]
	v_mul_f64 v[58:59], v[41:42], v[37:38]
	v_add_f64 v[60:61], v[58:59], v[35:36]
	v_add_f64 v[62:63], v[60:61], v[33:34]
	v_add_f64 v[52:53], v[62:63], -v[60:61]
	v_add_f64 v[50:51], v[48:49], v[62:63]
	v_add_f64 v[33:34], v[33:34], -v[52:53]
	v_add_f64 v[52:53], v[62:63], -v[52:53]
	;; [unrolled: 1-line block ×5, first 2 shown]
	v_add_f64 v[33:34], v[33:34], v[52:53]
	v_add_f64 v[52:53], v[60:61], -v[58:59]
	v_add_f64 v[35:36], v[35:36], -v[52:53]
	;; [unrolled: 1-line block ×4, first 2 shown]
	v_add_f64 v[35:36], v[35:36], v[52:53]
	v_add_f64 v[33:34], v[35:36], v[33:34]
	v_fma_f64 v[35:36], v[41:42], v[37:38], -v[58:59]
	v_add_f64 v[33:34], v[35:36], v[33:34]
	v_ldexp_f64 v[35:36], v[56:57], 2
	v_add_f64 v[33:34], v[48:49], v[33:34]
	v_cndmask_b32_e32 v36, 0, v36, vcc
	v_cndmask_b32_e32 v35, 0, v35, vcc
	v_add_f64 v[37:38], v[50:51], v[35:36]
	v_cmp_gt_f64_e32 vcc, 0, v[37:38]
	v_cndmask_b32_e32 v18, 0, v43, vcc
	v_add_f64 v[35:36], v[35:36], v[17:18]
	v_add_f64 v[37:38], v[50:51], v[35:36]
	v_cvt_i32_f64_e32 v18, v[37:38]
	v_cvt_f64_i32_e32 v[37:38], v18
	v_add_f64 v[35:36], v[35:36], -v[37:38]
	v_add_f64 v[37:38], v[50:51], v[35:36]
	v_add_f64 v[35:36], v[37:38], -v[35:36]
	v_cmp_le_f64_e32 vcc, 0.5, v[37:38]
	v_add_f64 v[35:36], v[50:51], -v[35:36]
	v_addc_co_u32_e64 v29, s[8:9], 0, v18, vcc
	v_cndmask_b32_e32 v18, 0, v44, vcc
	v_add_f64 v[33:34], v[33:34], v[35:36]
	v_add_f64 v[35:36], v[37:38], -v[17:18]
	v_add_f64 v[37:38], v[35:36], v[33:34]
	v_add_f64 v[35:36], v[37:38], -v[35:36]
	v_add_f64 v[33:34], v[33:34], -v[35:36]
	v_mul_f64 v[35:36], v[37:38], s[86:87]
	v_fma_f64 v[41:42], v[37:38], s[86:87], -v[35:36]
	v_fma_f64 v[37:38], v[37:38], s[90:91], v[41:42]
	v_fma_f64 v[37:38], v[33:34], s[86:87], v[37:38]
	v_add_f64 v[33:34], v[35:36], v[37:38]
	v_add_f64 v[35:36], v[33:34], -v[35:36]
	v_add_f64 v[35:36], v[37:38], -v[35:36]
	s_andn2_saveexec_b64 s[8:9], s[10:11]
	s_cbranch_execnz .LBB247_350
	s_branch .LBB247_351
.LBB247_349:                            ;   in Loop: Header=BB247_217 Depth=1
	s_andn2_saveexec_b64 s[8:9], s[10:11]
	s_cbranch_execz .LBB247_351
.LBB247_350:                            ;   in Loop: Header=BB247_217 Depth=1
	s_mov_b32 s10, 0x6dc9c883
	s_mov_b32 s11, 0x3fe45f30
	v_mul_f64 v[33:34], |v[11:12]|, s[10:11]
	s_mov_b32 s88, s28
	s_mov_b32 s10, 0x252049c0
	;; [unrolled: 1-line block ×3, first 2 shown]
	v_rndne_f64_e32 v[37:38], v[33:34]
	v_fma_f64 v[33:34], v[37:38], s[24:25], |v[11:12]|
	v_mul_f64 v[35:36], v[37:38], s[28:29]
	v_cvt_i32_f64_e32 v29, v[37:38]
	v_fma_f64 v[50:51], v[37:38], s[28:29], v[33:34]
	v_add_f64 v[41:42], v[33:34], v[35:36]
	v_add_f64 v[48:49], v[33:34], -v[41:42]
	v_add_f64 v[41:42], v[41:42], -v[50:51]
	v_add_f64 v[33:34], v[48:49], v[35:36]
	v_fma_f64 v[35:36], v[37:38], s[88:89], v[35:36]
	v_add_f64 v[33:34], v[41:42], v[33:34]
	v_add_f64 v[33:34], v[33:34], -v[35:36]
	v_fma_f64 v[35:36], v[37:38], s[10:11], v[33:34]
	v_add_f64 v[33:34], v[50:51], v[35:36]
	v_add_f64 v[41:42], v[33:34], -v[50:51]
	v_add_f64 v[35:36], v[35:36], -v[41:42]
.LBB247_351:                            ;   in Loop: Header=BB247_217 Depth=1
	s_or_b64 exec, exec, s[8:9]
	s_movk_i32 s8, 0x1f8
	v_cmp_class_f64_e64 vcc, v[11:12], s8
	v_and_b32_e32 v11, 1, v47
	v_cmp_eq_u32_e64 s[8:9], 0, v11
	v_mul_f64 v[11:12], v[31:32], v[31:32]
	s_mov_b32 s10, 0x9037ab78
	s_mov_b32 s11, 0x3e21eeb6
	v_mov_b32_e32 v42, s11
	v_mov_b32_e32 v41, s10
	s_mov_b32 s10, 0xb42fdfa7
	s_mov_b32 s11, 0xbe5ae600
	;; [unrolled: 1-line block ×3, first 2 shown]
	v_mul_f64 v[37:38], v[11:12], 0.5
	v_fma_f64 v[52:53], v[11:12], s[60:61], v[41:42]
	v_mul_f64 v[50:51], v[11:12], v[11:12]
	v_lshlrev_b32_e32 v18, 30, v47
	v_and_b32_e32 v18, 0x80000000, v18
	s_mov_b32 s95, s51
	s_mov_b32 s53, s81
	v_add_f64 v[48:49], -v[37:38], 1.0
	v_fma_f64 v[52:53], v[11:12], v[52:53], s[62:63]
	v_add_f64 v[54:55], -v[48:49], 1.0
	v_fma_f64 v[52:53], v[11:12], v[52:53], s[64:65]
	v_add_f64 v[37:38], v[54:55], -v[37:38]
	v_fma_f64 v[52:53], v[11:12], v[52:53], s[66:67]
	v_mul_f64 v[54:55], v[39:40], 0.5
	v_fma_f64 v[37:38], v[31:32], -v[39:40], v[37:38]
	v_fma_f64 v[52:53], v[11:12], v[52:53], s[80:81]
	v_fma_f64 v[37:38], v[50:51], v[52:53], v[37:38]
	v_mul_f64 v[50:51], v[31:32], -v[11:12]
	v_add_f64 v[48:49], v[48:49], v[37:38]
	v_mov_b32_e32 v38, s11
	v_mov_b32_e32 v37, s10
	v_fma_f64 v[52:53], v[11:12], s[70:71], v[37:38]
	s_mov_b32 s10, 0
	s_mov_b32 s11, 0xc090cc00
	v_fma_f64 v[52:53], v[11:12], v[52:53], s[72:73]
	v_fma_f64 v[52:53], v[11:12], v[52:53], s[74:75]
	;; [unrolled: 1-line block ×4, first 2 shown]
	v_fma_f64 v[11:12], v[11:12], v[52:53], -v[39:40]
	v_fma_f64 v[11:12], v[50:51], s[76:77], v[11:12]
	v_add_f64 v[11:12], v[31:32], -v[11:12]
	v_xor_b32_e32 v12, 0x80000000, v12
	v_cndmask_b32_e64 v11, v11, v48, s[8:9]
	v_cndmask_b32_e64 v12, v12, v49, s[8:9]
	s_mov_b32 s8, 0x19ba0da4
	s_mov_b32 s9, 0xc0937be3
	v_add_f64 v[9:10], -v[9:10], s[8:9]
	v_xor_b32_e32 v12, v12, v18
	v_cndmask_b32_e32 v31, 0, v11, vcc
	v_cndmask_b32_e32 v32, v46, v12, vcc
	s_mov_b32 s8, 0
	s_mov_b32 s9, 0x40900000
	v_mul_f64 v[11:12], v[9:10], s[34:35]
	v_cmp_nlt_f64_e64 s[8:9], s[8:9], v[9:10]
	v_cmp_ngt_f64_e64 s[10:11], s[10:11], v[9:10]
	v_rndne_f64_e32 v[11:12], v[11:12]
	v_fma_f64 v[39:40], v[11:12], s[36:37], v[9:10]
	v_fma_f64 v[39:40], v[11:12], s[38:39], v[39:40]
	v_cvt_i32_f64_e32 v11, v[11:12]
	v_fma_f64 v[47:48], v[39:40], s[40:41], v[19:20]
	v_fma_f64 v[47:48], v[39:40], v[47:48], s[42:43]
	;; [unrolled: 1-line block ×9, first 2 shown]
	v_fma_f64 v[47:48], v[39:40], v[47:48], 1.0
	v_fma_f64 v[39:40], v[39:40], v[47:48], 1.0
	v_mul_f64 v[47:48], v[33:34], v[33:34]
	v_ldexp_f64 v[11:12], v[39:40], v11
	v_fma_f64 v[41:42], v[47:48], s[60:61], v[41:42]
	v_fma_f64 v[37:38], v[47:48], s[70:71], v[37:38]
	v_cndmask_b32_e64 v12, v45, v12, s[8:9]
	v_cndmask_b32_e64 v18, 0, v12, s[10:11]
	s_and_b64 s[8:9], s[10:11], s[8:9]
	v_and_b32_e32 v9, 0xfffff, v18
	v_cndmask_b32_e64 v11, 0, v11, s[8:9]
	v_or_b32_e32 v12, 0x7fe00000, v9
	v_mul_f64 v[9:10], v[11:12], v[31:32]
	v_lshrrev_b32_e32 v18, 20, v18
	v_add_u32_e32 v39, 0xffffff09, v18
	v_lshrrev_b16_e32 v18, 15, v39
	v_add_u16_e32 v18, v39, v18
	v_ashrrev_i16_e32 v18, 1, v18
	v_bfe_i32 v40, v18, 0, 16
	v_lshl_add_u32 v18, v40, 20, v44
	v_mul_f64 v[31:32], v[9:10], v[17:18]
	v_sub_u32_e32 v9, v39, v40
	v_mul_f64 v[39:40], v[47:48], 0.5
	v_fma_f64 v[41:42], v[47:48], v[41:42], s[62:63]
	v_fma_f64 v[37:38], v[47:48], v[37:38], s[72:73]
	v_lshl_add_u32 v10, v9, 20, v44
	v_mov_b32_e32 v9, v17
	v_mul_f64 v[31:32], v[31:32], v[9:10]
	v_add_f64 v[49:50], -v[39:40], 1.0
	v_fma_f64 v[41:42], v[47:48], v[41:42], s[64:65]
	v_fma_f64 v[37:38], v[47:48], v[37:38], s[74:75]
	v_add_f64 v[51:52], -v[49:50], 1.0
	v_fma_f64 v[41:42], v[47:48], v[41:42], s[66:67]
	v_fma_f64 v[37:38], v[47:48], v[37:38], s[50:51]
	v_add_f64 v[39:40], v[51:52], -v[39:40]
	v_mul_f64 v[51:52], v[47:48], v[47:48]
	v_fma_f64 v[41:42], v[47:48], v[41:42], s[80:81]
	v_fma_f64 v[39:40], v[33:34], -v[35:36], v[39:40]
	v_fma_f64 v[39:40], v[51:52], v[41:42], v[39:40]
	v_mul_f64 v[41:42], v[33:34], -v[47:48]
	v_add_f64 v[39:40], v[49:50], v[39:40]
	v_mul_f64 v[49:50], v[35:36], 0.5
	v_fma_f64 v[37:38], v[41:42], v[37:38], v[49:50]
	v_fma_f64 v[35:36], v[47:48], v[37:38], -v[35:36]
	v_fma_f64 v[35:36], v[41:42], s[76:77], v[35:36]
	v_add_f64 v[33:34], v[33:34], -v[35:36]
	v_and_b32_e32 v35, 1, v29
	v_lshlrev_b32_e32 v29, 30, v29
	v_cmp_eq_u32_e64 s[8:9], 0, v35
	v_xor_b32_e32 v29, v29, v30
	v_and_b32_e32 v29, 0x80000000, v29
	v_cndmask_b32_e64 v34, v40, v34, s[8:9]
	v_cndmask_b32_e64 v33, v39, v33, s[8:9]
	v_xor_b32_e32 v30, v34, v29
	v_cndmask_b32_e32 v29, 0, v33, vcc
	v_cndmask_b32_e32 v30, v46, v30, vcc
	v_mul_f64 v[11:12], v[11:12], v[29:30]
	v_mul_f64 v[11:12], v[11:12], v[17:18]
	;; [unrolled: 1-line block ×3, first 2 shown]
.LBB247_352:                            ;   in Loop: Header=BB247_217 Depth=1
	s_or_b64 exec, exec, s[68:69]
                                        ; implicit-def: $vgpr33_vgpr34
                                        ; implicit-def: $vgpr11_vgpr12
                                        ; implicit-def: $vgpr18
.LBB247_353:                            ;   in Loop: Header=BB247_217 Depth=1
	s_andn2_saveexec_b64 s[10:11], s[58:59]
	s_cbranch_execz .LBB247_359
; %bb.354:                              ;   in Loop: Header=BB247_217 Depth=1
	s_mov_b32 s8, 0x7ff00000
	v_cmp_ne_u32_e32 vcc, 0, v9
	v_cmp_ne_u32_e64 s[8:9], s8, v18
	s_or_b64 s[8:9], vcc, s[8:9]
                                        ; implicit-def: $vgpr29_vgpr30
	s_and_saveexec_b64 s[20:21], s[8:9]
	s_xor_b64 s[8:9], exec, s[20:21]
; %bb.355:                              ;   in Loop: Header=BB247_217 Depth=1
	v_add_f64 v[29:30], v[11:12], -v[11:12]
                                        ; implicit-def: $vgpr33_vgpr34
                                        ; implicit-def: $vgpr11_vgpr12
; %bb.356:                              ;   in Loop: Header=BB247_217 Depth=1
	s_or_saveexec_b64 s[8:9], s[8:9]
	v_mov_b32_e32 v32, v30
	v_mov_b32_e32 v31, v29
	s_xor_b64 exec, exec, s[8:9]
	s_cbranch_execz .LBB247_358
; %bb.357:                              ;   in Loop: Header=BB247_217 Depth=1
	v_add_f64 v[10:11], v[11:12], -v[11:12]
	v_cmp_lt_i64_e32 vcc, -1, v[33:34]
	v_cndmask_b32_e32 v32, 0, v34, vcc
	v_cndmask_b32_e32 v31, 0, v9, vcc
	;; [unrolled: 1-line block ×4, first 2 shown]
.LBB247_358:                            ;   in Loop: Header=BB247_217 Depth=1
	s_or_b64 exec, exec, s[8:9]
.LBB247_359:                            ;   in Loop: Header=BB247_217 Depth=1
	s_or_b64 exec, exec, s[10:11]
                                        ; implicit-def: $vgpr11_vgpr12
.LBB247_360:                            ;   in Loop: Header=BB247_217 Depth=1
	s_andn2_saveexec_b64 s[10:11], s[18:19]
	s_cbranch_execz .LBB247_370
; %bb.361:                              ;   in Loop: Header=BB247_217 Depth=1
	s_mov_b32 s8, 0
	s_mov_b32 s9, 0x41d00000
	v_cmp_nlt_f64_e64 s[8:9], |v[11:12]|, s[8:9]
                                        ; implicit-def: $vgpr39
                                        ; implicit-def: $vgpr31_vgpr32
                                        ; implicit-def: $vgpr33_vgpr34
	s_and_saveexec_b64 s[18:19], s[8:9]
	s_xor_b64 s[18:19], exec, s[18:19]
	s_cbranch_execz .LBB247_363
; %bb.362:                              ;   in Loop: Header=BB247_217 Depth=1
	v_trig_preop_f64 v[9:10], |v[11:12]|, 0
	s_movk_i32 s20, 0xff80
	v_ldexp_f64 v[31:32], |v[11:12]|, s20
	s_mov_b32 s20, 0
	s_mov_b32 s21, 0x7b000000
	v_cmp_ge_f64_e64 vcc, |v[11:12]|, s[20:21]
	v_trig_preop_f64 v[33:34], |v[11:12]|, 1
	v_and_b32_e32 v18, 0x7fffffff, v12
	v_trig_preop_f64 v[41:42], |v[11:12]|, 2
	s_mov_b32 s20, 0
	s_mov_b32 s21, 0x7ff00000
	;; [unrolled: 1-line block ×4, first 2 shown]
	v_cndmask_b32_e32 v32, v18, v32, vcc
	v_cndmask_b32_e32 v31, v11, v31, vcc
	v_mul_f64 v[35:36], v[9:10], v[31:32]
	v_mul_f64 v[37:38], v[33:34], v[31:32]
	;; [unrolled: 1-line block ×3, first 2 shown]
	v_fma_f64 v[9:10], v[9:10], v[31:32], -v[35:36]
	v_fma_f64 v[33:34], v[33:34], v[31:32], -v[37:38]
	;; [unrolled: 1-line block ×3, first 2 shown]
	v_add_f64 v[39:40], v[37:38], v[9:10]
	v_add_f64 v[47:48], v[39:40], -v[37:38]
	v_add_f64 v[53:54], v[35:36], v[39:40]
	v_add_f64 v[49:50], v[39:40], -v[47:48]
	v_add_f64 v[9:10], v[9:10], -v[47:48]
	v_add_f64 v[47:48], v[51:52], v[33:34]
	v_add_f64 v[35:36], v[53:54], -v[35:36]
	v_add_f64 v[37:38], v[37:38], -v[49:50]
	v_ldexp_f64 v[49:50], v[53:54], -2
	v_add_f64 v[55:56], v[47:48], -v[51:52]
	v_add_f64 v[35:36], v[39:40], -v[35:36]
	v_add_f64 v[9:10], v[9:10], v[37:38]
	v_fract_f64_e32 v[37:38], v[49:50]
	v_cmp_neq_f64_e64 vcc, |v[49:50]|, s[20:21]
	v_add_f64 v[33:34], v[33:34], -v[55:56]
	v_add_f64 v[39:40], v[47:48], v[9:10]
	v_ldexp_f64 v[37:38], v[37:38], 2
	v_add_f64 v[49:50], v[35:36], v[39:40]
	v_cndmask_b32_e32 v38, 0, v38, vcc
	v_cndmask_b32_e32 v37, 0, v37, vcc
	v_add_f64 v[57:58], v[39:40], -v[47:48]
	v_add_f64 v[53:54], v[49:50], v[37:38]
	v_add_f64 v[35:36], v[49:50], -v[35:36]
	v_add_f64 v[59:60], v[39:40], -v[57:58]
	;; [unrolled: 1-line block ×3, first 2 shown]
	v_cmp_gt_f64_e32 vcc, 0, v[53:54]
	v_add_f64 v[53:54], v[47:48], -v[55:56]
	v_add_f64 v[35:36], v[39:40], -v[35:36]
	v_add_f64 v[47:48], v[47:48], -v[59:60]
	v_cndmask_b32_e32 v18, 0, v43, vcc
	v_add_f64 v[37:38], v[37:38], v[17:18]
	v_add_f64 v[53:54], v[51:52], -v[53:54]
	v_add_f64 v[9:10], v[9:10], v[47:48]
	v_add_f64 v[61:62], v[49:50], v[37:38]
	;; [unrolled: 1-line block ×3, first 2 shown]
	v_cvt_i32_f64_e32 v29, v[61:62]
	v_add_f64 v[9:10], v[33:34], v[9:10]
	v_cvt_f64_i32_e32 v[55:56], v29
	v_add_f64 v[37:38], v[37:38], -v[55:56]
	v_add_f64 v[9:10], v[31:32], v[9:10]
	v_add_f64 v[33:34], v[49:50], v[37:38]
	;; [unrolled: 1-line block ×3, first 2 shown]
	v_add_f64 v[31:32], v[33:34], -v[37:38]
	v_cmp_le_f64_e32 vcc, 0.5, v[33:34]
	v_add_f64 v[31:32], v[49:50], -v[31:32]
	v_cndmask_b32_e32 v18, 0, v44, vcc
	v_addc_co_u32_e32 v39, vcc, 0, v29, vcc
	v_add_f64 v[9:10], v[9:10], v[31:32]
	v_add_f64 v[31:32], v[33:34], -v[17:18]
	v_add_f64 v[33:34], v[31:32], v[9:10]
	v_mul_f64 v[35:36], v[33:34], s[86:87]
	v_add_f64 v[31:32], v[33:34], -v[31:32]
	v_fma_f64 v[37:38], v[33:34], s[86:87], -v[35:36]
	v_add_f64 v[9:10], v[9:10], -v[31:32]
	v_fma_f64 v[31:32], v[33:34], s[90:91], v[37:38]
	v_fma_f64 v[9:10], v[9:10], s[86:87], v[31:32]
	v_add_f64 v[31:32], v[35:36], v[9:10]
	v_add_f64 v[33:34], v[31:32], -v[35:36]
	v_add_f64 v[33:34], v[9:10], -v[33:34]
	s_andn2_saveexec_b64 s[18:19], s[18:19]
	s_cbranch_execz .LBB247_365
	s_branch .LBB247_364
.LBB247_363:                            ;   in Loop: Header=BB247_217 Depth=1
	s_andn2_saveexec_b64 s[18:19], s[18:19]
	s_cbranch_execz .LBB247_365
.LBB247_364:                            ;   in Loop: Header=BB247_217 Depth=1
	s_mov_b32 s20, 0x6dc9c883
	s_mov_b32 s21, 0x3fe45f30
	v_mul_f64 v[9:10], |v[11:12]|, s[20:21]
	s_mov_b32 s88, s28
	s_mov_b32 s20, 0x252049c0
	;; [unrolled: 1-line block ×3, first 2 shown]
	v_rndne_f64_e32 v[9:10], v[9:10]
	v_fma_f64 v[31:32], v[9:10], s[24:25], |v[11:12]|
	v_mul_f64 v[33:34], v[9:10], s[28:29]
	v_fma_f64 v[39:40], v[9:10], s[28:29], v[31:32]
	v_add_f64 v[35:36], v[31:32], v[33:34]
	v_add_f64 v[37:38], v[31:32], -v[35:36]
	v_add_f64 v[35:36], v[35:36], -v[39:40]
	v_add_f64 v[31:32], v[37:38], v[33:34]
	v_fma_f64 v[33:34], v[9:10], s[88:89], v[33:34]
	v_add_f64 v[31:32], v[35:36], v[31:32]
	v_add_f64 v[31:32], v[31:32], -v[33:34]
	v_fma_f64 v[33:34], v[9:10], s[20:21], v[31:32]
	v_add_f64 v[31:32], v[39:40], v[33:34]
	v_add_f64 v[35:36], v[31:32], -v[39:40]
	v_cvt_i32_f64_e32 v39, v[9:10]
	v_add_f64 v[33:34], v[33:34], -v[35:36]
.LBB247_365:                            ;   in Loop: Header=BB247_217 Depth=1
	s_or_b64 exec, exec, s[18:19]
                                        ; implicit-def: $vgpr29
                                        ; implicit-def: $vgpr9_vgpr10
                                        ; implicit-def: $vgpr35_vgpr36
	s_and_saveexec_b64 s[18:19], s[8:9]
	s_xor_b64 s[18:19], exec, s[18:19]
	s_cbranch_execz .LBB247_367
; %bb.366:                              ;   in Loop: Header=BB247_217 Depth=1
	v_trig_preop_f64 v[9:10], |v[11:12]|, 0
	s_mov_b32 s8, 0
	s_mov_b32 s9, 0x7b000000
	v_cmp_ge_f64_e64 vcc, |v[11:12]|, s[8:9]
	s_movk_i32 s8, 0xff80
	v_ldexp_f64 v[37:38], |v[11:12]|, s8
	v_trig_preop_f64 v[35:36], |v[11:12]|, 1
	v_and_b32_e32 v18, 0x7fffffff, v12
	s_mov_b32 s8, 0
	s_mov_b32 s9, 0x7ff00000
	;; [unrolled: 1-line block ×4, first 2 shown]
	v_cndmask_b32_e32 v38, v18, v38, vcc
	v_cndmask_b32_e32 v37, v11, v37, vcc
	v_mul_f64 v[47:48], v[9:10], v[37:38]
	v_mul_f64 v[40:41], v[35:36], v[37:38]
	v_fma_f64 v[9:10], v[9:10], v[37:38], -v[47:48]
	v_fma_f64 v[35:36], v[35:36], v[37:38], -v[40:41]
	v_add_f64 v[49:50], v[40:41], v[9:10]
	v_add_f64 v[57:58], v[49:50], -v[40:41]
	v_add_f64 v[51:52], v[47:48], v[49:50]
	v_add_f64 v[9:10], v[9:10], -v[57:58]
	v_add_f64 v[57:58], v[49:50], -v[57:58]
	v_ldexp_f64 v[53:54], v[51:52], -2
	v_add_f64 v[47:48], v[51:52], -v[47:48]
	v_add_f64 v[57:58], v[40:41], -v[57:58]
	v_trig_preop_f64 v[40:41], |v[11:12]|, 2
	v_fract_f64_e32 v[55:56], v[53:54]
	v_add_f64 v[47:48], v[49:50], -v[47:48]
	v_cmp_neq_f64_e64 vcc, |v[53:54]|, s[8:9]
	v_add_f64 v[9:10], v[9:10], v[57:58]
	v_mul_f64 v[57:58], v[40:41], v[37:38]
	v_add_f64 v[59:60], v[57:58], v[35:36]
	v_add_f64 v[61:62], v[59:60], v[9:10]
	v_add_f64 v[51:52], v[61:62], -v[59:60]
	v_add_f64 v[49:50], v[47:48], v[61:62]
	v_add_f64 v[9:10], v[9:10], -v[51:52]
	v_add_f64 v[51:52], v[61:62], -v[51:52]
	;; [unrolled: 1-line block ×5, first 2 shown]
	v_add_f64 v[9:10], v[9:10], v[51:52]
	v_add_f64 v[51:52], v[59:60], -v[57:58]
	v_add_f64 v[35:36], v[35:36], -v[51:52]
	;; [unrolled: 1-line block ×4, first 2 shown]
	v_add_f64 v[35:36], v[35:36], v[51:52]
	v_add_f64 v[9:10], v[35:36], v[9:10]
	v_fma_f64 v[35:36], v[40:41], v[37:38], -v[57:58]
	v_add_f64 v[9:10], v[35:36], v[9:10]
	v_ldexp_f64 v[35:36], v[55:56], 2
	v_add_f64 v[9:10], v[47:48], v[9:10]
	v_cndmask_b32_e32 v36, 0, v36, vcc
	v_cndmask_b32_e32 v35, 0, v35, vcc
	v_add_f64 v[37:38], v[49:50], v[35:36]
	v_cmp_gt_f64_e32 vcc, 0, v[37:38]
	v_cndmask_b32_e32 v18, 0, v43, vcc
	v_add_f64 v[35:36], v[35:36], v[17:18]
	v_add_f64 v[37:38], v[49:50], v[35:36]
	v_cvt_i32_f64_e32 v18, v[37:38]
	v_cvt_f64_i32_e32 v[37:38], v18
	v_add_f64 v[35:36], v[35:36], -v[37:38]
	v_add_f64 v[37:38], v[49:50], v[35:36]
	v_add_f64 v[35:36], v[37:38], -v[35:36]
	v_cmp_le_f64_e32 vcc, 0.5, v[37:38]
	v_add_f64 v[35:36], v[49:50], -v[35:36]
	v_addc_co_u32_e64 v29, s[8:9], 0, v18, vcc
	v_cndmask_b32_e32 v18, 0, v44, vcc
	v_add_f64 v[9:10], v[9:10], v[35:36]
	v_add_f64 v[35:36], v[37:38], -v[17:18]
	v_add_f64 v[37:38], v[35:36], v[9:10]
	v_add_f64 v[35:36], v[37:38], -v[35:36]
	v_add_f64 v[9:10], v[9:10], -v[35:36]
	v_mul_f64 v[35:36], v[37:38], s[86:87]
	v_fma_f64 v[40:41], v[37:38], s[86:87], -v[35:36]
	v_fma_f64 v[37:38], v[37:38], s[90:91], v[40:41]
	v_fma_f64 v[37:38], v[9:10], s[86:87], v[37:38]
	v_add_f64 v[9:10], v[35:36], v[37:38]
	v_add_f64 v[35:36], v[9:10], -v[35:36]
	v_add_f64 v[35:36], v[37:38], -v[35:36]
	s_andn2_saveexec_b64 s[8:9], s[18:19]
	s_cbranch_execnz .LBB247_368
	s_branch .LBB247_369
.LBB247_367:                            ;   in Loop: Header=BB247_217 Depth=1
	s_andn2_saveexec_b64 s[8:9], s[18:19]
	s_cbranch_execz .LBB247_369
.LBB247_368:                            ;   in Loop: Header=BB247_217 Depth=1
	s_mov_b32 s18, 0x6dc9c883
	s_mov_b32 s19, 0x3fe45f30
	v_mul_f64 v[9:10], |v[11:12]|, s[18:19]
	s_mov_b32 s88, s28
	s_mov_b32 s18, 0x252049c0
	;; [unrolled: 1-line block ×3, first 2 shown]
	v_rndne_f64_e32 v[37:38], v[9:10]
	v_fma_f64 v[9:10], v[37:38], s[24:25], |v[11:12]|
	v_mul_f64 v[35:36], v[37:38], s[28:29]
	v_cvt_i32_f64_e32 v29, v[37:38]
	v_fma_f64 v[49:50], v[37:38], s[28:29], v[9:10]
	v_add_f64 v[40:41], v[9:10], v[35:36]
	v_add_f64 v[47:48], v[9:10], -v[40:41]
	v_add_f64 v[40:41], v[40:41], -v[49:50]
	v_add_f64 v[9:10], v[47:48], v[35:36]
	v_fma_f64 v[35:36], v[37:38], s[88:89], v[35:36]
	v_add_f64 v[9:10], v[40:41], v[9:10]
	v_add_f64 v[9:10], v[9:10], -v[35:36]
	v_fma_f64 v[35:36], v[37:38], s[18:19], v[9:10]
	v_add_f64 v[9:10], v[49:50], v[35:36]
	v_add_f64 v[40:41], v[9:10], -v[49:50]
	v_add_f64 v[35:36], v[35:36], -v[40:41]
.LBB247_369:                            ;   in Loop: Header=BB247_217 Depth=1
	s_or_b64 exec, exec, s[8:9]
	v_mul_f64 v[40:41], v[31:32], v[31:32]
	s_mov_b32 s8, 0x9037ab78
	s_mov_b32 s9, 0x3e21eeb6
	v_mov_b32_e32 v52, s9
	v_mov_b32_e32 v51, s8
	s_mov_b32 s8, 0xb42fdfa7
	s_mov_b32 s9, 0xbe5ae600
	v_mul_f64 v[55:56], v[33:34], 0.5
	v_mul_f64 v[37:38], v[40:41], 0.5
	v_fma_f64 v[53:54], v[40:41], s[60:61], v[51:52]
	s_mov_b32 s76, s80
	v_add_f64 v[47:48], -v[37:38], 1.0
	v_fma_f64 v[53:54], v[40:41], v[53:54], s[62:63]
	v_add_f64 v[49:50], -v[47:48], 1.0
	v_fma_f64 v[53:54], v[40:41], v[53:54], s[64:65]
	v_add_f64 v[37:38], v[49:50], -v[37:38]
	v_fma_f64 v[53:54], v[40:41], v[53:54], s[66:67]
	v_mul_f64 v[49:50], v[40:41], v[40:41]
	v_fma_f64 v[37:38], v[31:32], -v[33:34], v[37:38]
	v_fma_f64 v[53:54], v[40:41], v[53:54], s[80:81]
	v_fma_f64 v[37:38], v[49:50], v[53:54], v[37:38]
	v_mul_f64 v[53:54], v[31:32], -v[40:41]
	v_add_f64 v[47:48], v[47:48], v[37:38]
	v_mov_b32_e32 v38, s9
	v_mov_b32_e32 v37, s8
	v_fma_f64 v[49:50], v[40:41], s[70:71], v[37:38]
	s_movk_i32 s8, 0x1f8
	v_fma_f64 v[49:50], v[40:41], v[49:50], s[72:73]
	v_fma_f64 v[49:50], v[40:41], v[49:50], s[74:75]
	;; [unrolled: 1-line block ×4, first 2 shown]
	v_fma_f64 v[33:34], v[40:41], v[49:50], -v[33:34]
	v_fma_f64 v[33:34], v[53:54], s[76:77], v[33:34]
	v_add_f64 v[31:32], v[31:32], -v[33:34]
	v_xor_b32_e32 v18, 0x80000000, v32
	v_and_b32_e32 v32, 1, v39
	v_cmp_eq_u32_e32 vcc, 0, v32
	v_cndmask_b32_e32 v31, v31, v47, vcc
	v_cndmask_b32_e32 v18, v18, v48, vcc
	v_cmp_class_f64_e64 vcc, v[11:12], s8
	v_mul_f64 v[11:12], v[9:10], v[9:10]
	v_lshlrev_b32_e32 v32, 30, v39
	v_and_b32_e32 v32, 0x80000000, v32
	v_xor_b32_e32 v18, v18, v32
	v_cndmask_b32_e32 v31, 0, v31, vcc
	v_mul_f64 v[33:34], v[11:12], 0.5
	v_fma_f64 v[47:48], v[11:12], s[60:61], v[51:52]
	v_fma_f64 v[37:38], v[11:12], s[70:71], v[37:38]
	v_cndmask_b32_e32 v32, v46, v18, vcc
	v_add_f64 v[39:40], -v[33:34], 1.0
	v_fma_f64 v[47:48], v[11:12], v[47:48], s[62:63]
	v_fma_f64 v[37:38], v[11:12], v[37:38], s[72:73]
	v_add_f64 v[41:42], -v[39:40], 1.0
	v_fma_f64 v[47:48], v[11:12], v[47:48], s[64:65]
	v_fma_f64 v[37:38], v[11:12], v[37:38], s[74:75]
	v_add_f64 v[33:34], v[41:42], -v[33:34]
	v_fma_f64 v[47:48], v[11:12], v[47:48], s[66:67]
	v_mul_f64 v[41:42], v[11:12], v[11:12]
	v_fma_f64 v[37:38], v[11:12], v[37:38], s[50:51]
	v_fma_f64 v[33:34], v[9:10], -v[35:36], v[33:34]
	v_fma_f64 v[47:48], v[11:12], v[47:48], s[80:81]
	v_fma_f64 v[33:34], v[41:42], v[47:48], v[33:34]
	v_mul_f64 v[41:42], v[35:36], 0.5
	v_add_f64 v[33:34], v[39:40], v[33:34]
	v_mul_f64 v[39:40], v[9:10], -v[11:12]
	v_fma_f64 v[37:38], v[39:40], v[37:38], v[41:42]
	v_fma_f64 v[11:12], v[11:12], v[37:38], -v[35:36]
	v_fma_f64 v[11:12], v[39:40], s[76:77], v[11:12]
	v_add_f64 v[9:10], v[9:10], -v[11:12]
	v_and_b32_e32 v11, 1, v29
	v_cmp_eq_u32_e64 s[8:9], 0, v11
	v_lshlrev_b32_e32 v11, 30, v29
	v_xor_b32_e32 v11, v11, v30
	v_and_b32_e32 v11, 0x80000000, v11
	v_cndmask_b32_e64 v10, v34, v10, s[8:9]
	v_cndmask_b32_e64 v9, v33, v9, s[8:9]
	v_xor_b32_e32 v10, v10, v11
	v_cndmask_b32_e32 v29, 0, v9, vcc
	v_cndmask_b32_e32 v30, v46, v10, vcc
.LBB247_370:                            ;   in Loop: Header=BB247_217 Depth=1
	s_or_b64 exec, exec, s[10:11]
                                        ; implicit-def: $vgpr9_vgpr10
.LBB247_371:                            ;   in Loop: Header=BB247_217 Depth=1
	s_andn2_saveexec_b64 s[10:11], s[82:83]
	s_cbranch_execz .LBB247_373
; %bb.372:                              ;   in Loop: Header=BB247_217 Depth=1
	s_mov_b32 s92, s34
	v_mul_f64 v[11:12], v[9:10], s[92:93]
	s_mov_b32 s95, s51
	s_mov_b32 s53, s81
	v_cmp_ngt_f64_e32 vcc, s[16:17], v[9:10]
	v_cmp_nlt_f64_e64 s[8:9], s[30:31], v[9:10]
	v_rndne_f64_e32 v[11:12], v[11:12]
	v_fma_f64 v[31:32], v[11:12], s[36:37], -v[9:10]
	v_fma_f64 v[31:32], v[11:12], s[38:39], v[31:32]
	v_cvt_i32_f64_e32 v11, v[11:12]
	v_fma_f64 v[33:34], v[31:32], s[40:41], v[19:20]
	v_fma_f64 v[33:34], v[31:32], v[33:34], s[42:43]
	;; [unrolled: 1-line block ×9, first 2 shown]
	v_fma_f64 v[33:34], v[31:32], v[33:34], 1.0
	v_fma_f64 v[31:32], v[31:32], v[33:34], 1.0
	v_ldexp_f64 v[11:12], v[31:32], v11
	v_cndmask_b32_e32 v12, v45, v12, vcc
	s_and_b64 vcc, s[8:9], vcc
	v_cndmask_b32_e64 v32, 0, v12, s[8:9]
	v_cndmask_b32_e32 v31, 0, v11, vcc
.LBB247_373:                            ;   in Loop: Header=BB247_217 Depth=1
	s_or_b64 exec, exec, s[10:11]
	v_add_f64 v[31:32], s[12:13], v[31:32]
	v_add_f64 v[29:30], s[14:15], v[29:30]
	v_cmp_gt_f64_e32 vcc, 0, v[31:32]
	v_xor_b32_e32 v9, 0x80000000, v32
	v_xor_b32_e32 v10, 0x80000000, v30
	v_mov_b32_e32 v33, v31
	v_mov_b32_e32 v35, v29
	v_cndmask_b32_e32 v34, v32, v9, vcc
	v_cmp_gt_f64_e32 vcc, 0, v[29:30]
	v_cndmask_b32_e32 v36, v30, v10, vcc
	v_cmp_ge_f64_e32 vcc, v[33:34], v[35:36]
                                        ; implicit-def: $vgpr11_vgpr12
	s_and_saveexec_b64 s[8:9], vcc
	s_xor_b64 s[10:11], exec, s[8:9]
	s_cbranch_execz .LBB247_379
; %bb.374:                              ;   in Loop: Header=BB247_217 Depth=1
	v_cmp_neq_f64_e32 vcc, 0, v[31:32]
	v_cmp_neq_f64_e64 s[8:9], 0, v[29:30]
                                        ; implicit-def: $vgpr11_vgpr12
	s_or_b64 s[8:9], vcc, s[8:9]
	s_and_saveexec_b64 s[18:19], s[8:9]
	s_xor_b64 s[8:9], exec, s[18:19]
	s_cbranch_execz .LBB247_376
; %bb.375:                              ;   in Loop: Header=BB247_217 Depth=1
	v_div_scale_f64 v[9:10], s[18:19], v[31:32], v[31:32], v[29:30]
	v_rcp_f64_e32 v[11:12], v[9:10]
	v_fma_f64 v[33:34], -v[9:10], v[11:12], 1.0
	v_fma_f64 v[11:12], v[11:12], v[33:34], v[11:12]
	v_div_scale_f64 v[33:34], vcc, v[29:30], v[31:32], v[29:30]
	v_fma_f64 v[35:36], -v[9:10], v[11:12], 1.0
	v_fma_f64 v[11:12], v[11:12], v[35:36], v[11:12]
	v_mul_f64 v[35:36], v[33:34], v[11:12]
	v_fma_f64 v[9:10], -v[9:10], v[35:36], v[33:34]
	v_div_fmas_f64 v[9:10], v[9:10], v[11:12], v[35:36]
	v_div_fixup_f64 v[9:10], v[9:10], v[31:32], v[29:30]
	v_fma_f64 v[11:12], v[29:30], v[9:10], v[31:32]
	v_div_scale_f64 v[29:30], s[18:19], v[11:12], v[11:12], 1.0
	v_rcp_f64_e32 v[31:32], v[29:30]
	v_fma_f64 v[33:34], -v[29:30], v[31:32], 1.0
	v_fma_f64 v[31:32], v[31:32], v[33:34], v[31:32]
	v_div_scale_f64 v[33:34], vcc, 1.0, v[11:12], 1.0
	v_fma_f64 v[35:36], -v[29:30], v[31:32], 1.0
	v_fma_f64 v[31:32], v[31:32], v[35:36], v[31:32]
	v_mul_f64 v[35:36], v[33:34], v[31:32]
	v_fma_f64 v[29:30], -v[29:30], v[35:36], v[33:34]
	v_mov_b32_e32 v34, s15
	v_mov_b32_e32 v33, s14
	v_div_fmas_f64 v[29:30], v[29:30], v[31:32], v[35:36]
	v_mov_b32_e32 v32, s13
	v_mov_b32_e32 v31, s12
	v_fma_f64 v[31:32], s[14:15], v[9:10], v[31:32]
                                        ; implicit-def: $vgpr35_vgpr36
	v_div_fixup_f64 v[11:12], v[29:30], v[11:12], 1.0
	v_fma_f64 v[29:30], -s[12:13], v[9:10], v[33:34]
                                        ; implicit-def: $vgpr33_vgpr34
	v_mul_f64 v[9:10], v[31:32], v[11:12]
	v_mul_f64 v[11:12], v[29:30], v[11:12]
.LBB247_376:                            ;   in Loop: Header=BB247_217 Depth=1
	s_andn2_saveexec_b64 s[18:19], s[8:9]
	s_cbranch_execz .LBB247_378
; %bb.377:                              ;   in Loop: Header=BB247_217 Depth=1
	v_div_scale_f64 v[9:10], s[8:9], v[33:34], v[33:34], s[12:13]
	v_div_scale_f64 v[11:12], s[8:9], v[35:36], v[35:36], s[14:15]
	;; [unrolled: 1-line block ×3, first 2 shown]
	v_rcp_f64_e32 v[29:30], v[9:10]
	v_rcp_f64_e32 v[31:32], v[11:12]
	v_fma_f64 v[37:38], -v[9:10], v[29:30], 1.0
	v_fma_f64 v[39:40], -v[11:12], v[31:32], 1.0
	v_fma_f64 v[29:30], v[29:30], v[37:38], v[29:30]
	v_div_scale_f64 v[37:38], vcc, s[12:13], v[33:34], s[12:13]
	v_fma_f64 v[31:32], v[31:32], v[39:40], v[31:32]
	v_fma_f64 v[39:40], -v[9:10], v[29:30], 1.0
	v_fma_f64 v[47:48], -v[11:12], v[31:32], 1.0
	v_fma_f64 v[29:30], v[29:30], v[39:40], v[29:30]
	v_fma_f64 v[31:32], v[31:32], v[47:48], v[31:32]
	v_mul_f64 v[39:40], v[37:38], v[29:30]
	v_mul_f64 v[47:48], v[41:42], v[31:32]
	v_fma_f64 v[9:10], -v[9:10], v[39:40], v[37:38]
	v_fma_f64 v[11:12], -v[11:12], v[47:48], v[41:42]
	v_div_fmas_f64 v[9:10], v[9:10], v[29:30], v[39:40]
	s_mov_b64 vcc, s[8:9]
	v_div_fmas_f64 v[11:12], v[11:12], v[31:32], v[47:48]
	v_div_fixup_f64 v[9:10], v[9:10], v[33:34], s[12:13]
	v_div_fixup_f64 v[11:12], v[11:12], v[35:36], s[14:15]
.LBB247_378:                            ;   in Loop: Header=BB247_217 Depth=1
	s_or_b64 exec, exec, s[18:19]
                                        ; implicit-def: $vgpr29_vgpr30
                                        ; implicit-def: $vgpr31_vgpr32
.LBB247_379:                            ;   in Loop: Header=BB247_217 Depth=1
	s_andn2_saveexec_b64 s[8:9], s[10:11]
	s_cbranch_execz .LBB247_381
; %bb.380:                              ;   in Loop: Header=BB247_217 Depth=1
	v_div_scale_f64 v[9:10], s[10:11], v[29:30], v[29:30], v[31:32]
	v_rcp_f64_e32 v[11:12], v[9:10]
	v_fma_f64 v[33:34], -v[9:10], v[11:12], 1.0
	v_fma_f64 v[11:12], v[11:12], v[33:34], v[11:12]
	v_div_scale_f64 v[33:34], vcc, v[31:32], v[29:30], v[31:32]
	v_fma_f64 v[35:36], -v[9:10], v[11:12], 1.0
	v_fma_f64 v[11:12], v[11:12], v[35:36], v[11:12]
	v_mul_f64 v[35:36], v[33:34], v[11:12]
	v_fma_f64 v[9:10], -v[9:10], v[35:36], v[33:34]
	v_div_fmas_f64 v[9:10], v[9:10], v[11:12], v[35:36]
	v_div_fixup_f64 v[9:10], v[9:10], v[29:30], v[31:32]
	v_fma_f64 v[11:12], v[31:32], v[9:10], v[29:30]
	v_div_scale_f64 v[29:30], s[10:11], v[11:12], v[11:12], 1.0
	v_rcp_f64_e32 v[31:32], v[29:30]
	v_fma_f64 v[33:34], -v[29:30], v[31:32], 1.0
	v_fma_f64 v[31:32], v[31:32], v[33:34], v[31:32]
	v_div_scale_f64 v[33:34], vcc, 1.0, v[11:12], 1.0
	v_fma_f64 v[35:36], -v[29:30], v[31:32], 1.0
	v_fma_f64 v[31:32], v[31:32], v[35:36], v[31:32]
	v_mul_f64 v[35:36], v[33:34], v[31:32]
	v_fma_f64 v[29:30], -v[29:30], v[35:36], v[33:34]
	v_mov_b32_e32 v34, s13
	v_mov_b32_e32 v33, s12
	v_div_fmas_f64 v[29:30], v[29:30], v[31:32], v[35:36]
	v_mov_b32_e32 v32, s15
	v_mov_b32_e32 v31, s14
	v_fma_f64 v[31:32], s[12:13], v[9:10], v[31:32]
	v_div_fixup_f64 v[11:12], v[29:30], v[11:12], 1.0
	v_fma_f64 v[29:30], s[14:15], v[9:10], -v[33:34]
	v_mul_f64 v[9:10], v[31:32], v[11:12]
	v_mul_f64 v[11:12], v[29:30], v[11:12]
.LBB247_381:                            ;   in Loop: Header=BB247_217 Depth=1
	s_or_b64 exec, exec, s[8:9]
	v_xor_b32_e32 v30, 0x80000000, v4
	v_and_b32_e32 v35, 0x7fffffff, v30
	v_or_b32_e32 v18, v35, v3
	v_mov_b32_e32 v29, v3
	v_cmp_ne_u32_e32 vcc, 0, v18
                                        ; implicit-def: $vgpr31_vgpr32
	s_and_saveexec_b64 s[8:9], vcc
	s_xor_b64 s[82:83], exec, s[8:9]
	s_cbranch_execz .LBB247_423
; %bb.382:                              ;   in Loop: Header=BB247_217 Depth=1
	v_xor_b32_e32 v34, 0x80000000, v2
	v_and_b32_e32 v18, 0x7fffffff, v34
	v_or_b32_e32 v29, v18, v1
	v_mov_b32_e32 v33, v1
	v_cmp_ne_u32_e32 vcc, 0, v29
                                        ; implicit-def: $vgpr31_vgpr32
	s_and_saveexec_b64 s[8:9], vcc
	s_xor_b64 s[18:19], exec, s[8:9]
	s_cbranch_execz .LBB247_412
; %bb.383:                              ;   in Loop: Header=BB247_217 Depth=1
	s_mov_b32 s8, 0x7ff00000
	v_cmp_gt_u32_e32 vcc, s8, v35
                                        ; implicit-def: $vgpr31_vgpr32
	s_and_saveexec_b64 s[8:9], vcc
	s_xor_b64 s[58:59], exec, s[8:9]
	s_cbranch_execz .LBB247_405
; %bb.384:                              ;   in Loop: Header=BB247_217 Depth=1
	v_add_u32_e32 v18, 0xbf79d1be, v34
	s_mov_b32 s8, 0x108aa2
	v_cmp_lt_u32_e32 vcc, s8, v18
                                        ; implicit-def: $vgpr31_vgpr32
	s_and_saveexec_b64 s[8:9], vcc
	s_xor_b64 s[10:11], exec, s[8:9]
	s_cbranch_execz .LBB247_394
; %bb.385:                              ;   in Loop: Header=BB247_217 Depth=1
	s_mov_b32 s8, 0
	s_mov_b32 s9, 0x41d00000
	v_cmp_nlt_f64_e64 s[68:69], |v[3:4]|, s[8:9]
                                        ; implicit-def: $vgpr41
                                        ; implicit-def: $vgpr31_vgpr32
                                        ; implicit-def: $vgpr35_vgpr36
	s_and_saveexec_b64 s[8:9], s[68:69]
	s_xor_b64 s[20:21], exec, s[8:9]
	s_cbranch_execz .LBB247_387
; %bb.386:                              ;   in Loop: Header=BB247_217 Depth=1
	v_trig_preop_f64 v[31:32], |v[3:4]|, 0
	s_mov_b32 s8, 0
	s_mov_b32 s9, 0x7b000000
	v_cmp_ge_f64_e64 vcc, |v[3:4]|, s[8:9]
	s_movk_i32 s8, 0xff80
	v_ldexp_f64 v[35:36], |v[3:4]|, s8
	v_trig_preop_f64 v[33:34], |v[3:4]|, 1
	v_and_b32_e32 v18, 0x7fffffff, v4
	s_mov_b32 s8, 0
	s_mov_b32 s9, 0x7ff00000
	;; [unrolled: 1-line block ×4, first 2 shown]
	v_cndmask_b32_e32 v36, v18, v36, vcc
	v_cndmask_b32_e32 v35, v3, v35, vcc
	v_mul_f64 v[39:40], v[31:32], v[35:36]
	v_mul_f64 v[37:38], v[33:34], v[35:36]
	v_fma_f64 v[31:32], v[31:32], v[35:36], -v[39:40]
	v_fma_f64 v[33:34], v[33:34], v[35:36], -v[37:38]
	v_add_f64 v[41:42], v[37:38], v[31:32]
	v_add_f64 v[53:54], v[41:42], -v[37:38]
	v_add_f64 v[47:48], v[39:40], v[41:42]
	v_add_f64 v[31:32], v[31:32], -v[53:54]
	v_add_f64 v[53:54], v[41:42], -v[53:54]
	v_ldexp_f64 v[49:50], v[47:48], -2
	v_add_f64 v[39:40], v[47:48], -v[39:40]
	v_add_f64 v[53:54], v[37:38], -v[53:54]
	v_trig_preop_f64 v[37:38], |v[3:4]|, 2
	v_fract_f64_e32 v[51:52], v[49:50]
	v_add_f64 v[39:40], v[41:42], -v[39:40]
	v_cmp_neq_f64_e64 vcc, |v[49:50]|, s[8:9]
	v_add_f64 v[31:32], v[31:32], v[53:54]
	v_mul_f64 v[53:54], v[37:38], v[35:36]
	v_add_f64 v[55:56], v[53:54], v[33:34]
	v_add_f64 v[57:58], v[55:56], v[31:32]
	v_add_f64 v[47:48], v[57:58], -v[55:56]
	v_add_f64 v[41:42], v[39:40], v[57:58]
	v_add_f64 v[31:32], v[31:32], -v[47:48]
	v_add_f64 v[47:48], v[57:58], -v[47:48]
	;; [unrolled: 1-line block ×5, first 2 shown]
	v_add_f64 v[31:32], v[31:32], v[47:48]
	v_add_f64 v[47:48], v[55:56], -v[53:54]
	v_add_f64 v[33:34], v[33:34], -v[47:48]
	;; [unrolled: 1-line block ×4, first 2 shown]
	v_add_f64 v[33:34], v[33:34], v[47:48]
	v_add_f64 v[31:32], v[33:34], v[31:32]
	v_fma_f64 v[33:34], v[37:38], v[35:36], -v[53:54]
	v_add_f64 v[31:32], v[33:34], v[31:32]
	v_ldexp_f64 v[33:34], v[51:52], 2
	v_add_f64 v[31:32], v[39:40], v[31:32]
	v_cndmask_b32_e32 v34, 0, v34, vcc
	v_cndmask_b32_e32 v33, 0, v33, vcc
	v_add_f64 v[35:36], v[41:42], v[33:34]
	v_cmp_gt_f64_e32 vcc, 0, v[35:36]
	v_cndmask_b32_e32 v18, 0, v43, vcc
	v_add_f64 v[33:34], v[33:34], v[17:18]
	v_add_f64 v[35:36], v[41:42], v[33:34]
	v_cvt_i32_f64_e32 v18, v[35:36]
	v_cvt_f64_i32_e32 v[35:36], v18
	v_add_f64 v[33:34], v[33:34], -v[35:36]
	v_add_f64 v[35:36], v[41:42], v[33:34]
	v_add_f64 v[33:34], v[35:36], -v[33:34]
	v_cmp_le_f64_e32 vcc, 0.5, v[35:36]
	v_add_f64 v[33:34], v[41:42], -v[33:34]
	v_addc_co_u32_e64 v41, s[8:9], 0, v18, vcc
	v_cndmask_b32_e32 v18, 0, v44, vcc
	v_add_f64 v[31:32], v[31:32], v[33:34]
	v_add_f64 v[33:34], v[35:36], -v[17:18]
	v_add_f64 v[35:36], v[33:34], v[31:32]
	v_add_f64 v[33:34], v[35:36], -v[33:34]
	v_add_f64 v[31:32], v[31:32], -v[33:34]
	v_mul_f64 v[33:34], v[35:36], s[86:87]
	v_fma_f64 v[37:38], v[35:36], s[86:87], -v[33:34]
	v_fma_f64 v[35:36], v[35:36], s[90:91], v[37:38]
	v_fma_f64 v[35:36], v[31:32], s[86:87], v[35:36]
	v_add_f64 v[31:32], v[33:34], v[35:36]
	v_add_f64 v[33:34], v[31:32], -v[33:34]
	v_add_f64 v[35:36], v[35:36], -v[33:34]
	s_andn2_saveexec_b64 s[8:9], s[20:21]
	s_cbranch_execz .LBB247_389
	s_branch .LBB247_388
.LBB247_387:                            ;   in Loop: Header=BB247_217 Depth=1
	s_andn2_saveexec_b64 s[8:9], s[20:21]
	s_cbranch_execz .LBB247_389
.LBB247_388:                            ;   in Loop: Header=BB247_217 Depth=1
	s_mov_b32 s20, 0x6dc9c883
	s_mov_b32 s21, 0x3fe45f30
	v_mul_f64 v[31:32], |v[3:4]|, s[20:21]
	s_mov_b32 s88, s28
	s_mov_b32 s20, 0x252049c0
	;; [unrolled: 1-line block ×3, first 2 shown]
	v_rndne_f64_e32 v[33:34], v[31:32]
	v_fma_f64 v[31:32], v[33:34], s[24:25], |v[3:4]|
	v_mul_f64 v[35:36], v[33:34], s[28:29]
	v_fma_f64 v[41:42], v[33:34], s[28:29], v[31:32]
	v_add_f64 v[37:38], v[31:32], v[35:36]
	v_add_f64 v[39:40], v[31:32], -v[37:38]
	v_add_f64 v[37:38], v[37:38], -v[41:42]
	v_add_f64 v[31:32], v[39:40], v[35:36]
	v_fma_f64 v[35:36], v[33:34], s[88:89], v[35:36]
	v_add_f64 v[31:32], v[37:38], v[31:32]
	v_add_f64 v[31:32], v[31:32], -v[35:36]
	v_fma_f64 v[35:36], v[33:34], s[20:21], v[31:32]
	v_add_f64 v[31:32], v[41:42], v[35:36]
	v_add_f64 v[37:38], v[31:32], -v[41:42]
	v_cvt_i32_f64_e32 v41, v[33:34]
	v_add_f64 v[35:36], v[35:36], -v[37:38]
.LBB247_389:                            ;   in Loop: Header=BB247_217 Depth=1
	s_or_b64 exec, exec, s[8:9]
                                        ; implicit-def: $vgpr29
                                        ; implicit-def: $vgpr33_vgpr34
                                        ; implicit-def: $vgpr37_vgpr38
	s_and_saveexec_b64 s[8:9], s[68:69]
	s_xor_b64 s[20:21], exec, s[8:9]
	s_cbranch_execz .LBB247_391
; %bb.390:                              ;   in Loop: Header=BB247_217 Depth=1
	v_trig_preop_f64 v[33:34], |v[3:4]|, 0
	s_mov_b32 s8, 0
	s_mov_b32 s9, 0x7b000000
	v_cmp_ge_f64_e64 vcc, |v[3:4]|, s[8:9]
	s_movk_i32 s8, 0xff80
	v_ldexp_f64 v[39:40], |v[3:4]|, s8
	v_trig_preop_f64 v[37:38], |v[3:4]|, 1
	v_and_b32_e32 v18, 0x7fffffff, v4
	s_mov_b32 s8, 0
	s_mov_b32 s9, 0x7ff00000
	;; [unrolled: 1-line block ×4, first 2 shown]
	v_cndmask_b32_e32 v40, v18, v40, vcc
	v_cndmask_b32_e32 v39, v3, v39, vcc
	v_mul_f64 v[49:50], v[33:34], v[39:40]
	v_mul_f64 v[47:48], v[37:38], v[39:40]
	v_fma_f64 v[33:34], v[33:34], v[39:40], -v[49:50]
	v_fma_f64 v[37:38], v[37:38], v[39:40], -v[47:48]
	v_add_f64 v[51:52], v[47:48], v[33:34]
	v_add_f64 v[59:60], v[51:52], -v[47:48]
	v_add_f64 v[53:54], v[49:50], v[51:52]
	v_add_f64 v[33:34], v[33:34], -v[59:60]
	v_add_f64 v[59:60], v[51:52], -v[59:60]
	v_ldexp_f64 v[55:56], v[53:54], -2
	v_add_f64 v[49:50], v[53:54], -v[49:50]
	v_add_f64 v[59:60], v[47:48], -v[59:60]
	v_trig_preop_f64 v[47:48], |v[3:4]|, 2
	v_fract_f64_e32 v[57:58], v[55:56]
	v_add_f64 v[49:50], v[51:52], -v[49:50]
	v_cmp_neq_f64_e64 vcc, |v[55:56]|, s[8:9]
	v_add_f64 v[33:34], v[33:34], v[59:60]
	v_mul_f64 v[59:60], v[47:48], v[39:40]
	v_add_f64 v[61:62], v[59:60], v[37:38]
	v_add_f64 v[63:64], v[61:62], v[33:34]
	v_add_f64 v[53:54], v[63:64], -v[61:62]
	v_add_f64 v[51:52], v[49:50], v[63:64]
	v_add_f64 v[33:34], v[33:34], -v[53:54]
	v_add_f64 v[53:54], v[63:64], -v[53:54]
	;; [unrolled: 1-line block ×5, first 2 shown]
	v_add_f64 v[33:34], v[33:34], v[53:54]
	v_add_f64 v[53:54], v[61:62], -v[59:60]
	v_add_f64 v[37:38], v[37:38], -v[53:54]
	;; [unrolled: 1-line block ×4, first 2 shown]
	v_add_f64 v[37:38], v[37:38], v[53:54]
	v_add_f64 v[33:34], v[37:38], v[33:34]
	v_fma_f64 v[37:38], v[47:48], v[39:40], -v[59:60]
	v_add_f64 v[33:34], v[37:38], v[33:34]
	v_ldexp_f64 v[37:38], v[57:58], 2
	v_add_f64 v[33:34], v[49:50], v[33:34]
	v_cndmask_b32_e32 v38, 0, v38, vcc
	v_cndmask_b32_e32 v37, 0, v37, vcc
	v_add_f64 v[39:40], v[51:52], v[37:38]
	v_cmp_gt_f64_e32 vcc, 0, v[39:40]
	v_cndmask_b32_e32 v18, 0, v43, vcc
	v_add_f64 v[37:38], v[37:38], v[17:18]
	v_add_f64 v[39:40], v[51:52], v[37:38]
	v_cvt_i32_f64_e32 v18, v[39:40]
	v_cvt_f64_i32_e32 v[39:40], v18
	v_add_f64 v[37:38], v[37:38], -v[39:40]
	v_add_f64 v[39:40], v[51:52], v[37:38]
	v_add_f64 v[37:38], v[39:40], -v[37:38]
	v_cmp_le_f64_e32 vcc, 0.5, v[39:40]
	v_add_f64 v[37:38], v[51:52], -v[37:38]
	v_addc_co_u32_e64 v29, s[8:9], 0, v18, vcc
	v_cndmask_b32_e32 v18, 0, v44, vcc
	v_add_f64 v[33:34], v[33:34], v[37:38]
	v_add_f64 v[37:38], v[39:40], -v[17:18]
	v_add_f64 v[39:40], v[37:38], v[33:34]
	v_add_f64 v[37:38], v[39:40], -v[37:38]
	v_add_f64 v[33:34], v[33:34], -v[37:38]
	v_mul_f64 v[37:38], v[39:40], s[86:87]
	v_fma_f64 v[47:48], v[39:40], s[86:87], -v[37:38]
	v_fma_f64 v[39:40], v[39:40], s[90:91], v[47:48]
	v_fma_f64 v[39:40], v[33:34], s[86:87], v[39:40]
	v_add_f64 v[33:34], v[37:38], v[39:40]
	v_add_f64 v[37:38], v[33:34], -v[37:38]
	v_add_f64 v[37:38], v[39:40], -v[37:38]
	s_andn2_saveexec_b64 s[8:9], s[20:21]
	s_cbranch_execnz .LBB247_392
	s_branch .LBB247_393
.LBB247_391:                            ;   in Loop: Header=BB247_217 Depth=1
	s_andn2_saveexec_b64 s[8:9], s[20:21]
	s_cbranch_execz .LBB247_393
.LBB247_392:                            ;   in Loop: Header=BB247_217 Depth=1
	s_mov_b32 s20, 0x6dc9c883
	s_mov_b32 s21, 0x3fe45f30
	v_mul_f64 v[33:34], |v[3:4]|, s[20:21]
	s_mov_b32 s88, s28
	s_mov_b32 s20, 0x252049c0
	;; [unrolled: 1-line block ×3, first 2 shown]
	v_rndne_f64_e32 v[39:40], v[33:34]
	v_fma_f64 v[33:34], v[39:40], s[24:25], |v[3:4]|
	v_mul_f64 v[37:38], v[39:40], s[28:29]
	v_cvt_i32_f64_e32 v29, v[39:40]
	v_fma_f64 v[51:52], v[39:40], s[28:29], v[33:34]
	v_add_f64 v[47:48], v[33:34], v[37:38]
	v_add_f64 v[49:50], v[33:34], -v[47:48]
	v_add_f64 v[47:48], v[47:48], -v[51:52]
	v_add_f64 v[33:34], v[49:50], v[37:38]
	v_fma_f64 v[37:38], v[39:40], s[88:89], v[37:38]
	v_add_f64 v[33:34], v[47:48], v[33:34]
	v_add_f64 v[33:34], v[33:34], -v[37:38]
	v_fma_f64 v[37:38], v[39:40], s[20:21], v[33:34]
	v_add_f64 v[33:34], v[51:52], v[37:38]
	v_add_f64 v[47:48], v[33:34], -v[51:52]
	v_add_f64 v[37:38], v[37:38], -v[47:48]
.LBB247_393:                            ;   in Loop: Header=BB247_217 Depth=1
	s_or_b64 exec, exec, s[8:9]
	s_mov_b32 s92, s34
	v_mul_f64 v[39:40], v[1:2], s[92:93]
	s_mov_b32 s95, s51
	s_mov_b32 s53, s81
	v_cmp_ngt_f64_e32 vcc, s[16:17], v[1:2]
	v_cmp_nlt_f64_e64 s[8:9], s[30:31], v[1:2]
	v_mul_f64 v[57:58], v[35:36], 0.5
	s_mov_b32 s76, s80
	v_rndne_f64_e32 v[39:40], v[39:40]
	v_fma_f64 v[47:48], v[39:40], s[36:37], -v[1:2]
	v_cvt_i32_f64_e32 v18, v[39:40]
	v_fma_f64 v[47:48], v[39:40], s[38:39], v[47:48]
	v_fma_f64 v[49:50], v[47:48], s[40:41], v[19:20]
	;; [unrolled: 1-line block ×10, first 2 shown]
	v_fma_f64 v[49:50], v[47:48], v[49:50], 1.0
	v_fma_f64 v[47:48], v[47:48], v[49:50], 1.0
	v_ldexp_f64 v[39:40], v[47:48], v18
	v_mul_f64 v[47:48], v[31:32], v[31:32]
	v_cndmask_b32_e32 v18, v45, v40, vcc
	s_and_b64 vcc, s[8:9], vcc
	v_cndmask_b32_e64 v2, 0, v18, s[8:9]
	s_mov_b32 s8, 0x9037ab78
	s_mov_b32 s9, 0x3e21eeb6
	v_mov_b32_e32 v54, s9
	v_mov_b32_e32 v53, s8
	v_cndmask_b32_e32 v1, 0, v39, vcc
	v_mul_f64 v[39:40], v[47:48], 0.5
	v_fma_f64 v[55:56], v[47:48], s[60:61], v[53:54]
	s_mov_b32 s8, 0xb42fdfa7
	s_mov_b32 s9, 0xbe5ae600
	v_add_f64 v[49:50], -v[39:40], 1.0
	v_fma_f64 v[55:56], v[47:48], v[55:56], s[62:63]
	v_add_f64 v[51:52], -v[49:50], 1.0
	v_fma_f64 v[55:56], v[47:48], v[55:56], s[64:65]
	v_add_f64 v[39:40], v[51:52], -v[39:40]
	v_fma_f64 v[55:56], v[47:48], v[55:56], s[66:67]
	v_mul_f64 v[51:52], v[47:48], v[47:48]
	v_fma_f64 v[39:40], v[31:32], -v[35:36], v[39:40]
	v_fma_f64 v[55:56], v[47:48], v[55:56], s[80:81]
	v_fma_f64 v[39:40], v[51:52], v[55:56], v[39:40]
	v_mul_f64 v[55:56], v[31:32], -v[47:48]
	v_add_f64 v[49:50], v[49:50], v[39:40]
	v_mov_b32_e32 v40, s9
	v_mov_b32_e32 v39, s8
	v_fma_f64 v[51:52], v[47:48], s[70:71], v[39:40]
	s_movk_i32 s8, 0x1f8
	v_fma_f64 v[51:52], v[47:48], v[51:52], s[72:73]
	v_fma_f64 v[51:52], v[47:48], v[51:52], s[74:75]
	;; [unrolled: 1-line block ×4, first 2 shown]
	v_fma_f64 v[35:36], v[47:48], v[51:52], -v[35:36]
	v_fma_f64 v[35:36], v[55:56], s[76:77], v[35:36]
	v_add_f64 v[31:32], v[31:32], -v[35:36]
	v_mul_f64 v[35:36], v[33:34], v[33:34]
	v_xor_b32_e32 v18, 0x80000000, v32
	v_and_b32_e32 v32, 1, v41
	v_cmp_eq_u32_e32 vcc, 0, v32
	v_cndmask_b32_e32 v31, v31, v49, vcc
	v_cndmask_b32_e32 v18, v18, v50, vcc
	v_cmp_class_f64_e64 vcc, v[3:4], s8
	v_lshlrev_b32_e32 v32, 30, v41
	v_and_b32_e32 v32, 0x80000000, v32
	v_xor_b32_e32 v18, v18, v32
	v_fma_f64 v[49:50], v[35:36], s[60:61], v[53:54]
	v_fma_f64 v[39:40], v[35:36], s[70:71], v[39:40]
	v_cndmask_b32_e32 v3, 0, v31, vcc
	v_cndmask_b32_e32 v4, v46, v18, vcc
	v_mul_f64 v[31:32], v[1:2], v[3:4]
	v_mul_f64 v[3:4], v[35:36], 0.5
	v_fma_f64 v[49:50], v[35:36], v[49:50], s[62:63]
	v_fma_f64 v[39:40], v[35:36], v[39:40], s[72:73]
	v_and_b32_e32 v18, 1, v29
	v_cmp_eq_u32_e64 s[8:9], 0, v18
	v_lshlrev_b32_e32 v18, 30, v29
	v_xor_b32_e32 v18, v18, v30
	v_and_b32_e32 v18, 0x80000000, v18
	v_add_f64 v[41:42], -v[3:4], 1.0
	v_fma_f64 v[49:50], v[35:36], v[49:50], s[64:65]
	v_fma_f64 v[39:40], v[35:36], v[39:40], s[74:75]
	v_add_f64 v[47:48], -v[41:42], 1.0
	v_fma_f64 v[49:50], v[35:36], v[49:50], s[66:67]
	v_fma_f64 v[39:40], v[35:36], v[39:40], s[50:51]
	v_add_f64 v[3:4], v[47:48], -v[3:4]
	v_mul_f64 v[47:48], v[35:36], v[35:36]
	v_fma_f64 v[49:50], v[35:36], v[49:50], s[80:81]
	v_fma_f64 v[3:4], v[33:34], -v[37:38], v[3:4]
	v_fma_f64 v[3:4], v[47:48], v[49:50], v[3:4]
	v_mul_f64 v[47:48], v[37:38], 0.5
	v_add_f64 v[3:4], v[41:42], v[3:4]
	v_mul_f64 v[41:42], v[33:34], -v[35:36]
	v_fma_f64 v[39:40], v[41:42], v[39:40], v[47:48]
	v_fma_f64 v[35:36], v[35:36], v[39:40], -v[37:38]
	v_fma_f64 v[35:36], v[41:42], s[76:77], v[35:36]
	v_add_f64 v[33:34], v[33:34], -v[35:36]
	v_cndmask_b32_e64 v4, v4, v34, s[8:9]
	v_cndmask_b32_e64 v3, v3, v33, s[8:9]
	v_xor_b32_e32 v4, v4, v18
	v_cndmask_b32_e32 v3, 0, v3, vcc
	v_cndmask_b32_e32 v4, v46, v4, vcc
	v_mul_f64 v[29:30], v[1:2], v[3:4]
                                        ; implicit-def: $vgpr3_vgpr4
.LBB247_394:                            ;   in Loop: Header=BB247_217 Depth=1
	s_andn2_saveexec_b64 s[68:69], s[10:11]
	s_cbranch_execz .LBB247_404
; %bb.395:                              ;   in Loop: Header=BB247_217 Depth=1
	s_mov_b32 s8, 0
	s_mov_b32 s9, 0x41d00000
	v_cmp_nlt_f64_e64 s[10:11], |v[3:4]|, s[8:9]
                                        ; implicit-def: $vgpr47
                                        ; implicit-def: $vgpr31_vgpr32
                                        ; implicit-def: $vgpr39_vgpr40
	s_and_saveexec_b64 s[8:9], s[10:11]
	s_xor_b64 s[20:21], exec, s[8:9]
	s_cbranch_execz .LBB247_397
; %bb.396:                              ;   in Loop: Header=BB247_217 Depth=1
	v_trig_preop_f64 v[31:32], |v[3:4]|, 0
	s_mov_b32 s8, 0
	s_mov_b32 s9, 0x7b000000
	v_cmp_ge_f64_e64 vcc, |v[3:4]|, s[8:9]
	s_movk_i32 s8, 0xff80
	v_ldexp_f64 v[35:36], |v[3:4]|, s8
	v_trig_preop_f64 v[33:34], |v[3:4]|, 1
	v_and_b32_e32 v18, 0x7fffffff, v4
	s_mov_b32 s8, 0
	s_mov_b32 s9, 0x7ff00000
	;; [unrolled: 1-line block ×4, first 2 shown]
	v_cndmask_b32_e32 v36, v18, v36, vcc
	v_cndmask_b32_e32 v35, v3, v35, vcc
	v_mul_f64 v[39:40], v[31:32], v[35:36]
	v_mul_f64 v[37:38], v[33:34], v[35:36]
	v_fma_f64 v[31:32], v[31:32], v[35:36], -v[39:40]
	v_fma_f64 v[33:34], v[33:34], v[35:36], -v[37:38]
	v_add_f64 v[41:42], v[37:38], v[31:32]
	v_add_f64 v[53:54], v[41:42], -v[37:38]
	v_add_f64 v[47:48], v[39:40], v[41:42]
	v_add_f64 v[31:32], v[31:32], -v[53:54]
	v_add_f64 v[53:54], v[41:42], -v[53:54]
	v_ldexp_f64 v[49:50], v[47:48], -2
	v_add_f64 v[39:40], v[47:48], -v[39:40]
	v_add_f64 v[53:54], v[37:38], -v[53:54]
	v_trig_preop_f64 v[37:38], |v[3:4]|, 2
	v_fract_f64_e32 v[51:52], v[49:50]
	v_add_f64 v[39:40], v[41:42], -v[39:40]
	v_cmp_neq_f64_e64 vcc, |v[49:50]|, s[8:9]
	v_add_f64 v[31:32], v[31:32], v[53:54]
	v_mul_f64 v[53:54], v[37:38], v[35:36]
	v_add_f64 v[55:56], v[53:54], v[33:34]
	v_add_f64 v[57:58], v[55:56], v[31:32]
	v_add_f64 v[47:48], v[57:58], -v[55:56]
	v_add_f64 v[41:42], v[39:40], v[57:58]
	v_add_f64 v[31:32], v[31:32], -v[47:48]
	v_add_f64 v[47:48], v[57:58], -v[47:48]
	;; [unrolled: 1-line block ×5, first 2 shown]
	v_add_f64 v[31:32], v[31:32], v[47:48]
	v_add_f64 v[47:48], v[55:56], -v[53:54]
	v_add_f64 v[33:34], v[33:34], -v[47:48]
	;; [unrolled: 1-line block ×4, first 2 shown]
	v_add_f64 v[33:34], v[33:34], v[47:48]
	v_add_f64 v[31:32], v[33:34], v[31:32]
	v_fma_f64 v[33:34], v[37:38], v[35:36], -v[53:54]
	v_add_f64 v[31:32], v[33:34], v[31:32]
	v_ldexp_f64 v[33:34], v[51:52], 2
	v_add_f64 v[31:32], v[39:40], v[31:32]
	v_cndmask_b32_e32 v34, 0, v34, vcc
	v_cndmask_b32_e32 v33, 0, v33, vcc
	v_add_f64 v[35:36], v[41:42], v[33:34]
	v_cmp_gt_f64_e32 vcc, 0, v[35:36]
	v_cndmask_b32_e32 v18, 0, v43, vcc
	v_add_f64 v[33:34], v[33:34], v[17:18]
	v_add_f64 v[35:36], v[41:42], v[33:34]
	v_cvt_i32_f64_e32 v18, v[35:36]
	v_cvt_f64_i32_e32 v[35:36], v18
	v_add_f64 v[33:34], v[33:34], -v[35:36]
	v_add_f64 v[35:36], v[41:42], v[33:34]
	v_add_f64 v[33:34], v[35:36], -v[33:34]
	v_cmp_le_f64_e32 vcc, 0.5, v[35:36]
	v_add_f64 v[33:34], v[41:42], -v[33:34]
	v_addc_co_u32_e64 v47, s[8:9], 0, v18, vcc
	v_cndmask_b32_e32 v18, 0, v44, vcc
	v_add_f64 v[31:32], v[31:32], v[33:34]
	v_add_f64 v[33:34], v[35:36], -v[17:18]
	v_add_f64 v[35:36], v[33:34], v[31:32]
	v_add_f64 v[33:34], v[35:36], -v[33:34]
	v_add_f64 v[31:32], v[31:32], -v[33:34]
	v_mul_f64 v[33:34], v[35:36], s[86:87]
	v_fma_f64 v[37:38], v[35:36], s[86:87], -v[33:34]
	v_fma_f64 v[35:36], v[35:36], s[90:91], v[37:38]
	v_fma_f64 v[35:36], v[31:32], s[86:87], v[35:36]
	v_add_f64 v[31:32], v[33:34], v[35:36]
	v_add_f64 v[33:34], v[31:32], -v[33:34]
	v_add_f64 v[39:40], v[35:36], -v[33:34]
	s_andn2_saveexec_b64 s[8:9], s[20:21]
	s_cbranch_execz .LBB247_399
	s_branch .LBB247_398
.LBB247_397:                            ;   in Loop: Header=BB247_217 Depth=1
	s_andn2_saveexec_b64 s[8:9], s[20:21]
	s_cbranch_execz .LBB247_399
.LBB247_398:                            ;   in Loop: Header=BB247_217 Depth=1
	s_mov_b32 s20, 0x6dc9c883
	s_mov_b32 s21, 0x3fe45f30
	v_mul_f64 v[31:32], |v[3:4]|, s[20:21]
	s_mov_b32 s88, s28
	s_mov_b32 s20, 0x252049c0
	;; [unrolled: 1-line block ×3, first 2 shown]
	v_rndne_f64_e32 v[33:34], v[31:32]
	v_fma_f64 v[31:32], v[33:34], s[24:25], |v[3:4]|
	v_mul_f64 v[35:36], v[33:34], s[28:29]
	v_cvt_i32_f64_e32 v47, v[33:34]
	v_fma_f64 v[41:42], v[33:34], s[28:29], v[31:32]
	v_add_f64 v[37:38], v[31:32], v[35:36]
	v_add_f64 v[39:40], v[31:32], -v[37:38]
	v_add_f64 v[37:38], v[37:38], -v[41:42]
	v_add_f64 v[31:32], v[39:40], v[35:36]
	v_fma_f64 v[35:36], v[33:34], s[88:89], v[35:36]
	v_add_f64 v[31:32], v[37:38], v[31:32]
	v_add_f64 v[31:32], v[31:32], -v[35:36]
	v_fma_f64 v[35:36], v[33:34], s[20:21], v[31:32]
	v_add_f64 v[31:32], v[41:42], v[35:36]
	v_add_f64 v[37:38], v[31:32], -v[41:42]
	v_add_f64 v[39:40], v[35:36], -v[37:38]
.LBB247_399:                            ;   in Loop: Header=BB247_217 Depth=1
	s_or_b64 exec, exec, s[8:9]
                                        ; implicit-def: $vgpr29
                                        ; implicit-def: $vgpr33_vgpr34
                                        ; implicit-def: $vgpr35_vgpr36
	s_and_saveexec_b64 s[8:9], s[10:11]
	s_xor_b64 s[10:11], exec, s[8:9]
	s_cbranch_execz .LBB247_401
; %bb.400:                              ;   in Loop: Header=BB247_217 Depth=1
	v_trig_preop_f64 v[33:34], |v[3:4]|, 0
	s_mov_b32 s8, 0
	s_mov_b32 s9, 0x7b000000
	v_cmp_ge_f64_e64 vcc, |v[3:4]|, s[8:9]
	s_movk_i32 s8, 0xff80
	v_ldexp_f64 v[37:38], |v[3:4]|, s8
	v_trig_preop_f64 v[35:36], |v[3:4]|, 1
	v_and_b32_e32 v18, 0x7fffffff, v4
	s_mov_b32 s8, 0
	s_mov_b32 s9, 0x7ff00000
	;; [unrolled: 1-line block ×4, first 2 shown]
	v_cndmask_b32_e32 v38, v18, v38, vcc
	v_cndmask_b32_e32 v37, v3, v37, vcc
	v_mul_f64 v[48:49], v[33:34], v[37:38]
	v_mul_f64 v[41:42], v[35:36], v[37:38]
	v_fma_f64 v[33:34], v[33:34], v[37:38], -v[48:49]
	v_fma_f64 v[35:36], v[35:36], v[37:38], -v[41:42]
	v_add_f64 v[50:51], v[41:42], v[33:34]
	v_add_f64 v[58:59], v[50:51], -v[41:42]
	v_add_f64 v[52:53], v[48:49], v[50:51]
	v_add_f64 v[33:34], v[33:34], -v[58:59]
	v_add_f64 v[58:59], v[50:51], -v[58:59]
	v_ldexp_f64 v[54:55], v[52:53], -2
	v_add_f64 v[48:49], v[52:53], -v[48:49]
	v_add_f64 v[58:59], v[41:42], -v[58:59]
	v_trig_preop_f64 v[41:42], |v[3:4]|, 2
	v_fract_f64_e32 v[56:57], v[54:55]
	v_add_f64 v[48:49], v[50:51], -v[48:49]
	v_cmp_neq_f64_e64 vcc, |v[54:55]|, s[8:9]
	v_add_f64 v[33:34], v[33:34], v[58:59]
	v_mul_f64 v[58:59], v[41:42], v[37:38]
	v_add_f64 v[60:61], v[58:59], v[35:36]
	v_add_f64 v[62:63], v[60:61], v[33:34]
	v_add_f64 v[52:53], v[62:63], -v[60:61]
	v_add_f64 v[50:51], v[48:49], v[62:63]
	v_add_f64 v[33:34], v[33:34], -v[52:53]
	v_add_f64 v[52:53], v[62:63], -v[52:53]
	v_add_f64 v[48:49], v[50:51], -v[48:49]
	v_add_f64 v[52:53], v[60:61], -v[52:53]
	v_add_f64 v[48:49], v[62:63], -v[48:49]
	v_add_f64 v[33:34], v[33:34], v[52:53]
	v_add_f64 v[52:53], v[60:61], -v[58:59]
	v_add_f64 v[35:36], v[35:36], -v[52:53]
	;; [unrolled: 1-line block ×4, first 2 shown]
	v_add_f64 v[35:36], v[35:36], v[52:53]
	v_add_f64 v[33:34], v[35:36], v[33:34]
	v_fma_f64 v[35:36], v[41:42], v[37:38], -v[58:59]
	v_add_f64 v[33:34], v[35:36], v[33:34]
	v_ldexp_f64 v[35:36], v[56:57], 2
	v_add_f64 v[33:34], v[48:49], v[33:34]
	v_cndmask_b32_e32 v36, 0, v36, vcc
	v_cndmask_b32_e32 v35, 0, v35, vcc
	v_add_f64 v[37:38], v[50:51], v[35:36]
	v_cmp_gt_f64_e32 vcc, 0, v[37:38]
	v_cndmask_b32_e32 v18, 0, v43, vcc
	v_add_f64 v[35:36], v[35:36], v[17:18]
	v_add_f64 v[37:38], v[50:51], v[35:36]
	v_cvt_i32_f64_e32 v18, v[37:38]
	v_cvt_f64_i32_e32 v[37:38], v18
	v_add_f64 v[35:36], v[35:36], -v[37:38]
	v_add_f64 v[37:38], v[50:51], v[35:36]
	v_add_f64 v[35:36], v[37:38], -v[35:36]
	v_cmp_le_f64_e32 vcc, 0.5, v[37:38]
	v_add_f64 v[35:36], v[50:51], -v[35:36]
	v_addc_co_u32_e64 v29, s[8:9], 0, v18, vcc
	v_cndmask_b32_e32 v18, 0, v44, vcc
	v_add_f64 v[33:34], v[33:34], v[35:36]
	v_add_f64 v[35:36], v[37:38], -v[17:18]
	v_add_f64 v[37:38], v[35:36], v[33:34]
	v_add_f64 v[35:36], v[37:38], -v[35:36]
	v_add_f64 v[33:34], v[33:34], -v[35:36]
	v_mul_f64 v[35:36], v[37:38], s[86:87]
	v_fma_f64 v[41:42], v[37:38], s[86:87], -v[35:36]
	v_fma_f64 v[37:38], v[37:38], s[90:91], v[41:42]
	v_fma_f64 v[37:38], v[33:34], s[86:87], v[37:38]
	v_add_f64 v[33:34], v[35:36], v[37:38]
	v_add_f64 v[35:36], v[33:34], -v[35:36]
	v_add_f64 v[35:36], v[37:38], -v[35:36]
	s_andn2_saveexec_b64 s[8:9], s[10:11]
	s_cbranch_execnz .LBB247_402
	s_branch .LBB247_403
.LBB247_401:                            ;   in Loop: Header=BB247_217 Depth=1
	s_andn2_saveexec_b64 s[8:9], s[10:11]
	s_cbranch_execz .LBB247_403
.LBB247_402:                            ;   in Loop: Header=BB247_217 Depth=1
	s_mov_b32 s10, 0x6dc9c883
	s_mov_b32 s11, 0x3fe45f30
	v_mul_f64 v[33:34], |v[3:4]|, s[10:11]
	s_mov_b32 s88, s28
	s_mov_b32 s10, 0x252049c0
	s_mov_b32 s11, 0xb97b839a
	v_rndne_f64_e32 v[37:38], v[33:34]
	v_fma_f64 v[33:34], v[37:38], s[24:25], |v[3:4]|
	v_mul_f64 v[35:36], v[37:38], s[28:29]
	v_cvt_i32_f64_e32 v29, v[37:38]
	v_fma_f64 v[50:51], v[37:38], s[28:29], v[33:34]
	v_add_f64 v[41:42], v[33:34], v[35:36]
	v_add_f64 v[48:49], v[33:34], -v[41:42]
	v_add_f64 v[41:42], v[41:42], -v[50:51]
	v_add_f64 v[33:34], v[48:49], v[35:36]
	v_fma_f64 v[35:36], v[37:38], s[88:89], v[35:36]
	v_add_f64 v[33:34], v[41:42], v[33:34]
	v_add_f64 v[33:34], v[33:34], -v[35:36]
	v_fma_f64 v[35:36], v[37:38], s[10:11], v[33:34]
	v_add_f64 v[33:34], v[50:51], v[35:36]
	v_add_f64 v[41:42], v[33:34], -v[50:51]
	v_add_f64 v[35:36], v[35:36], -v[41:42]
.LBB247_403:                            ;   in Loop: Header=BB247_217 Depth=1
	s_or_b64 exec, exec, s[8:9]
	s_movk_i32 s8, 0x1f8
	v_cmp_class_f64_e64 vcc, v[3:4], s8
	v_and_b32_e32 v3, 1, v47
	v_cmp_eq_u32_e64 s[8:9], 0, v3
	v_mul_f64 v[3:4], v[31:32], v[31:32]
	s_mov_b32 s10, 0x9037ab78
	s_mov_b32 s11, 0x3e21eeb6
	v_mov_b32_e32 v42, s11
	v_mov_b32_e32 v41, s10
	s_mov_b32 s10, 0xb42fdfa7
	s_mov_b32 s11, 0xbe5ae600
	s_mov_b32 s76, s80
	v_mul_f64 v[37:38], v[3:4], 0.5
	v_fma_f64 v[52:53], v[3:4], s[60:61], v[41:42]
	v_mul_f64 v[50:51], v[3:4], v[3:4]
	v_lshlrev_b32_e32 v18, 30, v47
	v_and_b32_e32 v18, 0x80000000, v18
	s_mov_b32 s95, s51
	s_mov_b32 s53, s81
	v_add_f64 v[48:49], -v[37:38], 1.0
	v_fma_f64 v[52:53], v[3:4], v[52:53], s[62:63]
	v_add_f64 v[54:55], -v[48:49], 1.0
	v_fma_f64 v[52:53], v[3:4], v[52:53], s[64:65]
	v_add_f64 v[37:38], v[54:55], -v[37:38]
	v_fma_f64 v[52:53], v[3:4], v[52:53], s[66:67]
	v_mul_f64 v[54:55], v[39:40], 0.5
	v_fma_f64 v[37:38], v[31:32], -v[39:40], v[37:38]
	v_fma_f64 v[52:53], v[3:4], v[52:53], s[80:81]
	v_fma_f64 v[37:38], v[50:51], v[52:53], v[37:38]
	v_mul_f64 v[50:51], v[31:32], -v[3:4]
	v_add_f64 v[48:49], v[48:49], v[37:38]
	v_mov_b32_e32 v38, s11
	v_mov_b32_e32 v37, s10
	v_fma_f64 v[52:53], v[3:4], s[70:71], v[37:38]
	s_mov_b32 s10, 0
	s_mov_b32 s11, 0xc090cc00
	v_fma_f64 v[52:53], v[3:4], v[52:53], s[72:73]
	v_fma_f64 v[52:53], v[3:4], v[52:53], s[74:75]
	;; [unrolled: 1-line block ×4, first 2 shown]
	v_fma_f64 v[3:4], v[3:4], v[52:53], -v[39:40]
	v_fma_f64 v[3:4], v[50:51], s[76:77], v[3:4]
	v_add_f64 v[3:4], v[31:32], -v[3:4]
	v_xor_b32_e32 v4, 0x80000000, v4
	v_cndmask_b32_e64 v3, v3, v48, s[8:9]
	v_cndmask_b32_e64 v4, v4, v49, s[8:9]
	s_mov_b32 s8, 0x19ba0da4
	s_mov_b32 s9, 0xc0937be3
	v_add_f64 v[1:2], -v[1:2], s[8:9]
	v_xor_b32_e32 v4, v4, v18
	v_cndmask_b32_e32 v31, 0, v3, vcc
	v_cndmask_b32_e32 v32, v46, v4, vcc
	s_mov_b32 s8, 0
	s_mov_b32 s9, 0x40900000
	v_mul_f64 v[3:4], v[1:2], s[34:35]
	v_cmp_nlt_f64_e64 s[8:9], s[8:9], v[1:2]
	v_cmp_ngt_f64_e64 s[10:11], s[10:11], v[1:2]
	v_rndne_f64_e32 v[3:4], v[3:4]
	v_fma_f64 v[39:40], v[3:4], s[36:37], v[1:2]
	v_fma_f64 v[39:40], v[3:4], s[38:39], v[39:40]
	v_cvt_i32_f64_e32 v3, v[3:4]
	v_fma_f64 v[47:48], v[39:40], s[40:41], v[19:20]
	v_fma_f64 v[47:48], v[39:40], v[47:48], s[42:43]
	;; [unrolled: 1-line block ×9, first 2 shown]
	v_fma_f64 v[47:48], v[39:40], v[47:48], 1.0
	v_fma_f64 v[39:40], v[39:40], v[47:48], 1.0
	v_mul_f64 v[47:48], v[33:34], v[33:34]
	v_ldexp_f64 v[3:4], v[39:40], v3
	v_fma_f64 v[41:42], v[47:48], s[60:61], v[41:42]
	v_fma_f64 v[37:38], v[47:48], s[70:71], v[37:38]
	v_cndmask_b32_e64 v4, v45, v4, s[8:9]
	v_cndmask_b32_e64 v18, 0, v4, s[10:11]
	s_and_b64 s[8:9], s[10:11], s[8:9]
	v_and_b32_e32 v1, 0xfffff, v18
	v_cndmask_b32_e64 v3, 0, v3, s[8:9]
	v_or_b32_e32 v4, 0x7fe00000, v1
	v_mul_f64 v[1:2], v[3:4], v[31:32]
	v_lshrrev_b32_e32 v18, 20, v18
	v_add_u32_e32 v39, 0xffffff09, v18
	v_lshrrev_b16_e32 v18, 15, v39
	v_add_u16_e32 v18, v39, v18
	v_ashrrev_i16_e32 v18, 1, v18
	v_bfe_i32 v40, v18, 0, 16
	v_lshl_add_u32 v18, v40, 20, v44
	v_mul_f64 v[31:32], v[1:2], v[17:18]
	v_sub_u32_e32 v1, v39, v40
	v_mul_f64 v[39:40], v[47:48], 0.5
	v_fma_f64 v[41:42], v[47:48], v[41:42], s[62:63]
	v_fma_f64 v[37:38], v[47:48], v[37:38], s[72:73]
	v_lshl_add_u32 v2, v1, 20, v44
	v_mov_b32_e32 v1, v17
	v_mul_f64 v[31:32], v[31:32], v[1:2]
	v_add_f64 v[49:50], -v[39:40], 1.0
	v_fma_f64 v[41:42], v[47:48], v[41:42], s[64:65]
	v_fma_f64 v[37:38], v[47:48], v[37:38], s[74:75]
	v_add_f64 v[51:52], -v[49:50], 1.0
	v_fma_f64 v[41:42], v[47:48], v[41:42], s[66:67]
	v_fma_f64 v[37:38], v[47:48], v[37:38], s[50:51]
	v_add_f64 v[39:40], v[51:52], -v[39:40]
	v_mul_f64 v[51:52], v[47:48], v[47:48]
	v_fma_f64 v[41:42], v[47:48], v[41:42], s[80:81]
	v_fma_f64 v[39:40], v[33:34], -v[35:36], v[39:40]
	v_fma_f64 v[39:40], v[51:52], v[41:42], v[39:40]
	v_mul_f64 v[41:42], v[33:34], -v[47:48]
	v_add_f64 v[39:40], v[49:50], v[39:40]
	v_mul_f64 v[49:50], v[35:36], 0.5
	v_fma_f64 v[37:38], v[41:42], v[37:38], v[49:50]
	v_fma_f64 v[35:36], v[47:48], v[37:38], -v[35:36]
	v_fma_f64 v[35:36], v[41:42], s[76:77], v[35:36]
	v_add_f64 v[33:34], v[33:34], -v[35:36]
	v_and_b32_e32 v35, 1, v29
	v_lshlrev_b32_e32 v29, 30, v29
	v_cmp_eq_u32_e64 s[8:9], 0, v35
	v_xor_b32_e32 v29, v29, v30
	v_and_b32_e32 v29, 0x80000000, v29
	v_cndmask_b32_e64 v34, v40, v34, s[8:9]
	v_cndmask_b32_e64 v33, v39, v33, s[8:9]
	v_xor_b32_e32 v30, v34, v29
	v_cndmask_b32_e32 v29, 0, v33, vcc
	v_cndmask_b32_e32 v30, v46, v30, vcc
	v_mul_f64 v[3:4], v[3:4], v[29:30]
	v_mul_f64 v[3:4], v[3:4], v[17:18]
	;; [unrolled: 1-line block ×3, first 2 shown]
.LBB247_404:                            ;   in Loop: Header=BB247_217 Depth=1
	s_or_b64 exec, exec, s[68:69]
                                        ; implicit-def: $vgpr33_vgpr34
                                        ; implicit-def: $vgpr3_vgpr4
                                        ; implicit-def: $vgpr18
.LBB247_405:                            ;   in Loop: Header=BB247_217 Depth=1
	s_andn2_saveexec_b64 s[10:11], s[58:59]
	s_cbranch_execz .LBB247_411
; %bb.406:                              ;   in Loop: Header=BB247_217 Depth=1
	s_mov_b32 s8, 0x7ff00000
	v_cmp_ne_u32_e32 vcc, 0, v1
	v_cmp_ne_u32_e64 s[8:9], s8, v18
	s_or_b64 s[8:9], vcc, s[8:9]
                                        ; implicit-def: $vgpr29_vgpr30
	s_and_saveexec_b64 s[20:21], s[8:9]
	s_xor_b64 s[8:9], exec, s[20:21]
; %bb.407:                              ;   in Loop: Header=BB247_217 Depth=1
	v_add_f64 v[29:30], v[3:4], -v[3:4]
                                        ; implicit-def: $vgpr33_vgpr34
                                        ; implicit-def: $vgpr3_vgpr4
; %bb.408:                              ;   in Loop: Header=BB247_217 Depth=1
	s_or_saveexec_b64 s[8:9], s[8:9]
	v_mov_b32_e32 v32, v30
	v_mov_b32_e32 v31, v29
	s_xor_b64 exec, exec, s[8:9]
	s_cbranch_execz .LBB247_410
; %bb.409:                              ;   in Loop: Header=BB247_217 Depth=1
	v_add_f64 v[2:3], v[3:4], -v[3:4]
	v_cmp_lt_i64_e32 vcc, -1, v[33:34]
	v_cndmask_b32_e32 v32, 0, v34, vcc
	v_cndmask_b32_e32 v31, 0, v1, vcc
	;; [unrolled: 1-line block ×4, first 2 shown]
.LBB247_410:                            ;   in Loop: Header=BB247_217 Depth=1
	s_or_b64 exec, exec, s[8:9]
.LBB247_411:                            ;   in Loop: Header=BB247_217 Depth=1
	s_or_b64 exec, exec, s[10:11]
                                        ; implicit-def: $vgpr3_vgpr4
.LBB247_412:                            ;   in Loop: Header=BB247_217 Depth=1
	s_andn2_saveexec_b64 s[10:11], s[18:19]
	s_cbranch_execz .LBB247_422
; %bb.413:                              ;   in Loop: Header=BB247_217 Depth=1
	s_mov_b32 s8, 0
	s_mov_b32 s9, 0x41d00000
	v_cmp_nlt_f64_e64 s[8:9], |v[3:4]|, s[8:9]
                                        ; implicit-def: $vgpr39
                                        ; implicit-def: $vgpr31_vgpr32
                                        ; implicit-def: $vgpr33_vgpr34
	s_and_saveexec_b64 s[18:19], s[8:9]
	s_xor_b64 s[18:19], exec, s[18:19]
	s_cbranch_execz .LBB247_415
; %bb.414:                              ;   in Loop: Header=BB247_217 Depth=1
	v_trig_preop_f64 v[1:2], |v[3:4]|, 0
	s_movk_i32 s20, 0xff80
	v_ldexp_f64 v[31:32], |v[3:4]|, s20
	s_mov_b32 s20, 0
	s_mov_b32 s21, 0x7b000000
	v_cmp_ge_f64_e64 vcc, |v[3:4]|, s[20:21]
	v_trig_preop_f64 v[33:34], |v[3:4]|, 1
	v_and_b32_e32 v18, 0x7fffffff, v4
	v_trig_preop_f64 v[41:42], |v[3:4]|, 2
	s_mov_b32 s20, 0
	s_mov_b32 s21, 0x7ff00000
	;; [unrolled: 1-line block ×4, first 2 shown]
	v_cndmask_b32_e32 v32, v18, v32, vcc
	v_cndmask_b32_e32 v31, v3, v31, vcc
	v_mul_f64 v[35:36], v[1:2], v[31:32]
	v_mul_f64 v[37:38], v[33:34], v[31:32]
	;; [unrolled: 1-line block ×3, first 2 shown]
	v_fma_f64 v[1:2], v[1:2], v[31:32], -v[35:36]
	v_fma_f64 v[33:34], v[33:34], v[31:32], -v[37:38]
	;; [unrolled: 1-line block ×3, first 2 shown]
	v_add_f64 v[39:40], v[37:38], v[1:2]
	v_add_f64 v[47:48], v[39:40], -v[37:38]
	v_add_f64 v[53:54], v[35:36], v[39:40]
	v_add_f64 v[49:50], v[39:40], -v[47:48]
	v_add_f64 v[1:2], v[1:2], -v[47:48]
	v_add_f64 v[47:48], v[51:52], v[33:34]
	v_add_f64 v[35:36], v[53:54], -v[35:36]
	v_add_f64 v[37:38], v[37:38], -v[49:50]
	v_ldexp_f64 v[49:50], v[53:54], -2
	v_add_f64 v[55:56], v[47:48], -v[51:52]
	v_add_f64 v[35:36], v[39:40], -v[35:36]
	v_add_f64 v[1:2], v[1:2], v[37:38]
	v_fract_f64_e32 v[37:38], v[49:50]
	v_cmp_neq_f64_e64 vcc, |v[49:50]|, s[20:21]
	v_add_f64 v[33:34], v[33:34], -v[55:56]
	v_add_f64 v[39:40], v[47:48], v[1:2]
	v_ldexp_f64 v[37:38], v[37:38], 2
	v_add_f64 v[49:50], v[35:36], v[39:40]
	v_cndmask_b32_e32 v38, 0, v38, vcc
	v_cndmask_b32_e32 v37, 0, v37, vcc
	v_add_f64 v[57:58], v[39:40], -v[47:48]
	v_add_f64 v[53:54], v[49:50], v[37:38]
	v_add_f64 v[35:36], v[49:50], -v[35:36]
	v_add_f64 v[59:60], v[39:40], -v[57:58]
	;; [unrolled: 1-line block ×3, first 2 shown]
	v_cmp_gt_f64_e32 vcc, 0, v[53:54]
	v_add_f64 v[53:54], v[47:48], -v[55:56]
	v_add_f64 v[35:36], v[39:40], -v[35:36]
	;; [unrolled: 1-line block ×3, first 2 shown]
	v_cndmask_b32_e32 v18, 0, v43, vcc
	v_add_f64 v[37:38], v[37:38], v[17:18]
	v_add_f64 v[53:54], v[51:52], -v[53:54]
	v_add_f64 v[1:2], v[1:2], v[47:48]
	v_add_f64 v[61:62], v[49:50], v[37:38]
	;; [unrolled: 1-line block ×3, first 2 shown]
	v_cvt_i32_f64_e32 v29, v[61:62]
	v_add_f64 v[1:2], v[33:34], v[1:2]
	v_cvt_f64_i32_e32 v[55:56], v29
	v_add_f64 v[37:38], v[37:38], -v[55:56]
	v_add_f64 v[1:2], v[31:32], v[1:2]
	v_add_f64 v[33:34], v[49:50], v[37:38]
	;; [unrolled: 1-line block ×3, first 2 shown]
	v_add_f64 v[31:32], v[33:34], -v[37:38]
	v_cmp_le_f64_e32 vcc, 0.5, v[33:34]
	v_add_f64 v[31:32], v[49:50], -v[31:32]
	v_cndmask_b32_e32 v18, 0, v44, vcc
	v_addc_co_u32_e32 v39, vcc, 0, v29, vcc
	v_add_f64 v[1:2], v[1:2], v[31:32]
	v_add_f64 v[31:32], v[33:34], -v[17:18]
	v_add_f64 v[33:34], v[31:32], v[1:2]
	v_mul_f64 v[35:36], v[33:34], s[86:87]
	v_add_f64 v[31:32], v[33:34], -v[31:32]
	v_fma_f64 v[37:38], v[33:34], s[86:87], -v[35:36]
	v_add_f64 v[1:2], v[1:2], -v[31:32]
	v_fma_f64 v[31:32], v[33:34], s[90:91], v[37:38]
	v_fma_f64 v[1:2], v[1:2], s[86:87], v[31:32]
	v_add_f64 v[31:32], v[35:36], v[1:2]
	v_add_f64 v[33:34], v[31:32], -v[35:36]
	v_add_f64 v[33:34], v[1:2], -v[33:34]
	s_andn2_saveexec_b64 s[18:19], s[18:19]
	s_cbranch_execz .LBB247_417
	s_branch .LBB247_416
.LBB247_415:                            ;   in Loop: Header=BB247_217 Depth=1
	s_andn2_saveexec_b64 s[18:19], s[18:19]
	s_cbranch_execz .LBB247_417
.LBB247_416:                            ;   in Loop: Header=BB247_217 Depth=1
	s_mov_b32 s20, 0x6dc9c883
	s_mov_b32 s21, 0x3fe45f30
	v_mul_f64 v[1:2], |v[3:4]|, s[20:21]
	s_mov_b32 s88, s28
	s_mov_b32 s20, 0x252049c0
	;; [unrolled: 1-line block ×3, first 2 shown]
	v_rndne_f64_e32 v[1:2], v[1:2]
	v_fma_f64 v[31:32], v[1:2], s[24:25], |v[3:4]|
	v_mul_f64 v[33:34], v[1:2], s[28:29]
	v_fma_f64 v[39:40], v[1:2], s[28:29], v[31:32]
	v_add_f64 v[35:36], v[31:32], v[33:34]
	v_add_f64 v[37:38], v[31:32], -v[35:36]
	v_add_f64 v[35:36], v[35:36], -v[39:40]
	v_add_f64 v[31:32], v[37:38], v[33:34]
	v_fma_f64 v[33:34], v[1:2], s[88:89], v[33:34]
	v_add_f64 v[31:32], v[35:36], v[31:32]
	v_add_f64 v[31:32], v[31:32], -v[33:34]
	v_fma_f64 v[33:34], v[1:2], s[20:21], v[31:32]
	v_add_f64 v[31:32], v[39:40], v[33:34]
	v_add_f64 v[35:36], v[31:32], -v[39:40]
	v_cvt_i32_f64_e32 v39, v[1:2]
	v_add_f64 v[33:34], v[33:34], -v[35:36]
.LBB247_417:                            ;   in Loop: Header=BB247_217 Depth=1
	s_or_b64 exec, exec, s[18:19]
                                        ; implicit-def: $vgpr29
                                        ; implicit-def: $vgpr1_vgpr2
                                        ; implicit-def: $vgpr35_vgpr36
	s_and_saveexec_b64 s[18:19], s[8:9]
	s_xor_b64 s[18:19], exec, s[18:19]
	s_cbranch_execz .LBB247_419
; %bb.418:                              ;   in Loop: Header=BB247_217 Depth=1
	v_trig_preop_f64 v[1:2], |v[3:4]|, 0
	s_mov_b32 s8, 0
	s_mov_b32 s9, 0x7b000000
	v_cmp_ge_f64_e64 vcc, |v[3:4]|, s[8:9]
	s_movk_i32 s8, 0xff80
	v_ldexp_f64 v[37:38], |v[3:4]|, s8
	v_trig_preop_f64 v[35:36], |v[3:4]|, 1
	v_and_b32_e32 v18, 0x7fffffff, v4
	s_mov_b32 s8, 0
	s_mov_b32 s9, 0x7ff00000
	;; [unrolled: 1-line block ×4, first 2 shown]
	v_cndmask_b32_e32 v38, v18, v38, vcc
	v_cndmask_b32_e32 v37, v3, v37, vcc
	v_mul_f64 v[47:48], v[1:2], v[37:38]
	v_mul_f64 v[40:41], v[35:36], v[37:38]
	v_fma_f64 v[1:2], v[1:2], v[37:38], -v[47:48]
	v_fma_f64 v[35:36], v[35:36], v[37:38], -v[40:41]
	v_add_f64 v[49:50], v[40:41], v[1:2]
	v_add_f64 v[57:58], v[49:50], -v[40:41]
	v_add_f64 v[51:52], v[47:48], v[49:50]
	v_add_f64 v[1:2], v[1:2], -v[57:58]
	v_add_f64 v[57:58], v[49:50], -v[57:58]
	v_ldexp_f64 v[53:54], v[51:52], -2
	v_add_f64 v[47:48], v[51:52], -v[47:48]
	v_add_f64 v[57:58], v[40:41], -v[57:58]
	v_trig_preop_f64 v[40:41], |v[3:4]|, 2
	v_fract_f64_e32 v[55:56], v[53:54]
	v_add_f64 v[47:48], v[49:50], -v[47:48]
	v_cmp_neq_f64_e64 vcc, |v[53:54]|, s[8:9]
	v_add_f64 v[1:2], v[1:2], v[57:58]
	v_mul_f64 v[57:58], v[40:41], v[37:38]
	v_add_f64 v[59:60], v[57:58], v[35:36]
	v_add_f64 v[61:62], v[59:60], v[1:2]
	v_add_f64 v[51:52], v[61:62], -v[59:60]
	v_add_f64 v[49:50], v[47:48], v[61:62]
	v_add_f64 v[1:2], v[1:2], -v[51:52]
	v_add_f64 v[51:52], v[61:62], -v[51:52]
	;; [unrolled: 1-line block ×5, first 2 shown]
	v_add_f64 v[1:2], v[1:2], v[51:52]
	v_add_f64 v[51:52], v[59:60], -v[57:58]
	v_add_f64 v[35:36], v[35:36], -v[51:52]
	;; [unrolled: 1-line block ×4, first 2 shown]
	v_add_f64 v[35:36], v[35:36], v[51:52]
	v_add_f64 v[1:2], v[35:36], v[1:2]
	v_fma_f64 v[35:36], v[40:41], v[37:38], -v[57:58]
	v_add_f64 v[1:2], v[35:36], v[1:2]
	v_ldexp_f64 v[35:36], v[55:56], 2
	v_add_f64 v[1:2], v[47:48], v[1:2]
	v_cndmask_b32_e32 v36, 0, v36, vcc
	v_cndmask_b32_e32 v35, 0, v35, vcc
	v_add_f64 v[37:38], v[49:50], v[35:36]
	v_cmp_gt_f64_e32 vcc, 0, v[37:38]
	v_cndmask_b32_e32 v18, 0, v43, vcc
	v_add_f64 v[35:36], v[35:36], v[17:18]
	v_add_f64 v[37:38], v[49:50], v[35:36]
	v_cvt_i32_f64_e32 v18, v[37:38]
	v_cvt_f64_i32_e32 v[37:38], v18
	v_add_f64 v[35:36], v[35:36], -v[37:38]
	v_add_f64 v[37:38], v[49:50], v[35:36]
	v_add_f64 v[35:36], v[37:38], -v[35:36]
	v_cmp_le_f64_e32 vcc, 0.5, v[37:38]
	v_add_f64 v[35:36], v[49:50], -v[35:36]
	v_addc_co_u32_e64 v29, s[8:9], 0, v18, vcc
	v_cndmask_b32_e32 v18, 0, v44, vcc
	v_add_f64 v[1:2], v[1:2], v[35:36]
	v_add_f64 v[35:36], v[37:38], -v[17:18]
	v_add_f64 v[37:38], v[35:36], v[1:2]
	v_add_f64 v[35:36], v[37:38], -v[35:36]
	v_add_f64 v[1:2], v[1:2], -v[35:36]
	v_mul_f64 v[35:36], v[37:38], s[86:87]
	v_fma_f64 v[40:41], v[37:38], s[86:87], -v[35:36]
	v_fma_f64 v[37:38], v[37:38], s[90:91], v[40:41]
	v_fma_f64 v[37:38], v[1:2], s[86:87], v[37:38]
	v_add_f64 v[1:2], v[35:36], v[37:38]
	v_add_f64 v[35:36], v[1:2], -v[35:36]
	v_add_f64 v[35:36], v[37:38], -v[35:36]
	s_andn2_saveexec_b64 s[8:9], s[18:19]
	s_cbranch_execnz .LBB247_420
	s_branch .LBB247_421
.LBB247_419:                            ;   in Loop: Header=BB247_217 Depth=1
	s_andn2_saveexec_b64 s[8:9], s[18:19]
	s_cbranch_execz .LBB247_421
.LBB247_420:                            ;   in Loop: Header=BB247_217 Depth=1
	s_mov_b32 s18, 0x6dc9c883
	s_mov_b32 s19, 0x3fe45f30
	v_mul_f64 v[1:2], |v[3:4]|, s[18:19]
	s_mov_b32 s88, s28
	s_mov_b32 s18, 0x252049c0
	s_mov_b32 s19, 0xb97b839a
	v_rndne_f64_e32 v[37:38], v[1:2]
	v_fma_f64 v[1:2], v[37:38], s[24:25], |v[3:4]|
	v_mul_f64 v[35:36], v[37:38], s[28:29]
	v_cvt_i32_f64_e32 v29, v[37:38]
	v_fma_f64 v[49:50], v[37:38], s[28:29], v[1:2]
	v_add_f64 v[40:41], v[1:2], v[35:36]
	v_add_f64 v[47:48], v[1:2], -v[40:41]
	v_add_f64 v[40:41], v[40:41], -v[49:50]
	v_add_f64 v[1:2], v[47:48], v[35:36]
	v_fma_f64 v[35:36], v[37:38], s[88:89], v[35:36]
	v_add_f64 v[1:2], v[40:41], v[1:2]
	v_add_f64 v[1:2], v[1:2], -v[35:36]
	v_fma_f64 v[35:36], v[37:38], s[18:19], v[1:2]
	v_add_f64 v[1:2], v[49:50], v[35:36]
	v_add_f64 v[40:41], v[1:2], -v[49:50]
	v_add_f64 v[35:36], v[35:36], -v[40:41]
.LBB247_421:                            ;   in Loop: Header=BB247_217 Depth=1
	s_or_b64 exec, exec, s[8:9]
	v_mul_f64 v[40:41], v[31:32], v[31:32]
	s_mov_b32 s8, 0x9037ab78
	s_mov_b32 s9, 0x3e21eeb6
	v_mov_b32_e32 v52, s9
	v_mov_b32_e32 v51, s8
	s_mov_b32 s8, 0xb42fdfa7
	s_mov_b32 s9, 0xbe5ae600
	v_mul_f64 v[55:56], v[33:34], 0.5
	v_mul_f64 v[37:38], v[40:41], 0.5
	v_fma_f64 v[53:54], v[40:41], s[60:61], v[51:52]
	s_mov_b32 s76, s80
	v_add_f64 v[47:48], -v[37:38], 1.0
	v_fma_f64 v[53:54], v[40:41], v[53:54], s[62:63]
	v_add_f64 v[49:50], -v[47:48], 1.0
	v_fma_f64 v[53:54], v[40:41], v[53:54], s[64:65]
	v_add_f64 v[37:38], v[49:50], -v[37:38]
	v_fma_f64 v[53:54], v[40:41], v[53:54], s[66:67]
	v_mul_f64 v[49:50], v[40:41], v[40:41]
	v_fma_f64 v[37:38], v[31:32], -v[33:34], v[37:38]
	v_fma_f64 v[53:54], v[40:41], v[53:54], s[80:81]
	v_fma_f64 v[37:38], v[49:50], v[53:54], v[37:38]
	v_mul_f64 v[53:54], v[31:32], -v[40:41]
	v_add_f64 v[47:48], v[47:48], v[37:38]
	v_mov_b32_e32 v38, s9
	v_mov_b32_e32 v37, s8
	v_fma_f64 v[49:50], v[40:41], s[70:71], v[37:38]
	s_movk_i32 s8, 0x1f8
	v_fma_f64 v[49:50], v[40:41], v[49:50], s[72:73]
	v_fma_f64 v[49:50], v[40:41], v[49:50], s[74:75]
	;; [unrolled: 1-line block ×4, first 2 shown]
	v_fma_f64 v[33:34], v[40:41], v[49:50], -v[33:34]
	v_fma_f64 v[33:34], v[53:54], s[76:77], v[33:34]
	v_add_f64 v[31:32], v[31:32], -v[33:34]
	v_xor_b32_e32 v18, 0x80000000, v32
	v_and_b32_e32 v32, 1, v39
	v_cmp_eq_u32_e32 vcc, 0, v32
	v_cndmask_b32_e32 v31, v31, v47, vcc
	v_cndmask_b32_e32 v18, v18, v48, vcc
	v_cmp_class_f64_e64 vcc, v[3:4], s8
	v_mul_f64 v[3:4], v[1:2], v[1:2]
	v_lshlrev_b32_e32 v32, 30, v39
	v_and_b32_e32 v32, 0x80000000, v32
	v_xor_b32_e32 v18, v18, v32
	v_cndmask_b32_e32 v31, 0, v31, vcc
	v_mul_f64 v[33:34], v[3:4], 0.5
	v_fma_f64 v[47:48], v[3:4], s[60:61], v[51:52]
	v_fma_f64 v[37:38], v[3:4], s[70:71], v[37:38]
	v_cndmask_b32_e32 v32, v46, v18, vcc
	v_add_f64 v[39:40], -v[33:34], 1.0
	v_fma_f64 v[47:48], v[3:4], v[47:48], s[62:63]
	v_fma_f64 v[37:38], v[3:4], v[37:38], s[72:73]
	v_add_f64 v[41:42], -v[39:40], 1.0
	v_fma_f64 v[47:48], v[3:4], v[47:48], s[64:65]
	v_fma_f64 v[37:38], v[3:4], v[37:38], s[74:75]
	v_add_f64 v[33:34], v[41:42], -v[33:34]
	v_fma_f64 v[47:48], v[3:4], v[47:48], s[66:67]
	v_mul_f64 v[41:42], v[3:4], v[3:4]
	v_fma_f64 v[37:38], v[3:4], v[37:38], s[50:51]
	v_fma_f64 v[33:34], v[1:2], -v[35:36], v[33:34]
	v_fma_f64 v[47:48], v[3:4], v[47:48], s[80:81]
	v_fma_f64 v[33:34], v[41:42], v[47:48], v[33:34]
	v_mul_f64 v[41:42], v[35:36], 0.5
	v_add_f64 v[33:34], v[39:40], v[33:34]
	v_mul_f64 v[39:40], v[1:2], -v[3:4]
	v_fma_f64 v[37:38], v[39:40], v[37:38], v[41:42]
	v_fma_f64 v[3:4], v[3:4], v[37:38], -v[35:36]
	v_fma_f64 v[3:4], v[39:40], s[76:77], v[3:4]
	v_add_f64 v[1:2], v[1:2], -v[3:4]
	v_and_b32_e32 v3, 1, v29
	v_cmp_eq_u32_e64 s[8:9], 0, v3
	v_lshlrev_b32_e32 v3, 30, v29
	v_xor_b32_e32 v3, v3, v30
	v_and_b32_e32 v3, 0x80000000, v3
	v_cndmask_b32_e64 v2, v34, v2, s[8:9]
	v_cndmask_b32_e64 v1, v33, v1, s[8:9]
	v_xor_b32_e32 v2, v2, v3
	v_cndmask_b32_e32 v29, 0, v1, vcc
	v_cndmask_b32_e32 v30, v46, v2, vcc
.LBB247_422:                            ;   in Loop: Header=BB247_217 Depth=1
	s_or_b64 exec, exec, s[10:11]
                                        ; implicit-def: $vgpr1_vgpr2
.LBB247_423:                            ;   in Loop: Header=BB247_217 Depth=1
	s_andn2_saveexec_b64 s[10:11], s[82:83]
	s_cbranch_execz .LBB247_425
; %bb.424:                              ;   in Loop: Header=BB247_217 Depth=1
	s_mov_b32 s92, s34
	v_mul_f64 v[3:4], v[1:2], s[92:93]
	s_mov_b32 s95, s51
	s_mov_b32 s53, s81
	v_cmp_ngt_f64_e32 vcc, s[16:17], v[1:2]
	v_cmp_nlt_f64_e64 s[8:9], s[30:31], v[1:2]
	v_rndne_f64_e32 v[3:4], v[3:4]
	v_fma_f64 v[31:32], v[3:4], s[36:37], -v[1:2]
	v_fma_f64 v[31:32], v[3:4], s[38:39], v[31:32]
	v_cvt_i32_f64_e32 v3, v[3:4]
	v_fma_f64 v[33:34], v[31:32], s[40:41], v[19:20]
	v_fma_f64 v[33:34], v[31:32], v[33:34], s[42:43]
	;; [unrolled: 1-line block ×9, first 2 shown]
	v_fma_f64 v[33:34], v[31:32], v[33:34], 1.0
	v_fma_f64 v[31:32], v[31:32], v[33:34], 1.0
	v_ldexp_f64 v[3:4], v[31:32], v3
	v_cndmask_b32_e32 v4, v45, v4, vcc
	s_and_b64 vcc, s[8:9], vcc
	v_cndmask_b32_e64 v32, 0, v4, s[8:9]
	v_cndmask_b32_e32 v31, 0, v3, vcc
.LBB247_425:                            ;   in Loop: Header=BB247_217 Depth=1
	s_or_b64 exec, exec, s[10:11]
	v_add_f64 v[31:32], s[12:13], v[31:32]
	v_add_f64 v[29:30], s[14:15], v[29:30]
	v_cmp_gt_f64_e32 vcc, 0, v[31:32]
	v_xor_b32_e32 v1, 0x80000000, v32
	v_xor_b32_e32 v2, 0x80000000, v30
	v_mov_b32_e32 v33, v31
	v_mov_b32_e32 v35, v29
	v_cndmask_b32_e32 v34, v32, v1, vcc
	v_cmp_gt_f64_e32 vcc, 0, v[29:30]
	v_cndmask_b32_e32 v36, v30, v2, vcc
	v_cmp_ge_f64_e32 vcc, v[33:34], v[35:36]
                                        ; implicit-def: $vgpr3_vgpr4
	s_and_saveexec_b64 s[8:9], vcc
	s_xor_b64 s[10:11], exec, s[8:9]
	s_cbranch_execz .LBB247_435
; %bb.426:                              ;   in Loop: Header=BB247_217 Depth=1
	v_cmp_neq_f64_e32 vcc, 0, v[31:32]
	v_cmp_neq_f64_e64 s[8:9], 0, v[29:30]
                                        ; implicit-def: $vgpr3_vgpr4
	s_or_b64 s[8:9], vcc, s[8:9]
	s_and_saveexec_b64 s[18:19], s[8:9]
	s_xor_b64 s[8:9], exec, s[18:19]
	s_cbranch_execz .LBB247_428
; %bb.427:                              ;   in Loop: Header=BB247_217 Depth=1
	v_div_scale_f64 v[1:2], s[18:19], v[31:32], v[31:32], v[29:30]
	v_rcp_f64_e32 v[3:4], v[1:2]
	v_fma_f64 v[33:34], -v[1:2], v[3:4], 1.0
	v_fma_f64 v[3:4], v[3:4], v[33:34], v[3:4]
	v_div_scale_f64 v[33:34], vcc, v[29:30], v[31:32], v[29:30]
	v_fma_f64 v[35:36], -v[1:2], v[3:4], 1.0
	v_fma_f64 v[3:4], v[3:4], v[35:36], v[3:4]
	v_mul_f64 v[35:36], v[33:34], v[3:4]
	v_fma_f64 v[1:2], -v[1:2], v[35:36], v[33:34]
	v_div_fmas_f64 v[1:2], v[1:2], v[3:4], v[35:36]
	v_div_fixup_f64 v[1:2], v[1:2], v[31:32], v[29:30]
	v_fma_f64 v[3:4], v[29:30], v[1:2], v[31:32]
	v_div_scale_f64 v[29:30], s[18:19], v[3:4], v[3:4], 1.0
	v_rcp_f64_e32 v[31:32], v[29:30]
	v_fma_f64 v[33:34], -v[29:30], v[31:32], 1.0
	v_fma_f64 v[31:32], v[31:32], v[33:34], v[31:32]
	v_div_scale_f64 v[33:34], vcc, 1.0, v[3:4], 1.0
	v_fma_f64 v[35:36], -v[29:30], v[31:32], 1.0
	v_fma_f64 v[31:32], v[31:32], v[35:36], v[31:32]
	v_mul_f64 v[35:36], v[33:34], v[31:32]
	v_fma_f64 v[29:30], -v[29:30], v[35:36], v[33:34]
	v_mov_b32_e32 v34, s15
	v_mov_b32_e32 v33, s14
	v_div_fmas_f64 v[29:30], v[29:30], v[31:32], v[35:36]
	v_mov_b32_e32 v32, s13
	v_mov_b32_e32 v31, s12
	v_fma_f64 v[31:32], s[14:15], v[1:2], v[31:32]
                                        ; implicit-def: $vgpr35_vgpr36
	v_div_fixup_f64 v[3:4], v[29:30], v[3:4], 1.0
	v_fma_f64 v[29:30], -s[12:13], v[1:2], v[33:34]
                                        ; implicit-def: $vgpr33_vgpr34
	v_mul_f64 v[1:2], v[31:32], v[3:4]
	v_mul_f64 v[3:4], v[29:30], v[3:4]
.LBB247_428:                            ;   in Loop: Header=BB247_217 Depth=1
	s_andn2_saveexec_b64 s[18:19], s[8:9]
	s_cbranch_execz .LBB247_430
; %bb.429:                              ;   in Loop: Header=BB247_217 Depth=1
	v_div_scale_f64 v[1:2], s[8:9], v[33:34], v[33:34], s[12:13]
	v_div_scale_f64 v[3:4], s[8:9], v[35:36], v[35:36], s[14:15]
	;; [unrolled: 1-line block ×3, first 2 shown]
	v_rcp_f64_e32 v[29:30], v[1:2]
	v_rcp_f64_e32 v[31:32], v[3:4]
	v_fma_f64 v[37:38], -v[1:2], v[29:30], 1.0
	v_fma_f64 v[39:40], -v[3:4], v[31:32], 1.0
	v_fma_f64 v[29:30], v[29:30], v[37:38], v[29:30]
	v_div_scale_f64 v[37:38], vcc, s[12:13], v[33:34], s[12:13]
	v_fma_f64 v[31:32], v[31:32], v[39:40], v[31:32]
	v_fma_f64 v[39:40], -v[1:2], v[29:30], 1.0
	v_fma_f64 v[47:48], -v[3:4], v[31:32], 1.0
	v_fma_f64 v[29:30], v[29:30], v[39:40], v[29:30]
	v_fma_f64 v[31:32], v[31:32], v[47:48], v[31:32]
	v_mul_f64 v[39:40], v[37:38], v[29:30]
	v_mul_f64 v[47:48], v[41:42], v[31:32]
	v_fma_f64 v[1:2], -v[1:2], v[39:40], v[37:38]
	v_fma_f64 v[3:4], -v[3:4], v[47:48], v[41:42]
	v_div_fmas_f64 v[1:2], v[1:2], v[29:30], v[39:40]
	s_mov_b64 vcc, s[8:9]
	v_div_fmas_f64 v[3:4], v[3:4], v[31:32], v[47:48]
	v_div_fixup_f64 v[1:2], v[1:2], v[33:34], s[12:13]
	v_div_fixup_f64 v[3:4], v[3:4], v[35:36], s[14:15]
.LBB247_430:                            ;   in Loop: Header=BB247_217 Depth=1
	s_or_b64 exec, exec, s[18:19]
                                        ; implicit-def: $vgpr29_vgpr30
                                        ; implicit-def: $vgpr31_vgpr32
	s_andn2_saveexec_b64 s[8:9], s[10:11]
	s_cbranch_execnz .LBB247_436
.LBB247_431:                            ;   in Loop: Header=BB247_217 Depth=1
	s_or_b64 exec, exec, s[8:9]
	s_and_saveexec_b64 s[8:9], s[0:1]
	s_xor_b64 s[0:1], exec, s[8:9]
	s_cbranch_execz .LBB247_437
.LBB247_432:                            ;   in Loop: Header=BB247_217 Depth=1
	v_lshlrev_b64 v[21:22], 4, v[21:22]
	v_mov_b32_e32 v18, s85
	v_add_co_u32_e32 v21, vcc, s84, v21
	v_addc_co_u32_e32 v22, vcc, v18, v22, vcc
	global_store_dwordx4 v[21:22], v[5:8], off
	s_or_b64 exec, exec, s[0:1]
	s_and_saveexec_b64 s[0:1], s[2:3]
	s_cbranch_execnz .LBB247_438
.LBB247_433:                            ;   in Loop: Header=BB247_217 Depth=1
	s_or_b64 exec, exec, s[0:1]
	s_and_saveexec_b64 s[0:1], s[4:5]
	s_cbranch_execz .LBB247_439
.LBB247_434:                            ;   in Loop: Header=BB247_217 Depth=1
	v_lshlrev_b64 v[5:6], 4, v[25:26]
	v_mov_b32_e32 v7, s85
	v_add_co_u32_e32 v5, vcc, s84, v5
	v_addc_co_u32_e32 v6, vcc, v7, v6, vcc
	global_store_dwordx4 v[5:6], v[9:12], off
	s_or_b64 exec, exec, s[0:1]
	s_and_saveexec_b64 s[0:1], s[6:7]
	s_cbranch_execz .LBB247_216
	s_branch .LBB247_440
.LBB247_435:                            ;   in Loop: Header=BB247_217 Depth=1
	s_andn2_saveexec_b64 s[8:9], s[10:11]
	s_cbranch_execz .LBB247_431
.LBB247_436:                            ;   in Loop: Header=BB247_217 Depth=1
	v_div_scale_f64 v[1:2], s[10:11], v[29:30], v[29:30], v[31:32]
	v_rcp_f64_e32 v[3:4], v[1:2]
	v_fma_f64 v[33:34], -v[1:2], v[3:4], 1.0
	v_fma_f64 v[3:4], v[3:4], v[33:34], v[3:4]
	v_div_scale_f64 v[33:34], vcc, v[31:32], v[29:30], v[31:32]
	v_fma_f64 v[35:36], -v[1:2], v[3:4], 1.0
	v_fma_f64 v[3:4], v[3:4], v[35:36], v[3:4]
	v_mul_f64 v[35:36], v[33:34], v[3:4]
	v_fma_f64 v[1:2], -v[1:2], v[35:36], v[33:34]
	v_div_fmas_f64 v[1:2], v[1:2], v[3:4], v[35:36]
	v_div_fixup_f64 v[1:2], v[1:2], v[29:30], v[31:32]
	v_fma_f64 v[3:4], v[31:32], v[1:2], v[29:30]
	v_div_scale_f64 v[29:30], s[10:11], v[3:4], v[3:4], 1.0
	v_rcp_f64_e32 v[31:32], v[29:30]
	v_fma_f64 v[33:34], -v[29:30], v[31:32], 1.0
	v_fma_f64 v[31:32], v[31:32], v[33:34], v[31:32]
	v_div_scale_f64 v[33:34], vcc, 1.0, v[3:4], 1.0
	v_fma_f64 v[35:36], -v[29:30], v[31:32], 1.0
	v_fma_f64 v[31:32], v[31:32], v[35:36], v[31:32]
	v_mul_f64 v[35:36], v[33:34], v[31:32]
	v_fma_f64 v[29:30], -v[29:30], v[35:36], v[33:34]
	v_mov_b32_e32 v34, s13
	v_mov_b32_e32 v33, s12
	v_div_fmas_f64 v[29:30], v[29:30], v[31:32], v[35:36]
	v_mov_b32_e32 v32, s15
	v_mov_b32_e32 v31, s14
	v_fma_f64 v[31:32], s[12:13], v[1:2], v[31:32]
	v_div_fixup_f64 v[3:4], v[29:30], v[3:4], 1.0
	v_fma_f64 v[29:30], s[14:15], v[1:2], -v[33:34]
	v_mul_f64 v[1:2], v[31:32], v[3:4]
	v_mul_f64 v[3:4], v[29:30], v[3:4]
	s_or_b64 exec, exec, s[8:9]
	s_and_saveexec_b64 s[8:9], s[0:1]
	s_xor_b64 s[0:1], exec, s[8:9]
	s_cbranch_execnz .LBB247_432
.LBB247_437:                            ;   in Loop: Header=BB247_217 Depth=1
	s_or_b64 exec, exec, s[0:1]
	s_and_saveexec_b64 s[0:1], s[2:3]
	s_cbranch_execz .LBB247_433
.LBB247_438:                            ;   in Loop: Header=BB247_217 Depth=1
	v_lshlrev_b64 v[5:6], 4, v[23:24]
	v_mov_b32_e32 v7, s85
	v_add_co_u32_e32 v5, vcc, s84, v5
	v_addc_co_u32_e32 v6, vcc, v7, v6, vcc
	global_store_dwordx4 v[5:6], v[13:16], off
	s_or_b64 exec, exec, s[0:1]
	s_and_saveexec_b64 s[0:1], s[4:5]
	s_cbranch_execnz .LBB247_434
.LBB247_439:                            ;   in Loop: Header=BB247_217 Depth=1
	s_or_b64 exec, exec, s[0:1]
	s_and_saveexec_b64 s[0:1], s[6:7]
	s_cbranch_execz .LBB247_216
.LBB247_440:                            ;   in Loop: Header=BB247_217 Depth=1
	v_lshlrev_b64 v[5:6], 4, v[27:28]
	v_mov_b32_e32 v7, s85
	v_add_co_u32_e32 v5, vcc, s84, v5
	v_addc_co_u32_e32 v6, vcc, v7, v6, vcc
	global_store_dwordx4 v[5:6], v[1:4], off
	s_branch .LBB247_216
.LBB247_441:
	s_endpgm
	.section	.rodata,"a",@progbits
	.p2align	6, 0x0
	.amdhsa_kernel _ZN2at6native12_GLOBAL__N_125multi_tensor_apply_kernelINS1_18TensorListMetadataILi2EEENS1_14UnaryOpFunctorIN3c107complexIdEELi2ELi1ELi1EEEJNS0_7SigmoidIS8_EEEEEvT_T0_DpT1_
		.amdhsa_group_segment_fixed_size 0
		.amdhsa_private_segment_fixed_size 0
		.amdhsa_kernarg_size 3424
		.amdhsa_user_sgpr_count 6
		.amdhsa_user_sgpr_private_segment_buffer 1
		.amdhsa_user_sgpr_dispatch_ptr 0
		.amdhsa_user_sgpr_queue_ptr 0
		.amdhsa_user_sgpr_kernarg_segment_ptr 1
		.amdhsa_user_sgpr_dispatch_id 0
		.amdhsa_user_sgpr_flat_scratch_init 0
		.amdhsa_user_sgpr_private_segment_size 0
		.amdhsa_uses_dynamic_stack 0
		.amdhsa_system_sgpr_private_segment_wavefront_offset 0
		.amdhsa_system_sgpr_workgroup_id_x 1
		.amdhsa_system_sgpr_workgroup_id_y 0
		.amdhsa_system_sgpr_workgroup_id_z 0
		.amdhsa_system_sgpr_workgroup_info 0
		.amdhsa_system_vgpr_workitem_id 0
		.amdhsa_next_free_vgpr 66
		.amdhsa_next_free_sgpr 96
		.amdhsa_reserve_vcc 1
		.amdhsa_reserve_flat_scratch 0
		.amdhsa_float_round_mode_32 0
		.amdhsa_float_round_mode_16_64 0
		.amdhsa_float_denorm_mode_32 3
		.amdhsa_float_denorm_mode_16_64 3
		.amdhsa_dx10_clamp 1
		.amdhsa_ieee_mode 1
		.amdhsa_fp16_overflow 0
		.amdhsa_exception_fp_ieee_invalid_op 0
		.amdhsa_exception_fp_denorm_src 0
		.amdhsa_exception_fp_ieee_div_zero 0
		.amdhsa_exception_fp_ieee_overflow 0
		.amdhsa_exception_fp_ieee_underflow 0
		.amdhsa_exception_fp_ieee_inexact 0
		.amdhsa_exception_int_div_zero 0
	.end_amdhsa_kernel
	.section	.text._ZN2at6native12_GLOBAL__N_125multi_tensor_apply_kernelINS1_18TensorListMetadataILi2EEENS1_14UnaryOpFunctorIN3c107complexIdEELi2ELi1ELi1EEEJNS0_7SigmoidIS8_EEEEEvT_T0_DpT1_,"axG",@progbits,_ZN2at6native12_GLOBAL__N_125multi_tensor_apply_kernelINS1_18TensorListMetadataILi2EEENS1_14UnaryOpFunctorIN3c107complexIdEELi2ELi1ELi1EEEJNS0_7SigmoidIS8_EEEEEvT_T0_DpT1_,comdat
.Lfunc_end247:
	.size	_ZN2at6native12_GLOBAL__N_125multi_tensor_apply_kernelINS1_18TensorListMetadataILi2EEENS1_14UnaryOpFunctorIN3c107complexIdEELi2ELi1ELi1EEEJNS0_7SigmoidIS8_EEEEEvT_T0_DpT1_, .Lfunc_end247-_ZN2at6native12_GLOBAL__N_125multi_tensor_apply_kernelINS1_18TensorListMetadataILi2EEENS1_14UnaryOpFunctorIN3c107complexIdEELi2ELi1ELi1EEEJNS0_7SigmoidIS8_EEEEEvT_T0_DpT1_
                                        ; -- End function
	.set _ZN2at6native12_GLOBAL__N_125multi_tensor_apply_kernelINS1_18TensorListMetadataILi2EEENS1_14UnaryOpFunctorIN3c107complexIdEELi2ELi1ELi1EEEJNS0_7SigmoidIS8_EEEEEvT_T0_DpT1_.num_vgpr, 66
	.set _ZN2at6native12_GLOBAL__N_125multi_tensor_apply_kernelINS1_18TensorListMetadataILi2EEENS1_14UnaryOpFunctorIN3c107complexIdEELi2ELi1ELi1EEEJNS0_7SigmoidIS8_EEEEEvT_T0_DpT1_.num_agpr, 0
	.set _ZN2at6native12_GLOBAL__N_125multi_tensor_apply_kernelINS1_18TensorListMetadataILi2EEENS1_14UnaryOpFunctorIN3c107complexIdEELi2ELi1ELi1EEEJNS0_7SigmoidIS8_EEEEEvT_T0_DpT1_.numbered_sgpr, 96
	.set _ZN2at6native12_GLOBAL__N_125multi_tensor_apply_kernelINS1_18TensorListMetadataILi2EEENS1_14UnaryOpFunctorIN3c107complexIdEELi2ELi1ELi1EEEJNS0_7SigmoidIS8_EEEEEvT_T0_DpT1_.num_named_barrier, 0
	.set _ZN2at6native12_GLOBAL__N_125multi_tensor_apply_kernelINS1_18TensorListMetadataILi2EEENS1_14UnaryOpFunctorIN3c107complexIdEELi2ELi1ELi1EEEJNS0_7SigmoidIS8_EEEEEvT_T0_DpT1_.private_seg_size, 0
	.set _ZN2at6native12_GLOBAL__N_125multi_tensor_apply_kernelINS1_18TensorListMetadataILi2EEENS1_14UnaryOpFunctorIN3c107complexIdEELi2ELi1ELi1EEEJNS0_7SigmoidIS8_EEEEEvT_T0_DpT1_.uses_vcc, 1
	.set _ZN2at6native12_GLOBAL__N_125multi_tensor_apply_kernelINS1_18TensorListMetadataILi2EEENS1_14UnaryOpFunctorIN3c107complexIdEELi2ELi1ELi1EEEJNS0_7SigmoidIS8_EEEEEvT_T0_DpT1_.uses_flat_scratch, 0
	.set _ZN2at6native12_GLOBAL__N_125multi_tensor_apply_kernelINS1_18TensorListMetadataILi2EEENS1_14UnaryOpFunctorIN3c107complexIdEELi2ELi1ELi1EEEJNS0_7SigmoidIS8_EEEEEvT_T0_DpT1_.has_dyn_sized_stack, 0
	.set _ZN2at6native12_GLOBAL__N_125multi_tensor_apply_kernelINS1_18TensorListMetadataILi2EEENS1_14UnaryOpFunctorIN3c107complexIdEELi2ELi1ELi1EEEJNS0_7SigmoidIS8_EEEEEvT_T0_DpT1_.has_recursion, 0
	.set _ZN2at6native12_GLOBAL__N_125multi_tensor_apply_kernelINS1_18TensorListMetadataILi2EEENS1_14UnaryOpFunctorIN3c107complexIdEELi2ELi1ELi1EEEJNS0_7SigmoidIS8_EEEEEvT_T0_DpT1_.has_indirect_call, 0
	.section	.AMDGPU.csdata,"",@progbits
; Kernel info:
; codeLenInByte = 66744
; TotalNumSgprs: 100
; NumVgprs: 66
; ScratchSize: 0
; MemoryBound: 1
; FloatMode: 240
; IeeeMode: 1
; LDSByteSize: 0 bytes/workgroup (compile time only)
; SGPRBlocks: 12
; VGPRBlocks: 16
; NumSGPRsForWavesPerEU: 100
; NumVGPRsForWavesPerEU: 66
; Occupancy: 3
; WaveLimiterHint : 0
; COMPUTE_PGM_RSRC2:SCRATCH_EN: 0
; COMPUTE_PGM_RSRC2:USER_SGPR: 6
; COMPUTE_PGM_RSRC2:TRAP_HANDLER: 0
; COMPUTE_PGM_RSRC2:TGID_X_EN: 1
; COMPUTE_PGM_RSRC2:TGID_Y_EN: 0
; COMPUTE_PGM_RSRC2:TGID_Z_EN: 0
; COMPUTE_PGM_RSRC2:TIDIG_COMP_CNT: 0
	.section	.text._ZN2at6native12_GLOBAL__N_125multi_tensor_apply_kernelINS1_18TensorListMetadataILi2EEENS1_14UnaryOpFunctorIN3c107complexIfEELi2ELi1ELi1EEEJNS0_7SigmoidIS8_EEEEEvT_T0_DpT1_,"axG",@progbits,_ZN2at6native12_GLOBAL__N_125multi_tensor_apply_kernelINS1_18TensorListMetadataILi2EEENS1_14UnaryOpFunctorIN3c107complexIfEELi2ELi1ELi1EEEJNS0_7SigmoidIS8_EEEEEvT_T0_DpT1_,comdat
	.globl	_ZN2at6native12_GLOBAL__N_125multi_tensor_apply_kernelINS1_18TensorListMetadataILi2EEENS1_14UnaryOpFunctorIN3c107complexIfEELi2ELi1ELi1EEEJNS0_7SigmoidIS8_EEEEEvT_T0_DpT1_ ; -- Begin function _ZN2at6native12_GLOBAL__N_125multi_tensor_apply_kernelINS1_18TensorListMetadataILi2EEENS1_14UnaryOpFunctorIN3c107complexIfEELi2ELi1ELi1EEEJNS0_7SigmoidIS8_EEEEEvT_T0_DpT1_
	.p2align	8
	.type	_ZN2at6native12_GLOBAL__N_125multi_tensor_apply_kernelINS1_18TensorListMetadataILi2EEENS1_14UnaryOpFunctorIN3c107complexIfEELi2ELi1ELi1EEEJNS0_7SigmoidIS8_EEEEEvT_T0_DpT1_,@function
_ZN2at6native12_GLOBAL__N_125multi_tensor_apply_kernelINS1_18TensorListMetadataILi2EEENS1_14UnaryOpFunctorIN3c107complexIfEELi2ELi1ELi1EEEJNS0_7SigmoidIS8_EEEEEvT_T0_DpT1_: ; @_ZN2at6native12_GLOBAL__N_125multi_tensor_apply_kernelINS1_18TensorListMetadataILi2EEENS1_14UnaryOpFunctorIN3c107complexIfEELi2ELi1ELi1EEEJNS0_7SigmoidIS8_EEEEEvT_T0_DpT1_
; %bb.0:
	v_mov_b32_e32 v1, s6
	global_load_ubyte v1, v1, s[4:5] offset:1536
	s_add_u32 s0, s4, s6
	s_mul_hi_u32 s1, s6, 3
	s_mul_i32 s6, s6, 3
	s_addc_u32 s2, s5, 0
	s_add_u32 s0, s0, s6
	s_addc_u32 s1, s2, s1
	s_load_dword s0, s[0:1], 0x740
	s_mov_b32 s3, 0
	s_mov_b32 s7, s3
	s_waitcnt lgkmcnt(0)
	s_ashr_i32 s1, s0, 31
	s_lshl_b64 s[18:19], s[0:1], 19
	s_waitcnt vmcnt(0)
	v_readfirstlane_b32 s2, v1
	s_lshl_b32 s2, s2, 3
	s_load_dwordx2 s[8:9], s[4:5], s2 offset:0x0
	s_load_dwordx2 s[14:15], s[4:5], 0xc50
	s_load_dwordx2 s[10:11], s[4:5], s2 offset:0x400
	s_load_dwordx2 s[12:13], s[4:5], s2 offset:0x200
	s_waitcnt lgkmcnt(0)
	s_add_u32 s16, s8, s18
	s_addc_u32 s17, s9, s19
	s_and_b32 s2, s16, 31
	s_add_u32 s18, s12, s18
	s_addc_u32 s19, s13, s19
	s_lshl_b64 s[0:1], s[0:1], 16
	s_and_b32 s6, s18, 31
	s_sub_u32 s8, s10, s0
	s_subb_u32 s9, s11, s1
	s_and_b32 s0, s10, 3
	s_mov_b32 s1, s3
	s_or_b64 s[0:1], s[6:7], s[0:1]
	s_or_b64 s[0:1], s[0:1], s[2:3]
	s_cmp_eq_u64 s[0:1], 0
	s_mov_b64 s[0:1], -1
	s_cbranch_scc0 .LBB248_213
; %bb.1:
	v_mov_b32_e32 v1, 0x10000
	v_mov_b32_e32 v2, 0
	v_cmp_lt_i64_e32 vcc, s[8:9], v[1:2]
	v_mov_b32_e32 v13, 0
	s_and_b64 s[0:1], vcc, exec
	s_cselect_b32 s11, s9, 0
	s_cselect_b32 s10, s8, 0x10000
	v_lshlrev_b32_e32 v12, 2, v0
	v_cmp_gt_i64_e32 vcc, s[10:11], v[12:13]
	s_and_saveexec_b64 s[12:13], vcc
	s_cbranch_execz .LBB248_212
; %bb.2:
	s_load_dword s0, s[4:5], 0xc64
	v_mov_b32_e32 v1, v13
	v_mov_b32_e32 v15, v1
	v_lshlrev_b32_e32 v16, 5, v0
	s_mov_b64 s[20:21], 0
	s_waitcnt lgkmcnt(0)
	s_and_b32 s40, s0, 0xffff
	s_brev_b32 s33, 1
	s_lshl_b32 s41, s40, 5
	s_mov_b32 s42, 0x7f800000
	s_mov_b32 s43, 0x8e8e5c
	s_brev_b32 s44, 18
	s_mov_b32 s45, 0xfe5163ab
	s_mov_b32 s46, 0x3c439041
	;; [unrolled: 1-line block ×13, first 2 shown]
	v_mov_b32_e32 v17, 0xbe2aaa9d
	v_mov_b32_e32 v18, 0x3d2aabf7
	;; [unrolled: 1-line block ×3, first 2 shown]
	s_movk_i32 s58, 0x1f8
	s_mov_b32 s59, 0x3fb8aa3b
	s_mov_b32 s60, 0xc2ce8ed0
	;; [unrolled: 1-line block ×3, first 2 shown]
	v_not_b32_e32 v20, 63
	v_not_b32_e32 v21, 31
	v_mov_b32_e32 v22, 0x7f800000
	v_mov_b32_e32 v23, 0x7fc00000
	s_mov_b64 s[22:23], s[16:17]
	s_mov_b64 s[24:25], s[18:19]
	v_mov_b32_e32 v14, v0
	s_branch .LBB248_4
.LBB248_3:                              ;   in Loop: Header=BB248_4 Depth=1
	s_or_b64 exec, exec, s[0:1]
	v_mov_b32_e32 v2, s25
	v_add_co_u32_e32 v1, vcc, s24, v16
	v_addc_co_u32_e32 v2, vcc, 0, v2, vcc
	v_add_co_u32_e32 v14, vcc, s40, v14
	v_addc_co_u32_e32 v15, vcc, 0, v15, vcc
	v_lshlrev_b64 v[3:4], 2, v[14:15]
	s_add_u32 s24, s24, s41
	s_addc_u32 s25, s25, 0
	s_add_u32 s22, s22, s41
	v_cmp_le_i64_e32 vcc, s[10:11], v[3:4]
	s_addc_u32 s23, s23, 0
	s_or_b64 s[20:21], vcc, s[20:21]
	global_store_dwordx4 v[1:2], v[5:8], off
	global_store_dwordx4 v[1:2], v[9:12], off offset:16
	s_andn2_b64 exec, exec, s[20:21]
	s_cbranch_execz .LBB248_212
.LBB248_4:                              ; =>This Inner Loop Header: Depth=1
	v_mov_b32_e32 v1, s23
	v_add_co_u32_e32 v5, vcc, s22, v16
	v_addc_co_u32_e32 v6, vcc, 0, v1, vcc
	global_load_dwordx4 v[7:10], v[5:6], off
	global_load_dwordx4 v[1:4], v[5:6], off offset:16
                                        ; implicit-def: $vgpr11
	s_waitcnt vmcnt(1)
	v_and_b32_e32 v6, 0x7fffffff, v8
	v_xor_b32_e32 v5, 0x80000000, v8
	v_cmp_ne_u32_e32 vcc, 0, v6
	s_and_saveexec_b64 s[0:1], vcc
	s_xor_b64 s[26:27], exec, s[0:1]
	s_cbranch_execz .LBB248_46
; %bb.5:                                ;   in Loop: Header=BB248_4 Depth=1
	v_and_b32_e32 v24, 0x7fffffff, v7
	v_cmp_ne_u32_e32 vcc, 0, v24
                                        ; implicit-def: $vgpr11
	s_and_saveexec_b64 s[0:1], vcc
	s_xor_b64 s[28:29], exec, s[0:1]
	s_cbranch_execz .LBB248_35
; %bb.6:                                ;   in Loop: Header=BB248_4 Depth=1
	v_xor_b32_e32 v12, 0x80000000, v7
	v_cmp_gt_u32_e32 vcc, s42, v6
                                        ; implicit-def: $vgpr11
	s_and_saveexec_b64 s[0:1], vcc
	s_xor_b64 s[30:31], exec, s[0:1]
	s_cbranch_execz .LBB248_28
; %bb.7:                                ;   in Loop: Header=BB248_4 Depth=1
	v_add_u32_e32 v11, 0xbd4e8de8, v12
	v_cmp_lt_u32_e32 vcc, s43, v11
                                        ; implicit-def: $vgpr11
	s_and_saveexec_b64 s[0:1], vcc
	s_xor_b64 s[34:35], exec, s[0:1]
	s_cbranch_execz .LBB248_17
; %bb.8:                                ;   in Loop: Header=BB248_4 Depth=1
	v_cmp_nlt_f32_e64 s[36:37], |v8|, s44
                                        ; implicit-def: $vgpr11
                                        ; implicit-def: $vgpr24
	s_and_saveexec_b64 s[0:1], s[36:37]
	s_xor_b64 s[38:39], exec, s[0:1]
	s_cbranch_execz .LBB248_10
; %bb.9:                                ;   in Loop: Header=BB248_4 Depth=1
	v_and_b32_e32 v11, 0x7fffff, v6
	v_or_b32_e32 v30, 0x800000, v11
	v_mad_u64_u32 v[11:12], s[0:1], v30, s45, 0
	v_mad_u64_u32 v[24:25], s[0:1], v30, s46, v[12:13]
	v_mov_b32_e32 v12, v25
	v_mad_u64_u32 v[25:26], s[0:1], v30, s47, v[12:13]
	v_mov_b32_e32 v12, v26
	v_mad_u64_u32 v[26:27], s[0:1], v30, s48, v[12:13]
	v_lshrrev_b32_e32 v12, 23, v6
	v_add_u32_e32 v29, 0xffffff88, v12
	v_mov_b32_e32 v12, v27
	v_mad_u64_u32 v[27:28], s[0:1], v30, s49, v[12:13]
	v_cmp_lt_u32_e32 vcc, 63, v29
	v_cndmask_b32_e32 v12, 0, v20, vcc
	v_add_u32_e32 v31, v12, v29
	v_mov_b32_e32 v12, v28
	v_mad_u64_u32 v[28:29], s[0:1], v30, s50, v[12:13]
	v_cmp_lt_u32_e64 s[0:1], 31, v31
	v_cndmask_b32_e64 v12, 0, v21, s[0:1]
	v_add_u32_e32 v31, v12, v31
	v_mov_b32_e32 v12, v29
	v_mad_u64_u32 v[29:30], s[2:3], v30, s51, v[12:13]
	v_cmp_lt_u32_e64 s[2:3], 31, v31
	v_cndmask_b32_e64 v12, 0, v21, s[2:3]
	v_add_u32_e32 v12, v12, v31
	v_cndmask_b32_e32 v31, v28, v26, vcc
	v_cndmask_b32_e32 v29, v29, v27, vcc
	;; [unrolled: 1-line block ×4, first 2 shown]
	v_cndmask_b32_e64 v30, v29, v31, s[0:1]
	v_cndmask_b32_e64 v28, v28, v29, s[0:1]
	;; [unrolled: 1-line block ×3, first 2 shown]
	v_cndmask_b32_e32 v24, v26, v24, vcc
	v_cndmask_b32_e64 v28, v28, v30, s[2:3]
	v_cndmask_b32_e64 v30, v30, v29, s[2:3]
	v_sub_u32_e32 v31, 32, v12
	v_cndmask_b32_e64 v26, v27, v24, s[0:1]
	v_alignbit_b32 v32, v28, v30, v31
	v_cmp_eq_u32_e64 s[6:7], 0, v12
	v_cndmask_b32_e64 v27, v29, v26, s[2:3]
	v_cndmask_b32_e64 v12, v32, v28, s[6:7]
	v_alignbit_b32 v28, v30, v27, v31
	v_cndmask_b32_e32 v11, v25, v11, vcc
	v_cndmask_b32_e64 v28, v28, v30, s[6:7]
	v_bfe_u32 v32, v12, 29, 1
	v_cndmask_b32_e64 v11, v24, v11, s[0:1]
	v_alignbit_b32 v29, v12, v28, 30
	v_sub_u32_e32 v33, 0, v32
	v_cndmask_b32_e64 v11, v26, v11, s[2:3]
	v_xor_b32_e32 v29, v29, v33
	v_alignbit_b32 v24, v27, v11, v31
	v_cndmask_b32_e64 v24, v24, v27, s[6:7]
	v_ffbh_u32_e32 v26, v29
	v_alignbit_b32 v25, v28, v24, 30
	v_min_u32_e32 v26, 32, v26
	v_alignbit_b32 v11, v24, v11, 30
	v_xor_b32_e32 v25, v25, v33
	v_sub_u32_e32 v27, 31, v26
	v_xor_b32_e32 v11, v11, v33
	v_alignbit_b32 v28, v29, v25, v27
	v_alignbit_b32 v11, v25, v11, v27
	v_alignbit_b32 v24, v28, v11, 9
	v_ffbh_u32_e32 v25, v24
	v_min_u32_e32 v25, 32, v25
	v_lshrrev_b32_e32 v30, 29, v12
	v_not_b32_e32 v27, v25
	v_alignbit_b32 v11, v24, v11, v27
	v_lshlrev_b32_e32 v24, 31, v30
	v_or_b32_e32 v27, 0x33000000, v24
	v_add_lshl_u32 v25, v25, v26, 23
	v_lshrrev_b32_e32 v11, 9, v11
	v_sub_u32_e32 v25, v27, v25
	v_or_b32_e32 v24, 0.5, v24
	v_lshlrev_b32_e32 v26, 23, v26
	v_or_b32_e32 v11, v25, v11
	v_lshrrev_b32_e32 v25, 9, v28
	v_sub_u32_e32 v24, v24, v26
	v_or_b32_e32 v24, v25, v24
	v_mul_f32_e32 v25, 0x3fc90fda, v24
	v_fma_f32 v26, v24, s52, -v25
	v_fmac_f32_e32 v26, 0x33a22168, v24
	v_fmac_f32_e32 v26, 0x3fc90fda, v11
	v_lshrrev_b32_e32 v11, 30, v12
	v_add_f32_e32 v24, v25, v26
	v_add_u32_e32 v11, v32, v11
	s_andn2_saveexec_b64 s[0:1], s[38:39]
	s_branch .LBB248_11
.LBB248_10:                             ;   in Loop: Header=BB248_4 Depth=1
	s_andn2_saveexec_b64 s[0:1], s[38:39]
.LBB248_11:                             ;   in Loop: Header=BB248_4 Depth=1
	v_mul_f32_e64 v11, |v8|, s53
	v_rndne_f32_e32 v12, v11
	v_cvt_i32_f32_e32 v11, v12
	v_fma_f32 v24, v12, s54, |v8|
	v_fmac_f32_e32 v24, 0xb3a22168, v12
	v_fmac_f32_e32 v24, 0xa7c234c4, v12
; %bb.12:                               ;   in Loop: Header=BB248_4 Depth=1
	s_or_b64 exec, exec, s[0:1]
                                        ; implicit-def: $vgpr12
                                        ; implicit-def: $vgpr25
	s_and_saveexec_b64 s[0:1], s[36:37]
	s_xor_b64 s[36:37], exec, s[0:1]
	s_cbranch_execz .LBB248_14
; %bb.13:                               ;   in Loop: Header=BB248_4 Depth=1
	v_and_b32_e32 v12, 0x7fffff, v6
	v_or_b32_e32 v32, 0x800000, v12
	v_mad_u64_u32 v[25:26], s[0:1], v32, s45, 0
	v_mov_b32_e32 v12, v26
	v_mad_u64_u32 v[26:27], s[0:1], v32, s46, v[12:13]
	v_mov_b32_e32 v12, v27
	;; [unrolled: 2-line block ×3, first 2 shown]
	v_mad_u64_u32 v[28:29], s[0:1], v32, s48, v[12:13]
	v_lshrrev_b32_e32 v12, 23, v6
	v_add_u32_e32 v31, 0xffffff88, v12
	v_mov_b32_e32 v12, v29
	v_mad_u64_u32 v[29:30], s[0:1], v32, s49, v[12:13]
	v_cmp_lt_u32_e32 vcc, 63, v31
	v_cndmask_b32_e32 v12, 0, v20, vcc
	v_add_u32_e32 v33, v12, v31
	v_mov_b32_e32 v12, v30
	v_mad_u64_u32 v[30:31], s[0:1], v32, s50, v[12:13]
	v_cmp_lt_u32_e64 s[0:1], 31, v33
	v_cndmask_b32_e64 v12, 0, v21, s[0:1]
	v_add_u32_e32 v33, v12, v33
	v_mov_b32_e32 v12, v31
	v_mad_u64_u32 v[31:32], s[2:3], v32, s51, v[12:13]
	v_cmp_lt_u32_e64 s[2:3], 31, v33
	v_cndmask_b32_e64 v12, 0, v21, s[2:3]
	v_add_u32_e32 v12, v12, v33
	v_cndmask_b32_e32 v33, v30, v28, vcc
	v_cndmask_b32_e32 v31, v31, v29, vcc
	;; [unrolled: 1-line block ×4, first 2 shown]
	v_cndmask_b32_e64 v32, v31, v33, s[0:1]
	v_cndmask_b32_e64 v30, v30, v31, s[0:1]
	;; [unrolled: 1-line block ×3, first 2 shown]
	v_cndmask_b32_e32 v26, v28, v26, vcc
	v_cndmask_b32_e64 v30, v30, v32, s[2:3]
	v_cndmask_b32_e64 v32, v32, v31, s[2:3]
	v_sub_u32_e32 v33, 32, v12
	v_cndmask_b32_e64 v28, v29, v26, s[0:1]
	v_alignbit_b32 v34, v30, v32, v33
	v_cmp_eq_u32_e64 s[6:7], 0, v12
	v_cndmask_b32_e64 v29, v31, v28, s[2:3]
	v_cndmask_b32_e64 v12, v34, v30, s[6:7]
	v_alignbit_b32 v30, v32, v29, v33
	v_cndmask_b32_e32 v25, v27, v25, vcc
	v_cndmask_b32_e64 v30, v30, v32, s[6:7]
	v_bfe_u32 v34, v12, 29, 1
	v_cndmask_b32_e64 v25, v26, v25, s[0:1]
	v_alignbit_b32 v31, v12, v30, 30
	v_sub_u32_e32 v35, 0, v34
	v_cndmask_b32_e64 v25, v28, v25, s[2:3]
	v_xor_b32_e32 v31, v31, v35
	v_alignbit_b32 v26, v29, v25, v33
	v_cndmask_b32_e64 v26, v26, v29, s[6:7]
	v_ffbh_u32_e32 v28, v31
	v_alignbit_b32 v27, v30, v26, 30
	v_min_u32_e32 v28, 32, v28
	v_alignbit_b32 v25, v26, v25, 30
	v_xor_b32_e32 v27, v27, v35
	v_sub_u32_e32 v29, 31, v28
	v_xor_b32_e32 v25, v25, v35
	v_alignbit_b32 v30, v31, v27, v29
	v_alignbit_b32 v25, v27, v25, v29
	;; [unrolled: 1-line block ×3, first 2 shown]
	v_ffbh_u32_e32 v27, v26
	v_min_u32_e32 v27, 32, v27
	v_lshrrev_b32_e32 v32, 29, v12
	v_not_b32_e32 v29, v27
	v_alignbit_b32 v25, v26, v25, v29
	v_lshlrev_b32_e32 v26, 31, v32
	v_or_b32_e32 v29, 0x33000000, v26
	v_add_lshl_u32 v27, v27, v28, 23
	v_lshrrev_b32_e32 v25, 9, v25
	v_sub_u32_e32 v27, v29, v27
	v_or_b32_e32 v26, 0.5, v26
	v_lshlrev_b32_e32 v28, 23, v28
	v_or_b32_e32 v25, v27, v25
	v_lshrrev_b32_e32 v27, 9, v30
	v_sub_u32_e32 v26, v26, v28
	v_or_b32_e32 v26, v27, v26
	v_mul_f32_e32 v27, 0x3fc90fda, v26
	v_fma_f32 v28, v26, s52, -v27
	v_fmac_f32_e32 v28, 0x33a22168, v26
	v_fmac_f32_e32 v28, 0x3fc90fda, v25
	v_lshrrev_b32_e32 v12, 30, v12
	v_add_f32_e32 v25, v27, v28
	v_add_u32_e32 v12, v34, v12
	s_andn2_saveexec_b64 s[0:1], s[36:37]
	s_cbranch_execnz .LBB248_15
	s_branch .LBB248_16
.LBB248_14:                             ;   in Loop: Header=BB248_4 Depth=1
	s_andn2_saveexec_b64 s[0:1], s[36:37]
.LBB248_15:                             ;   in Loop: Header=BB248_4 Depth=1
	v_mul_f32_e64 v12, |v8|, s53
	v_rndne_f32_e32 v26, v12
	v_cvt_i32_f32_e32 v12, v26
	v_fma_f32 v25, v26, s54, |v8|
	v_fmac_f32_e32 v25, 0xb3a22168, v26
	v_fmac_f32_e32 v25, 0xa7c234c4, v26
.LBB248_16:                             ;   in Loop: Header=BB248_4 Depth=1
	s_or_b64 exec, exec, s[0:1]
	v_mul_f32_e32 v26, 0xbfb8aa3b, v7
	v_rndne_f32_e32 v27, v26
	v_sub_f32_e32 v28, v26, v27
	v_fma_f32 v26, v7, s55, -v26
	v_fmac_f32_e32 v26, 0xb2a5705f, v7
	v_add_f32_e32 v26, v28, v26
	v_cvt_i32_f32_e32 v27, v27
	v_exp_f32_e32 v26, v26
	v_mov_b32_e32 v28, 0x3c0881c4
	v_cmp_nlt_f32_e32 vcc, s56, v7
	v_ldexp_f32 v26, v26, v27
	v_mul_f32_e32 v27, v24, v24
	v_fmac_f32_e32 v28, 0xb94c1982, v27
	v_fma_f32 v28, v27, v28, v17
	v_mul_f32_e32 v28, v27, v28
	v_fmac_f32_e32 v24, v24, v28
	v_mov_b32_e32 v28, 0xbab64f3b
	v_fmac_f32_e32 v28, 0x37d75334, v27
	v_fma_f32 v28, v27, v28, v18
	v_fma_f32 v28, v27, v28, v19
	v_cndmask_b32_e32 v26, 0, v26, vcc
	v_cmp_ngt_f32_e32 vcc, s57, v7
	v_fma_f32 v27, v27, v28, 1.0
	v_and_b32_e32 v28, 1, v11
	v_cndmask_b32_e32 v26, v22, v26, vcc
	v_cmp_eq_u32_e32 vcc, 0, v28
	v_lshlrev_b32_e32 v11, 30, v11
	v_cndmask_b32_e64 v24, -v24, v27, vcc
	v_and_b32_e32 v11, 0x80000000, v11
	v_xor_b32_e32 v11, v11, v24
	v_mul_f32_e32 v24, v25, v25
	v_mov_b32_e32 v27, 0x3c0881c4
	v_fmac_f32_e32 v27, 0xb94c1982, v24
	v_fma_f32 v27, v24, v27, v17
	v_mul_f32_e32 v27, v24, v27
	v_fmac_f32_e32 v25, v25, v27
	v_mov_b32_e32 v27, 0xbab64f3b
	v_fmac_f32_e32 v27, 0x37d75334, v24
	v_fma_f32 v27, v24, v27, v18
	v_fma_f32 v27, v24, v27, v19
	v_fma_f32 v24, v24, v27, 1.0
	v_and_b32_e32 v27, 1, v12
	v_cmp_eq_u32_e64 s[0:1], 0, v27
	v_lshlrev_b32_e32 v12, 30, v12
	v_cndmask_b32_e64 v24, v24, v25, s[0:1]
	v_and_or_b32 v6, v12, s33, v6
	v_xor_b32_e32 v6, v6, v24
	v_cmp_class_f32_e64 vcc, v8, s58
	v_xor_b32_e32 v5, v6, v5
	v_cndmask_b32_e32 v11, v23, v11, vcc
	v_cndmask_b32_e32 v5, v23, v5, vcc
	v_mul_f32_e32 v11, v26, v11
	v_mul_f32_e32 v5, v26, v5
                                        ; implicit-def: $vgpr6
.LBB248_17:                             ;   in Loop: Header=BB248_4 Depth=1
	s_andn2_saveexec_b64 s[34:35], s[34:35]
	s_cbranch_execz .LBB248_20
; %bb.18:                               ;   in Loop: Header=BB248_4 Depth=1
	v_cmp_nlt_f32_e64 s[36:37], |v8|, s44
                                        ; implicit-def: $vgpr24
                                        ; implicit-def: $vgpr11
	s_and_saveexec_b64 s[0:1], s[36:37]
	s_xor_b64 s[38:39], exec, s[0:1]
	s_cbranch_execz .LBB248_21
; %bb.19:                               ;   in Loop: Header=BB248_4 Depth=1
	v_and_b32_e32 v11, 0x7fffff, v6
	v_or_b32_e32 v30, 0x800000, v11
	v_mad_u64_u32 v[11:12], s[0:1], v30, s45, 0
	v_mad_u64_u32 v[24:25], s[0:1], v30, s46, v[12:13]
	v_mov_b32_e32 v12, v25
	v_mad_u64_u32 v[25:26], s[0:1], v30, s47, v[12:13]
	v_mov_b32_e32 v12, v26
	v_mad_u64_u32 v[26:27], s[0:1], v30, s48, v[12:13]
	v_lshrrev_b32_e32 v12, 23, v6
	v_add_u32_e32 v29, 0xffffff88, v12
	v_mov_b32_e32 v12, v27
	v_mad_u64_u32 v[27:28], s[0:1], v30, s49, v[12:13]
	v_cmp_lt_u32_e32 vcc, 63, v29
	v_cndmask_b32_e32 v12, 0, v20, vcc
	v_add_u32_e32 v31, v12, v29
	v_mov_b32_e32 v12, v28
	v_mad_u64_u32 v[28:29], s[0:1], v30, s50, v[12:13]
	v_cmp_lt_u32_e64 s[0:1], 31, v31
	v_cndmask_b32_e64 v12, 0, v21, s[0:1]
	v_add_u32_e32 v31, v12, v31
	v_mov_b32_e32 v12, v29
	v_mad_u64_u32 v[29:30], s[2:3], v30, s51, v[12:13]
	v_cmp_lt_u32_e64 s[2:3], 31, v31
	v_cndmask_b32_e64 v12, 0, v21, s[2:3]
	v_add_u32_e32 v12, v12, v31
	v_cndmask_b32_e32 v31, v28, v26, vcc
	v_cndmask_b32_e32 v29, v29, v27, vcc
	;; [unrolled: 1-line block ×4, first 2 shown]
	v_cndmask_b32_e64 v30, v29, v31, s[0:1]
	v_cndmask_b32_e64 v28, v28, v29, s[0:1]
	;; [unrolled: 1-line block ×3, first 2 shown]
	v_cndmask_b32_e32 v24, v26, v24, vcc
	v_cndmask_b32_e64 v28, v28, v30, s[2:3]
	v_cndmask_b32_e64 v30, v30, v29, s[2:3]
	v_sub_u32_e32 v31, 32, v12
	v_cndmask_b32_e64 v26, v27, v24, s[0:1]
	v_alignbit_b32 v32, v28, v30, v31
	v_cmp_eq_u32_e64 s[6:7], 0, v12
	v_cndmask_b32_e64 v27, v29, v26, s[2:3]
	v_cndmask_b32_e64 v12, v32, v28, s[6:7]
	v_alignbit_b32 v28, v30, v27, v31
	v_cndmask_b32_e32 v11, v25, v11, vcc
	v_cndmask_b32_e64 v28, v28, v30, s[6:7]
	v_bfe_u32 v32, v12, 29, 1
	v_cndmask_b32_e64 v11, v24, v11, s[0:1]
	v_alignbit_b32 v29, v12, v28, 30
	v_sub_u32_e32 v33, 0, v32
	v_cndmask_b32_e64 v11, v26, v11, s[2:3]
	v_xor_b32_e32 v29, v29, v33
	v_alignbit_b32 v24, v27, v11, v31
	v_cndmask_b32_e64 v24, v24, v27, s[6:7]
	v_ffbh_u32_e32 v26, v29
	v_alignbit_b32 v25, v28, v24, 30
	v_min_u32_e32 v26, 32, v26
	v_alignbit_b32 v11, v24, v11, 30
	v_xor_b32_e32 v25, v25, v33
	v_sub_u32_e32 v27, 31, v26
	v_xor_b32_e32 v11, v11, v33
	v_alignbit_b32 v28, v29, v25, v27
	v_alignbit_b32 v11, v25, v11, v27
	v_alignbit_b32 v24, v28, v11, 9
	v_ffbh_u32_e32 v25, v24
	v_min_u32_e32 v25, 32, v25
	v_lshrrev_b32_e32 v30, 29, v12
	v_not_b32_e32 v27, v25
	v_alignbit_b32 v11, v24, v11, v27
	v_lshlrev_b32_e32 v24, 31, v30
	v_or_b32_e32 v27, 0x33000000, v24
	v_add_lshl_u32 v25, v25, v26, 23
	v_lshrrev_b32_e32 v11, 9, v11
	v_sub_u32_e32 v25, v27, v25
	v_or_b32_e32 v24, 0.5, v24
	v_lshlrev_b32_e32 v26, 23, v26
	v_or_b32_e32 v11, v25, v11
	v_lshrrev_b32_e32 v25, 9, v28
	v_sub_u32_e32 v24, v24, v26
	v_or_b32_e32 v24, v25, v24
	v_mul_f32_e32 v25, 0x3fc90fda, v24
	v_fma_f32 v26, v24, s52, -v25
	v_fmac_f32_e32 v26, 0x33a22168, v24
	v_fmac_f32_e32 v26, 0x3fc90fda, v11
	v_lshrrev_b32_e32 v12, 30, v12
	v_add_f32_e32 v11, v25, v26
	v_add_u32_e32 v24, v32, v12
	s_andn2_saveexec_b64 s[0:1], s[38:39]
	s_branch .LBB248_22
.LBB248_20:                             ;   in Loop: Header=BB248_4 Depth=1
	s_or_b64 exec, exec, s[34:35]
                                        ; implicit-def: $vgpr12
                                        ; implicit-def: $vgpr24
	s_andn2_saveexec_b64 s[0:1], s[30:31]
	s_cbranch_execnz .LBB248_29
	s_branch .LBB248_34
.LBB248_21:                             ;   in Loop: Header=BB248_4 Depth=1
	s_andn2_saveexec_b64 s[0:1], s[38:39]
.LBB248_22:                             ;   in Loop: Header=BB248_4 Depth=1
	v_mul_f32_e64 v11, |v8|, s53
	v_rndne_f32_e32 v12, v11
	v_cvt_i32_f32_e32 v24, v12
	v_fma_f32 v11, v12, s54, |v8|
	v_fmac_f32_e32 v11, 0xb3a22168, v12
	v_fmac_f32_e32 v11, 0xa7c234c4, v12
; %bb.23:                               ;   in Loop: Header=BB248_4 Depth=1
	s_or_b64 exec, exec, s[0:1]
                                        ; implicit-def: $vgpr12
                                        ; implicit-def: $vgpr25
	s_and_saveexec_b64 s[0:1], s[36:37]
	s_xor_b64 s[36:37], exec, s[0:1]
	s_cbranch_execz .LBB248_25
; %bb.24:                               ;   in Loop: Header=BB248_4 Depth=1
	v_and_b32_e32 v12, 0x7fffff, v6
	v_or_b32_e32 v32, 0x800000, v12
	v_mad_u64_u32 v[25:26], s[0:1], v32, s45, 0
	v_mov_b32_e32 v12, v26
	v_mad_u64_u32 v[26:27], s[0:1], v32, s46, v[12:13]
	v_mov_b32_e32 v12, v27
	;; [unrolled: 2-line block ×3, first 2 shown]
	v_mad_u64_u32 v[28:29], s[0:1], v32, s48, v[12:13]
	v_lshrrev_b32_e32 v12, 23, v6
	v_add_u32_e32 v31, 0xffffff88, v12
	v_mov_b32_e32 v12, v29
	v_mad_u64_u32 v[29:30], s[0:1], v32, s49, v[12:13]
	v_cmp_lt_u32_e32 vcc, 63, v31
	v_cndmask_b32_e32 v12, 0, v20, vcc
	v_add_u32_e32 v33, v12, v31
	v_mov_b32_e32 v12, v30
	v_mad_u64_u32 v[30:31], s[0:1], v32, s50, v[12:13]
	v_cmp_lt_u32_e64 s[0:1], 31, v33
	v_cndmask_b32_e64 v12, 0, v21, s[0:1]
	v_add_u32_e32 v33, v12, v33
	v_mov_b32_e32 v12, v31
	v_mad_u64_u32 v[31:32], s[2:3], v32, s51, v[12:13]
	v_cmp_lt_u32_e64 s[2:3], 31, v33
	v_cndmask_b32_e64 v12, 0, v21, s[2:3]
	v_add_u32_e32 v12, v12, v33
	v_cndmask_b32_e32 v33, v30, v28, vcc
	v_cndmask_b32_e32 v31, v31, v29, vcc
	;; [unrolled: 1-line block ×4, first 2 shown]
	v_cndmask_b32_e64 v32, v31, v33, s[0:1]
	v_cndmask_b32_e64 v30, v30, v31, s[0:1]
	;; [unrolled: 1-line block ×3, first 2 shown]
	v_cndmask_b32_e32 v26, v28, v26, vcc
	v_cndmask_b32_e64 v30, v30, v32, s[2:3]
	v_cndmask_b32_e64 v32, v32, v31, s[2:3]
	v_sub_u32_e32 v33, 32, v12
	v_cndmask_b32_e64 v28, v29, v26, s[0:1]
	v_alignbit_b32 v34, v30, v32, v33
	v_cmp_eq_u32_e64 s[6:7], 0, v12
	v_cndmask_b32_e64 v29, v31, v28, s[2:3]
	v_cndmask_b32_e64 v12, v34, v30, s[6:7]
	v_alignbit_b32 v30, v32, v29, v33
	v_cndmask_b32_e32 v25, v27, v25, vcc
	v_cndmask_b32_e64 v30, v30, v32, s[6:7]
	v_bfe_u32 v34, v12, 29, 1
	v_cndmask_b32_e64 v25, v26, v25, s[0:1]
	v_alignbit_b32 v31, v12, v30, 30
	v_sub_u32_e32 v35, 0, v34
	v_cndmask_b32_e64 v25, v28, v25, s[2:3]
	v_xor_b32_e32 v31, v31, v35
	v_alignbit_b32 v26, v29, v25, v33
	v_cndmask_b32_e64 v26, v26, v29, s[6:7]
	v_ffbh_u32_e32 v28, v31
	v_alignbit_b32 v27, v30, v26, 30
	v_min_u32_e32 v28, 32, v28
	v_alignbit_b32 v25, v26, v25, 30
	v_xor_b32_e32 v27, v27, v35
	v_sub_u32_e32 v29, 31, v28
	v_xor_b32_e32 v25, v25, v35
	v_alignbit_b32 v30, v31, v27, v29
	v_alignbit_b32 v25, v27, v25, v29
	;; [unrolled: 1-line block ×3, first 2 shown]
	v_ffbh_u32_e32 v27, v26
	v_min_u32_e32 v27, 32, v27
	v_lshrrev_b32_e32 v32, 29, v12
	v_not_b32_e32 v29, v27
	v_alignbit_b32 v25, v26, v25, v29
	v_lshlrev_b32_e32 v26, 31, v32
	v_or_b32_e32 v29, 0x33000000, v26
	v_add_lshl_u32 v27, v27, v28, 23
	v_lshrrev_b32_e32 v25, 9, v25
	v_sub_u32_e32 v27, v29, v27
	v_or_b32_e32 v26, 0.5, v26
	v_lshlrev_b32_e32 v28, 23, v28
	v_or_b32_e32 v25, v27, v25
	v_lshrrev_b32_e32 v27, 9, v30
	v_sub_u32_e32 v26, v26, v28
	v_or_b32_e32 v26, v27, v26
	v_mul_f32_e32 v27, 0x3fc90fda, v26
	v_fma_f32 v28, v26, s52, -v27
	v_fmac_f32_e32 v28, 0x33a22168, v26
	v_fmac_f32_e32 v28, 0x3fc90fda, v25
	v_lshrrev_b32_e32 v12, 30, v12
	v_add_f32_e32 v25, v27, v28
	v_add_u32_e32 v12, v34, v12
	s_andn2_saveexec_b64 s[0:1], s[36:37]
	s_cbranch_execnz .LBB248_26
	s_branch .LBB248_27
.LBB248_25:                             ;   in Loop: Header=BB248_4 Depth=1
	s_andn2_saveexec_b64 s[0:1], s[36:37]
.LBB248_26:                             ;   in Loop: Header=BB248_4 Depth=1
	v_mul_f32_e64 v12, |v8|, s53
	v_rndne_f32_e32 v26, v12
	v_cvt_i32_f32_e32 v12, v26
	v_fma_f32 v25, v26, s54, |v8|
	v_fmac_f32_e32 v25, 0xb3a22168, v26
	v_fmac_f32_e32 v25, 0xa7c234c4, v26
.LBB248_27:                             ;   in Loop: Header=BB248_4 Depth=1
	s_or_b64 exec, exec, s[0:1]
	v_mul_f32_e32 v27, v11, v11
	v_mov_b32_e32 v28, 0xbab64f3b
	v_fmac_f32_e32 v28, 0x37d75334, v27
	v_mov_b32_e32 v29, 0x3c0881c4
	v_fma_f32 v28, v27, v28, v18
	v_fmac_f32_e32 v29, 0xb94c1982, v27
	v_lshlrev_b32_e32 v26, 30, v24
	v_and_b32_e32 v24, 1, v24
	v_fma_f32 v28, v27, v28, v19
	v_fma_f32 v29, v27, v29, v17
	v_fma_f32 v28, v27, v28, 1.0
	v_mul_f32_e32 v27, v27, v29
	v_cmp_eq_u32_e32 vcc, 0, v24
	v_sub_f32_e32 v24, 0xc322e3bc, v7
	v_fmac_f32_e32 v11, v11, v27
	v_mul_f32_e32 v27, 0x3fb8aa3b, v24
	v_cndmask_b32_e64 v11, -v11, v28, vcc
	v_fma_f32 v28, v24, s59, -v27
	v_rndne_f32_e32 v29, v27
	v_fmac_f32_e32 v28, 0x32a5705f, v24
	v_sub_f32_e32 v27, v27, v29
	v_add_f32_e32 v27, v27, v28
	v_exp_f32_e32 v27, v27
	v_cvt_i32_f32_e32 v28, v29
	v_and_b32_e32 v26, 0x80000000, v26
	v_xor_b32_e32 v11, v26, v11
	v_cmp_ngt_f32_e64 s[0:1], s60, v24
	v_ldexp_f32 v26, v27, v28
	v_cndmask_b32_e64 v26, 0, v26, s[0:1]
	v_cmp_nlt_f32_e64 s[0:1], s61, v24
	v_cndmask_b32_e64 v24, v22, v26, s[0:1]
	v_and_b32_e32 v26, 0x7fffff, v24
	v_lshrrev_b32_e32 v24, 23, v24
	v_subrev_u32_e32 v24, 19, v24
	v_lshrrev_b16_e32 v27, 15, v24
	v_add_u16_e32 v27, v24, v27
	v_ashrrev_i16_e32 v27, 1, v27
	v_bfe_i32 v27, v27, 0, 16
	v_lshl_add_u32 v28, v27, 23, 1.0
	v_sub_u32_e32 v24, v24, v27
	v_mul_f32_e32 v27, v25, v25
	v_mov_b32_e32 v29, 0x3c0881c4
	v_fmac_f32_e32 v29, 0xb94c1982, v27
	v_fma_f32 v29, v27, v29, v17
	v_mul_f32_e32 v29, v27, v29
	v_fmac_f32_e32 v25, v25, v29
	v_mov_b32_e32 v29, 0xbab64f3b
	v_fmac_f32_e32 v29, 0x37d75334, v27
	v_fma_f32 v29, v27, v29, v18
	v_fma_f32 v29, v27, v29, v19
	v_fma_f32 v27, v27, v29, 1.0
	v_and_b32_e32 v29, 1, v12
	v_cmp_eq_u32_e64 s[0:1], 0, v29
	v_lshlrev_b32_e32 v12, 30, v12
	v_cndmask_b32_e64 v25, v27, v25, s[0:1]
	v_and_or_b32 v6, v12, s33, v6
	v_xor_b32_e32 v6, v6, v25
	v_cmp_class_f32_e64 vcc, v8, s58
	v_xor_b32_e32 v5, v6, v5
	v_cndmask_b32_e32 v11, v23, v11, vcc
	v_or_b32_e32 v26, 0x7f000000, v26
	v_cndmask_b32_e32 v5, v23, v5, vcc
	v_mul_f32_e32 v11, v11, v26
	v_mul_f32_e32 v5, v5, v26
	;; [unrolled: 1-line block ×3, first 2 shown]
	v_lshl_add_u32 v24, v24, 23, 1.0
	v_mul_f32_e32 v5, v5, v28
	v_mul_f32_e32 v11, v11, v24
	;; [unrolled: 1-line block ×3, first 2 shown]
	s_or_b64 exec, exec, s[34:35]
                                        ; implicit-def: $vgpr12
                                        ; implicit-def: $vgpr24
.LBB248_28:                             ;   in Loop: Header=BB248_4 Depth=1
	s_andn2_saveexec_b64 s[0:1], s[30:31]
	s_cbranch_execz .LBB248_34
.LBB248_29:                             ;   in Loop: Header=BB248_4 Depth=1
	v_cmp_ne_u32_e32 vcc, s42, v24
	v_sub_f32_e32 v5, v8, v8
	s_and_saveexec_b64 s[2:3], vcc
	s_xor_b64 s[2:3], exec, s[2:3]
; %bb.30:                               ;   in Loop: Header=BB248_4 Depth=1
                                        ; implicit-def: $vgpr12
; %bb.31:                               ;   in Loop: Header=BB248_4 Depth=1
	s_or_saveexec_b64 s[2:3], s[2:3]
	v_mov_b32_e32 v11, v5
	s_xor_b64 exec, exec, s[2:3]
; %bb.32:                               ;   in Loop: Header=BB248_4 Depth=1
	v_cmp_lt_i32_e32 vcc, -1, v12
	v_cndmask_b32_e64 v11, 0, -v7, vcc
	v_cndmask_b32_e32 v5, 0, v5, vcc
; %bb.33:                               ;   in Loop: Header=BB248_4 Depth=1
	s_or_b64 exec, exec, s[2:3]
.LBB248_34:                             ;   in Loop: Header=BB248_4 Depth=1
	s_or_b64 exec, exec, s[0:1]
                                        ; implicit-def: $vgpr6
.LBB248_35:                             ;   in Loop: Header=BB248_4 Depth=1
	s_andn2_saveexec_b64 s[28:29], s[28:29]
	s_cbranch_execz .LBB248_45
; %bb.36:                               ;   in Loop: Header=BB248_4 Depth=1
	v_lshrrev_b32_e32 v11, 23, v6
	v_and_b32_e32 v12, 0x7fffff, v6
	v_cmp_nlt_f32_e64 s[30:31], |v8|, s44
	v_add_u32_e32 v26, 0xffffff88, v11
	v_or_b32_e32 v25, 0x800000, v12
                                        ; implicit-def: $vgpr11
                                        ; implicit-def: $vgpr24
	s_and_saveexec_b64 s[0:1], s[30:31]
	s_xor_b64 s[34:35], exec, s[0:1]
	s_cbranch_execz .LBB248_38
; %bb.37:                               ;   in Loop: Header=BB248_4 Depth=1
	v_mad_u64_u32 v[11:12], s[0:1], v25, s45, 0
	v_cmp_lt_u32_e32 vcc, 63, v26
	v_mad_u64_u32 v[27:28], s[0:1], v25, s46, v[12:13]
	v_mov_b32_e32 v12, v28
	v_mad_u64_u32 v[28:29], s[0:1], v25, s47, v[12:13]
	v_mov_b32_e32 v12, v29
	v_mad_u64_u32 v[29:30], s[0:1], v25, s48, v[12:13]
	v_cndmask_b32_e32 v12, 0, v20, vcc
	v_add_u32_e32 v24, v12, v26
	v_mov_b32_e32 v12, v30
	v_mad_u64_u32 v[30:31], s[0:1], v25, s49, v[12:13]
	v_cmp_lt_u32_e64 s[0:1], 31, v24
	v_cndmask_b32_e64 v12, 0, v21, s[0:1]
	v_add_u32_e32 v24, v12, v24
	v_mov_b32_e32 v12, v31
	v_mad_u64_u32 v[31:32], s[2:3], v25, s50, v[12:13]
	v_cmp_lt_u32_e64 s[2:3], 31, v24
	v_cndmask_b32_e64 v12, 0, v21, s[2:3]
	v_add_u32_e32 v24, v12, v24
	v_mov_b32_e32 v12, v32
	v_mad_u64_u32 v[32:33], s[6:7], v25, s51, v[12:13]
	v_cndmask_b32_e32 v12, v30, v28, vcc
	v_cndmask_b32_e32 v34, v31, v29, vcc
	;; [unrolled: 1-line block ×4, first 2 shown]
	v_cndmask_b32_e64 v35, v34, v12, s[0:1]
	v_cndmask_b32_e64 v32, v30, v34, s[0:1]
	;; [unrolled: 1-line block ×5, first 2 shown]
	v_sub_u32_e32 v32, 32, v24
	v_cmp_eq_u32_e64 s[6:7], 0, v24
	v_cndmask_b32_e32 v24, v29, v27, vcc
	v_cndmask_b32_e64 v12, v12, v24, s[0:1]
	v_alignbit_b32 v33, v30, v31, v32
	v_cndmask_b32_e64 v27, v35, v12, s[2:3]
	v_cndmask_b32_e64 v30, v33, v30, s[6:7]
	v_alignbit_b32 v29, v31, v27, v32
	v_cndmask_b32_e32 v11, v28, v11, vcc
	v_cndmask_b32_e64 v29, v29, v31, s[6:7]
	v_bfe_u32 v34, v30, 29, 1
	v_cndmask_b32_e64 v11, v24, v11, s[0:1]
	v_alignbit_b32 v31, v30, v29, 30
	v_sub_u32_e32 v35, 0, v34
	v_cndmask_b32_e64 v11, v12, v11, s[2:3]
	v_xor_b32_e32 v31, v31, v35
	v_alignbit_b32 v12, v27, v11, v32
	v_cndmask_b32_e64 v12, v12, v27, s[6:7]
	v_ffbh_u32_e32 v27, v31
	v_alignbit_b32 v24, v29, v12, 30
	v_min_u32_e32 v27, 32, v27
	v_alignbit_b32 v11, v12, v11, 30
	v_xor_b32_e32 v24, v24, v35
	v_sub_u32_e32 v28, 31, v27
	v_xor_b32_e32 v11, v11, v35
	v_alignbit_b32 v29, v31, v24, v28
	v_alignbit_b32 v11, v24, v11, v28
	;; [unrolled: 1-line block ×3, first 2 shown]
	v_ffbh_u32_e32 v24, v12
	v_min_u32_e32 v24, 32, v24
	v_lshrrev_b32_e32 v33, 29, v30
	v_not_b32_e32 v28, v24
	v_alignbit_b32 v11, v12, v11, v28
	v_lshlrev_b32_e32 v12, 31, v33
	v_or_b32_e32 v28, 0x33000000, v12
	v_add_lshl_u32 v24, v24, v27, 23
	v_lshrrev_b32_e32 v11, 9, v11
	v_sub_u32_e32 v24, v28, v24
	v_or_b32_e32 v12, 0.5, v12
	v_lshlrev_b32_e32 v27, 23, v27
	v_or_b32_e32 v11, v24, v11
	v_lshrrev_b32_e32 v24, 9, v29
	v_sub_u32_e32 v12, v12, v27
	v_or_b32_e32 v12, v24, v12
	v_mul_f32_e32 v24, 0x3fc90fda, v12
	v_fma_f32 v27, v12, s52, -v24
	v_fmac_f32_e32 v27, 0x33a22168, v12
	v_fmac_f32_e32 v27, 0x3fc90fda, v11
	v_lshrrev_b32_e32 v11, 30, v30
	v_add_f32_e32 v24, v24, v27
	v_add_u32_e32 v11, v34, v11
.LBB248_38:                             ;   in Loop: Header=BB248_4 Depth=1
	s_or_saveexec_b64 s[0:1], s[34:35]
	v_mul_f32_e64 v12, |v8|, s53
	v_rndne_f32_e32 v28, v12
	s_xor_b64 exec, exec, s[0:1]
; %bb.39:                               ;   in Loop: Header=BB248_4 Depth=1
	v_cvt_i32_f32_e32 v11, v28
	v_fma_f32 v24, v28, s54, |v8|
	v_fmac_f32_e32 v24, 0xb3a22168, v28
	v_fmac_f32_e32 v24, 0xa7c234c4, v28
; %bb.40:                               ;   in Loop: Header=BB248_4 Depth=1
	s_or_b64 exec, exec, s[0:1]
                                        ; implicit-def: $vgpr12
                                        ; implicit-def: $vgpr27
	s_and_saveexec_b64 s[0:1], s[30:31]
	s_xor_b64 s[30:31], exec, s[0:1]
	s_cbranch_execz .LBB248_42
; %bb.41:                               ;   in Loop: Header=BB248_4 Depth=1
	v_mad_u64_u32 v[27:28], s[0:1], v25, s45, 0
	v_cmp_lt_u32_e32 vcc, 63, v26
	v_mov_b32_e32 v12, v28
	v_mad_u64_u32 v[28:29], s[0:1], v25, s46, v[12:13]
	v_mov_b32_e32 v12, v29
	v_mad_u64_u32 v[29:30], s[0:1], v25, s47, v[12:13]
	;; [unrolled: 2-line block ×3, first 2 shown]
	v_cndmask_b32_e32 v12, 0, v20, vcc
	v_add_u32_e32 v26, v12, v26
	v_mov_b32_e32 v12, v31
	v_mad_u64_u32 v[31:32], s[0:1], v25, s49, v[12:13]
	v_cmp_lt_u32_e64 s[0:1], 31, v26
	v_cndmask_b32_e64 v12, 0, v21, s[0:1]
	v_add_u32_e32 v26, v12, v26
	v_mov_b32_e32 v12, v32
	v_mad_u64_u32 v[32:33], s[2:3], v25, s50, v[12:13]
	v_cmp_lt_u32_e64 s[2:3], 31, v26
	v_cndmask_b32_e64 v12, 0, v21, s[2:3]
	v_add_u32_e32 v34, v12, v26
	v_mov_b32_e32 v12, v33
	v_mad_u64_u32 v[25:26], s[6:7], v25, s51, v[12:13]
	v_cndmask_b32_e32 v12, v31, v29, vcc
	v_cndmask_b32_e32 v33, v32, v30, vcc
	;; [unrolled: 1-line block ×4, first 2 shown]
	v_cndmask_b32_e64 v35, v33, v12, s[0:1]
	v_cndmask_b32_e64 v31, v25, v33, s[0:1]
	;; [unrolled: 1-line block ×3, first 2 shown]
	v_cndmask_b32_e32 v28, v30, v28, vcc
	v_cndmask_b32_e64 v25, v25, v31, s[2:3]
	v_cndmask_b32_e64 v26, v31, v35, s[2:3]
	v_sub_u32_e32 v31, 32, v34
	v_cndmask_b32_e64 v12, v12, v28, s[0:1]
	v_alignbit_b32 v32, v25, v26, v31
	v_cmp_eq_u32_e64 s[6:7], 0, v34
	v_cndmask_b32_e64 v30, v35, v12, s[2:3]
	v_cndmask_b32_e64 v25, v32, v25, s[6:7]
	v_alignbit_b32 v32, v26, v30, v31
	v_cndmask_b32_e32 v27, v29, v27, vcc
	v_cndmask_b32_e64 v26, v32, v26, s[6:7]
	v_bfe_u32 v34, v25, 29, 1
	v_cndmask_b32_e64 v27, v28, v27, s[0:1]
	v_alignbit_b32 v32, v25, v26, 30
	v_sub_u32_e32 v35, 0, v34
	v_cndmask_b32_e64 v12, v12, v27, s[2:3]
	v_xor_b32_e32 v32, v32, v35
	v_alignbit_b32 v27, v30, v12, v31
	v_cndmask_b32_e64 v27, v27, v30, s[6:7]
	v_ffbh_u32_e32 v28, v32
	v_alignbit_b32 v26, v26, v27, 30
	v_min_u32_e32 v28, 32, v28
	v_alignbit_b32 v12, v27, v12, 30
	v_xor_b32_e32 v26, v26, v35
	v_sub_u32_e32 v29, 31, v28
	v_xor_b32_e32 v12, v12, v35
	v_alignbit_b32 v30, v32, v26, v29
	v_alignbit_b32 v12, v26, v12, v29
	;; [unrolled: 1-line block ×3, first 2 shown]
	v_ffbh_u32_e32 v27, v26
	v_min_u32_e32 v27, 32, v27
	v_lshrrev_b32_e32 v33, 29, v25
	v_not_b32_e32 v29, v27
	v_alignbit_b32 v12, v26, v12, v29
	v_lshlrev_b32_e32 v26, 31, v33
	v_or_b32_e32 v29, 0x33000000, v26
	v_add_lshl_u32 v27, v27, v28, 23
	v_lshrrev_b32_e32 v12, 9, v12
	v_sub_u32_e32 v27, v29, v27
	v_or_b32_e32 v26, 0.5, v26
	v_lshlrev_b32_e32 v28, 23, v28
	v_or_b32_e32 v12, v27, v12
	v_lshrrev_b32_e32 v27, 9, v30
	v_sub_u32_e32 v26, v26, v28
	v_or_b32_e32 v26, v27, v26
	v_mul_f32_e32 v27, 0x3fc90fda, v26
	v_fma_f32 v28, v26, s52, -v27
	v_fmac_f32_e32 v28, 0x33a22168, v26
	v_fmac_f32_e32 v28, 0x3fc90fda, v12
	v_lshrrev_b32_e32 v12, 30, v25
	v_add_f32_e32 v27, v27, v28
	v_add_u32_e32 v12, v34, v12
                                        ; implicit-def: $vgpr28
	s_andn2_saveexec_b64 s[0:1], s[30:31]
	s_cbranch_execnz .LBB248_43
	s_branch .LBB248_44
.LBB248_42:                             ;   in Loop: Header=BB248_4 Depth=1
	s_andn2_saveexec_b64 s[0:1], s[30:31]
.LBB248_43:                             ;   in Loop: Header=BB248_4 Depth=1
	v_cvt_i32_f32_e32 v12, v28
	v_fma_f32 v27, v28, s54, |v8|
	v_fmac_f32_e32 v27, 0xb3a22168, v28
	v_fmac_f32_e32 v27, 0xa7c234c4, v28
.LBB248_44:                             ;   in Loop: Header=BB248_4 Depth=1
	s_or_b64 exec, exec, s[0:1]
	v_mul_f32_e32 v25, v24, v24
	v_mov_b32_e32 v26, 0x3c0881c4
	v_fmac_f32_e32 v26, 0xb94c1982, v25
	v_fma_f32 v26, v25, v26, v17
	v_mul_f32_e32 v26, v25, v26
	v_fmac_f32_e32 v24, v24, v26
	v_mov_b32_e32 v26, 0xbab64f3b
	v_fmac_f32_e32 v26, 0x37d75334, v25
	v_fma_f32 v26, v25, v26, v18
	v_fma_f32 v26, v25, v26, v19
	v_fma_f32 v25, v25, v26, 1.0
	v_and_b32_e32 v26, 1, v11
	v_cmp_eq_u32_e32 vcc, 0, v26
	v_lshlrev_b32_e32 v11, 30, v11
	v_cndmask_b32_e64 v24, -v24, v25, vcc
	v_and_b32_e32 v11, 0x80000000, v11
	v_xor_b32_e32 v11, v11, v24
	v_cmp_class_f32_e64 vcc, v8, s58
	v_mul_f32_e32 v8, v27, v27
	v_mov_b32_e32 v24, 0x3c0881c4
	v_fmac_f32_e32 v24, 0xb94c1982, v8
	v_fma_f32 v24, v8, v24, v17
	v_mul_f32_e32 v24, v8, v24
	v_fmac_f32_e32 v27, v27, v24
	v_mov_b32_e32 v24, 0xbab64f3b
	v_fmac_f32_e32 v24, 0x37d75334, v8
	v_fma_f32 v24, v8, v24, v18
	v_fma_f32 v24, v8, v24, v19
	v_fma_f32 v8, v8, v24, 1.0
	v_and_b32_e32 v24, 1, v12
	v_cmp_eq_u32_e64 s[0:1], 0, v24
	v_lshlrev_b32_e32 v12, 30, v12
	v_cndmask_b32_e64 v8, v8, v27, s[0:1]
	v_and_or_b32 v6, v12, s33, v6
	v_xor_b32_e32 v6, v6, v8
	v_xor_b32_e32 v5, v6, v5
	v_cndmask_b32_e32 v11, v23, v11, vcc
	v_cndmask_b32_e32 v5, v23, v5, vcc
.LBB248_45:                             ;   in Loop: Header=BB248_4 Depth=1
	s_or_b64 exec, exec, s[28:29]
.LBB248_46:                             ;   in Loop: Header=BB248_4 Depth=1
	s_andn2_saveexec_b64 s[0:1], s[26:27]
	s_cbranch_execz .LBB248_48
; %bb.47:                               ;   in Loop: Header=BB248_4 Depth=1
	v_mul_f32_e32 v6, 0xbfb8aa3b, v7
	v_rndne_f32_e32 v8, v6
	v_sub_f32_e32 v11, v6, v8
	v_fma_f32 v6, v7, s55, -v6
	v_fmac_f32_e32 v6, 0xb2a5705f, v7
	v_add_f32_e32 v6, v11, v6
	v_cvt_i32_f32_e32 v8, v8
	v_exp_f32_e32 v6, v6
	v_cmp_nlt_f32_e32 vcc, s56, v7
	v_ldexp_f32 v6, v6, v8
	v_cndmask_b32_e32 v6, 0, v6, vcc
	v_cmp_ngt_f32_e32 vcc, s57, v7
	v_cndmask_b32_e32 v11, v22, v6, vcc
.LBB248_48:                             ;   in Loop: Header=BB248_4 Depth=1
	s_or_b64 exec, exec, s[0:1]
	v_add_f32_e32 v8, s14, v11
	v_add_f32_e32 v7, s15, v5
	v_cmp_gt_f32_e32 vcc, 0, v8
	v_cndmask_b32_e64 v11, v8, -v8, vcc
	v_cmp_gt_f32_e32 vcc, 0, v7
	v_cndmask_b32_e64 v12, v7, -v7, vcc
	v_cmp_ge_f32_e32 vcc, v11, v12
                                        ; implicit-def: $vgpr6
	s_and_saveexec_b64 s[0:1], vcc
	s_xor_b64 s[2:3], exec, s[0:1]
	s_cbranch_execz .LBB248_54
; %bb.49:                               ;   in Loop: Header=BB248_4 Depth=1
	v_cmp_neq_f32_e32 vcc, 0, v8
	v_cmp_neq_f32_e64 s[0:1], 0, v7
	s_or_b64 s[0:1], vcc, s[0:1]
                                        ; implicit-def: $vgpr6
	s_and_saveexec_b64 s[6:7], s[0:1]
	s_xor_b64 s[0:1], exec, s[6:7]
	s_cbranch_execz .LBB248_51
; %bb.50:                               ;   in Loop: Header=BB248_4 Depth=1
	v_div_scale_f32 v5, s[6:7], v8, v8, v7
	v_div_scale_f32 v6, vcc, v7, v8, v7
	v_rcp_f32_e32 v11, v5
	v_fma_f32 v12, -v5, v11, 1.0
	v_fmac_f32_e32 v11, v12, v11
	v_mul_f32_e32 v12, v6, v11
	v_fma_f32 v24, -v5, v12, v6
	v_fmac_f32_e32 v12, v24, v11
	v_fma_f32 v5, -v5, v12, v6
	v_div_fmas_f32 v5, v5, v11, v12
	v_div_fixup_f32 v5, v5, v8, v7
	v_fmac_f32_e32 v8, v7, v5
	v_div_scale_f32 v6, s[6:7], v8, v8, 1.0
	v_div_scale_f32 v7, vcc, 1.0, v8, 1.0
	v_rcp_f32_e32 v11, v6
	v_fma_f32 v12, -v6, v11, 1.0
	v_fmac_f32_e32 v11, v12, v11
	v_mul_f32_e32 v12, v7, v11
	v_fma_f32 v24, -v6, v12, v7
	v_fmac_f32_e32 v12, v24, v11
	v_fma_f32 v6, -v6, v12, v7
	v_div_fmas_f32 v6, v6, v11, v12
	v_mov_b32_e32 v7, s14
	v_mov_b32_e32 v11, s15
	v_fma_f32 v7, s15, v5, v7
	v_fma_f32 v11, -v5, s14, v11
                                        ; implicit-def: $vgpr12
	v_div_fixup_f32 v6, v6, v8, 1.0
	v_mul_f32_e32 v5, v7, v6
	v_mul_f32_e32 v6, v11, v6
                                        ; implicit-def: $vgpr11
.LBB248_51:                             ;   in Loop: Header=BB248_4 Depth=1
	s_andn2_saveexec_b64 s[6:7], s[0:1]
	s_cbranch_execz .LBB248_53
; %bb.52:                               ;   in Loop: Header=BB248_4 Depth=1
	v_div_scale_f32 v5, s[0:1], v11, v11, s14
	v_div_scale_f32 v6, s[0:1], v12, v12, s15
	v_div_scale_f32 v7, vcc, s14, v11, s14
	v_div_scale_f32 v8, s[0:1], s15, v12, s15
	v_rcp_f32_e32 v24, v5
	v_rcp_f32_e32 v25, v6
	v_fma_f32 v26, -v5, v24, 1.0
	v_fmac_f32_e32 v24, v26, v24
	v_fma_f32 v27, -v6, v25, 1.0
	v_fmac_f32_e32 v25, v27, v25
	v_mul_f32_e32 v26, v7, v24
	v_mul_f32_e32 v27, v8, v25
	v_fma_f32 v28, -v5, v26, v7
	v_fma_f32 v29, -v6, v27, v8
	v_fmac_f32_e32 v26, v28, v24
	v_fmac_f32_e32 v27, v29, v25
	v_fma_f32 v5, -v5, v26, v7
	v_fma_f32 v6, -v6, v27, v8
	v_div_fmas_f32 v5, v5, v24, v26
	s_mov_b64 vcc, s[0:1]
	v_div_fmas_f32 v6, v6, v25, v27
	v_div_fixup_f32 v5, v5, v11, s14
	v_div_fixup_f32 v6, v6, v12, s15
.LBB248_53:                             ;   in Loop: Header=BB248_4 Depth=1
	s_or_b64 exec, exec, s[6:7]
                                        ; implicit-def: $vgpr7
                                        ; implicit-def: $vgpr8
.LBB248_54:                             ;   in Loop: Header=BB248_4 Depth=1
	s_andn2_saveexec_b64 s[0:1], s[2:3]
	s_cbranch_execz .LBB248_56
; %bb.55:                               ;   in Loop: Header=BB248_4 Depth=1
	v_div_scale_f32 v5, s[2:3], v7, v7, v8
	v_div_scale_f32 v6, vcc, v8, v7, v8
	v_rcp_f32_e32 v11, v5
	v_fma_f32 v12, -v5, v11, 1.0
	v_fmac_f32_e32 v11, v12, v11
	v_mul_f32_e32 v12, v6, v11
	v_fma_f32 v24, -v5, v12, v6
	v_fmac_f32_e32 v12, v24, v11
	v_fma_f32 v5, -v5, v12, v6
	v_div_fmas_f32 v5, v5, v11, v12
	v_div_fixup_f32 v5, v5, v7, v8
	v_fmac_f32_e32 v7, v8, v5
	v_div_scale_f32 v6, s[2:3], v7, v7, 1.0
	v_div_scale_f32 v8, vcc, 1.0, v7, 1.0
	v_rcp_f32_e32 v11, v6
	v_fma_f32 v12, -v6, v11, 1.0
	v_fmac_f32_e32 v11, v12, v11
	v_mul_f32_e32 v12, v8, v11
	v_fma_f32 v24, -v6, v12, v8
	v_fmac_f32_e32 v12, v24, v11
	v_fma_f32 v6, -v6, v12, v8
	v_div_fmas_f32 v6, v6, v11, v12
	v_mov_b32_e32 v8, s15
	v_mov_b32_e32 v11, s14
	v_fma_f32 v8, s14, v5, v8
	v_fma_f32 v11, v5, s15, -v11
	v_div_fixup_f32 v6, v6, v7, 1.0
	v_mul_f32_e32 v5, v8, v6
	v_mul_f32_e32 v6, v11, v6
.LBB248_56:                             ;   in Loop: Header=BB248_4 Depth=1
	s_or_b64 exec, exec, s[0:1]
	v_and_b32_e32 v7, 0x7fffffff, v10
	v_xor_b32_e32 v11, 0x80000000, v10
	v_cmp_ne_u32_e32 vcc, 0, v7
                                        ; implicit-def: $vgpr12
	s_and_saveexec_b64 s[0:1], vcc
	s_xor_b64 s[26:27], exec, s[0:1]
	s_cbranch_execz .LBB248_98
; %bb.57:                               ;   in Loop: Header=BB248_4 Depth=1
	v_and_b32_e32 v8, 0x7fffffff, v9
	v_cmp_ne_u32_e32 vcc, 0, v8
                                        ; implicit-def: $vgpr12
	s_and_saveexec_b64 s[0:1], vcc
	s_xor_b64 s[28:29], exec, s[0:1]
	s_cbranch_execz .LBB248_87
; %bb.58:                               ;   in Loop: Header=BB248_4 Depth=1
	v_xor_b32_e32 v24, 0x80000000, v9
	v_cmp_gt_u32_e32 vcc, s42, v7
                                        ; implicit-def: $vgpr12
	s_and_saveexec_b64 s[0:1], vcc
	s_xor_b64 s[30:31], exec, s[0:1]
	s_cbranch_execz .LBB248_80
; %bb.59:                               ;   in Loop: Header=BB248_4 Depth=1
	v_add_u32_e32 v8, 0xbd4e8de8, v24
	v_cmp_lt_u32_e32 vcc, s43, v8
                                        ; implicit-def: $vgpr12
	s_and_saveexec_b64 s[0:1], vcc
	s_xor_b64 s[34:35], exec, s[0:1]
	s_cbranch_execz .LBB248_69
; %bb.60:                               ;   in Loop: Header=BB248_4 Depth=1
	v_cmp_nlt_f32_e64 s[36:37], |v10|, s44
                                        ; implicit-def: $vgpr8
                                        ; implicit-def: $vgpr24
	s_and_saveexec_b64 s[0:1], s[36:37]
	s_xor_b64 s[38:39], exec, s[0:1]
	s_cbranch_execz .LBB248_62
; %bb.61:                               ;   in Loop: Header=BB248_4 Depth=1
	v_and_b32_e32 v8, 0x7fffff, v7
	v_or_b32_e32 v8, 0x800000, v8
	v_mad_u64_u32 v[24:25], s[0:1], v8, s45, 0
	v_mov_b32_e32 v12, v25
	v_mad_u64_u32 v[25:26], s[0:1], v8, s46, v[12:13]
	v_mov_b32_e32 v12, v26
	;; [unrolled: 2-line block ×3, first 2 shown]
	v_mad_u64_u32 v[27:28], s[0:1], v8, s48, v[12:13]
	v_lshrrev_b32_e32 v12, 23, v7
	v_add_u32_e32 v30, 0xffffff88, v12
	v_mov_b32_e32 v12, v28
	v_mad_u64_u32 v[28:29], s[0:1], v8, s49, v[12:13]
	v_cmp_lt_u32_e32 vcc, 63, v30
	v_cndmask_b32_e32 v12, 0, v20, vcc
	v_add_u32_e32 v31, v12, v30
	v_mov_b32_e32 v12, v29
	v_mad_u64_u32 v[29:30], s[0:1], v8, s50, v[12:13]
	v_cmp_lt_u32_e64 s[0:1], 31, v31
	v_cndmask_b32_e64 v12, 0, v21, s[0:1]
	v_add_u32_e32 v32, v12, v31
	v_mov_b32_e32 v12, v30
	v_mad_u64_u32 v[30:31], s[2:3], v8, s51, v[12:13]
	v_cmp_lt_u32_e64 s[2:3], 31, v32
	v_cndmask_b32_e64 v8, 0, v21, s[2:3]
	v_cndmask_b32_e32 v12, v29, v27, vcc
	v_cndmask_b32_e32 v30, v30, v28, vcc
	;; [unrolled: 1-line block ×4, first 2 shown]
	v_add_u32_e32 v8, v8, v32
	v_cndmask_b32_e64 v31, v30, v12, s[0:1]
	v_cndmask_b32_e64 v29, v29, v30, s[0:1]
	v_cndmask_b32_e64 v12, v12, v28, s[0:1]
	v_cndmask_b32_e32 v25, v27, v25, vcc
	v_cndmask_b32_e64 v29, v29, v31, s[2:3]
	v_cndmask_b32_e64 v30, v31, v12, s[2:3]
	v_sub_u32_e32 v31, 32, v8
	v_cndmask_b32_e64 v27, v28, v25, s[0:1]
	v_alignbit_b32 v32, v29, v30, v31
	v_cmp_eq_u32_e64 s[6:7], 0, v8
	v_cndmask_b32_e64 v12, v12, v27, s[2:3]
	v_cndmask_b32_e64 v8, v32, v29, s[6:7]
	v_alignbit_b32 v28, v30, v12, v31
	v_cndmask_b32_e32 v24, v26, v24, vcc
	v_cndmask_b32_e64 v28, v28, v30, s[6:7]
	v_bfe_u32 v32, v8, 29, 1
	v_cndmask_b32_e64 v24, v25, v24, s[0:1]
	v_alignbit_b32 v29, v8, v28, 30
	v_sub_u32_e32 v33, 0, v32
	v_cndmask_b32_e64 v24, v27, v24, s[2:3]
	v_xor_b32_e32 v29, v29, v33
	v_alignbit_b32 v25, v12, v24, v31
	v_cndmask_b32_e64 v12, v25, v12, s[6:7]
	v_ffbh_u32_e32 v26, v29
	v_alignbit_b32 v25, v28, v12, 30
	v_min_u32_e32 v26, 32, v26
	v_alignbit_b32 v12, v12, v24, 30
	v_xor_b32_e32 v25, v25, v33
	v_sub_u32_e32 v27, 31, v26
	v_xor_b32_e32 v12, v12, v33
	v_alignbit_b32 v28, v29, v25, v27
	v_alignbit_b32 v12, v25, v12, v27
	;; [unrolled: 1-line block ×3, first 2 shown]
	v_ffbh_u32_e32 v25, v24
	v_min_u32_e32 v25, 32, v25
	v_lshrrev_b32_e32 v30, 29, v8
	v_not_b32_e32 v27, v25
	v_alignbit_b32 v12, v24, v12, v27
	v_lshlrev_b32_e32 v24, 31, v30
	v_or_b32_e32 v27, 0x33000000, v24
	v_add_lshl_u32 v25, v25, v26, 23
	v_lshrrev_b32_e32 v12, 9, v12
	v_sub_u32_e32 v25, v27, v25
	v_or_b32_e32 v24, 0.5, v24
	v_lshlrev_b32_e32 v26, 23, v26
	v_or_b32_e32 v12, v25, v12
	v_lshrrev_b32_e32 v25, 9, v28
	v_sub_u32_e32 v24, v24, v26
	v_or_b32_e32 v24, v25, v24
	v_mul_f32_e32 v25, 0x3fc90fda, v24
	v_fma_f32 v26, v24, s52, -v25
	v_fmac_f32_e32 v26, 0x33a22168, v24
	v_fmac_f32_e32 v26, 0x3fc90fda, v12
	v_lshrrev_b32_e32 v8, 30, v8
	v_add_f32_e32 v24, v25, v26
	v_add_u32_e32 v8, v32, v8
	s_andn2_saveexec_b64 s[0:1], s[38:39]
	s_branch .LBB248_63
.LBB248_62:                             ;   in Loop: Header=BB248_4 Depth=1
	s_andn2_saveexec_b64 s[0:1], s[38:39]
.LBB248_63:                             ;   in Loop: Header=BB248_4 Depth=1
	v_mul_f32_e64 v8, |v10|, s53
	v_rndne_f32_e32 v12, v8
	v_cvt_i32_f32_e32 v8, v12
	v_fma_f32 v24, v12, s54, |v10|
	v_fmac_f32_e32 v24, 0xb3a22168, v12
	v_fmac_f32_e32 v24, 0xa7c234c4, v12
; %bb.64:                               ;   in Loop: Header=BB248_4 Depth=1
	s_or_b64 exec, exec, s[0:1]
                                        ; implicit-def: $vgpr25
                                        ; implicit-def: $vgpr26
	s_and_saveexec_b64 s[0:1], s[36:37]
	s_xor_b64 s[36:37], exec, s[0:1]
	s_cbranch_execz .LBB248_66
; %bb.65:                               ;   in Loop: Header=BB248_4 Depth=1
	v_and_b32_e32 v12, 0x7fffff, v7
	v_or_b32_e32 v32, 0x800000, v12
	v_mad_u64_u32 v[25:26], s[0:1], v32, s45, 0
	v_mov_b32_e32 v12, v26
	v_mad_u64_u32 v[26:27], s[0:1], v32, s46, v[12:13]
	v_mov_b32_e32 v12, v27
	v_mad_u64_u32 v[27:28], s[0:1], v32, s47, v[12:13]
	v_mov_b32_e32 v12, v28
	v_mad_u64_u32 v[28:29], s[0:1], v32, s48, v[12:13]
	v_lshrrev_b32_e32 v12, 23, v7
	v_add_u32_e32 v31, 0xffffff88, v12
	v_mov_b32_e32 v12, v29
	v_mad_u64_u32 v[29:30], s[0:1], v32, s49, v[12:13]
	v_cmp_lt_u32_e32 vcc, 63, v31
	v_cndmask_b32_e32 v12, 0, v20, vcc
	v_add_u32_e32 v33, v12, v31
	v_mov_b32_e32 v12, v30
	v_mad_u64_u32 v[30:31], s[0:1], v32, s50, v[12:13]
	v_cmp_lt_u32_e64 s[0:1], 31, v33
	v_cndmask_b32_e64 v12, 0, v21, s[0:1]
	v_add_u32_e32 v33, v12, v33
	v_mov_b32_e32 v12, v31
	v_mad_u64_u32 v[31:32], s[2:3], v32, s51, v[12:13]
	v_cmp_lt_u32_e64 s[2:3], 31, v33
	v_cndmask_b32_e64 v12, 0, v21, s[2:3]
	v_add_u32_e32 v12, v12, v33
	v_cndmask_b32_e32 v33, v30, v28, vcc
	v_cndmask_b32_e32 v31, v31, v29, vcc
	;; [unrolled: 1-line block ×4, first 2 shown]
	v_cndmask_b32_e64 v32, v31, v33, s[0:1]
	v_cndmask_b32_e64 v30, v30, v31, s[0:1]
	;; [unrolled: 1-line block ×3, first 2 shown]
	v_cndmask_b32_e32 v26, v28, v26, vcc
	v_cndmask_b32_e64 v30, v30, v32, s[2:3]
	v_cndmask_b32_e64 v32, v32, v31, s[2:3]
	v_sub_u32_e32 v33, 32, v12
	v_cndmask_b32_e64 v28, v29, v26, s[0:1]
	v_alignbit_b32 v34, v30, v32, v33
	v_cmp_eq_u32_e64 s[6:7], 0, v12
	v_cndmask_b32_e64 v29, v31, v28, s[2:3]
	v_cndmask_b32_e64 v12, v34, v30, s[6:7]
	v_alignbit_b32 v30, v32, v29, v33
	v_cndmask_b32_e32 v25, v27, v25, vcc
	v_cndmask_b32_e64 v30, v30, v32, s[6:7]
	v_bfe_u32 v34, v12, 29, 1
	v_cndmask_b32_e64 v25, v26, v25, s[0:1]
	v_alignbit_b32 v31, v12, v30, 30
	v_sub_u32_e32 v35, 0, v34
	v_cndmask_b32_e64 v25, v28, v25, s[2:3]
	v_xor_b32_e32 v31, v31, v35
	v_alignbit_b32 v26, v29, v25, v33
	v_cndmask_b32_e64 v26, v26, v29, s[6:7]
	v_ffbh_u32_e32 v28, v31
	v_alignbit_b32 v27, v30, v26, 30
	v_min_u32_e32 v28, 32, v28
	v_alignbit_b32 v25, v26, v25, 30
	v_xor_b32_e32 v27, v27, v35
	v_sub_u32_e32 v29, 31, v28
	v_xor_b32_e32 v25, v25, v35
	v_alignbit_b32 v30, v31, v27, v29
	v_alignbit_b32 v25, v27, v25, v29
	;; [unrolled: 1-line block ×3, first 2 shown]
	v_ffbh_u32_e32 v27, v26
	v_min_u32_e32 v27, 32, v27
	v_lshrrev_b32_e32 v32, 29, v12
	v_not_b32_e32 v29, v27
	v_alignbit_b32 v25, v26, v25, v29
	v_lshlrev_b32_e32 v26, 31, v32
	v_or_b32_e32 v29, 0x33000000, v26
	v_add_lshl_u32 v27, v27, v28, 23
	v_lshrrev_b32_e32 v25, 9, v25
	v_sub_u32_e32 v27, v29, v27
	v_or_b32_e32 v26, 0.5, v26
	v_lshlrev_b32_e32 v28, 23, v28
	v_or_b32_e32 v25, v27, v25
	v_lshrrev_b32_e32 v27, 9, v30
	v_sub_u32_e32 v26, v26, v28
	v_or_b32_e32 v26, v27, v26
	v_mul_f32_e32 v27, 0x3fc90fda, v26
	v_fma_f32 v28, v26, s52, -v27
	v_fmac_f32_e32 v28, 0x33a22168, v26
	v_fmac_f32_e32 v28, 0x3fc90fda, v25
	v_lshrrev_b32_e32 v12, 30, v12
	v_add_f32_e32 v26, v27, v28
	v_add_u32_e32 v25, v34, v12
	s_andn2_saveexec_b64 s[0:1], s[36:37]
	s_cbranch_execnz .LBB248_67
	s_branch .LBB248_68
.LBB248_66:                             ;   in Loop: Header=BB248_4 Depth=1
	s_andn2_saveexec_b64 s[0:1], s[36:37]
.LBB248_67:                             ;   in Loop: Header=BB248_4 Depth=1
	v_mul_f32_e64 v12, |v10|, s53
	v_rndne_f32_e32 v12, v12
	v_cvt_i32_f32_e32 v25, v12
	v_fma_f32 v26, v12, s54, |v10|
	v_fmac_f32_e32 v26, 0xb3a22168, v12
	v_fmac_f32_e32 v26, 0xa7c234c4, v12
.LBB248_68:                             ;   in Loop: Header=BB248_4 Depth=1
	s_or_b64 exec, exec, s[0:1]
	v_mul_f32_e32 v12, 0xbfb8aa3b, v9
	v_rndne_f32_e32 v27, v12
	v_sub_f32_e32 v28, v12, v27
	v_fma_f32 v12, v9, s55, -v12
	v_fmac_f32_e32 v12, 0xb2a5705f, v9
	v_add_f32_e32 v12, v28, v12
	v_cvt_i32_f32_e32 v27, v27
	v_exp_f32_e32 v12, v12
	v_cmp_nlt_f32_e32 vcc, s56, v9
	v_ldexp_f32 v12, v12, v27
	v_cndmask_b32_e32 v12, 0, v12, vcc
	v_cmp_ngt_f32_e32 vcc, s57, v9
	v_cndmask_b32_e32 v9, v22, v12, vcc
	v_mul_f32_e32 v12, v24, v24
	v_mov_b32_e32 v27, 0x3c0881c4
	v_fmac_f32_e32 v27, 0xb94c1982, v12
	v_fma_f32 v27, v12, v27, v17
	v_mul_f32_e32 v27, v12, v27
	v_fmac_f32_e32 v24, v24, v27
	v_mov_b32_e32 v27, 0xbab64f3b
	v_fmac_f32_e32 v27, 0x37d75334, v12
	v_fma_f32 v27, v12, v27, v18
	v_fma_f32 v27, v12, v27, v19
	v_fma_f32 v12, v12, v27, 1.0
	v_and_b32_e32 v27, 1, v8
	v_cmp_eq_u32_e32 vcc, 0, v27
	v_lshlrev_b32_e32 v8, 30, v8
	v_cndmask_b32_e64 v12, -v24, v12, vcc
	v_and_b32_e32 v8, 0x80000000, v8
	v_xor_b32_e32 v8, v8, v12
	v_cmp_class_f32_e64 vcc, v10, s58
	v_cndmask_b32_e32 v8, v23, v8, vcc
	v_mul_f32_e32 v12, v9, v8
	v_mul_f32_e32 v8, v26, v26
	v_mov_b32_e32 v10, 0x3c0881c4
	v_fmac_f32_e32 v10, 0xb94c1982, v8
	v_fma_f32 v10, v8, v10, v17
	v_mul_f32_e32 v10, v8, v10
	v_fmac_f32_e32 v26, v26, v10
	v_mov_b32_e32 v10, 0xbab64f3b
	v_fmac_f32_e32 v10, 0x37d75334, v8
	v_fma_f32 v10, v8, v10, v18
	v_fma_f32 v10, v8, v10, v19
	v_fma_f32 v8, v8, v10, 1.0
	v_and_b32_e32 v10, 1, v25
	v_cmp_eq_u32_e64 s[0:1], 0, v10
	v_lshlrev_b32_e32 v10, 30, v25
	v_cndmask_b32_e64 v8, v8, v26, s[0:1]
	v_and_or_b32 v7, v10, s33, v7
	v_xor_b32_e32 v7, v7, v8
	v_xor_b32_e32 v7, v7, v11
	v_cndmask_b32_e32 v7, v23, v7, vcc
	v_mul_f32_e32 v11, v9, v7
                                        ; implicit-def: $vgpr7_vgpr8_vgpr9_vgpr10
                                        ; implicit-def: $vgpr7
.LBB248_69:                             ;   in Loop: Header=BB248_4 Depth=1
	s_andn2_saveexec_b64 s[34:35], s[34:35]
	s_cbranch_execz .LBB248_79
; %bb.70:                               ;   in Loop: Header=BB248_4 Depth=1
	v_cmp_nlt_f32_e64 s[36:37], |v10|, s44
                                        ; implicit-def: $vgpr24
                                        ; implicit-def: $vgpr8
	s_and_saveexec_b64 s[0:1], s[36:37]
	s_xor_b64 s[38:39], exec, s[0:1]
	s_cbranch_execz .LBB248_72
; %bb.71:                               ;   in Loop: Header=BB248_4 Depth=1
	v_and_b32_e32 v8, 0x7fffff, v7
	v_or_b32_e32 v8, 0x800000, v8
	v_mad_u64_u32 v[24:25], s[0:1], v8, s45, 0
	v_mov_b32_e32 v12, v25
	v_mad_u64_u32 v[25:26], s[0:1], v8, s46, v[12:13]
	v_mov_b32_e32 v12, v26
	;; [unrolled: 2-line block ×3, first 2 shown]
	v_mad_u64_u32 v[27:28], s[0:1], v8, s48, v[12:13]
	v_lshrrev_b32_e32 v12, 23, v7
	v_add_u32_e32 v30, 0xffffff88, v12
	v_mov_b32_e32 v12, v28
	v_mad_u64_u32 v[28:29], s[0:1], v8, s49, v[12:13]
	v_cmp_lt_u32_e32 vcc, 63, v30
	v_cndmask_b32_e32 v12, 0, v20, vcc
	v_add_u32_e32 v31, v12, v30
	v_mov_b32_e32 v12, v29
	v_mad_u64_u32 v[29:30], s[0:1], v8, s50, v[12:13]
	v_cmp_lt_u32_e64 s[0:1], 31, v31
	v_cndmask_b32_e64 v12, 0, v21, s[0:1]
	v_add_u32_e32 v32, v12, v31
	v_mov_b32_e32 v12, v30
	v_mad_u64_u32 v[30:31], s[2:3], v8, s51, v[12:13]
	v_cmp_lt_u32_e64 s[2:3], 31, v32
	v_cndmask_b32_e64 v8, 0, v21, s[2:3]
	v_cndmask_b32_e32 v12, v29, v27, vcc
	v_cndmask_b32_e32 v30, v30, v28, vcc
	;; [unrolled: 1-line block ×4, first 2 shown]
	v_add_u32_e32 v8, v8, v32
	v_cndmask_b32_e64 v31, v30, v12, s[0:1]
	v_cndmask_b32_e64 v29, v29, v30, s[0:1]
	;; [unrolled: 1-line block ×5, first 2 shown]
	v_sub_u32_e32 v31, 32, v8
	v_cmp_eq_u32_e64 s[6:7], 0, v8
	v_cndmask_b32_e32 v8, v27, v25, vcc
	v_cndmask_b32_e64 v25, v28, v8, s[0:1]
	v_alignbit_b32 v32, v29, v30, v31
	v_cndmask_b32_e64 v12, v12, v25, s[2:3]
	v_cndmask_b32_e64 v29, v32, v29, s[6:7]
	v_alignbit_b32 v27, v30, v12, v31
	v_cndmask_b32_e32 v24, v26, v24, vcc
	v_cndmask_b32_e64 v27, v27, v30, s[6:7]
	v_bfe_u32 v32, v29, 29, 1
	v_cndmask_b32_e64 v8, v8, v24, s[0:1]
	v_alignbit_b32 v28, v29, v27, 30
	v_sub_u32_e32 v33, 0, v32
	v_cndmask_b32_e64 v8, v25, v8, s[2:3]
	v_xor_b32_e32 v28, v28, v33
	v_alignbit_b32 v24, v12, v8, v31
	v_cndmask_b32_e64 v12, v24, v12, s[6:7]
	v_ffbh_u32_e32 v25, v28
	v_alignbit_b32 v24, v27, v12, 30
	v_min_u32_e32 v25, 32, v25
	v_alignbit_b32 v8, v12, v8, 30
	v_xor_b32_e32 v24, v24, v33
	v_sub_u32_e32 v26, 31, v25
	v_xor_b32_e32 v8, v8, v33
	v_alignbit_b32 v27, v28, v24, v26
	v_alignbit_b32 v8, v24, v8, v26
	;; [unrolled: 1-line block ×3, first 2 shown]
	v_ffbh_u32_e32 v24, v12
	v_min_u32_e32 v24, 32, v24
	v_lshrrev_b32_e32 v30, 29, v29
	v_not_b32_e32 v26, v24
	v_alignbit_b32 v8, v12, v8, v26
	v_lshlrev_b32_e32 v12, 31, v30
	v_or_b32_e32 v26, 0x33000000, v12
	v_add_lshl_u32 v24, v24, v25, 23
	v_lshrrev_b32_e32 v8, 9, v8
	v_sub_u32_e32 v24, v26, v24
	v_or_b32_e32 v12, 0.5, v12
	v_lshlrev_b32_e32 v25, 23, v25
	v_or_b32_e32 v8, v24, v8
	v_lshrrev_b32_e32 v24, 9, v27
	v_sub_u32_e32 v12, v12, v25
	v_or_b32_e32 v12, v24, v12
	v_mul_f32_e32 v24, 0x3fc90fda, v12
	v_fma_f32 v25, v12, s52, -v24
	v_fmac_f32_e32 v25, 0x33a22168, v12
	v_fmac_f32_e32 v25, 0x3fc90fda, v8
	v_lshrrev_b32_e32 v12, 30, v29
	v_add_f32_e32 v8, v24, v25
	v_add_u32_e32 v24, v32, v12
	s_andn2_saveexec_b64 s[0:1], s[38:39]
	s_branch .LBB248_73
.LBB248_72:                             ;   in Loop: Header=BB248_4 Depth=1
	s_andn2_saveexec_b64 s[0:1], s[38:39]
.LBB248_73:                             ;   in Loop: Header=BB248_4 Depth=1
	v_mul_f32_e64 v8, |v10|, s53
	v_rndne_f32_e32 v12, v8
	v_cvt_i32_f32_e32 v24, v12
	v_fma_f32 v8, v12, s54, |v10|
	v_fmac_f32_e32 v8, 0xb3a22168, v12
	v_fmac_f32_e32 v8, 0xa7c234c4, v12
; %bb.74:                               ;   in Loop: Header=BB248_4 Depth=1
	s_or_b64 exec, exec, s[0:1]
                                        ; implicit-def: $vgpr25
                                        ; implicit-def: $vgpr26
	s_and_saveexec_b64 s[0:1], s[36:37]
	s_xor_b64 s[36:37], exec, s[0:1]
	s_cbranch_execz .LBB248_76
; %bb.75:                               ;   in Loop: Header=BB248_4 Depth=1
	v_and_b32_e32 v12, 0x7fffff, v7
	v_or_b32_e32 v32, 0x800000, v12
	v_mad_u64_u32 v[25:26], s[0:1], v32, s45, 0
	v_mov_b32_e32 v12, v26
	v_mad_u64_u32 v[26:27], s[0:1], v32, s46, v[12:13]
	v_mov_b32_e32 v12, v27
	;; [unrolled: 2-line block ×3, first 2 shown]
	v_mad_u64_u32 v[28:29], s[0:1], v32, s48, v[12:13]
	v_lshrrev_b32_e32 v12, 23, v7
	v_add_u32_e32 v31, 0xffffff88, v12
	v_mov_b32_e32 v12, v29
	v_mad_u64_u32 v[29:30], s[0:1], v32, s49, v[12:13]
	v_cmp_lt_u32_e32 vcc, 63, v31
	v_cndmask_b32_e32 v12, 0, v20, vcc
	v_add_u32_e32 v33, v12, v31
	v_mov_b32_e32 v12, v30
	v_mad_u64_u32 v[30:31], s[0:1], v32, s50, v[12:13]
	v_cmp_lt_u32_e64 s[0:1], 31, v33
	v_cndmask_b32_e64 v12, 0, v21, s[0:1]
	v_add_u32_e32 v33, v12, v33
	v_mov_b32_e32 v12, v31
	v_mad_u64_u32 v[31:32], s[2:3], v32, s51, v[12:13]
	v_cmp_lt_u32_e64 s[2:3], 31, v33
	v_cndmask_b32_e64 v12, 0, v21, s[2:3]
	v_add_u32_e32 v12, v12, v33
	v_cndmask_b32_e32 v33, v30, v28, vcc
	v_cndmask_b32_e32 v31, v31, v29, vcc
	;; [unrolled: 1-line block ×4, first 2 shown]
	v_cndmask_b32_e64 v32, v31, v33, s[0:1]
	v_cndmask_b32_e64 v30, v30, v31, s[0:1]
	;; [unrolled: 1-line block ×3, first 2 shown]
	v_cndmask_b32_e32 v26, v28, v26, vcc
	v_cndmask_b32_e64 v30, v30, v32, s[2:3]
	v_cndmask_b32_e64 v32, v32, v31, s[2:3]
	v_sub_u32_e32 v33, 32, v12
	v_cndmask_b32_e64 v28, v29, v26, s[0:1]
	v_alignbit_b32 v34, v30, v32, v33
	v_cmp_eq_u32_e64 s[6:7], 0, v12
	v_cndmask_b32_e64 v29, v31, v28, s[2:3]
	v_cndmask_b32_e64 v12, v34, v30, s[6:7]
	v_alignbit_b32 v30, v32, v29, v33
	v_cndmask_b32_e32 v25, v27, v25, vcc
	v_cndmask_b32_e64 v30, v30, v32, s[6:7]
	v_bfe_u32 v34, v12, 29, 1
	v_cndmask_b32_e64 v25, v26, v25, s[0:1]
	v_alignbit_b32 v31, v12, v30, 30
	v_sub_u32_e32 v35, 0, v34
	v_cndmask_b32_e64 v25, v28, v25, s[2:3]
	v_xor_b32_e32 v31, v31, v35
	v_alignbit_b32 v26, v29, v25, v33
	v_cndmask_b32_e64 v26, v26, v29, s[6:7]
	v_ffbh_u32_e32 v28, v31
	v_alignbit_b32 v27, v30, v26, 30
	v_min_u32_e32 v28, 32, v28
	v_alignbit_b32 v25, v26, v25, 30
	v_xor_b32_e32 v27, v27, v35
	v_sub_u32_e32 v29, 31, v28
	v_xor_b32_e32 v25, v25, v35
	v_alignbit_b32 v30, v31, v27, v29
	v_alignbit_b32 v25, v27, v25, v29
	;; [unrolled: 1-line block ×3, first 2 shown]
	v_ffbh_u32_e32 v27, v26
	v_min_u32_e32 v27, 32, v27
	v_lshrrev_b32_e32 v32, 29, v12
	v_not_b32_e32 v29, v27
	v_alignbit_b32 v25, v26, v25, v29
	v_lshlrev_b32_e32 v26, 31, v32
	v_or_b32_e32 v29, 0x33000000, v26
	v_add_lshl_u32 v27, v27, v28, 23
	v_lshrrev_b32_e32 v25, 9, v25
	v_sub_u32_e32 v27, v29, v27
	v_or_b32_e32 v26, 0.5, v26
	v_lshlrev_b32_e32 v28, 23, v28
	v_or_b32_e32 v25, v27, v25
	v_lshrrev_b32_e32 v27, 9, v30
	v_sub_u32_e32 v26, v26, v28
	v_or_b32_e32 v26, v27, v26
	v_mul_f32_e32 v27, 0x3fc90fda, v26
	v_fma_f32 v28, v26, s52, -v27
	v_fmac_f32_e32 v28, 0x33a22168, v26
	v_fmac_f32_e32 v28, 0x3fc90fda, v25
	v_lshrrev_b32_e32 v12, 30, v12
	v_add_f32_e32 v26, v27, v28
	v_add_u32_e32 v25, v34, v12
	s_andn2_saveexec_b64 s[0:1], s[36:37]
	s_cbranch_execnz .LBB248_77
	s_branch .LBB248_78
.LBB248_76:                             ;   in Loop: Header=BB248_4 Depth=1
	s_andn2_saveexec_b64 s[0:1], s[36:37]
.LBB248_77:                             ;   in Loop: Header=BB248_4 Depth=1
	v_mul_f32_e64 v12, |v10|, s53
	v_rndne_f32_e32 v12, v12
	v_cvt_i32_f32_e32 v25, v12
	v_fma_f32 v26, v12, s54, |v10|
	v_fmac_f32_e32 v26, 0xb3a22168, v12
	v_fmac_f32_e32 v26, 0xa7c234c4, v12
.LBB248_78:                             ;   in Loop: Header=BB248_4 Depth=1
	s_or_b64 exec, exec, s[0:1]
	v_mul_f32_e32 v27, v8, v8
	v_mov_b32_e32 v28, 0xbab64f3b
	v_fmac_f32_e32 v28, 0x37d75334, v27
	v_mov_b32_e32 v29, 0x3c0881c4
	v_fma_f32 v28, v27, v28, v18
	v_fmac_f32_e32 v29, 0xb94c1982, v27
	v_fma_f32 v28, v27, v28, v19
	v_fma_f32 v29, v27, v29, v17
	v_lshlrev_b32_e32 v12, 30, v24
	v_and_b32_e32 v24, 1, v24
	v_fma_f32 v28, v27, v28, 1.0
	v_mul_f32_e32 v27, v27, v29
	v_sub_f32_e32 v9, 0xc322e3bc, v9
	v_fmac_f32_e32 v8, v8, v27
	v_cmp_eq_u32_e32 vcc, 0, v24
	v_mul_f32_e32 v24, 0x3fb8aa3b, v9
	v_cndmask_b32_e64 v8, -v8, v28, vcc
	v_fma_f32 v27, v9, s59, -v24
	v_rndne_f32_e32 v28, v24
	v_fmac_f32_e32 v27, 0x32a5705f, v9
	v_sub_f32_e32 v24, v24, v28
	v_add_f32_e32 v24, v24, v27
	v_exp_f32_e32 v24, v24
	v_cvt_i32_f32_e32 v27, v28
	v_cmp_class_f32_e64 vcc, v10, s58
	v_cmp_ngt_f32_e64 s[0:1], s60, v9
	v_and_b32_e32 v12, 0x80000000, v12
	v_ldexp_f32 v10, v24, v27
	v_cndmask_b32_e64 v10, 0, v10, s[0:1]
	v_cmp_nlt_f32_e64 s[0:1], s61, v9
	v_cndmask_b32_e64 v9, v22, v10, s[0:1]
	v_and_b32_e32 v10, 0x7fffff, v9
	v_lshrrev_b32_e32 v9, 23, v9
	v_subrev_u32_e32 v9, 19, v9
	v_xor_b32_e32 v8, v12, v8
	v_lshrrev_b16_e32 v12, 15, v9
	v_add_u16_e32 v12, v9, v12
	v_ashrrev_i16_e32 v12, 1, v12
	v_cndmask_b32_e32 v8, v23, v8, vcc
	v_or_b32_e32 v10, 0x7f000000, v10
	v_bfe_i32 v12, v12, 0, 16
	v_mul_f32_e32 v8, v8, v10
	v_lshl_add_u32 v24, v12, 23, 1.0
	v_sub_u32_e32 v9, v9, v12
	v_mul_f32_e32 v8, v8, v24
	v_lshl_add_u32 v9, v9, 23, 1.0
	v_mul_f32_e32 v12, v8, v9
	v_mul_f32_e32 v8, v26, v26
	v_mov_b32_e32 v27, 0x3c0881c4
	v_fmac_f32_e32 v27, 0xb94c1982, v8
	v_fma_f32 v27, v8, v27, v17
	v_mul_f32_e32 v27, v8, v27
	v_fmac_f32_e32 v26, v26, v27
	v_mov_b32_e32 v27, 0xbab64f3b
	v_fmac_f32_e32 v27, 0x37d75334, v8
	v_fma_f32 v27, v8, v27, v18
	v_fma_f32 v27, v8, v27, v19
	v_fma_f32 v8, v8, v27, 1.0
	v_and_b32_e32 v27, 1, v25
	v_cmp_eq_u32_e64 s[0:1], 0, v27
	v_lshlrev_b32_e32 v25, 30, v25
	v_cndmask_b32_e64 v8, v8, v26, s[0:1]
	v_and_or_b32 v7, v25, s33, v7
	v_xor_b32_e32 v7, v7, v8
	v_xor_b32_e32 v7, v7, v11
	v_cndmask_b32_e32 v7, v23, v7, vcc
	v_mul_f32_e32 v7, v7, v10
	v_mul_f32_e32 v7, v7, v24
	;; [unrolled: 1-line block ×3, first 2 shown]
.LBB248_79:                             ;   in Loop: Header=BB248_4 Depth=1
	s_or_b64 exec, exec, s[34:35]
                                        ; implicit-def: $vgpr7_vgpr8_vgpr9_vgpr10
                                        ; implicit-def: $vgpr24
                                        ; implicit-def: $vgpr8
.LBB248_80:                             ;   in Loop: Header=BB248_4 Depth=1
	s_andn2_saveexec_b64 s[0:1], s[30:31]
	s_cbranch_execz .LBB248_86
; %bb.81:                               ;   in Loop: Header=BB248_4 Depth=1
	v_cmp_ne_u32_e32 vcc, s42, v8
	v_sub_f32_e32 v11, v10, v10
	s_and_saveexec_b64 s[2:3], vcc
	s_xor_b64 s[2:3], exec, s[2:3]
; %bb.82:                               ;   in Loop: Header=BB248_4 Depth=1
                                        ; implicit-def: $vgpr24
                                        ; implicit-def: $vgpr7_vgpr8_vgpr9_vgpr10
; %bb.83:                               ;   in Loop: Header=BB248_4 Depth=1
	s_or_saveexec_b64 s[2:3], s[2:3]
	v_mov_b32_e32 v12, v11
	s_xor_b64 exec, exec, s[2:3]
; %bb.84:                               ;   in Loop: Header=BB248_4 Depth=1
	v_cmp_lt_i32_e32 vcc, -1, v24
	v_cndmask_b32_e64 v12, 0, -v9, vcc
	v_cndmask_b32_e32 v11, 0, v11, vcc
; %bb.85:                               ;   in Loop: Header=BB248_4 Depth=1
	s_or_b64 exec, exec, s[2:3]
.LBB248_86:                             ;   in Loop: Header=BB248_4 Depth=1
	s_or_b64 exec, exec, s[0:1]
                                        ; implicit-def: $vgpr7_vgpr8_vgpr9_vgpr10
                                        ; implicit-def: $vgpr7
.LBB248_87:                             ;   in Loop: Header=BB248_4 Depth=1
	s_andn2_saveexec_b64 s[28:29], s[28:29]
	s_cbranch_execz .LBB248_97
; %bb.88:                               ;   in Loop: Header=BB248_4 Depth=1
	v_lshrrev_b32_e32 v8, 23, v7
	v_and_b32_e32 v9, 0x7fffff, v7
	v_cmp_nlt_f32_e64 s[30:31], |v10|, s44
	v_add_u32_e32 v25, 0xffffff88, v8
	v_or_b32_e32 v8, 0x800000, v9
                                        ; implicit-def: $vgpr9
                                        ; implicit-def: $vgpr24
	s_and_saveexec_b64 s[0:1], s[30:31]
	s_xor_b64 s[34:35], exec, s[0:1]
	s_cbranch_execz .LBB248_90
; %bb.89:                               ;   in Loop: Header=BB248_4 Depth=1
	v_mad_u64_u32 v[26:27], s[0:1], v8, s45, 0
	v_cmp_lt_u32_e32 vcc, 63, v25
	v_cndmask_b32_e32 v9, 0, v20, vcc
	v_mov_b32_e32 v12, v27
	v_mad_u64_u32 v[27:28], s[0:1], v8, s46, v[12:13]
	v_add_u32_e32 v9, v9, v25
	v_mov_b32_e32 v12, v28
	v_mad_u64_u32 v[28:29], s[0:1], v8, s47, v[12:13]
	v_mov_b32_e32 v12, v29
	v_mad_u64_u32 v[29:30], s[0:1], v8, s48, v[12:13]
	v_cndmask_b32_e32 v26, v28, v26, vcc
	v_mov_b32_e32 v12, v30
	v_mad_u64_u32 v[30:31], s[0:1], v8, s49, v[12:13]
	v_cmp_lt_u32_e64 s[0:1], 31, v9
	v_cndmask_b32_e64 v12, 0, v21, s[0:1]
	v_add_u32_e32 v9, v12, v9
	v_mov_b32_e32 v12, v31
	v_mad_u64_u32 v[31:32], s[2:3], v8, s50, v[12:13]
	v_cmp_lt_u32_e64 s[2:3], 31, v9
	v_cndmask_b32_e64 v12, 0, v21, s[2:3]
	v_add_u32_e32 v9, v12, v9
	v_mov_b32_e32 v12, v32
	v_mad_u64_u32 v[32:33], s[6:7], v8, s51, v[12:13]
	v_cndmask_b32_e32 v12, v30, v28, vcc
	v_cndmask_b32_e32 v24, v31, v29, vcc
	;; [unrolled: 1-line block ×4, first 2 shown]
	v_cndmask_b32_e64 v34, v24, v12, s[0:1]
	v_cndmask_b32_e64 v24, v30, v24, s[0:1]
	;; [unrolled: 1-line block ×3, first 2 shown]
	v_cndmask_b32_e32 v27, v29, v27, vcc
	v_cndmask_b32_e64 v30, v30, v24, s[2:3]
	v_cndmask_b32_e64 v24, v24, v34, s[2:3]
	v_sub_u32_e32 v31, 32, v9
	v_cndmask_b32_e64 v12, v12, v27, s[0:1]
	v_alignbit_b32 v32, v30, v24, v31
	v_cmp_eq_u32_e64 s[6:7], 0, v9
	v_cndmask_b32_e64 v29, v34, v12, s[2:3]
	v_cndmask_b32_e64 v9, v32, v30, s[6:7]
	v_alignbit_b32 v30, v24, v29, v31
	v_cndmask_b32_e64 v24, v30, v24, s[6:7]
	v_bfe_u32 v33, v9, 29, 1
	v_cndmask_b32_e64 v26, v27, v26, s[0:1]
	v_alignbit_b32 v30, v9, v24, 30
	v_sub_u32_e32 v34, 0, v33
	v_cndmask_b32_e64 v12, v12, v26, s[2:3]
	v_xor_b32_e32 v30, v30, v34
	v_alignbit_b32 v26, v29, v12, v31
	v_cndmask_b32_e64 v26, v26, v29, s[6:7]
	v_ffbh_u32_e32 v27, v30
	v_alignbit_b32 v24, v24, v26, 30
	v_min_u32_e32 v27, 32, v27
	v_alignbit_b32 v12, v26, v12, 30
	v_xor_b32_e32 v24, v24, v34
	v_sub_u32_e32 v28, 31, v27
	v_xor_b32_e32 v12, v12, v34
	v_alignbit_b32 v29, v30, v24, v28
	v_alignbit_b32 v12, v24, v12, v28
	;; [unrolled: 1-line block ×3, first 2 shown]
	v_ffbh_u32_e32 v26, v24
	v_min_u32_e32 v26, 32, v26
	v_lshrrev_b32_e32 v32, 29, v9
	v_not_b32_e32 v28, v26
	v_alignbit_b32 v12, v24, v12, v28
	v_lshlrev_b32_e32 v24, 31, v32
	v_or_b32_e32 v28, 0x33000000, v24
	v_add_lshl_u32 v26, v26, v27, 23
	v_lshrrev_b32_e32 v12, 9, v12
	v_sub_u32_e32 v26, v28, v26
	v_or_b32_e32 v24, 0.5, v24
	v_lshlrev_b32_e32 v27, 23, v27
	v_or_b32_e32 v12, v26, v12
	v_lshrrev_b32_e32 v26, 9, v29
	v_sub_u32_e32 v24, v24, v27
	v_or_b32_e32 v24, v26, v24
	v_mul_f32_e32 v26, 0x3fc90fda, v24
	v_fma_f32 v27, v24, s52, -v26
	v_fmac_f32_e32 v27, 0x33a22168, v24
	v_fmac_f32_e32 v27, 0x3fc90fda, v12
	v_lshrrev_b32_e32 v9, 30, v9
	v_add_f32_e32 v24, v26, v27
	v_add_u32_e32 v9, v33, v9
.LBB248_90:                             ;   in Loop: Header=BB248_4 Depth=1
	s_or_saveexec_b64 s[0:1], s[34:35]
	v_mul_f32_e64 v12, |v10|, s53
	v_rndne_f32_e32 v12, v12
	s_xor_b64 exec, exec, s[0:1]
; %bb.91:                               ;   in Loop: Header=BB248_4 Depth=1
	v_cvt_i32_f32_e32 v9, v12
	v_fma_f32 v24, v12, s54, |v10|
	v_fmac_f32_e32 v24, 0xb3a22168, v12
	v_fmac_f32_e32 v24, 0xa7c234c4, v12
; %bb.92:                               ;   in Loop: Header=BB248_4 Depth=1
	s_or_b64 exec, exec, s[0:1]
                                        ; implicit-def: $vgpr26
                                        ; implicit-def: $vgpr27
	s_and_saveexec_b64 s[0:1], s[30:31]
	s_xor_b64 s[30:31], exec, s[0:1]
	s_cbranch_execz .LBB248_94
; %bb.93:                               ;   in Loop: Header=BB248_4 Depth=1
	v_mad_u64_u32 v[26:27], s[0:1], v8, s45, 0
	v_cmp_lt_u32_e32 vcc, 63, v25
	v_mov_b32_e32 v12, v27
	v_mad_u64_u32 v[27:28], s[0:1], v8, s46, v[12:13]
	v_mov_b32_e32 v12, v28
	v_mad_u64_u32 v[28:29], s[0:1], v8, s47, v[12:13]
	;; [unrolled: 2-line block ×3, first 2 shown]
	v_cndmask_b32_e32 v12, 0, v20, vcc
	v_add_u32_e32 v25, v12, v25
	v_mov_b32_e32 v12, v30
	v_mad_u64_u32 v[30:31], s[0:1], v8, s49, v[12:13]
	v_cmp_lt_u32_e64 s[0:1], 31, v25
	v_cndmask_b32_e64 v12, 0, v21, s[0:1]
	v_add_u32_e32 v25, v12, v25
	v_mov_b32_e32 v12, v31
	v_mad_u64_u32 v[31:32], s[2:3], v8, s50, v[12:13]
	v_cmp_lt_u32_e64 s[2:3], 31, v25
	v_cndmask_b32_e64 v12, 0, v21, s[2:3]
	v_add_u32_e32 v25, v12, v25
	v_mov_b32_e32 v12, v32
	v_mad_u64_u32 v[32:33], s[6:7], v8, s51, v[12:13]
	v_cndmask_b32_e32 v8, v30, v28, vcc
	v_cndmask_b32_e32 v12, v31, v29, vcc
	;; [unrolled: 1-line block ×4, first 2 shown]
	v_cndmask_b32_e64 v34, v12, v8, s[0:1]
	v_cndmask_b32_e64 v12, v30, v12, s[0:1]
	;; [unrolled: 1-line block ×3, first 2 shown]
	v_cndmask_b32_e32 v27, v29, v27, vcc
	v_cndmask_b32_e64 v30, v30, v12, s[2:3]
	v_cndmask_b32_e64 v12, v12, v34, s[2:3]
	v_sub_u32_e32 v31, 32, v25
	v_cndmask_b32_e64 v8, v8, v27, s[0:1]
	v_alignbit_b32 v32, v30, v12, v31
	v_cmp_eq_u32_e64 s[6:7], 0, v25
	v_cndmask_b32_e64 v29, v34, v8, s[2:3]
	v_cndmask_b32_e64 v25, v32, v30, s[6:7]
	v_alignbit_b32 v30, v12, v29, v31
	v_cndmask_b32_e32 v26, v28, v26, vcc
	v_cndmask_b32_e64 v12, v30, v12, s[6:7]
	v_bfe_u32 v33, v25, 29, 1
	v_cndmask_b32_e64 v26, v27, v26, s[0:1]
	v_alignbit_b32 v30, v25, v12, 30
	v_sub_u32_e32 v34, 0, v33
	v_cndmask_b32_e64 v8, v8, v26, s[2:3]
	v_xor_b32_e32 v30, v30, v34
	v_alignbit_b32 v26, v29, v8, v31
	v_cndmask_b32_e64 v26, v26, v29, s[6:7]
	v_ffbh_u32_e32 v27, v30
	v_alignbit_b32 v12, v12, v26, 30
	v_min_u32_e32 v27, 32, v27
	v_alignbit_b32 v8, v26, v8, 30
	v_xor_b32_e32 v12, v12, v34
	v_sub_u32_e32 v28, 31, v27
	v_xor_b32_e32 v8, v8, v34
	v_alignbit_b32 v29, v30, v12, v28
	v_alignbit_b32 v8, v12, v8, v28
	;; [unrolled: 1-line block ×3, first 2 shown]
	v_ffbh_u32_e32 v26, v12
	v_min_u32_e32 v26, 32, v26
	v_lshrrev_b32_e32 v32, 29, v25
	v_not_b32_e32 v28, v26
	v_alignbit_b32 v8, v12, v8, v28
	v_lshlrev_b32_e32 v12, 31, v32
	v_or_b32_e32 v28, 0x33000000, v12
	v_add_lshl_u32 v26, v26, v27, 23
	v_lshrrev_b32_e32 v8, 9, v8
	v_sub_u32_e32 v26, v28, v26
	v_or_b32_e32 v12, 0.5, v12
	v_lshlrev_b32_e32 v27, 23, v27
	v_or_b32_e32 v8, v26, v8
	v_lshrrev_b32_e32 v26, 9, v29
	v_sub_u32_e32 v12, v12, v27
	v_or_b32_e32 v12, v26, v12
	v_mul_f32_e32 v26, 0x3fc90fda, v12
	v_fma_f32 v27, v12, s52, -v26
	v_fmac_f32_e32 v27, 0x33a22168, v12
	v_fmac_f32_e32 v27, 0x3fc90fda, v8
	v_lshrrev_b32_e32 v8, 30, v25
	v_add_f32_e32 v27, v26, v27
	v_add_u32_e32 v26, v33, v8
                                        ; implicit-def: $vgpr12
	s_andn2_saveexec_b64 s[0:1], s[30:31]
	s_cbranch_execnz .LBB248_95
	s_branch .LBB248_96
.LBB248_94:                             ;   in Loop: Header=BB248_4 Depth=1
	s_andn2_saveexec_b64 s[0:1], s[30:31]
.LBB248_95:                             ;   in Loop: Header=BB248_4 Depth=1
	v_cvt_i32_f32_e32 v26, v12
	v_fma_f32 v27, v12, s54, |v10|
	v_fmac_f32_e32 v27, 0xb3a22168, v12
	v_fmac_f32_e32 v27, 0xa7c234c4, v12
.LBB248_96:                             ;   in Loop: Header=BB248_4 Depth=1
	s_or_b64 exec, exec, s[0:1]
	v_mul_f32_e32 v8, v24, v24
	v_mov_b32_e32 v12, 0x3c0881c4
	v_fmac_f32_e32 v12, 0xb94c1982, v8
	v_fma_f32 v12, v8, v12, v17
	v_mul_f32_e32 v12, v8, v12
	v_fmac_f32_e32 v24, v24, v12
	v_mov_b32_e32 v12, 0xbab64f3b
	v_fmac_f32_e32 v12, 0x37d75334, v8
	v_fma_f32 v12, v8, v12, v18
	v_fma_f32 v12, v8, v12, v19
	v_fma_f32 v8, v8, v12, 1.0
	v_and_b32_e32 v12, 1, v9
	v_cmp_eq_u32_e32 vcc, 0, v12
	v_lshlrev_b32_e32 v9, 30, v9
	v_cndmask_b32_e64 v8, -v24, v8, vcc
	v_and_b32_e32 v9, 0x80000000, v9
	v_xor_b32_e32 v8, v9, v8
	v_cmp_class_f32_e64 vcc, v10, s58
	v_cndmask_b32_e32 v12, v23, v8, vcc
	v_mul_f32_e32 v8, v27, v27
	v_mov_b32_e32 v9, 0x3c0881c4
	v_fmac_f32_e32 v9, 0xb94c1982, v8
	v_fma_f32 v9, v8, v9, v17
	v_mul_f32_e32 v9, v8, v9
	v_fmac_f32_e32 v27, v27, v9
	v_mov_b32_e32 v9, 0xbab64f3b
	v_fmac_f32_e32 v9, 0x37d75334, v8
	v_fma_f32 v9, v8, v9, v18
	v_fma_f32 v9, v8, v9, v19
	v_fma_f32 v8, v8, v9, 1.0
	v_and_b32_e32 v9, 1, v26
	v_cmp_eq_u32_e64 s[0:1], 0, v9
	v_lshlrev_b32_e32 v9, 30, v26
	v_cndmask_b32_e64 v8, v8, v27, s[0:1]
	v_and_or_b32 v7, v9, s33, v7
	v_xor_b32_e32 v7, v7, v8
	v_xor_b32_e32 v7, v7, v11
	v_cndmask_b32_e32 v11, v23, v7, vcc
.LBB248_97:                             ;   in Loop: Header=BB248_4 Depth=1
	s_or_b64 exec, exec, s[28:29]
                                        ; implicit-def: $vgpr7_vgpr8_vgpr9_vgpr10
.LBB248_98:                             ;   in Loop: Header=BB248_4 Depth=1
	s_andn2_saveexec_b64 s[0:1], s[26:27]
	s_cbranch_execz .LBB248_100
; %bb.99:                               ;   in Loop: Header=BB248_4 Depth=1
	v_mul_f32_e32 v7, 0xbfb8aa3b, v9
	v_rndne_f32_e32 v8, v7
	v_sub_f32_e32 v10, v7, v8
	v_fma_f32 v7, v9, s55, -v7
	v_fmac_f32_e32 v7, 0xb2a5705f, v9
	v_add_f32_e32 v7, v10, v7
	v_cvt_i32_f32_e32 v8, v8
	v_exp_f32_e32 v7, v7
	v_cmp_nlt_f32_e32 vcc, s56, v9
	v_ldexp_f32 v7, v7, v8
	v_cndmask_b32_e32 v7, 0, v7, vcc
	v_cmp_ngt_f32_e32 vcc, s57, v9
	v_cndmask_b32_e32 v12, v22, v7, vcc
.LBB248_100:                            ;   in Loop: Header=BB248_4 Depth=1
	s_or_b64 exec, exec, s[0:1]
	v_add_f32_e32 v10, s14, v12
	v_add_f32_e32 v9, s15, v11
	v_cmp_gt_f32_e32 vcc, 0, v10
	v_cndmask_b32_e64 v11, v10, -v10, vcc
	v_cmp_gt_f32_e32 vcc, 0, v9
	v_cndmask_b32_e64 v12, v9, -v9, vcc
	v_cmp_ge_f32_e32 vcc, v11, v12
	s_and_saveexec_b64 s[0:1], vcc
	s_xor_b64 s[2:3], exec, s[0:1]
	s_cbranch_execz .LBB248_106
; %bb.101:                              ;   in Loop: Header=BB248_4 Depth=1
	v_cmp_neq_f32_e32 vcc, 0, v10
	v_cmp_neq_f32_e64 s[0:1], 0, v9
	s_or_b64 s[0:1], vcc, s[0:1]
	s_and_saveexec_b64 s[6:7], s[0:1]
	s_xor_b64 s[0:1], exec, s[6:7]
	s_cbranch_execz .LBB248_103
; %bb.102:                              ;   in Loop: Header=BB248_4 Depth=1
	v_div_scale_f32 v7, s[6:7], v10, v10, v9
	v_div_scale_f32 v8, vcc, v9, v10, v9
	v_rcp_f32_e32 v11, v7
	v_fma_f32 v12, -v7, v11, 1.0
	v_fmac_f32_e32 v11, v12, v11
	v_mul_f32_e32 v12, v8, v11
	v_fma_f32 v24, -v7, v12, v8
	v_fmac_f32_e32 v12, v24, v11
	v_fma_f32 v7, -v7, v12, v8
	v_div_fmas_f32 v7, v7, v11, v12
	v_div_fixup_f32 v7, v7, v10, v9
	v_fmac_f32_e32 v10, v9, v7
	v_div_scale_f32 v8, s[6:7], v10, v10, 1.0
	v_div_scale_f32 v9, vcc, 1.0, v10, 1.0
	v_rcp_f32_e32 v11, v8
	v_fma_f32 v12, -v8, v11, 1.0
	v_fmac_f32_e32 v11, v12, v11
	v_mul_f32_e32 v12, v9, v11
	v_fma_f32 v24, -v8, v12, v9
	v_fmac_f32_e32 v12, v24, v11
	v_fma_f32 v8, -v8, v12, v9
	v_div_fmas_f32 v8, v8, v11, v12
	v_mov_b32_e32 v9, s14
	v_mov_b32_e32 v11, s15
	v_fma_f32 v9, s15, v7, v9
	v_fma_f32 v11, -v7, s14, v11
                                        ; implicit-def: $vgpr12
	v_div_fixup_f32 v8, v8, v10, 1.0
	v_mul_f32_e32 v7, v9, v8
	v_mul_f32_e32 v8, v11, v8
                                        ; implicit-def: $vgpr11
.LBB248_103:                            ;   in Loop: Header=BB248_4 Depth=1
	s_andn2_saveexec_b64 s[6:7], s[0:1]
	s_cbranch_execz .LBB248_105
; %bb.104:                              ;   in Loop: Header=BB248_4 Depth=1
	v_div_scale_f32 v7, s[0:1], v11, v11, s14
	v_div_scale_f32 v8, s[0:1], v12, v12, s15
	v_div_scale_f32 v9, vcc, s14, v11, s14
	v_div_scale_f32 v10, s[0:1], s15, v12, s15
	v_rcp_f32_e32 v24, v7
	v_rcp_f32_e32 v25, v8
	v_fma_f32 v26, -v7, v24, 1.0
	v_fmac_f32_e32 v24, v26, v24
	v_fma_f32 v27, -v8, v25, 1.0
	v_fmac_f32_e32 v25, v27, v25
	v_mul_f32_e32 v26, v9, v24
	v_mul_f32_e32 v27, v10, v25
	v_fma_f32 v28, -v7, v26, v9
	v_fma_f32 v29, -v8, v27, v10
	v_fmac_f32_e32 v26, v28, v24
	v_fmac_f32_e32 v27, v29, v25
	v_fma_f32 v7, -v7, v26, v9
	v_fma_f32 v8, -v8, v27, v10
	v_div_fmas_f32 v7, v7, v24, v26
	s_mov_b64 vcc, s[0:1]
	v_div_fmas_f32 v8, v8, v25, v27
	v_div_fixup_f32 v7, v7, v11, s14
	v_div_fixup_f32 v8, v8, v12, s15
.LBB248_105:                            ;   in Loop: Header=BB248_4 Depth=1
	s_or_b64 exec, exec, s[6:7]
                                        ; implicit-def: $vgpr9
                                        ; implicit-def: $vgpr10
.LBB248_106:                            ;   in Loop: Header=BB248_4 Depth=1
	s_andn2_saveexec_b64 s[0:1], s[2:3]
	s_cbranch_execz .LBB248_108
; %bb.107:                              ;   in Loop: Header=BB248_4 Depth=1
	v_div_scale_f32 v7, s[2:3], v9, v9, v10
	v_div_scale_f32 v8, vcc, v10, v9, v10
	v_rcp_f32_e32 v11, v7
	v_fma_f32 v12, -v7, v11, 1.0
	v_fmac_f32_e32 v11, v12, v11
	v_mul_f32_e32 v12, v8, v11
	v_fma_f32 v24, -v7, v12, v8
	v_fmac_f32_e32 v12, v24, v11
	v_fma_f32 v7, -v7, v12, v8
	v_div_fmas_f32 v7, v7, v11, v12
	v_div_fixup_f32 v7, v7, v9, v10
	v_fmac_f32_e32 v9, v10, v7
	v_div_scale_f32 v8, s[2:3], v9, v9, 1.0
	v_div_scale_f32 v10, vcc, 1.0, v9, 1.0
	v_rcp_f32_e32 v11, v8
	v_fma_f32 v12, -v8, v11, 1.0
	v_fmac_f32_e32 v11, v12, v11
	v_mul_f32_e32 v12, v10, v11
	v_fma_f32 v24, -v8, v12, v10
	v_fmac_f32_e32 v12, v24, v11
	v_fma_f32 v8, -v8, v12, v10
	v_div_fmas_f32 v8, v8, v11, v12
	v_mov_b32_e32 v10, s15
	v_mov_b32_e32 v11, s14
	v_fma_f32 v10, s14, v7, v10
	v_fma_f32 v11, v7, s15, -v11
	v_div_fixup_f32 v8, v8, v9, 1.0
	v_mul_f32_e32 v7, v10, v8
	v_mul_f32_e32 v8, v11, v8
.LBB248_108:                            ;   in Loop: Header=BB248_4 Depth=1
	s_or_b64 exec, exec, s[0:1]
	s_waitcnt vmcnt(0)
	v_and_b32_e32 v10, 0x7fffffff, v2
	v_xor_b32_e32 v9, 0x80000000, v2
	v_cmp_ne_u32_e32 vcc, 0, v10
                                        ; implicit-def: $vgpr11
	s_and_saveexec_b64 s[0:1], vcc
	s_xor_b64 s[26:27], exec, s[0:1]
	s_cbranch_execz .LBB248_150
; %bb.109:                              ;   in Loop: Header=BB248_4 Depth=1
	v_and_b32_e32 v24, 0x7fffffff, v1
	v_cmp_ne_u32_e32 vcc, 0, v24
                                        ; implicit-def: $vgpr11
	s_and_saveexec_b64 s[0:1], vcc
	s_xor_b64 s[28:29], exec, s[0:1]
	s_cbranch_execz .LBB248_139
; %bb.110:                              ;   in Loop: Header=BB248_4 Depth=1
	v_xor_b32_e32 v12, 0x80000000, v1
	v_cmp_gt_u32_e32 vcc, s42, v10
                                        ; implicit-def: $vgpr11
	s_and_saveexec_b64 s[0:1], vcc
	s_xor_b64 s[30:31], exec, s[0:1]
	s_cbranch_execz .LBB248_132
; %bb.111:                              ;   in Loop: Header=BB248_4 Depth=1
	v_add_u32_e32 v11, 0xbd4e8de8, v12
	v_cmp_lt_u32_e32 vcc, s43, v11
                                        ; implicit-def: $vgpr11
	s_and_saveexec_b64 s[0:1], vcc
	s_xor_b64 s[34:35], exec, s[0:1]
	s_cbranch_execz .LBB248_121
; %bb.112:                              ;   in Loop: Header=BB248_4 Depth=1
	v_cmp_nlt_f32_e64 s[36:37], |v2|, s44
                                        ; implicit-def: $vgpr11
                                        ; implicit-def: $vgpr24
	s_and_saveexec_b64 s[0:1], s[36:37]
	s_xor_b64 s[38:39], exec, s[0:1]
	s_cbranch_execz .LBB248_114
; %bb.113:                              ;   in Loop: Header=BB248_4 Depth=1
	v_and_b32_e32 v11, 0x7fffff, v10
	v_or_b32_e32 v30, 0x800000, v11
	v_mad_u64_u32 v[11:12], s[0:1], v30, s45, 0
	v_mad_u64_u32 v[24:25], s[0:1], v30, s46, v[12:13]
	v_mov_b32_e32 v12, v25
	v_mad_u64_u32 v[25:26], s[0:1], v30, s47, v[12:13]
	v_mov_b32_e32 v12, v26
	v_mad_u64_u32 v[26:27], s[0:1], v30, s48, v[12:13]
	v_lshrrev_b32_e32 v12, 23, v10
	v_add_u32_e32 v29, 0xffffff88, v12
	v_mov_b32_e32 v12, v27
	v_mad_u64_u32 v[27:28], s[0:1], v30, s49, v[12:13]
	v_cmp_lt_u32_e32 vcc, 63, v29
	v_cndmask_b32_e32 v12, 0, v20, vcc
	v_add_u32_e32 v31, v12, v29
	v_mov_b32_e32 v12, v28
	v_mad_u64_u32 v[28:29], s[0:1], v30, s50, v[12:13]
	v_cmp_lt_u32_e64 s[0:1], 31, v31
	v_cndmask_b32_e64 v12, 0, v21, s[0:1]
	v_add_u32_e32 v31, v12, v31
	v_mov_b32_e32 v12, v29
	v_mad_u64_u32 v[29:30], s[2:3], v30, s51, v[12:13]
	v_cmp_lt_u32_e64 s[2:3], 31, v31
	v_cndmask_b32_e64 v12, 0, v21, s[2:3]
	v_add_u32_e32 v12, v12, v31
	v_cndmask_b32_e32 v31, v28, v26, vcc
	v_cndmask_b32_e32 v29, v29, v27, vcc
	;; [unrolled: 1-line block ×4, first 2 shown]
	v_cndmask_b32_e64 v30, v29, v31, s[0:1]
	v_cndmask_b32_e64 v28, v28, v29, s[0:1]
	v_cndmask_b32_e64 v29, v31, v27, s[0:1]
	v_cndmask_b32_e32 v24, v26, v24, vcc
	v_cndmask_b32_e64 v28, v28, v30, s[2:3]
	v_cndmask_b32_e64 v30, v30, v29, s[2:3]
	v_sub_u32_e32 v31, 32, v12
	v_cndmask_b32_e64 v26, v27, v24, s[0:1]
	v_alignbit_b32 v32, v28, v30, v31
	v_cmp_eq_u32_e64 s[6:7], 0, v12
	v_cndmask_b32_e64 v27, v29, v26, s[2:3]
	v_cndmask_b32_e64 v12, v32, v28, s[6:7]
	v_alignbit_b32 v28, v30, v27, v31
	v_cndmask_b32_e32 v11, v25, v11, vcc
	v_cndmask_b32_e64 v28, v28, v30, s[6:7]
	v_bfe_u32 v32, v12, 29, 1
	v_cndmask_b32_e64 v11, v24, v11, s[0:1]
	v_alignbit_b32 v29, v12, v28, 30
	v_sub_u32_e32 v33, 0, v32
	v_cndmask_b32_e64 v11, v26, v11, s[2:3]
	v_xor_b32_e32 v29, v29, v33
	v_alignbit_b32 v24, v27, v11, v31
	v_cndmask_b32_e64 v24, v24, v27, s[6:7]
	v_ffbh_u32_e32 v26, v29
	v_alignbit_b32 v25, v28, v24, 30
	v_min_u32_e32 v26, 32, v26
	v_alignbit_b32 v11, v24, v11, 30
	v_xor_b32_e32 v25, v25, v33
	v_sub_u32_e32 v27, 31, v26
	v_xor_b32_e32 v11, v11, v33
	v_alignbit_b32 v28, v29, v25, v27
	v_alignbit_b32 v11, v25, v11, v27
	;; [unrolled: 1-line block ×3, first 2 shown]
	v_ffbh_u32_e32 v25, v24
	v_min_u32_e32 v25, 32, v25
	v_lshrrev_b32_e32 v30, 29, v12
	v_not_b32_e32 v27, v25
	v_alignbit_b32 v11, v24, v11, v27
	v_lshlrev_b32_e32 v24, 31, v30
	v_or_b32_e32 v27, 0x33000000, v24
	v_add_lshl_u32 v25, v25, v26, 23
	v_lshrrev_b32_e32 v11, 9, v11
	v_sub_u32_e32 v25, v27, v25
	v_or_b32_e32 v24, 0.5, v24
	v_lshlrev_b32_e32 v26, 23, v26
	v_or_b32_e32 v11, v25, v11
	v_lshrrev_b32_e32 v25, 9, v28
	v_sub_u32_e32 v24, v24, v26
	v_or_b32_e32 v24, v25, v24
	v_mul_f32_e32 v25, 0x3fc90fda, v24
	v_fma_f32 v26, v24, s52, -v25
	v_fmac_f32_e32 v26, 0x33a22168, v24
	v_fmac_f32_e32 v26, 0x3fc90fda, v11
	v_lshrrev_b32_e32 v11, 30, v12
	v_add_f32_e32 v24, v25, v26
	v_add_u32_e32 v11, v32, v11
	s_andn2_saveexec_b64 s[0:1], s[38:39]
	s_branch .LBB248_115
.LBB248_114:                            ;   in Loop: Header=BB248_4 Depth=1
	s_andn2_saveexec_b64 s[0:1], s[38:39]
.LBB248_115:                            ;   in Loop: Header=BB248_4 Depth=1
	v_mul_f32_e64 v11, |v2|, s53
	v_rndne_f32_e32 v12, v11
	v_cvt_i32_f32_e32 v11, v12
	v_fma_f32 v24, v12, s54, |v2|
	v_fmac_f32_e32 v24, 0xb3a22168, v12
	v_fmac_f32_e32 v24, 0xa7c234c4, v12
; %bb.116:                              ;   in Loop: Header=BB248_4 Depth=1
	s_or_b64 exec, exec, s[0:1]
                                        ; implicit-def: $vgpr12
                                        ; implicit-def: $vgpr25
	s_and_saveexec_b64 s[0:1], s[36:37]
	s_xor_b64 s[36:37], exec, s[0:1]
	s_cbranch_execz .LBB248_118
; %bb.117:                              ;   in Loop: Header=BB248_4 Depth=1
	v_and_b32_e32 v12, 0x7fffff, v10
	v_or_b32_e32 v32, 0x800000, v12
	v_mad_u64_u32 v[25:26], s[0:1], v32, s45, 0
	v_mov_b32_e32 v12, v26
	v_mad_u64_u32 v[26:27], s[0:1], v32, s46, v[12:13]
	v_mov_b32_e32 v12, v27
	;; [unrolled: 2-line block ×3, first 2 shown]
	v_mad_u64_u32 v[28:29], s[0:1], v32, s48, v[12:13]
	v_lshrrev_b32_e32 v12, 23, v10
	v_add_u32_e32 v31, 0xffffff88, v12
	v_mov_b32_e32 v12, v29
	v_mad_u64_u32 v[29:30], s[0:1], v32, s49, v[12:13]
	v_cmp_lt_u32_e32 vcc, 63, v31
	v_cndmask_b32_e32 v12, 0, v20, vcc
	v_add_u32_e32 v33, v12, v31
	v_mov_b32_e32 v12, v30
	v_mad_u64_u32 v[30:31], s[0:1], v32, s50, v[12:13]
	v_cmp_lt_u32_e64 s[0:1], 31, v33
	v_cndmask_b32_e64 v12, 0, v21, s[0:1]
	v_add_u32_e32 v33, v12, v33
	v_mov_b32_e32 v12, v31
	v_mad_u64_u32 v[31:32], s[2:3], v32, s51, v[12:13]
	v_cmp_lt_u32_e64 s[2:3], 31, v33
	v_cndmask_b32_e64 v12, 0, v21, s[2:3]
	v_add_u32_e32 v12, v12, v33
	v_cndmask_b32_e32 v33, v30, v28, vcc
	v_cndmask_b32_e32 v31, v31, v29, vcc
	;; [unrolled: 1-line block ×4, first 2 shown]
	v_cndmask_b32_e64 v32, v31, v33, s[0:1]
	v_cndmask_b32_e64 v30, v30, v31, s[0:1]
	;; [unrolled: 1-line block ×3, first 2 shown]
	v_cndmask_b32_e32 v26, v28, v26, vcc
	v_cndmask_b32_e64 v30, v30, v32, s[2:3]
	v_cndmask_b32_e64 v32, v32, v31, s[2:3]
	v_sub_u32_e32 v33, 32, v12
	v_cndmask_b32_e64 v28, v29, v26, s[0:1]
	v_alignbit_b32 v34, v30, v32, v33
	v_cmp_eq_u32_e64 s[6:7], 0, v12
	v_cndmask_b32_e64 v29, v31, v28, s[2:3]
	v_cndmask_b32_e64 v12, v34, v30, s[6:7]
	v_alignbit_b32 v30, v32, v29, v33
	v_cndmask_b32_e32 v25, v27, v25, vcc
	v_cndmask_b32_e64 v30, v30, v32, s[6:7]
	v_bfe_u32 v34, v12, 29, 1
	v_cndmask_b32_e64 v25, v26, v25, s[0:1]
	v_alignbit_b32 v31, v12, v30, 30
	v_sub_u32_e32 v35, 0, v34
	v_cndmask_b32_e64 v25, v28, v25, s[2:3]
	v_xor_b32_e32 v31, v31, v35
	v_alignbit_b32 v26, v29, v25, v33
	v_cndmask_b32_e64 v26, v26, v29, s[6:7]
	v_ffbh_u32_e32 v28, v31
	v_alignbit_b32 v27, v30, v26, 30
	v_min_u32_e32 v28, 32, v28
	v_alignbit_b32 v25, v26, v25, 30
	v_xor_b32_e32 v27, v27, v35
	v_sub_u32_e32 v29, 31, v28
	v_xor_b32_e32 v25, v25, v35
	v_alignbit_b32 v30, v31, v27, v29
	v_alignbit_b32 v25, v27, v25, v29
	v_alignbit_b32 v26, v30, v25, 9
	v_ffbh_u32_e32 v27, v26
	v_min_u32_e32 v27, 32, v27
	v_lshrrev_b32_e32 v32, 29, v12
	v_not_b32_e32 v29, v27
	v_alignbit_b32 v25, v26, v25, v29
	v_lshlrev_b32_e32 v26, 31, v32
	v_or_b32_e32 v29, 0x33000000, v26
	v_add_lshl_u32 v27, v27, v28, 23
	v_lshrrev_b32_e32 v25, 9, v25
	v_sub_u32_e32 v27, v29, v27
	v_or_b32_e32 v26, 0.5, v26
	v_lshlrev_b32_e32 v28, 23, v28
	v_or_b32_e32 v25, v27, v25
	v_lshrrev_b32_e32 v27, 9, v30
	v_sub_u32_e32 v26, v26, v28
	v_or_b32_e32 v26, v27, v26
	v_mul_f32_e32 v27, 0x3fc90fda, v26
	v_fma_f32 v28, v26, s52, -v27
	v_fmac_f32_e32 v28, 0x33a22168, v26
	v_fmac_f32_e32 v28, 0x3fc90fda, v25
	v_lshrrev_b32_e32 v12, 30, v12
	v_add_f32_e32 v25, v27, v28
	v_add_u32_e32 v12, v34, v12
	s_andn2_saveexec_b64 s[0:1], s[36:37]
	s_cbranch_execnz .LBB248_119
	s_branch .LBB248_120
.LBB248_118:                            ;   in Loop: Header=BB248_4 Depth=1
	s_andn2_saveexec_b64 s[0:1], s[36:37]
.LBB248_119:                            ;   in Loop: Header=BB248_4 Depth=1
	v_mul_f32_e64 v12, |v2|, s53
	v_rndne_f32_e32 v26, v12
	v_cvt_i32_f32_e32 v12, v26
	v_fma_f32 v25, v26, s54, |v2|
	v_fmac_f32_e32 v25, 0xb3a22168, v26
	v_fmac_f32_e32 v25, 0xa7c234c4, v26
.LBB248_120:                            ;   in Loop: Header=BB248_4 Depth=1
	s_or_b64 exec, exec, s[0:1]
	v_mul_f32_e32 v26, 0xbfb8aa3b, v1
	v_rndne_f32_e32 v27, v26
	v_sub_f32_e32 v28, v26, v27
	v_fma_f32 v26, v1, s55, -v26
	v_fmac_f32_e32 v26, 0xb2a5705f, v1
	v_add_f32_e32 v26, v28, v26
	v_cvt_i32_f32_e32 v27, v27
	v_exp_f32_e32 v26, v26
	v_mov_b32_e32 v28, 0x3c0881c4
	v_cmp_nlt_f32_e32 vcc, s56, v1
	v_ldexp_f32 v26, v26, v27
	v_mul_f32_e32 v27, v24, v24
	v_fmac_f32_e32 v28, 0xb94c1982, v27
	v_fma_f32 v28, v27, v28, v17
	v_mul_f32_e32 v28, v27, v28
	v_fmac_f32_e32 v24, v24, v28
	v_mov_b32_e32 v28, 0xbab64f3b
	v_fmac_f32_e32 v28, 0x37d75334, v27
	v_fma_f32 v28, v27, v28, v18
	v_fma_f32 v28, v27, v28, v19
	v_cndmask_b32_e32 v26, 0, v26, vcc
	v_cmp_ngt_f32_e32 vcc, s57, v1
	v_fma_f32 v27, v27, v28, 1.0
	v_and_b32_e32 v28, 1, v11
	v_cndmask_b32_e32 v26, v22, v26, vcc
	v_cmp_eq_u32_e32 vcc, 0, v28
	v_lshlrev_b32_e32 v11, 30, v11
	v_cndmask_b32_e64 v24, -v24, v27, vcc
	v_and_b32_e32 v11, 0x80000000, v11
	v_xor_b32_e32 v11, v11, v24
	v_mul_f32_e32 v24, v25, v25
	v_mov_b32_e32 v27, 0x3c0881c4
	v_fmac_f32_e32 v27, 0xb94c1982, v24
	v_fma_f32 v27, v24, v27, v17
	v_mul_f32_e32 v27, v24, v27
	v_fmac_f32_e32 v25, v25, v27
	v_mov_b32_e32 v27, 0xbab64f3b
	v_fmac_f32_e32 v27, 0x37d75334, v24
	v_fma_f32 v27, v24, v27, v18
	v_fma_f32 v27, v24, v27, v19
	v_fma_f32 v24, v24, v27, 1.0
	v_and_b32_e32 v27, 1, v12
	v_cmp_eq_u32_e64 s[0:1], 0, v27
	v_lshlrev_b32_e32 v12, 30, v12
	v_cndmask_b32_e64 v24, v24, v25, s[0:1]
	v_and_or_b32 v10, v12, s33, v10
	v_xor_b32_e32 v10, v10, v24
	v_cmp_class_f32_e64 vcc, v2, s58
	v_xor_b32_e32 v9, v10, v9
	v_cndmask_b32_e32 v11, v23, v11, vcc
	v_cndmask_b32_e32 v9, v23, v9, vcc
	v_mul_f32_e32 v11, v26, v11
	v_mul_f32_e32 v9, v26, v9
                                        ; implicit-def: $vgpr10
.LBB248_121:                            ;   in Loop: Header=BB248_4 Depth=1
	s_andn2_saveexec_b64 s[34:35], s[34:35]
	s_cbranch_execz .LBB248_131
; %bb.122:                              ;   in Loop: Header=BB248_4 Depth=1
	v_cmp_nlt_f32_e64 s[36:37], |v2|, s44
                                        ; implicit-def: $vgpr24
                                        ; implicit-def: $vgpr11
	s_and_saveexec_b64 s[0:1], s[36:37]
	s_xor_b64 s[38:39], exec, s[0:1]
	s_cbranch_execz .LBB248_124
; %bb.123:                              ;   in Loop: Header=BB248_4 Depth=1
	v_and_b32_e32 v11, 0x7fffff, v10
	v_or_b32_e32 v30, 0x800000, v11
	v_mad_u64_u32 v[11:12], s[0:1], v30, s45, 0
	v_mad_u64_u32 v[24:25], s[0:1], v30, s46, v[12:13]
	v_mov_b32_e32 v12, v25
	v_mad_u64_u32 v[25:26], s[0:1], v30, s47, v[12:13]
	v_mov_b32_e32 v12, v26
	v_mad_u64_u32 v[26:27], s[0:1], v30, s48, v[12:13]
	v_lshrrev_b32_e32 v12, 23, v10
	v_add_u32_e32 v29, 0xffffff88, v12
	v_mov_b32_e32 v12, v27
	v_mad_u64_u32 v[27:28], s[0:1], v30, s49, v[12:13]
	v_cmp_lt_u32_e32 vcc, 63, v29
	v_cndmask_b32_e32 v12, 0, v20, vcc
	v_add_u32_e32 v31, v12, v29
	v_mov_b32_e32 v12, v28
	v_mad_u64_u32 v[28:29], s[0:1], v30, s50, v[12:13]
	v_cmp_lt_u32_e64 s[0:1], 31, v31
	v_cndmask_b32_e64 v12, 0, v21, s[0:1]
	v_add_u32_e32 v31, v12, v31
	v_mov_b32_e32 v12, v29
	v_mad_u64_u32 v[29:30], s[2:3], v30, s51, v[12:13]
	v_cmp_lt_u32_e64 s[2:3], 31, v31
	v_cndmask_b32_e64 v12, 0, v21, s[2:3]
	v_add_u32_e32 v12, v12, v31
	v_cndmask_b32_e32 v31, v28, v26, vcc
	v_cndmask_b32_e32 v29, v29, v27, vcc
	;; [unrolled: 1-line block ×4, first 2 shown]
	v_cndmask_b32_e64 v30, v29, v31, s[0:1]
	v_cndmask_b32_e64 v28, v28, v29, s[0:1]
	;; [unrolled: 1-line block ×3, first 2 shown]
	v_cndmask_b32_e32 v24, v26, v24, vcc
	v_cndmask_b32_e64 v28, v28, v30, s[2:3]
	v_cndmask_b32_e64 v30, v30, v29, s[2:3]
	v_sub_u32_e32 v31, 32, v12
	v_cndmask_b32_e64 v26, v27, v24, s[0:1]
	v_alignbit_b32 v32, v28, v30, v31
	v_cmp_eq_u32_e64 s[6:7], 0, v12
	v_cndmask_b32_e64 v27, v29, v26, s[2:3]
	v_cndmask_b32_e64 v12, v32, v28, s[6:7]
	v_alignbit_b32 v28, v30, v27, v31
	v_cndmask_b32_e32 v11, v25, v11, vcc
	v_cndmask_b32_e64 v28, v28, v30, s[6:7]
	v_bfe_u32 v32, v12, 29, 1
	v_cndmask_b32_e64 v11, v24, v11, s[0:1]
	v_alignbit_b32 v29, v12, v28, 30
	v_sub_u32_e32 v33, 0, v32
	v_cndmask_b32_e64 v11, v26, v11, s[2:3]
	v_xor_b32_e32 v29, v29, v33
	v_alignbit_b32 v24, v27, v11, v31
	v_cndmask_b32_e64 v24, v24, v27, s[6:7]
	v_ffbh_u32_e32 v26, v29
	v_alignbit_b32 v25, v28, v24, 30
	v_min_u32_e32 v26, 32, v26
	v_alignbit_b32 v11, v24, v11, 30
	v_xor_b32_e32 v25, v25, v33
	v_sub_u32_e32 v27, 31, v26
	v_xor_b32_e32 v11, v11, v33
	v_alignbit_b32 v28, v29, v25, v27
	v_alignbit_b32 v11, v25, v11, v27
	;; [unrolled: 1-line block ×3, first 2 shown]
	v_ffbh_u32_e32 v25, v24
	v_min_u32_e32 v25, 32, v25
	v_lshrrev_b32_e32 v30, 29, v12
	v_not_b32_e32 v27, v25
	v_alignbit_b32 v11, v24, v11, v27
	v_lshlrev_b32_e32 v24, 31, v30
	v_or_b32_e32 v27, 0x33000000, v24
	v_add_lshl_u32 v25, v25, v26, 23
	v_lshrrev_b32_e32 v11, 9, v11
	v_sub_u32_e32 v25, v27, v25
	v_or_b32_e32 v24, 0.5, v24
	v_lshlrev_b32_e32 v26, 23, v26
	v_or_b32_e32 v11, v25, v11
	v_lshrrev_b32_e32 v25, 9, v28
	v_sub_u32_e32 v24, v24, v26
	v_or_b32_e32 v24, v25, v24
	v_mul_f32_e32 v25, 0x3fc90fda, v24
	v_fma_f32 v26, v24, s52, -v25
	v_fmac_f32_e32 v26, 0x33a22168, v24
	v_fmac_f32_e32 v26, 0x3fc90fda, v11
	v_lshrrev_b32_e32 v12, 30, v12
	v_add_f32_e32 v11, v25, v26
	v_add_u32_e32 v24, v32, v12
	s_andn2_saveexec_b64 s[0:1], s[38:39]
	s_branch .LBB248_125
.LBB248_124:                            ;   in Loop: Header=BB248_4 Depth=1
	s_andn2_saveexec_b64 s[0:1], s[38:39]
.LBB248_125:                            ;   in Loop: Header=BB248_4 Depth=1
	v_mul_f32_e64 v11, |v2|, s53
	v_rndne_f32_e32 v12, v11
	v_cvt_i32_f32_e32 v24, v12
	v_fma_f32 v11, v12, s54, |v2|
	v_fmac_f32_e32 v11, 0xb3a22168, v12
	v_fmac_f32_e32 v11, 0xa7c234c4, v12
; %bb.126:                              ;   in Loop: Header=BB248_4 Depth=1
	s_or_b64 exec, exec, s[0:1]
                                        ; implicit-def: $vgpr12
                                        ; implicit-def: $vgpr25
	s_and_saveexec_b64 s[0:1], s[36:37]
	s_xor_b64 s[36:37], exec, s[0:1]
	s_cbranch_execz .LBB248_128
; %bb.127:                              ;   in Loop: Header=BB248_4 Depth=1
	v_and_b32_e32 v12, 0x7fffff, v10
	v_or_b32_e32 v32, 0x800000, v12
	v_mad_u64_u32 v[25:26], s[0:1], v32, s45, 0
	v_mov_b32_e32 v12, v26
	v_mad_u64_u32 v[26:27], s[0:1], v32, s46, v[12:13]
	v_mov_b32_e32 v12, v27
	;; [unrolled: 2-line block ×3, first 2 shown]
	v_mad_u64_u32 v[28:29], s[0:1], v32, s48, v[12:13]
	v_lshrrev_b32_e32 v12, 23, v10
	v_add_u32_e32 v31, 0xffffff88, v12
	v_mov_b32_e32 v12, v29
	v_mad_u64_u32 v[29:30], s[0:1], v32, s49, v[12:13]
	v_cmp_lt_u32_e32 vcc, 63, v31
	v_cndmask_b32_e32 v12, 0, v20, vcc
	v_add_u32_e32 v33, v12, v31
	v_mov_b32_e32 v12, v30
	v_mad_u64_u32 v[30:31], s[0:1], v32, s50, v[12:13]
	v_cmp_lt_u32_e64 s[0:1], 31, v33
	v_cndmask_b32_e64 v12, 0, v21, s[0:1]
	v_add_u32_e32 v33, v12, v33
	v_mov_b32_e32 v12, v31
	v_mad_u64_u32 v[31:32], s[2:3], v32, s51, v[12:13]
	v_cmp_lt_u32_e64 s[2:3], 31, v33
	v_cndmask_b32_e64 v12, 0, v21, s[2:3]
	v_add_u32_e32 v12, v12, v33
	v_cndmask_b32_e32 v33, v30, v28, vcc
	v_cndmask_b32_e32 v31, v31, v29, vcc
	;; [unrolled: 1-line block ×4, first 2 shown]
	v_cndmask_b32_e64 v32, v31, v33, s[0:1]
	v_cndmask_b32_e64 v30, v30, v31, s[0:1]
	;; [unrolled: 1-line block ×3, first 2 shown]
	v_cndmask_b32_e32 v26, v28, v26, vcc
	v_cndmask_b32_e64 v30, v30, v32, s[2:3]
	v_cndmask_b32_e64 v32, v32, v31, s[2:3]
	v_sub_u32_e32 v33, 32, v12
	v_cndmask_b32_e64 v28, v29, v26, s[0:1]
	v_alignbit_b32 v34, v30, v32, v33
	v_cmp_eq_u32_e64 s[6:7], 0, v12
	v_cndmask_b32_e64 v29, v31, v28, s[2:3]
	v_cndmask_b32_e64 v12, v34, v30, s[6:7]
	v_alignbit_b32 v30, v32, v29, v33
	v_cndmask_b32_e32 v25, v27, v25, vcc
	v_cndmask_b32_e64 v30, v30, v32, s[6:7]
	v_bfe_u32 v34, v12, 29, 1
	v_cndmask_b32_e64 v25, v26, v25, s[0:1]
	v_alignbit_b32 v31, v12, v30, 30
	v_sub_u32_e32 v35, 0, v34
	v_cndmask_b32_e64 v25, v28, v25, s[2:3]
	v_xor_b32_e32 v31, v31, v35
	v_alignbit_b32 v26, v29, v25, v33
	v_cndmask_b32_e64 v26, v26, v29, s[6:7]
	v_ffbh_u32_e32 v28, v31
	v_alignbit_b32 v27, v30, v26, 30
	v_min_u32_e32 v28, 32, v28
	v_alignbit_b32 v25, v26, v25, 30
	v_xor_b32_e32 v27, v27, v35
	v_sub_u32_e32 v29, 31, v28
	v_xor_b32_e32 v25, v25, v35
	v_alignbit_b32 v30, v31, v27, v29
	v_alignbit_b32 v25, v27, v25, v29
	;; [unrolled: 1-line block ×3, first 2 shown]
	v_ffbh_u32_e32 v27, v26
	v_min_u32_e32 v27, 32, v27
	v_lshrrev_b32_e32 v32, 29, v12
	v_not_b32_e32 v29, v27
	v_alignbit_b32 v25, v26, v25, v29
	v_lshlrev_b32_e32 v26, 31, v32
	v_or_b32_e32 v29, 0x33000000, v26
	v_add_lshl_u32 v27, v27, v28, 23
	v_lshrrev_b32_e32 v25, 9, v25
	v_sub_u32_e32 v27, v29, v27
	v_or_b32_e32 v26, 0.5, v26
	v_lshlrev_b32_e32 v28, 23, v28
	v_or_b32_e32 v25, v27, v25
	v_lshrrev_b32_e32 v27, 9, v30
	v_sub_u32_e32 v26, v26, v28
	v_or_b32_e32 v26, v27, v26
	v_mul_f32_e32 v27, 0x3fc90fda, v26
	v_fma_f32 v28, v26, s52, -v27
	v_fmac_f32_e32 v28, 0x33a22168, v26
	v_fmac_f32_e32 v28, 0x3fc90fda, v25
	v_lshrrev_b32_e32 v12, 30, v12
	v_add_f32_e32 v25, v27, v28
	v_add_u32_e32 v12, v34, v12
	s_andn2_saveexec_b64 s[0:1], s[36:37]
	s_cbranch_execnz .LBB248_129
	s_branch .LBB248_130
.LBB248_128:                            ;   in Loop: Header=BB248_4 Depth=1
	s_andn2_saveexec_b64 s[0:1], s[36:37]
.LBB248_129:                            ;   in Loop: Header=BB248_4 Depth=1
	v_mul_f32_e64 v12, |v2|, s53
	v_rndne_f32_e32 v26, v12
	v_cvt_i32_f32_e32 v12, v26
	v_fma_f32 v25, v26, s54, |v2|
	v_fmac_f32_e32 v25, 0xb3a22168, v26
	v_fmac_f32_e32 v25, 0xa7c234c4, v26
.LBB248_130:                            ;   in Loop: Header=BB248_4 Depth=1
	s_or_b64 exec, exec, s[0:1]
	v_mul_f32_e32 v27, v11, v11
	v_mov_b32_e32 v28, 0xbab64f3b
	v_fmac_f32_e32 v28, 0x37d75334, v27
	v_mov_b32_e32 v29, 0x3c0881c4
	v_fma_f32 v28, v27, v28, v18
	v_fmac_f32_e32 v29, 0xb94c1982, v27
	v_lshlrev_b32_e32 v26, 30, v24
	v_and_b32_e32 v24, 1, v24
	v_fma_f32 v28, v27, v28, v19
	v_fma_f32 v29, v27, v29, v17
	v_fma_f32 v28, v27, v28, 1.0
	v_mul_f32_e32 v27, v27, v29
	v_cmp_eq_u32_e32 vcc, 0, v24
	v_sub_f32_e32 v24, 0xc322e3bc, v1
	v_fmac_f32_e32 v11, v11, v27
	v_mul_f32_e32 v27, 0x3fb8aa3b, v24
	v_cndmask_b32_e64 v11, -v11, v28, vcc
	v_fma_f32 v28, v24, s59, -v27
	v_rndne_f32_e32 v29, v27
	v_fmac_f32_e32 v28, 0x32a5705f, v24
	v_sub_f32_e32 v27, v27, v29
	v_add_f32_e32 v27, v27, v28
	v_exp_f32_e32 v27, v27
	v_cvt_i32_f32_e32 v28, v29
	v_and_b32_e32 v26, 0x80000000, v26
	v_xor_b32_e32 v11, v26, v11
	v_cmp_ngt_f32_e64 s[0:1], s60, v24
	v_ldexp_f32 v26, v27, v28
	v_cndmask_b32_e64 v26, 0, v26, s[0:1]
	v_cmp_nlt_f32_e64 s[0:1], s61, v24
	v_cndmask_b32_e64 v24, v22, v26, s[0:1]
	v_and_b32_e32 v26, 0x7fffff, v24
	v_lshrrev_b32_e32 v24, 23, v24
	v_subrev_u32_e32 v24, 19, v24
	v_lshrrev_b16_e32 v27, 15, v24
	v_add_u16_e32 v27, v24, v27
	v_ashrrev_i16_e32 v27, 1, v27
	v_bfe_i32 v27, v27, 0, 16
	v_lshl_add_u32 v28, v27, 23, 1.0
	v_sub_u32_e32 v24, v24, v27
	v_mul_f32_e32 v27, v25, v25
	v_mov_b32_e32 v29, 0x3c0881c4
	v_fmac_f32_e32 v29, 0xb94c1982, v27
	v_fma_f32 v29, v27, v29, v17
	v_mul_f32_e32 v29, v27, v29
	v_fmac_f32_e32 v25, v25, v29
	v_mov_b32_e32 v29, 0xbab64f3b
	v_fmac_f32_e32 v29, 0x37d75334, v27
	v_fma_f32 v29, v27, v29, v18
	v_fma_f32 v29, v27, v29, v19
	v_fma_f32 v27, v27, v29, 1.0
	v_and_b32_e32 v29, 1, v12
	v_cmp_eq_u32_e64 s[0:1], 0, v29
	v_lshlrev_b32_e32 v12, 30, v12
	v_cndmask_b32_e64 v25, v27, v25, s[0:1]
	v_and_or_b32 v10, v12, s33, v10
	v_xor_b32_e32 v10, v10, v25
	v_cmp_class_f32_e64 vcc, v2, s58
	v_xor_b32_e32 v9, v10, v9
	v_cndmask_b32_e32 v11, v23, v11, vcc
	v_or_b32_e32 v26, 0x7f000000, v26
	v_cndmask_b32_e32 v9, v23, v9, vcc
	v_mul_f32_e32 v11, v11, v26
	v_mul_f32_e32 v9, v9, v26
	;; [unrolled: 1-line block ×3, first 2 shown]
	v_lshl_add_u32 v24, v24, 23, 1.0
	v_mul_f32_e32 v9, v9, v28
	v_mul_f32_e32 v11, v11, v24
	;; [unrolled: 1-line block ×3, first 2 shown]
.LBB248_131:                            ;   in Loop: Header=BB248_4 Depth=1
	s_or_b64 exec, exec, s[34:35]
                                        ; implicit-def: $vgpr12
                                        ; implicit-def: $vgpr24
.LBB248_132:                            ;   in Loop: Header=BB248_4 Depth=1
	s_andn2_saveexec_b64 s[0:1], s[30:31]
	s_cbranch_execz .LBB248_138
; %bb.133:                              ;   in Loop: Header=BB248_4 Depth=1
	v_cmp_ne_u32_e32 vcc, s42, v24
	v_sub_f32_e32 v9, v2, v2
	s_and_saveexec_b64 s[2:3], vcc
	s_xor_b64 s[2:3], exec, s[2:3]
; %bb.134:                              ;   in Loop: Header=BB248_4 Depth=1
                                        ; implicit-def: $vgpr12
; %bb.135:                              ;   in Loop: Header=BB248_4 Depth=1
	s_or_saveexec_b64 s[2:3], s[2:3]
	v_mov_b32_e32 v11, v9
	s_xor_b64 exec, exec, s[2:3]
; %bb.136:                              ;   in Loop: Header=BB248_4 Depth=1
	v_cmp_lt_i32_e32 vcc, -1, v12
	v_cndmask_b32_e64 v11, 0, -v1, vcc
	v_cndmask_b32_e32 v9, 0, v9, vcc
; %bb.137:                              ;   in Loop: Header=BB248_4 Depth=1
	s_or_b64 exec, exec, s[2:3]
.LBB248_138:                            ;   in Loop: Header=BB248_4 Depth=1
	s_or_b64 exec, exec, s[0:1]
                                        ; implicit-def: $vgpr10
.LBB248_139:                            ;   in Loop: Header=BB248_4 Depth=1
	s_andn2_saveexec_b64 s[28:29], s[28:29]
	s_cbranch_execz .LBB248_149
; %bb.140:                              ;   in Loop: Header=BB248_4 Depth=1
	v_lshrrev_b32_e32 v11, 23, v10
	v_and_b32_e32 v12, 0x7fffff, v10
	v_cmp_nlt_f32_e64 s[30:31], |v2|, s44
	v_add_u32_e32 v26, 0xffffff88, v11
	v_or_b32_e32 v11, 0x800000, v12
                                        ; implicit-def: $vgpr24
                                        ; implicit-def: $vgpr25
	s_and_saveexec_b64 s[0:1], s[30:31]
	s_xor_b64 s[34:35], exec, s[0:1]
	s_cbranch_execz .LBB248_142
; %bb.141:                              ;   in Loop: Header=BB248_4 Depth=1
	v_mad_u64_u32 v[24:25], s[0:1], v11, s45, 0
	v_cmp_lt_u32_e32 vcc, 63, v26
	v_mov_b32_e32 v12, v25
	v_mad_u64_u32 v[27:28], s[0:1], v11, s46, v[12:13]
	v_mov_b32_e32 v12, v28
	v_mad_u64_u32 v[28:29], s[0:1], v11, s47, v[12:13]
	;; [unrolled: 2-line block ×3, first 2 shown]
	v_cndmask_b32_e32 v12, 0, v20, vcc
	v_add_u32_e32 v25, v12, v26
	v_mov_b32_e32 v12, v30
	v_mad_u64_u32 v[30:31], s[0:1], v11, s49, v[12:13]
	v_cmp_lt_u32_e64 s[0:1], 31, v25
	v_cndmask_b32_e64 v12, 0, v21, s[0:1]
	v_add_u32_e32 v25, v12, v25
	v_mov_b32_e32 v12, v31
	v_mad_u64_u32 v[31:32], s[2:3], v11, s50, v[12:13]
	v_cmp_lt_u32_e64 s[2:3], 31, v25
	v_cndmask_b32_e64 v12, 0, v21, s[2:3]
	v_add_u32_e32 v25, v12, v25
	v_mov_b32_e32 v12, v32
	v_mad_u64_u32 v[32:33], s[6:7], v11, s51, v[12:13]
	v_cndmask_b32_e32 v12, v30, v28, vcc
	v_cndmask_b32_e32 v34, v31, v29, vcc
	;; [unrolled: 1-line block ×4, first 2 shown]
	v_cndmask_b32_e64 v35, v34, v12, s[0:1]
	v_cndmask_b32_e64 v32, v30, v34, s[0:1]
	;; [unrolled: 1-line block ×5, first 2 shown]
	v_sub_u32_e32 v32, 32, v25
	v_cmp_eq_u32_e64 s[6:7], 0, v25
	v_cndmask_b32_e32 v25, v29, v27, vcc
	v_cndmask_b32_e64 v12, v12, v25, s[0:1]
	v_alignbit_b32 v33, v30, v31, v32
	v_cndmask_b32_e64 v27, v35, v12, s[2:3]
	v_cndmask_b32_e64 v30, v33, v30, s[6:7]
	v_alignbit_b32 v29, v31, v27, v32
	v_cndmask_b32_e32 v24, v28, v24, vcc
	v_cndmask_b32_e64 v29, v29, v31, s[6:7]
	v_bfe_u32 v34, v30, 29, 1
	v_cndmask_b32_e64 v24, v25, v24, s[0:1]
	v_alignbit_b32 v31, v30, v29, 30
	v_sub_u32_e32 v35, 0, v34
	v_cndmask_b32_e64 v12, v12, v24, s[2:3]
	v_xor_b32_e32 v31, v31, v35
	v_alignbit_b32 v24, v27, v12, v32
	v_cndmask_b32_e64 v24, v24, v27, s[6:7]
	v_ffbh_u32_e32 v27, v31
	v_alignbit_b32 v25, v29, v24, 30
	v_min_u32_e32 v27, 32, v27
	v_alignbit_b32 v12, v24, v12, 30
	v_xor_b32_e32 v25, v25, v35
	v_sub_u32_e32 v28, 31, v27
	v_xor_b32_e32 v12, v12, v35
	v_alignbit_b32 v29, v31, v25, v28
	v_alignbit_b32 v12, v25, v12, v28
	;; [unrolled: 1-line block ×3, first 2 shown]
	v_ffbh_u32_e32 v25, v24
	v_min_u32_e32 v25, 32, v25
	v_lshrrev_b32_e32 v33, 29, v30
	v_not_b32_e32 v28, v25
	v_alignbit_b32 v12, v24, v12, v28
	v_lshlrev_b32_e32 v24, 31, v33
	v_or_b32_e32 v28, 0x33000000, v24
	v_add_lshl_u32 v25, v25, v27, 23
	v_lshrrev_b32_e32 v12, 9, v12
	v_sub_u32_e32 v25, v28, v25
	v_or_b32_e32 v24, 0.5, v24
	v_lshlrev_b32_e32 v27, 23, v27
	v_or_b32_e32 v12, v25, v12
	v_lshrrev_b32_e32 v25, 9, v29
	v_sub_u32_e32 v24, v24, v27
	v_or_b32_e32 v24, v25, v24
	v_mul_f32_e32 v25, 0x3fc90fda, v24
	v_fma_f32 v27, v24, s52, -v25
	v_fmac_f32_e32 v27, 0x33a22168, v24
	v_fmac_f32_e32 v27, 0x3fc90fda, v12
	v_lshrrev_b32_e32 v12, 30, v30
	v_add_f32_e32 v25, v25, v27
	v_add_u32_e32 v24, v34, v12
.LBB248_142:                            ;   in Loop: Header=BB248_4 Depth=1
	s_or_saveexec_b64 s[0:1], s[34:35]
	v_mul_f32_e64 v12, |v2|, s53
	v_rndne_f32_e32 v28, v12
	s_xor_b64 exec, exec, s[0:1]
; %bb.143:                              ;   in Loop: Header=BB248_4 Depth=1
	v_cvt_i32_f32_e32 v24, v28
	v_fma_f32 v25, v28, s54, |v2|
	v_fmac_f32_e32 v25, 0xb3a22168, v28
	v_fmac_f32_e32 v25, 0xa7c234c4, v28
; %bb.144:                              ;   in Loop: Header=BB248_4 Depth=1
	s_or_b64 exec, exec, s[0:1]
                                        ; implicit-def: $vgpr12
                                        ; implicit-def: $vgpr27
	s_and_saveexec_b64 s[0:1], s[30:31]
	s_xor_b64 s[30:31], exec, s[0:1]
	s_cbranch_execz .LBB248_146
; %bb.145:                              ;   in Loop: Header=BB248_4 Depth=1
	v_mad_u64_u32 v[27:28], s[0:1], v11, s45, 0
	v_cmp_lt_u32_e32 vcc, 63, v26
	v_mov_b32_e32 v12, v28
	v_mad_u64_u32 v[28:29], s[0:1], v11, s46, v[12:13]
	v_mov_b32_e32 v12, v29
	v_mad_u64_u32 v[29:30], s[0:1], v11, s47, v[12:13]
	;; [unrolled: 2-line block ×3, first 2 shown]
	v_cndmask_b32_e32 v12, 0, v20, vcc
	v_add_u32_e32 v26, v12, v26
	v_mov_b32_e32 v12, v31
	v_mad_u64_u32 v[31:32], s[0:1], v11, s49, v[12:13]
	v_cmp_lt_u32_e64 s[0:1], 31, v26
	v_cndmask_b32_e64 v12, 0, v21, s[0:1]
	v_add_u32_e32 v26, v12, v26
	v_mov_b32_e32 v12, v32
	v_mad_u64_u32 v[32:33], s[2:3], v11, s50, v[12:13]
	v_cmp_lt_u32_e64 s[2:3], 31, v26
	v_cndmask_b32_e64 v12, 0, v21, s[2:3]
	v_add_u32_e32 v26, v12, v26
	v_mov_b32_e32 v12, v33
	v_mad_u64_u32 v[11:12], s[6:7], v11, s51, v[12:13]
	v_cndmask_b32_e32 v33, v31, v29, vcc
	v_cndmask_b32_e32 v34, v32, v30, vcc
	v_cndmask_b32_e32 v11, v11, v31, vcc
	v_cndmask_b32_e32 v12, v12, v32, vcc
	v_cndmask_b32_e64 v35, v34, v33, s[0:1]
	v_cndmask_b32_e64 v31, v11, v34, s[0:1]
	;; [unrolled: 1-line block ×5, first 2 shown]
	v_sub_u32_e32 v31, 32, v26
	v_cmp_eq_u32_e64 s[6:7], 0, v26
	v_cndmask_b32_e32 v26, v30, v28, vcc
	v_cndmask_b32_e64 v28, v33, v26, s[0:1]
	v_alignbit_b32 v32, v11, v12, v31
	v_cndmask_b32_e64 v30, v35, v28, s[2:3]
	v_cndmask_b32_e64 v11, v32, v11, s[6:7]
	v_alignbit_b32 v32, v12, v30, v31
	v_cndmask_b32_e32 v27, v29, v27, vcc
	v_cndmask_b32_e64 v12, v32, v12, s[6:7]
	v_bfe_u32 v34, v11, 29, 1
	v_cndmask_b32_e64 v26, v26, v27, s[0:1]
	v_alignbit_b32 v32, v11, v12, 30
	v_sub_u32_e32 v35, 0, v34
	v_cndmask_b32_e64 v26, v28, v26, s[2:3]
	v_xor_b32_e32 v32, v32, v35
	v_alignbit_b32 v27, v30, v26, v31
	v_cndmask_b32_e64 v27, v27, v30, s[6:7]
	v_ffbh_u32_e32 v28, v32
	v_alignbit_b32 v12, v12, v27, 30
	v_min_u32_e32 v28, 32, v28
	v_alignbit_b32 v26, v27, v26, 30
	v_xor_b32_e32 v12, v12, v35
	v_sub_u32_e32 v29, 31, v28
	v_xor_b32_e32 v26, v26, v35
	v_alignbit_b32 v30, v32, v12, v29
	v_alignbit_b32 v12, v12, v26, v29
	;; [unrolled: 1-line block ×3, first 2 shown]
	v_ffbh_u32_e32 v27, v26
	v_min_u32_e32 v27, 32, v27
	v_lshrrev_b32_e32 v33, 29, v11
	v_not_b32_e32 v29, v27
	v_alignbit_b32 v12, v26, v12, v29
	v_lshlrev_b32_e32 v26, 31, v33
	v_or_b32_e32 v29, 0x33000000, v26
	v_add_lshl_u32 v27, v27, v28, 23
	v_lshrrev_b32_e32 v12, 9, v12
	v_sub_u32_e32 v27, v29, v27
	v_or_b32_e32 v26, 0.5, v26
	v_lshlrev_b32_e32 v28, 23, v28
	v_or_b32_e32 v12, v27, v12
	v_lshrrev_b32_e32 v27, 9, v30
	v_sub_u32_e32 v26, v26, v28
	v_or_b32_e32 v26, v27, v26
	v_mul_f32_e32 v27, 0x3fc90fda, v26
	v_fma_f32 v28, v26, s52, -v27
	v_fmac_f32_e32 v28, 0x33a22168, v26
	v_fmac_f32_e32 v28, 0x3fc90fda, v12
	v_lshrrev_b32_e32 v11, 30, v11
	v_add_f32_e32 v27, v27, v28
	v_add_u32_e32 v12, v34, v11
                                        ; implicit-def: $vgpr28
	s_andn2_saveexec_b64 s[0:1], s[30:31]
	s_cbranch_execnz .LBB248_147
	s_branch .LBB248_148
.LBB248_146:                            ;   in Loop: Header=BB248_4 Depth=1
	s_andn2_saveexec_b64 s[0:1], s[30:31]
.LBB248_147:                            ;   in Loop: Header=BB248_4 Depth=1
	v_cvt_i32_f32_e32 v12, v28
	v_fma_f32 v27, v28, s54, |v2|
	v_fmac_f32_e32 v27, 0xb3a22168, v28
	v_fmac_f32_e32 v27, 0xa7c234c4, v28
.LBB248_148:                            ;   in Loop: Header=BB248_4 Depth=1
	s_or_b64 exec, exec, s[0:1]
	v_mul_f32_e32 v11, v25, v25
	v_mov_b32_e32 v26, 0x3c0881c4
	v_fmac_f32_e32 v26, 0xb94c1982, v11
	v_fma_f32 v26, v11, v26, v17
	v_mul_f32_e32 v26, v11, v26
	v_fmac_f32_e32 v25, v25, v26
	v_mov_b32_e32 v26, 0xbab64f3b
	v_fmac_f32_e32 v26, 0x37d75334, v11
	v_fma_f32 v26, v11, v26, v18
	v_fma_f32 v26, v11, v26, v19
	v_fma_f32 v11, v11, v26, 1.0
	v_and_b32_e32 v26, 1, v24
	v_cmp_eq_u32_e32 vcc, 0, v26
	v_lshlrev_b32_e32 v24, 30, v24
	v_cndmask_b32_e64 v11, -v25, v11, vcc
	v_and_b32_e32 v24, 0x80000000, v24
	v_xor_b32_e32 v11, v24, v11
	v_cmp_class_f32_e64 vcc, v2, s58
	v_mul_f32_e32 v2, v27, v27
	v_mov_b32_e32 v24, 0x3c0881c4
	v_fmac_f32_e32 v24, 0xb94c1982, v2
	v_fma_f32 v24, v2, v24, v17
	v_mul_f32_e32 v24, v2, v24
	v_fmac_f32_e32 v27, v27, v24
	v_mov_b32_e32 v24, 0xbab64f3b
	v_fmac_f32_e32 v24, 0x37d75334, v2
	v_fma_f32 v24, v2, v24, v18
	v_fma_f32 v24, v2, v24, v19
	v_fma_f32 v2, v2, v24, 1.0
	v_and_b32_e32 v24, 1, v12
	v_cmp_eq_u32_e64 s[0:1], 0, v24
	v_lshlrev_b32_e32 v12, 30, v12
	v_cndmask_b32_e64 v2, v2, v27, s[0:1]
	v_and_or_b32 v10, v12, s33, v10
	v_xor_b32_e32 v2, v10, v2
	v_xor_b32_e32 v2, v2, v9
	v_cndmask_b32_e32 v11, v23, v11, vcc
	v_cndmask_b32_e32 v9, v23, v2, vcc
.LBB248_149:                            ;   in Loop: Header=BB248_4 Depth=1
	s_or_b64 exec, exec, s[28:29]
.LBB248_150:                            ;   in Loop: Header=BB248_4 Depth=1
	s_andn2_saveexec_b64 s[0:1], s[26:27]
	s_cbranch_execz .LBB248_152
; %bb.151:                              ;   in Loop: Header=BB248_4 Depth=1
	v_mul_f32_e32 v2, 0xbfb8aa3b, v1
	v_rndne_f32_e32 v10, v2
	v_sub_f32_e32 v11, v2, v10
	v_fma_f32 v2, v1, s55, -v2
	v_fmac_f32_e32 v2, 0xb2a5705f, v1
	v_add_f32_e32 v2, v11, v2
	v_cvt_i32_f32_e32 v10, v10
	v_exp_f32_e32 v2, v2
	v_cmp_nlt_f32_e32 vcc, s56, v1
	v_ldexp_f32 v2, v2, v10
	v_cndmask_b32_e32 v2, 0, v2, vcc
	v_cmp_ngt_f32_e32 vcc, s57, v1
	v_cndmask_b32_e32 v11, v22, v2, vcc
.LBB248_152:                            ;   in Loop: Header=BB248_4 Depth=1
	s_or_b64 exec, exec, s[0:1]
	v_add_f32_e32 v2, s14, v11
	v_add_f32_e32 v1, s15, v9
	v_cmp_gt_f32_e32 vcc, 0, v2
	v_cndmask_b32_e64 v11, v2, -v2, vcc
	v_cmp_gt_f32_e32 vcc, 0, v1
	v_cndmask_b32_e64 v12, v1, -v1, vcc
	v_cmp_ge_f32_e32 vcc, v11, v12
                                        ; implicit-def: $vgpr10
	s_and_saveexec_b64 s[0:1], vcc
	s_xor_b64 s[2:3], exec, s[0:1]
	s_cbranch_execz .LBB248_158
; %bb.153:                              ;   in Loop: Header=BB248_4 Depth=1
	v_cmp_neq_f32_e32 vcc, 0, v2
	v_cmp_neq_f32_e64 s[0:1], 0, v1
	s_or_b64 s[0:1], vcc, s[0:1]
                                        ; implicit-def: $vgpr10
	s_and_saveexec_b64 s[6:7], s[0:1]
	s_xor_b64 s[0:1], exec, s[6:7]
	s_cbranch_execz .LBB248_155
; %bb.154:                              ;   in Loop: Header=BB248_4 Depth=1
	v_div_scale_f32 v9, s[6:7], v2, v2, v1
	v_div_scale_f32 v10, vcc, v1, v2, v1
	v_rcp_f32_e32 v11, v9
	v_fma_f32 v12, -v9, v11, 1.0
	v_fmac_f32_e32 v11, v12, v11
	v_mul_f32_e32 v12, v10, v11
	v_fma_f32 v24, -v9, v12, v10
	v_fmac_f32_e32 v12, v24, v11
	v_fma_f32 v9, -v9, v12, v10
	v_div_fmas_f32 v9, v9, v11, v12
	v_div_fixup_f32 v9, v9, v2, v1
	v_fmac_f32_e32 v2, v1, v9
	v_div_scale_f32 v1, s[6:7], v2, v2, 1.0
	v_div_scale_f32 v10, vcc, 1.0, v2, 1.0
	v_rcp_f32_e32 v11, v1
	v_fma_f32 v12, -v1, v11, 1.0
	v_fmac_f32_e32 v11, v12, v11
	v_mul_f32_e32 v12, v10, v11
	v_fma_f32 v24, -v1, v12, v10
	v_fmac_f32_e32 v12, v24, v11
	v_fma_f32 v1, -v1, v12, v10
	v_div_fmas_f32 v1, v1, v11, v12
	v_mov_b32_e32 v10, s14
	v_mov_b32_e32 v11, s15
	v_fma_f32 v10, s15, v9, v10
	v_fma_f32 v11, -v9, s14, v11
                                        ; implicit-def: $vgpr12
	v_div_fixup_f32 v1, v1, v2, 1.0
	v_mul_f32_e32 v9, v10, v1
	v_mul_f32_e32 v10, v11, v1
                                        ; implicit-def: $vgpr11
.LBB248_155:                            ;   in Loop: Header=BB248_4 Depth=1
	s_andn2_saveexec_b64 s[6:7], s[0:1]
	s_cbranch_execz .LBB248_157
; %bb.156:                              ;   in Loop: Header=BB248_4 Depth=1
	v_div_scale_f32 v1, s[0:1], v11, v11, s14
	v_div_scale_f32 v2, s[0:1], v12, v12, s15
	v_div_scale_f32 v9, vcc, s14, v11, s14
	v_div_scale_f32 v10, s[0:1], s15, v12, s15
	v_rcp_f32_e32 v24, v1
	v_rcp_f32_e32 v25, v2
	v_fma_f32 v26, -v1, v24, 1.0
	v_fmac_f32_e32 v24, v26, v24
	v_fma_f32 v27, -v2, v25, 1.0
	v_fmac_f32_e32 v25, v27, v25
	v_mul_f32_e32 v26, v9, v24
	v_mul_f32_e32 v27, v10, v25
	v_fma_f32 v28, -v1, v26, v9
	v_fma_f32 v29, -v2, v27, v10
	v_fmac_f32_e32 v26, v28, v24
	v_fmac_f32_e32 v27, v29, v25
	v_fma_f32 v1, -v1, v26, v9
	v_fma_f32 v2, -v2, v27, v10
	v_div_fmas_f32 v1, v1, v24, v26
	s_mov_b64 vcc, s[0:1]
	v_div_fmas_f32 v2, v2, v25, v27
	v_div_fixup_f32 v9, v1, v11, s14
	v_div_fixup_f32 v10, v2, v12, s15
.LBB248_157:                            ;   in Loop: Header=BB248_4 Depth=1
	s_or_b64 exec, exec, s[6:7]
                                        ; implicit-def: $vgpr1
                                        ; implicit-def: $vgpr2
.LBB248_158:                            ;   in Loop: Header=BB248_4 Depth=1
	s_andn2_saveexec_b64 s[0:1], s[2:3]
	s_cbranch_execz .LBB248_160
; %bb.159:                              ;   in Loop: Header=BB248_4 Depth=1
	v_div_scale_f32 v9, s[2:3], v1, v1, v2
	v_div_scale_f32 v10, vcc, v2, v1, v2
	v_rcp_f32_e32 v11, v9
	v_fma_f32 v12, -v9, v11, 1.0
	v_fmac_f32_e32 v11, v12, v11
	v_mul_f32_e32 v12, v10, v11
	v_fma_f32 v24, -v9, v12, v10
	v_fmac_f32_e32 v12, v24, v11
	v_fma_f32 v9, -v9, v12, v10
	v_div_fmas_f32 v9, v9, v11, v12
	v_div_fixup_f32 v9, v9, v1, v2
	v_fmac_f32_e32 v1, v2, v9
	v_div_scale_f32 v2, s[2:3], v1, v1, 1.0
	v_div_scale_f32 v10, vcc, 1.0, v1, 1.0
	v_rcp_f32_e32 v11, v2
	v_fma_f32 v12, -v2, v11, 1.0
	v_fmac_f32_e32 v11, v12, v11
	v_mul_f32_e32 v12, v10, v11
	v_fma_f32 v24, -v2, v12, v10
	v_fmac_f32_e32 v12, v24, v11
	v_fma_f32 v2, -v2, v12, v10
	v_div_fmas_f32 v2, v2, v11, v12
	v_mov_b32_e32 v10, s15
	v_mov_b32_e32 v11, s14
	v_fma_f32 v10, s14, v9, v10
	v_fma_f32 v11, v9, s15, -v11
	v_div_fixup_f32 v1, v2, v1, 1.0
	v_mul_f32_e32 v9, v10, v1
	v_mul_f32_e32 v10, v11, v1
.LBB248_160:                            ;   in Loop: Header=BB248_4 Depth=1
	s_or_b64 exec, exec, s[0:1]
	v_and_b32_e32 v1, 0x7fffffff, v4
	v_xor_b32_e32 v11, 0x80000000, v4
	v_cmp_ne_u32_e32 vcc, 0, v1
                                        ; implicit-def: $vgpr12
	s_and_saveexec_b64 s[0:1], vcc
	s_xor_b64 s[26:27], exec, s[0:1]
	s_cbranch_execz .LBB248_202
; %bb.161:                              ;   in Loop: Header=BB248_4 Depth=1
	v_and_b32_e32 v2, 0x7fffffff, v3
	v_cmp_ne_u32_e32 vcc, 0, v2
                                        ; implicit-def: $vgpr12
	s_and_saveexec_b64 s[0:1], vcc
	s_xor_b64 s[28:29], exec, s[0:1]
	s_cbranch_execz .LBB248_191
; %bb.162:                              ;   in Loop: Header=BB248_4 Depth=1
	v_xor_b32_e32 v24, 0x80000000, v3
	v_cmp_gt_u32_e32 vcc, s42, v1
                                        ; implicit-def: $vgpr12
	s_and_saveexec_b64 s[0:1], vcc
	s_xor_b64 s[30:31], exec, s[0:1]
	s_cbranch_execz .LBB248_184
; %bb.163:                              ;   in Loop: Header=BB248_4 Depth=1
	v_add_u32_e32 v2, 0xbd4e8de8, v24
	v_cmp_lt_u32_e32 vcc, s43, v2
                                        ; implicit-def: $vgpr12
	s_and_saveexec_b64 s[0:1], vcc
	s_xor_b64 s[34:35], exec, s[0:1]
	s_cbranch_execz .LBB248_173
; %bb.164:                              ;   in Loop: Header=BB248_4 Depth=1
	v_cmp_nlt_f32_e64 s[36:37], |v4|, s44
                                        ; implicit-def: $vgpr2
                                        ; implicit-def: $vgpr24
	s_and_saveexec_b64 s[0:1], s[36:37]
	s_xor_b64 s[38:39], exec, s[0:1]
	s_cbranch_execz .LBB248_166
; %bb.165:                              ;   in Loop: Header=BB248_4 Depth=1
	v_and_b32_e32 v2, 0x7fffff, v1
	v_or_b32_e32 v2, 0x800000, v2
	v_mad_u64_u32 v[24:25], s[0:1], v2, s45, 0
	v_mov_b32_e32 v12, v25
	v_mad_u64_u32 v[25:26], s[0:1], v2, s46, v[12:13]
	v_mov_b32_e32 v12, v26
	;; [unrolled: 2-line block ×3, first 2 shown]
	v_mad_u64_u32 v[27:28], s[0:1], v2, s48, v[12:13]
	v_lshrrev_b32_e32 v12, 23, v1
	v_add_u32_e32 v30, 0xffffff88, v12
	v_mov_b32_e32 v12, v28
	v_mad_u64_u32 v[28:29], s[0:1], v2, s49, v[12:13]
	v_cmp_lt_u32_e32 vcc, 63, v30
	v_cndmask_b32_e32 v12, 0, v20, vcc
	v_add_u32_e32 v31, v12, v30
	v_mov_b32_e32 v12, v29
	v_mad_u64_u32 v[29:30], s[0:1], v2, s50, v[12:13]
	v_cmp_lt_u32_e64 s[0:1], 31, v31
	v_cndmask_b32_e64 v12, 0, v21, s[0:1]
	v_add_u32_e32 v32, v12, v31
	v_mov_b32_e32 v12, v30
	v_mad_u64_u32 v[30:31], s[2:3], v2, s51, v[12:13]
	v_cmp_lt_u32_e64 s[2:3], 31, v32
	v_cndmask_b32_e64 v2, 0, v21, s[2:3]
	v_cndmask_b32_e32 v12, v29, v27, vcc
	v_cndmask_b32_e32 v30, v30, v28, vcc
	;; [unrolled: 1-line block ×4, first 2 shown]
	v_add_u32_e32 v2, v2, v32
	v_cndmask_b32_e64 v31, v30, v12, s[0:1]
	v_cndmask_b32_e64 v29, v29, v30, s[0:1]
	;; [unrolled: 1-line block ×3, first 2 shown]
	v_cndmask_b32_e32 v25, v27, v25, vcc
	v_cndmask_b32_e64 v29, v29, v31, s[2:3]
	v_cndmask_b32_e64 v30, v31, v12, s[2:3]
	v_sub_u32_e32 v31, 32, v2
	v_cndmask_b32_e64 v27, v28, v25, s[0:1]
	v_alignbit_b32 v32, v29, v30, v31
	v_cmp_eq_u32_e64 s[6:7], 0, v2
	v_cndmask_b32_e64 v12, v12, v27, s[2:3]
	v_cndmask_b32_e64 v2, v32, v29, s[6:7]
	v_alignbit_b32 v28, v30, v12, v31
	v_cndmask_b32_e32 v24, v26, v24, vcc
	v_cndmask_b32_e64 v28, v28, v30, s[6:7]
	v_bfe_u32 v32, v2, 29, 1
	v_cndmask_b32_e64 v24, v25, v24, s[0:1]
	v_alignbit_b32 v29, v2, v28, 30
	v_sub_u32_e32 v33, 0, v32
	v_cndmask_b32_e64 v24, v27, v24, s[2:3]
	v_xor_b32_e32 v29, v29, v33
	v_alignbit_b32 v25, v12, v24, v31
	v_cndmask_b32_e64 v12, v25, v12, s[6:7]
	v_ffbh_u32_e32 v26, v29
	v_alignbit_b32 v25, v28, v12, 30
	v_min_u32_e32 v26, 32, v26
	v_alignbit_b32 v12, v12, v24, 30
	v_xor_b32_e32 v25, v25, v33
	v_sub_u32_e32 v27, 31, v26
	v_xor_b32_e32 v12, v12, v33
	v_alignbit_b32 v28, v29, v25, v27
	v_alignbit_b32 v12, v25, v12, v27
	;; [unrolled: 1-line block ×3, first 2 shown]
	v_ffbh_u32_e32 v25, v24
	v_min_u32_e32 v25, 32, v25
	v_lshrrev_b32_e32 v30, 29, v2
	v_not_b32_e32 v27, v25
	v_alignbit_b32 v12, v24, v12, v27
	v_lshlrev_b32_e32 v24, 31, v30
	v_or_b32_e32 v27, 0x33000000, v24
	v_add_lshl_u32 v25, v25, v26, 23
	v_lshrrev_b32_e32 v12, 9, v12
	v_sub_u32_e32 v25, v27, v25
	v_or_b32_e32 v24, 0.5, v24
	v_lshlrev_b32_e32 v26, 23, v26
	v_or_b32_e32 v12, v25, v12
	v_lshrrev_b32_e32 v25, 9, v28
	v_sub_u32_e32 v24, v24, v26
	v_or_b32_e32 v24, v25, v24
	v_mul_f32_e32 v25, 0x3fc90fda, v24
	v_fma_f32 v26, v24, s52, -v25
	v_fmac_f32_e32 v26, 0x33a22168, v24
	v_fmac_f32_e32 v26, 0x3fc90fda, v12
	v_lshrrev_b32_e32 v2, 30, v2
	v_add_f32_e32 v24, v25, v26
	v_add_u32_e32 v2, v32, v2
	s_andn2_saveexec_b64 s[0:1], s[38:39]
	s_branch .LBB248_167
.LBB248_166:                            ;   in Loop: Header=BB248_4 Depth=1
	s_andn2_saveexec_b64 s[0:1], s[38:39]
.LBB248_167:                            ;   in Loop: Header=BB248_4 Depth=1
	v_mul_f32_e64 v2, |v4|, s53
	v_rndne_f32_e32 v12, v2
	v_cvt_i32_f32_e32 v2, v12
	v_fma_f32 v24, v12, s54, |v4|
	v_fmac_f32_e32 v24, 0xb3a22168, v12
	v_fmac_f32_e32 v24, 0xa7c234c4, v12
; %bb.168:                              ;   in Loop: Header=BB248_4 Depth=1
	s_or_b64 exec, exec, s[0:1]
                                        ; implicit-def: $vgpr25
                                        ; implicit-def: $vgpr26
	s_and_saveexec_b64 s[0:1], s[36:37]
	s_xor_b64 s[36:37], exec, s[0:1]
	s_cbranch_execz .LBB248_170
; %bb.169:                              ;   in Loop: Header=BB248_4 Depth=1
	v_and_b32_e32 v12, 0x7fffff, v1
	v_or_b32_e32 v32, 0x800000, v12
	v_mad_u64_u32 v[25:26], s[0:1], v32, s45, 0
	v_mov_b32_e32 v12, v26
	v_mad_u64_u32 v[26:27], s[0:1], v32, s46, v[12:13]
	v_mov_b32_e32 v12, v27
	;; [unrolled: 2-line block ×3, first 2 shown]
	v_mad_u64_u32 v[28:29], s[0:1], v32, s48, v[12:13]
	v_lshrrev_b32_e32 v12, 23, v1
	v_add_u32_e32 v31, 0xffffff88, v12
	v_mov_b32_e32 v12, v29
	v_mad_u64_u32 v[29:30], s[0:1], v32, s49, v[12:13]
	v_cmp_lt_u32_e32 vcc, 63, v31
	v_cndmask_b32_e32 v12, 0, v20, vcc
	v_add_u32_e32 v33, v12, v31
	v_mov_b32_e32 v12, v30
	v_mad_u64_u32 v[30:31], s[0:1], v32, s50, v[12:13]
	v_cmp_lt_u32_e64 s[0:1], 31, v33
	v_cndmask_b32_e64 v12, 0, v21, s[0:1]
	v_add_u32_e32 v33, v12, v33
	v_mov_b32_e32 v12, v31
	v_mad_u64_u32 v[31:32], s[2:3], v32, s51, v[12:13]
	v_cmp_lt_u32_e64 s[2:3], 31, v33
	v_cndmask_b32_e64 v12, 0, v21, s[2:3]
	v_add_u32_e32 v12, v12, v33
	v_cndmask_b32_e32 v33, v30, v28, vcc
	v_cndmask_b32_e32 v31, v31, v29, vcc
	;; [unrolled: 1-line block ×4, first 2 shown]
	v_cndmask_b32_e64 v32, v31, v33, s[0:1]
	v_cndmask_b32_e64 v30, v30, v31, s[0:1]
	;; [unrolled: 1-line block ×3, first 2 shown]
	v_cndmask_b32_e32 v26, v28, v26, vcc
	v_cndmask_b32_e64 v30, v30, v32, s[2:3]
	v_cndmask_b32_e64 v32, v32, v31, s[2:3]
	v_sub_u32_e32 v33, 32, v12
	v_cndmask_b32_e64 v28, v29, v26, s[0:1]
	v_alignbit_b32 v34, v30, v32, v33
	v_cmp_eq_u32_e64 s[6:7], 0, v12
	v_cndmask_b32_e64 v29, v31, v28, s[2:3]
	v_cndmask_b32_e64 v12, v34, v30, s[6:7]
	v_alignbit_b32 v30, v32, v29, v33
	v_cndmask_b32_e32 v25, v27, v25, vcc
	v_cndmask_b32_e64 v30, v30, v32, s[6:7]
	v_bfe_u32 v34, v12, 29, 1
	v_cndmask_b32_e64 v25, v26, v25, s[0:1]
	v_alignbit_b32 v31, v12, v30, 30
	v_sub_u32_e32 v35, 0, v34
	v_cndmask_b32_e64 v25, v28, v25, s[2:3]
	v_xor_b32_e32 v31, v31, v35
	v_alignbit_b32 v26, v29, v25, v33
	v_cndmask_b32_e64 v26, v26, v29, s[6:7]
	v_ffbh_u32_e32 v28, v31
	v_alignbit_b32 v27, v30, v26, 30
	v_min_u32_e32 v28, 32, v28
	v_alignbit_b32 v25, v26, v25, 30
	v_xor_b32_e32 v27, v27, v35
	v_sub_u32_e32 v29, 31, v28
	v_xor_b32_e32 v25, v25, v35
	v_alignbit_b32 v30, v31, v27, v29
	v_alignbit_b32 v25, v27, v25, v29
	;; [unrolled: 1-line block ×3, first 2 shown]
	v_ffbh_u32_e32 v27, v26
	v_min_u32_e32 v27, 32, v27
	v_lshrrev_b32_e32 v32, 29, v12
	v_not_b32_e32 v29, v27
	v_alignbit_b32 v25, v26, v25, v29
	v_lshlrev_b32_e32 v26, 31, v32
	v_or_b32_e32 v29, 0x33000000, v26
	v_add_lshl_u32 v27, v27, v28, 23
	v_lshrrev_b32_e32 v25, 9, v25
	v_sub_u32_e32 v27, v29, v27
	v_or_b32_e32 v26, 0.5, v26
	v_lshlrev_b32_e32 v28, 23, v28
	v_or_b32_e32 v25, v27, v25
	v_lshrrev_b32_e32 v27, 9, v30
	v_sub_u32_e32 v26, v26, v28
	v_or_b32_e32 v26, v27, v26
	v_mul_f32_e32 v27, 0x3fc90fda, v26
	v_fma_f32 v28, v26, s52, -v27
	v_fmac_f32_e32 v28, 0x33a22168, v26
	v_fmac_f32_e32 v28, 0x3fc90fda, v25
	v_lshrrev_b32_e32 v12, 30, v12
	v_add_f32_e32 v26, v27, v28
	v_add_u32_e32 v25, v34, v12
	s_andn2_saveexec_b64 s[0:1], s[36:37]
	s_cbranch_execnz .LBB248_171
	s_branch .LBB248_172
.LBB248_170:                            ;   in Loop: Header=BB248_4 Depth=1
	s_andn2_saveexec_b64 s[0:1], s[36:37]
.LBB248_171:                            ;   in Loop: Header=BB248_4 Depth=1
	v_mul_f32_e64 v12, |v4|, s53
	v_rndne_f32_e32 v12, v12
	v_cvt_i32_f32_e32 v25, v12
	v_fma_f32 v26, v12, s54, |v4|
	v_fmac_f32_e32 v26, 0xb3a22168, v12
	v_fmac_f32_e32 v26, 0xa7c234c4, v12
.LBB248_172:                            ;   in Loop: Header=BB248_4 Depth=1
	s_or_b64 exec, exec, s[0:1]
	v_mul_f32_e32 v12, 0xbfb8aa3b, v3
	v_rndne_f32_e32 v27, v12
	v_sub_f32_e32 v28, v12, v27
	v_fma_f32 v12, v3, s55, -v12
	v_fmac_f32_e32 v12, 0xb2a5705f, v3
	v_add_f32_e32 v12, v28, v12
	v_cvt_i32_f32_e32 v27, v27
	v_exp_f32_e32 v12, v12
	v_cmp_nlt_f32_e32 vcc, s56, v3
	v_ldexp_f32 v12, v12, v27
	v_cndmask_b32_e32 v12, 0, v12, vcc
	v_cmp_ngt_f32_e32 vcc, s57, v3
	v_cndmask_b32_e32 v3, v22, v12, vcc
	v_mul_f32_e32 v12, v24, v24
	v_mov_b32_e32 v27, 0x3c0881c4
	v_fmac_f32_e32 v27, 0xb94c1982, v12
	v_fma_f32 v27, v12, v27, v17
	v_mul_f32_e32 v27, v12, v27
	v_fmac_f32_e32 v24, v24, v27
	v_mov_b32_e32 v27, 0xbab64f3b
	v_fmac_f32_e32 v27, 0x37d75334, v12
	v_fma_f32 v27, v12, v27, v18
	v_fma_f32 v27, v12, v27, v19
	v_fma_f32 v12, v12, v27, 1.0
	v_and_b32_e32 v27, 1, v2
	v_cmp_eq_u32_e32 vcc, 0, v27
	v_lshlrev_b32_e32 v2, 30, v2
	v_cndmask_b32_e64 v12, -v24, v12, vcc
	v_and_b32_e32 v2, 0x80000000, v2
	v_xor_b32_e32 v2, v2, v12
	v_cmp_class_f32_e64 vcc, v4, s58
	v_cndmask_b32_e32 v2, v23, v2, vcc
	v_mul_f32_e32 v12, v3, v2
	v_mul_f32_e32 v2, v26, v26
	v_mov_b32_e32 v4, 0x3c0881c4
	v_fmac_f32_e32 v4, 0xb94c1982, v2
	v_fma_f32 v4, v2, v4, v17
	v_mul_f32_e32 v4, v2, v4
	v_fmac_f32_e32 v26, v26, v4
	v_mov_b32_e32 v4, 0xbab64f3b
	v_fmac_f32_e32 v4, 0x37d75334, v2
	v_fma_f32 v4, v2, v4, v18
	v_fma_f32 v4, v2, v4, v19
	v_fma_f32 v2, v2, v4, 1.0
	v_and_b32_e32 v4, 1, v25
	v_cmp_eq_u32_e64 s[0:1], 0, v4
	v_lshlrev_b32_e32 v4, 30, v25
	v_cndmask_b32_e64 v2, v2, v26, s[0:1]
	v_and_or_b32 v1, v4, s33, v1
	v_xor_b32_e32 v1, v1, v2
	v_xor_b32_e32 v1, v1, v11
	v_cndmask_b32_e32 v1, v23, v1, vcc
	v_mul_f32_e32 v11, v3, v1
                                        ; implicit-def: $vgpr1_vgpr2_vgpr3_vgpr4
                                        ; implicit-def: $vgpr1
.LBB248_173:                            ;   in Loop: Header=BB248_4 Depth=1
	s_andn2_saveexec_b64 s[34:35], s[34:35]
	s_cbranch_execz .LBB248_183
; %bb.174:                              ;   in Loop: Header=BB248_4 Depth=1
	v_cmp_nlt_f32_e64 s[36:37], |v4|, s44
                                        ; implicit-def: $vgpr24
                                        ; implicit-def: $vgpr2
	s_and_saveexec_b64 s[0:1], s[36:37]
	s_xor_b64 s[38:39], exec, s[0:1]
	s_cbranch_execz .LBB248_176
; %bb.175:                              ;   in Loop: Header=BB248_4 Depth=1
	v_and_b32_e32 v2, 0x7fffff, v1
	v_or_b32_e32 v2, 0x800000, v2
	v_mad_u64_u32 v[24:25], s[0:1], v2, s45, 0
	v_mov_b32_e32 v12, v25
	v_mad_u64_u32 v[25:26], s[0:1], v2, s46, v[12:13]
	v_mov_b32_e32 v12, v26
	v_mad_u64_u32 v[26:27], s[0:1], v2, s47, v[12:13]
	v_mov_b32_e32 v12, v27
	v_mad_u64_u32 v[27:28], s[0:1], v2, s48, v[12:13]
	v_lshrrev_b32_e32 v12, 23, v1
	v_add_u32_e32 v30, 0xffffff88, v12
	v_mov_b32_e32 v12, v28
	v_mad_u64_u32 v[28:29], s[0:1], v2, s49, v[12:13]
	v_cmp_lt_u32_e32 vcc, 63, v30
	v_cndmask_b32_e32 v12, 0, v20, vcc
	v_add_u32_e32 v31, v12, v30
	v_mov_b32_e32 v12, v29
	v_mad_u64_u32 v[29:30], s[0:1], v2, s50, v[12:13]
	v_cmp_lt_u32_e64 s[0:1], 31, v31
	v_cndmask_b32_e64 v12, 0, v21, s[0:1]
	v_add_u32_e32 v32, v12, v31
	v_mov_b32_e32 v12, v30
	v_mad_u64_u32 v[30:31], s[2:3], v2, s51, v[12:13]
	v_cmp_lt_u32_e64 s[2:3], 31, v32
	v_cndmask_b32_e64 v2, 0, v21, s[2:3]
	v_cndmask_b32_e32 v12, v29, v27, vcc
	v_cndmask_b32_e32 v30, v30, v28, vcc
	;; [unrolled: 1-line block ×4, first 2 shown]
	v_add_u32_e32 v2, v2, v32
	v_cndmask_b32_e64 v31, v30, v12, s[0:1]
	v_cndmask_b32_e64 v29, v29, v30, s[0:1]
	;; [unrolled: 1-line block ×5, first 2 shown]
	v_sub_u32_e32 v31, 32, v2
	v_cmp_eq_u32_e64 s[6:7], 0, v2
	v_cndmask_b32_e32 v2, v27, v25, vcc
	v_cndmask_b32_e64 v25, v28, v2, s[0:1]
	v_alignbit_b32 v32, v29, v30, v31
	v_cndmask_b32_e64 v12, v12, v25, s[2:3]
	v_cndmask_b32_e64 v29, v32, v29, s[6:7]
	v_alignbit_b32 v27, v30, v12, v31
	v_cndmask_b32_e32 v24, v26, v24, vcc
	v_cndmask_b32_e64 v27, v27, v30, s[6:7]
	v_bfe_u32 v32, v29, 29, 1
	v_cndmask_b32_e64 v2, v2, v24, s[0:1]
	v_alignbit_b32 v28, v29, v27, 30
	v_sub_u32_e32 v33, 0, v32
	v_cndmask_b32_e64 v2, v25, v2, s[2:3]
	v_xor_b32_e32 v28, v28, v33
	v_alignbit_b32 v24, v12, v2, v31
	v_cndmask_b32_e64 v12, v24, v12, s[6:7]
	v_ffbh_u32_e32 v25, v28
	v_alignbit_b32 v24, v27, v12, 30
	v_min_u32_e32 v25, 32, v25
	v_alignbit_b32 v2, v12, v2, 30
	v_xor_b32_e32 v24, v24, v33
	v_sub_u32_e32 v26, 31, v25
	v_xor_b32_e32 v2, v2, v33
	v_alignbit_b32 v27, v28, v24, v26
	v_alignbit_b32 v2, v24, v2, v26
	;; [unrolled: 1-line block ×3, first 2 shown]
	v_ffbh_u32_e32 v24, v12
	v_min_u32_e32 v24, 32, v24
	v_lshrrev_b32_e32 v30, 29, v29
	v_not_b32_e32 v26, v24
	v_alignbit_b32 v2, v12, v2, v26
	v_lshlrev_b32_e32 v12, 31, v30
	v_or_b32_e32 v26, 0x33000000, v12
	v_add_lshl_u32 v24, v24, v25, 23
	v_lshrrev_b32_e32 v2, 9, v2
	v_sub_u32_e32 v24, v26, v24
	v_or_b32_e32 v12, 0.5, v12
	v_lshlrev_b32_e32 v25, 23, v25
	v_or_b32_e32 v2, v24, v2
	v_lshrrev_b32_e32 v24, 9, v27
	v_sub_u32_e32 v12, v12, v25
	v_or_b32_e32 v12, v24, v12
	v_mul_f32_e32 v24, 0x3fc90fda, v12
	v_fma_f32 v25, v12, s52, -v24
	v_fmac_f32_e32 v25, 0x33a22168, v12
	v_fmac_f32_e32 v25, 0x3fc90fda, v2
	v_lshrrev_b32_e32 v12, 30, v29
	v_add_f32_e32 v2, v24, v25
	v_add_u32_e32 v24, v32, v12
	s_andn2_saveexec_b64 s[0:1], s[38:39]
	s_branch .LBB248_177
.LBB248_176:                            ;   in Loop: Header=BB248_4 Depth=1
	s_andn2_saveexec_b64 s[0:1], s[38:39]
.LBB248_177:                            ;   in Loop: Header=BB248_4 Depth=1
	v_mul_f32_e64 v2, |v4|, s53
	v_rndne_f32_e32 v12, v2
	v_cvt_i32_f32_e32 v24, v12
	v_fma_f32 v2, v12, s54, |v4|
	v_fmac_f32_e32 v2, 0xb3a22168, v12
	v_fmac_f32_e32 v2, 0xa7c234c4, v12
; %bb.178:                              ;   in Loop: Header=BB248_4 Depth=1
	s_or_b64 exec, exec, s[0:1]
                                        ; implicit-def: $vgpr25
                                        ; implicit-def: $vgpr26
	s_and_saveexec_b64 s[0:1], s[36:37]
	s_xor_b64 s[36:37], exec, s[0:1]
	s_cbranch_execz .LBB248_180
; %bb.179:                              ;   in Loop: Header=BB248_4 Depth=1
	v_and_b32_e32 v12, 0x7fffff, v1
	v_or_b32_e32 v32, 0x800000, v12
	v_mad_u64_u32 v[25:26], s[0:1], v32, s45, 0
	v_mov_b32_e32 v12, v26
	v_mad_u64_u32 v[26:27], s[0:1], v32, s46, v[12:13]
	v_mov_b32_e32 v12, v27
	;; [unrolled: 2-line block ×3, first 2 shown]
	v_mad_u64_u32 v[28:29], s[0:1], v32, s48, v[12:13]
	v_lshrrev_b32_e32 v12, 23, v1
	v_add_u32_e32 v31, 0xffffff88, v12
	v_mov_b32_e32 v12, v29
	v_mad_u64_u32 v[29:30], s[0:1], v32, s49, v[12:13]
	v_cmp_lt_u32_e32 vcc, 63, v31
	v_cndmask_b32_e32 v12, 0, v20, vcc
	v_add_u32_e32 v33, v12, v31
	v_mov_b32_e32 v12, v30
	v_mad_u64_u32 v[30:31], s[0:1], v32, s50, v[12:13]
	v_cmp_lt_u32_e64 s[0:1], 31, v33
	v_cndmask_b32_e64 v12, 0, v21, s[0:1]
	v_add_u32_e32 v33, v12, v33
	v_mov_b32_e32 v12, v31
	v_mad_u64_u32 v[31:32], s[2:3], v32, s51, v[12:13]
	v_cmp_lt_u32_e64 s[2:3], 31, v33
	v_cndmask_b32_e64 v12, 0, v21, s[2:3]
	v_add_u32_e32 v12, v12, v33
	v_cndmask_b32_e32 v33, v30, v28, vcc
	v_cndmask_b32_e32 v31, v31, v29, vcc
	;; [unrolled: 1-line block ×4, first 2 shown]
	v_cndmask_b32_e64 v32, v31, v33, s[0:1]
	v_cndmask_b32_e64 v30, v30, v31, s[0:1]
	;; [unrolled: 1-line block ×3, first 2 shown]
	v_cndmask_b32_e32 v26, v28, v26, vcc
	v_cndmask_b32_e64 v30, v30, v32, s[2:3]
	v_cndmask_b32_e64 v32, v32, v31, s[2:3]
	v_sub_u32_e32 v33, 32, v12
	v_cndmask_b32_e64 v28, v29, v26, s[0:1]
	v_alignbit_b32 v34, v30, v32, v33
	v_cmp_eq_u32_e64 s[6:7], 0, v12
	v_cndmask_b32_e64 v29, v31, v28, s[2:3]
	v_cndmask_b32_e64 v12, v34, v30, s[6:7]
	v_alignbit_b32 v30, v32, v29, v33
	v_cndmask_b32_e32 v25, v27, v25, vcc
	v_cndmask_b32_e64 v30, v30, v32, s[6:7]
	v_bfe_u32 v34, v12, 29, 1
	v_cndmask_b32_e64 v25, v26, v25, s[0:1]
	v_alignbit_b32 v31, v12, v30, 30
	v_sub_u32_e32 v35, 0, v34
	v_cndmask_b32_e64 v25, v28, v25, s[2:3]
	v_xor_b32_e32 v31, v31, v35
	v_alignbit_b32 v26, v29, v25, v33
	v_cndmask_b32_e64 v26, v26, v29, s[6:7]
	v_ffbh_u32_e32 v28, v31
	v_alignbit_b32 v27, v30, v26, 30
	v_min_u32_e32 v28, 32, v28
	v_alignbit_b32 v25, v26, v25, 30
	v_xor_b32_e32 v27, v27, v35
	v_sub_u32_e32 v29, 31, v28
	v_xor_b32_e32 v25, v25, v35
	v_alignbit_b32 v30, v31, v27, v29
	v_alignbit_b32 v25, v27, v25, v29
	;; [unrolled: 1-line block ×3, first 2 shown]
	v_ffbh_u32_e32 v27, v26
	v_min_u32_e32 v27, 32, v27
	v_lshrrev_b32_e32 v32, 29, v12
	v_not_b32_e32 v29, v27
	v_alignbit_b32 v25, v26, v25, v29
	v_lshlrev_b32_e32 v26, 31, v32
	v_or_b32_e32 v29, 0x33000000, v26
	v_add_lshl_u32 v27, v27, v28, 23
	v_lshrrev_b32_e32 v25, 9, v25
	v_sub_u32_e32 v27, v29, v27
	v_or_b32_e32 v26, 0.5, v26
	v_lshlrev_b32_e32 v28, 23, v28
	v_or_b32_e32 v25, v27, v25
	v_lshrrev_b32_e32 v27, 9, v30
	v_sub_u32_e32 v26, v26, v28
	v_or_b32_e32 v26, v27, v26
	v_mul_f32_e32 v27, 0x3fc90fda, v26
	v_fma_f32 v28, v26, s52, -v27
	v_fmac_f32_e32 v28, 0x33a22168, v26
	v_fmac_f32_e32 v28, 0x3fc90fda, v25
	v_lshrrev_b32_e32 v12, 30, v12
	v_add_f32_e32 v26, v27, v28
	v_add_u32_e32 v25, v34, v12
	s_andn2_saveexec_b64 s[0:1], s[36:37]
	s_cbranch_execnz .LBB248_181
	s_branch .LBB248_182
.LBB248_180:                            ;   in Loop: Header=BB248_4 Depth=1
	s_andn2_saveexec_b64 s[0:1], s[36:37]
.LBB248_181:                            ;   in Loop: Header=BB248_4 Depth=1
	v_mul_f32_e64 v12, |v4|, s53
	v_rndne_f32_e32 v12, v12
	v_cvt_i32_f32_e32 v25, v12
	v_fma_f32 v26, v12, s54, |v4|
	v_fmac_f32_e32 v26, 0xb3a22168, v12
	v_fmac_f32_e32 v26, 0xa7c234c4, v12
.LBB248_182:                            ;   in Loop: Header=BB248_4 Depth=1
	s_or_b64 exec, exec, s[0:1]
	v_mul_f32_e32 v27, v2, v2
	v_mov_b32_e32 v28, 0xbab64f3b
	v_fmac_f32_e32 v28, 0x37d75334, v27
	v_mov_b32_e32 v29, 0x3c0881c4
	v_fma_f32 v28, v27, v28, v18
	v_fmac_f32_e32 v29, 0xb94c1982, v27
	v_fma_f32 v28, v27, v28, v19
	v_fma_f32 v29, v27, v29, v17
	v_lshlrev_b32_e32 v12, 30, v24
	v_and_b32_e32 v24, 1, v24
	v_fma_f32 v28, v27, v28, 1.0
	v_mul_f32_e32 v27, v27, v29
	v_sub_f32_e32 v3, 0xc322e3bc, v3
	v_fmac_f32_e32 v2, v2, v27
	v_cmp_eq_u32_e32 vcc, 0, v24
	v_mul_f32_e32 v24, 0x3fb8aa3b, v3
	v_cndmask_b32_e64 v2, -v2, v28, vcc
	v_fma_f32 v27, v3, s59, -v24
	v_rndne_f32_e32 v28, v24
	v_fmac_f32_e32 v27, 0x32a5705f, v3
	v_sub_f32_e32 v24, v24, v28
	v_add_f32_e32 v24, v24, v27
	v_exp_f32_e32 v24, v24
	v_cvt_i32_f32_e32 v27, v28
	v_cmp_class_f32_e64 vcc, v4, s58
	v_cmp_ngt_f32_e64 s[0:1], s60, v3
	v_and_b32_e32 v12, 0x80000000, v12
	v_ldexp_f32 v4, v24, v27
	v_cndmask_b32_e64 v4, 0, v4, s[0:1]
	v_cmp_nlt_f32_e64 s[0:1], s61, v3
	v_cndmask_b32_e64 v3, v22, v4, s[0:1]
	v_and_b32_e32 v4, 0x7fffff, v3
	v_lshrrev_b32_e32 v3, 23, v3
	v_subrev_u32_e32 v3, 19, v3
	v_xor_b32_e32 v2, v12, v2
	v_lshrrev_b16_e32 v12, 15, v3
	v_add_u16_e32 v12, v3, v12
	v_ashrrev_i16_e32 v12, 1, v12
	v_cndmask_b32_e32 v2, v23, v2, vcc
	v_or_b32_e32 v4, 0x7f000000, v4
	v_bfe_i32 v12, v12, 0, 16
	v_mul_f32_e32 v2, v2, v4
	v_lshl_add_u32 v24, v12, 23, 1.0
	v_sub_u32_e32 v3, v3, v12
	v_mul_f32_e32 v2, v2, v24
	v_lshl_add_u32 v3, v3, 23, 1.0
	v_mul_f32_e32 v12, v2, v3
	v_mul_f32_e32 v2, v26, v26
	v_mov_b32_e32 v27, 0x3c0881c4
	v_fmac_f32_e32 v27, 0xb94c1982, v2
	v_fma_f32 v27, v2, v27, v17
	v_mul_f32_e32 v27, v2, v27
	v_fmac_f32_e32 v26, v26, v27
	v_mov_b32_e32 v27, 0xbab64f3b
	v_fmac_f32_e32 v27, 0x37d75334, v2
	v_fma_f32 v27, v2, v27, v18
	v_fma_f32 v27, v2, v27, v19
	v_fma_f32 v2, v2, v27, 1.0
	v_and_b32_e32 v27, 1, v25
	v_cmp_eq_u32_e64 s[0:1], 0, v27
	v_lshlrev_b32_e32 v25, 30, v25
	v_cndmask_b32_e64 v2, v2, v26, s[0:1]
	v_and_or_b32 v1, v25, s33, v1
	v_xor_b32_e32 v1, v1, v2
	v_xor_b32_e32 v1, v1, v11
	v_cndmask_b32_e32 v1, v23, v1, vcc
	v_mul_f32_e32 v1, v1, v4
	v_mul_f32_e32 v1, v1, v24
	;; [unrolled: 1-line block ×3, first 2 shown]
.LBB248_183:                            ;   in Loop: Header=BB248_4 Depth=1
	s_or_b64 exec, exec, s[34:35]
                                        ; implicit-def: $vgpr1_vgpr2_vgpr3_vgpr4
                                        ; implicit-def: $vgpr24
                                        ; implicit-def: $vgpr2
.LBB248_184:                            ;   in Loop: Header=BB248_4 Depth=1
	s_andn2_saveexec_b64 s[0:1], s[30:31]
	s_cbranch_execz .LBB248_190
; %bb.185:                              ;   in Loop: Header=BB248_4 Depth=1
	v_cmp_ne_u32_e32 vcc, s42, v2
	v_sub_f32_e32 v11, v4, v4
	s_and_saveexec_b64 s[2:3], vcc
	s_xor_b64 s[2:3], exec, s[2:3]
; %bb.186:                              ;   in Loop: Header=BB248_4 Depth=1
                                        ; implicit-def: $vgpr24
                                        ; implicit-def: $vgpr1_vgpr2_vgpr3_vgpr4
; %bb.187:                              ;   in Loop: Header=BB248_4 Depth=1
	s_or_saveexec_b64 s[2:3], s[2:3]
	v_mov_b32_e32 v12, v11
	s_xor_b64 exec, exec, s[2:3]
; %bb.188:                              ;   in Loop: Header=BB248_4 Depth=1
	v_cmp_lt_i32_e32 vcc, -1, v24
	v_cndmask_b32_e64 v12, 0, -v3, vcc
	v_cndmask_b32_e32 v11, 0, v11, vcc
; %bb.189:                              ;   in Loop: Header=BB248_4 Depth=1
	s_or_b64 exec, exec, s[2:3]
.LBB248_190:                            ;   in Loop: Header=BB248_4 Depth=1
	s_or_b64 exec, exec, s[0:1]
                                        ; implicit-def: $vgpr1_vgpr2_vgpr3_vgpr4
                                        ; implicit-def: $vgpr1
.LBB248_191:                            ;   in Loop: Header=BB248_4 Depth=1
	s_andn2_saveexec_b64 s[28:29], s[28:29]
	s_cbranch_execz .LBB248_201
; %bb.192:                              ;   in Loop: Header=BB248_4 Depth=1
	v_lshrrev_b32_e32 v2, 23, v1
	v_and_b32_e32 v3, 0x7fffff, v1
	v_cmp_nlt_f32_e64 s[30:31], |v4|, s44
	v_add_u32_e32 v25, 0xffffff88, v2
	v_or_b32_e32 v2, 0x800000, v3
                                        ; implicit-def: $vgpr3
                                        ; implicit-def: $vgpr24
	s_and_saveexec_b64 s[0:1], s[30:31]
	s_xor_b64 s[34:35], exec, s[0:1]
	s_cbranch_execz .LBB248_194
; %bb.193:                              ;   in Loop: Header=BB248_4 Depth=1
	v_mad_u64_u32 v[26:27], s[0:1], v2, s45, 0
	v_cmp_lt_u32_e32 vcc, 63, v25
	v_cndmask_b32_e32 v3, 0, v20, vcc
	v_mov_b32_e32 v12, v27
	v_mad_u64_u32 v[27:28], s[0:1], v2, s46, v[12:13]
	v_add_u32_e32 v3, v3, v25
	v_mov_b32_e32 v12, v28
	v_mad_u64_u32 v[28:29], s[0:1], v2, s47, v[12:13]
	v_mov_b32_e32 v12, v29
	v_mad_u64_u32 v[29:30], s[0:1], v2, s48, v[12:13]
	v_cndmask_b32_e32 v26, v28, v26, vcc
	v_mov_b32_e32 v12, v30
	v_mad_u64_u32 v[30:31], s[0:1], v2, s49, v[12:13]
	v_cmp_lt_u32_e64 s[0:1], 31, v3
	v_cndmask_b32_e64 v12, 0, v21, s[0:1]
	v_add_u32_e32 v3, v12, v3
	v_mov_b32_e32 v12, v31
	v_mad_u64_u32 v[31:32], s[2:3], v2, s50, v[12:13]
	v_cmp_lt_u32_e64 s[2:3], 31, v3
	v_cndmask_b32_e64 v12, 0, v21, s[2:3]
	v_add_u32_e32 v3, v12, v3
	v_mov_b32_e32 v12, v32
	v_mad_u64_u32 v[32:33], s[6:7], v2, s51, v[12:13]
	v_cndmask_b32_e32 v12, v30, v28, vcc
	v_cndmask_b32_e32 v24, v31, v29, vcc
	;; [unrolled: 1-line block ×4, first 2 shown]
	v_cndmask_b32_e64 v34, v24, v12, s[0:1]
	v_cndmask_b32_e64 v24, v30, v24, s[0:1]
	;; [unrolled: 1-line block ×3, first 2 shown]
	v_cndmask_b32_e32 v27, v29, v27, vcc
	v_cndmask_b32_e64 v30, v30, v24, s[2:3]
	v_cndmask_b32_e64 v24, v24, v34, s[2:3]
	v_sub_u32_e32 v31, 32, v3
	v_cndmask_b32_e64 v12, v12, v27, s[0:1]
	v_alignbit_b32 v32, v30, v24, v31
	v_cmp_eq_u32_e64 s[6:7], 0, v3
	v_cndmask_b32_e64 v29, v34, v12, s[2:3]
	v_cndmask_b32_e64 v3, v32, v30, s[6:7]
	v_alignbit_b32 v30, v24, v29, v31
	v_cndmask_b32_e64 v24, v30, v24, s[6:7]
	v_bfe_u32 v33, v3, 29, 1
	v_cndmask_b32_e64 v26, v27, v26, s[0:1]
	v_alignbit_b32 v30, v3, v24, 30
	v_sub_u32_e32 v34, 0, v33
	v_cndmask_b32_e64 v12, v12, v26, s[2:3]
	v_xor_b32_e32 v30, v30, v34
	v_alignbit_b32 v26, v29, v12, v31
	v_cndmask_b32_e64 v26, v26, v29, s[6:7]
	v_ffbh_u32_e32 v27, v30
	v_alignbit_b32 v24, v24, v26, 30
	v_min_u32_e32 v27, 32, v27
	v_alignbit_b32 v12, v26, v12, 30
	v_xor_b32_e32 v24, v24, v34
	v_sub_u32_e32 v28, 31, v27
	v_xor_b32_e32 v12, v12, v34
	v_alignbit_b32 v29, v30, v24, v28
	v_alignbit_b32 v12, v24, v12, v28
	;; [unrolled: 1-line block ×3, first 2 shown]
	v_ffbh_u32_e32 v26, v24
	v_min_u32_e32 v26, 32, v26
	v_lshrrev_b32_e32 v32, 29, v3
	v_not_b32_e32 v28, v26
	v_alignbit_b32 v12, v24, v12, v28
	v_lshlrev_b32_e32 v24, 31, v32
	v_or_b32_e32 v28, 0x33000000, v24
	v_add_lshl_u32 v26, v26, v27, 23
	v_lshrrev_b32_e32 v12, 9, v12
	v_sub_u32_e32 v26, v28, v26
	v_or_b32_e32 v24, 0.5, v24
	v_lshlrev_b32_e32 v27, 23, v27
	v_or_b32_e32 v12, v26, v12
	v_lshrrev_b32_e32 v26, 9, v29
	v_sub_u32_e32 v24, v24, v27
	v_or_b32_e32 v24, v26, v24
	v_mul_f32_e32 v26, 0x3fc90fda, v24
	v_fma_f32 v27, v24, s52, -v26
	v_fmac_f32_e32 v27, 0x33a22168, v24
	v_fmac_f32_e32 v27, 0x3fc90fda, v12
	v_lshrrev_b32_e32 v3, 30, v3
	v_add_f32_e32 v24, v26, v27
	v_add_u32_e32 v3, v33, v3
.LBB248_194:                            ;   in Loop: Header=BB248_4 Depth=1
	s_or_saveexec_b64 s[0:1], s[34:35]
	v_mul_f32_e64 v12, |v4|, s53
	v_rndne_f32_e32 v12, v12
	s_xor_b64 exec, exec, s[0:1]
; %bb.195:                              ;   in Loop: Header=BB248_4 Depth=1
	v_cvt_i32_f32_e32 v3, v12
	v_fma_f32 v24, v12, s54, |v4|
	v_fmac_f32_e32 v24, 0xb3a22168, v12
	v_fmac_f32_e32 v24, 0xa7c234c4, v12
; %bb.196:                              ;   in Loop: Header=BB248_4 Depth=1
	s_or_b64 exec, exec, s[0:1]
                                        ; implicit-def: $vgpr26
                                        ; implicit-def: $vgpr27
	s_and_saveexec_b64 s[0:1], s[30:31]
	s_xor_b64 s[30:31], exec, s[0:1]
	s_cbranch_execz .LBB248_198
; %bb.197:                              ;   in Loop: Header=BB248_4 Depth=1
	v_mad_u64_u32 v[26:27], s[0:1], v2, s45, 0
	v_cmp_lt_u32_e32 vcc, 63, v25
	v_mov_b32_e32 v12, v27
	v_mad_u64_u32 v[27:28], s[0:1], v2, s46, v[12:13]
	v_mov_b32_e32 v12, v28
	v_mad_u64_u32 v[28:29], s[0:1], v2, s47, v[12:13]
	;; [unrolled: 2-line block ×3, first 2 shown]
	v_cndmask_b32_e32 v12, 0, v20, vcc
	v_add_u32_e32 v25, v12, v25
	v_mov_b32_e32 v12, v30
	v_mad_u64_u32 v[30:31], s[0:1], v2, s49, v[12:13]
	v_cmp_lt_u32_e64 s[0:1], 31, v25
	v_cndmask_b32_e64 v12, 0, v21, s[0:1]
	v_add_u32_e32 v25, v12, v25
	v_mov_b32_e32 v12, v31
	v_mad_u64_u32 v[31:32], s[2:3], v2, s50, v[12:13]
	v_cmp_lt_u32_e64 s[2:3], 31, v25
	v_cndmask_b32_e64 v12, 0, v21, s[2:3]
	v_add_u32_e32 v25, v12, v25
	v_mov_b32_e32 v12, v32
	v_mad_u64_u32 v[32:33], s[6:7], v2, s51, v[12:13]
	v_cndmask_b32_e32 v2, v30, v28, vcc
	v_cndmask_b32_e32 v12, v31, v29, vcc
	;; [unrolled: 1-line block ×4, first 2 shown]
	v_cndmask_b32_e64 v34, v12, v2, s[0:1]
	v_cndmask_b32_e64 v12, v30, v12, s[0:1]
	;; [unrolled: 1-line block ×3, first 2 shown]
	v_cndmask_b32_e32 v27, v29, v27, vcc
	v_cndmask_b32_e64 v30, v30, v12, s[2:3]
	v_cndmask_b32_e64 v12, v12, v34, s[2:3]
	v_sub_u32_e32 v31, 32, v25
	v_cndmask_b32_e64 v2, v2, v27, s[0:1]
	v_alignbit_b32 v32, v30, v12, v31
	v_cmp_eq_u32_e64 s[6:7], 0, v25
	v_cndmask_b32_e64 v29, v34, v2, s[2:3]
	v_cndmask_b32_e64 v25, v32, v30, s[6:7]
	v_alignbit_b32 v30, v12, v29, v31
	v_cndmask_b32_e32 v26, v28, v26, vcc
	v_cndmask_b32_e64 v12, v30, v12, s[6:7]
	v_bfe_u32 v33, v25, 29, 1
	v_cndmask_b32_e64 v26, v27, v26, s[0:1]
	v_alignbit_b32 v30, v25, v12, 30
	v_sub_u32_e32 v34, 0, v33
	v_cndmask_b32_e64 v2, v2, v26, s[2:3]
	v_xor_b32_e32 v30, v30, v34
	v_alignbit_b32 v26, v29, v2, v31
	v_cndmask_b32_e64 v26, v26, v29, s[6:7]
	v_ffbh_u32_e32 v27, v30
	v_alignbit_b32 v12, v12, v26, 30
	v_min_u32_e32 v27, 32, v27
	v_alignbit_b32 v2, v26, v2, 30
	v_xor_b32_e32 v12, v12, v34
	v_sub_u32_e32 v28, 31, v27
	v_xor_b32_e32 v2, v2, v34
	v_alignbit_b32 v29, v30, v12, v28
	v_alignbit_b32 v2, v12, v2, v28
	;; [unrolled: 1-line block ×3, first 2 shown]
	v_ffbh_u32_e32 v26, v12
	v_min_u32_e32 v26, 32, v26
	v_lshrrev_b32_e32 v32, 29, v25
	v_not_b32_e32 v28, v26
	v_alignbit_b32 v2, v12, v2, v28
	v_lshlrev_b32_e32 v12, 31, v32
	v_or_b32_e32 v28, 0x33000000, v12
	v_add_lshl_u32 v26, v26, v27, 23
	v_lshrrev_b32_e32 v2, 9, v2
	v_sub_u32_e32 v26, v28, v26
	v_or_b32_e32 v12, 0.5, v12
	v_lshlrev_b32_e32 v27, 23, v27
	v_or_b32_e32 v2, v26, v2
	v_lshrrev_b32_e32 v26, 9, v29
	v_sub_u32_e32 v12, v12, v27
	v_or_b32_e32 v12, v26, v12
	v_mul_f32_e32 v26, 0x3fc90fda, v12
	v_fma_f32 v27, v12, s52, -v26
	v_fmac_f32_e32 v27, 0x33a22168, v12
	v_fmac_f32_e32 v27, 0x3fc90fda, v2
	v_lshrrev_b32_e32 v2, 30, v25
	v_add_f32_e32 v27, v26, v27
	v_add_u32_e32 v26, v33, v2
                                        ; implicit-def: $vgpr12
	s_andn2_saveexec_b64 s[0:1], s[30:31]
	s_cbranch_execnz .LBB248_199
	s_branch .LBB248_200
.LBB248_198:                            ;   in Loop: Header=BB248_4 Depth=1
	s_andn2_saveexec_b64 s[0:1], s[30:31]
.LBB248_199:                            ;   in Loop: Header=BB248_4 Depth=1
	v_cvt_i32_f32_e32 v26, v12
	v_fma_f32 v27, v12, s54, |v4|
	v_fmac_f32_e32 v27, 0xb3a22168, v12
	v_fmac_f32_e32 v27, 0xa7c234c4, v12
.LBB248_200:                            ;   in Loop: Header=BB248_4 Depth=1
	s_or_b64 exec, exec, s[0:1]
	v_mul_f32_e32 v2, v24, v24
	v_mov_b32_e32 v12, 0x3c0881c4
	v_fmac_f32_e32 v12, 0xb94c1982, v2
	v_fma_f32 v12, v2, v12, v17
	v_mul_f32_e32 v12, v2, v12
	v_fmac_f32_e32 v24, v24, v12
	v_mov_b32_e32 v12, 0xbab64f3b
	v_fmac_f32_e32 v12, 0x37d75334, v2
	v_fma_f32 v12, v2, v12, v18
	v_fma_f32 v12, v2, v12, v19
	v_fma_f32 v2, v2, v12, 1.0
	v_and_b32_e32 v12, 1, v3
	v_cmp_eq_u32_e32 vcc, 0, v12
	v_lshlrev_b32_e32 v3, 30, v3
	v_cndmask_b32_e64 v2, -v24, v2, vcc
	v_and_b32_e32 v3, 0x80000000, v3
	v_xor_b32_e32 v2, v3, v2
	v_cmp_class_f32_e64 vcc, v4, s58
	v_cndmask_b32_e32 v12, v23, v2, vcc
	v_mul_f32_e32 v2, v27, v27
	v_mov_b32_e32 v3, 0x3c0881c4
	v_fmac_f32_e32 v3, 0xb94c1982, v2
	v_fma_f32 v3, v2, v3, v17
	v_mul_f32_e32 v3, v2, v3
	v_fmac_f32_e32 v27, v27, v3
	v_mov_b32_e32 v3, 0xbab64f3b
	v_fmac_f32_e32 v3, 0x37d75334, v2
	v_fma_f32 v3, v2, v3, v18
	v_fma_f32 v3, v2, v3, v19
	v_fma_f32 v2, v2, v3, 1.0
	v_and_b32_e32 v3, 1, v26
	v_cmp_eq_u32_e64 s[0:1], 0, v3
	v_lshlrev_b32_e32 v3, 30, v26
	v_cndmask_b32_e64 v2, v2, v27, s[0:1]
	v_and_or_b32 v1, v3, s33, v1
	v_xor_b32_e32 v1, v1, v2
	v_xor_b32_e32 v1, v1, v11
	v_cndmask_b32_e32 v11, v23, v1, vcc
.LBB248_201:                            ;   in Loop: Header=BB248_4 Depth=1
	s_or_b64 exec, exec, s[28:29]
                                        ; implicit-def: $vgpr1_vgpr2_vgpr3_vgpr4
.LBB248_202:                            ;   in Loop: Header=BB248_4 Depth=1
	s_andn2_saveexec_b64 s[0:1], s[26:27]
	s_cbranch_execz .LBB248_204
; %bb.203:                              ;   in Loop: Header=BB248_4 Depth=1
	v_mul_f32_e32 v1, 0xbfb8aa3b, v3
	v_rndne_f32_e32 v2, v1
	v_sub_f32_e32 v4, v1, v2
	v_fma_f32 v1, v3, s55, -v1
	v_fmac_f32_e32 v1, 0xb2a5705f, v3
	v_add_f32_e32 v1, v4, v1
	v_cvt_i32_f32_e32 v2, v2
	v_exp_f32_e32 v1, v1
	v_cmp_nlt_f32_e32 vcc, s56, v3
	v_ldexp_f32 v1, v1, v2
	v_cndmask_b32_e32 v1, 0, v1, vcc
	v_cmp_ngt_f32_e32 vcc, s57, v3
	v_cndmask_b32_e32 v12, v22, v1, vcc
.LBB248_204:                            ;   in Loop: Header=BB248_4 Depth=1
	s_or_b64 exec, exec, s[0:1]
	v_add_f32_e32 v2, s14, v12
	v_add_f32_e32 v1, s15, v11
	v_cmp_gt_f32_e32 vcc, 0, v2
	v_cndmask_b32_e64 v3, v2, -v2, vcc
	v_cmp_gt_f32_e32 vcc, 0, v1
	v_cndmask_b32_e64 v4, v1, -v1, vcc
	v_cmp_ge_f32_e32 vcc, v3, v4
	s_and_saveexec_b64 s[0:1], vcc
	s_xor_b64 s[2:3], exec, s[0:1]
	s_cbranch_execz .LBB248_210
; %bb.205:                              ;   in Loop: Header=BB248_4 Depth=1
	v_cmp_neq_f32_e32 vcc, 0, v2
	v_cmp_neq_f32_e64 s[0:1], 0, v1
	s_or_b64 s[0:1], vcc, s[0:1]
	s_and_saveexec_b64 s[6:7], s[0:1]
	s_xor_b64 s[0:1], exec, s[6:7]
	s_cbranch_execz .LBB248_207
; %bb.206:                              ;   in Loop: Header=BB248_4 Depth=1
	v_div_scale_f32 v3, s[6:7], v2, v2, v1
	v_div_scale_f32 v4, vcc, v1, v2, v1
	v_rcp_f32_e32 v11, v3
	v_fma_f32 v12, -v3, v11, 1.0
	v_fmac_f32_e32 v11, v12, v11
	v_mul_f32_e32 v12, v4, v11
	v_fma_f32 v24, -v3, v12, v4
	v_fmac_f32_e32 v12, v24, v11
	v_fma_f32 v3, -v3, v12, v4
	v_div_fmas_f32 v3, v3, v11, v12
	v_div_fixup_f32 v3, v3, v2, v1
	v_fmac_f32_e32 v2, v1, v3
	v_div_scale_f32 v1, s[6:7], v2, v2, 1.0
	v_div_scale_f32 v4, vcc, 1.0, v2, 1.0
	v_rcp_f32_e32 v11, v1
	v_fma_f32 v12, -v1, v11, 1.0
	v_fmac_f32_e32 v11, v12, v11
	v_mul_f32_e32 v12, v4, v11
	v_fma_f32 v24, -v1, v12, v4
	v_fmac_f32_e32 v12, v24, v11
	v_fma_f32 v1, -v1, v12, v4
	v_div_fmas_f32 v1, v1, v11, v12
	v_mov_b32_e32 v4, s14
	v_mov_b32_e32 v11, s15
	v_fma_f32 v4, s15, v3, v4
	v_fma_f32 v3, -v3, s14, v11
	v_div_fixup_f32 v1, v1, v2, 1.0
	v_mul_f32_e32 v11, v4, v1
	v_mul_f32_e32 v12, v3, v1
                                        ; implicit-def: $vgpr3
                                        ; implicit-def: $vgpr4
.LBB248_207:                            ;   in Loop: Header=BB248_4 Depth=1
	s_andn2_saveexec_b64 s[6:7], s[0:1]
	s_cbranch_execz .LBB248_209
; %bb.208:                              ;   in Loop: Header=BB248_4 Depth=1
	v_div_scale_f32 v1, s[0:1], v3, v3, s14
	v_div_scale_f32 v2, s[0:1], v4, v4, s15
	v_div_scale_f32 v11, vcc, s14, v3, s14
	v_div_scale_f32 v12, s[0:1], s15, v4, s15
	v_rcp_f32_e32 v24, v1
	v_rcp_f32_e32 v25, v2
	v_fma_f32 v26, -v1, v24, 1.0
	v_fmac_f32_e32 v24, v26, v24
	v_fma_f32 v27, -v2, v25, 1.0
	v_fmac_f32_e32 v25, v27, v25
	v_mul_f32_e32 v26, v11, v24
	v_mul_f32_e32 v27, v12, v25
	v_fma_f32 v28, -v1, v26, v11
	v_fma_f32 v29, -v2, v27, v12
	v_fmac_f32_e32 v26, v28, v24
	v_fmac_f32_e32 v27, v29, v25
	v_fma_f32 v1, -v1, v26, v11
	v_fma_f32 v2, -v2, v27, v12
	v_div_fmas_f32 v1, v1, v24, v26
	s_mov_b64 vcc, s[0:1]
	v_div_fmas_f32 v2, v2, v25, v27
	v_div_fixup_f32 v11, v1, v3, s14
	v_div_fixup_f32 v12, v2, v4, s15
.LBB248_209:                            ;   in Loop: Header=BB248_4 Depth=1
	s_or_b64 exec, exec, s[6:7]
                                        ; implicit-def: $vgpr1
                                        ; implicit-def: $vgpr2
.LBB248_210:                            ;   in Loop: Header=BB248_4 Depth=1
	s_andn2_saveexec_b64 s[0:1], s[2:3]
	s_cbranch_execz .LBB248_3
; %bb.211:                              ;   in Loop: Header=BB248_4 Depth=1
	v_div_scale_f32 v3, s[2:3], v1, v1, v2
	v_div_scale_f32 v4, vcc, v2, v1, v2
	v_rcp_f32_e32 v11, v3
	v_fma_f32 v12, -v3, v11, 1.0
	v_fmac_f32_e32 v11, v12, v11
	v_mul_f32_e32 v12, v4, v11
	v_fma_f32 v24, -v3, v12, v4
	v_fmac_f32_e32 v12, v24, v11
	v_fma_f32 v3, -v3, v12, v4
	v_div_fmas_f32 v3, v3, v11, v12
	v_div_fixup_f32 v3, v3, v1, v2
	v_fmac_f32_e32 v1, v2, v3
	v_div_scale_f32 v2, s[2:3], v1, v1, 1.0
	v_div_scale_f32 v4, vcc, 1.0, v1, 1.0
	v_rcp_f32_e32 v11, v2
	v_fma_f32 v12, -v2, v11, 1.0
	v_fmac_f32_e32 v11, v12, v11
	v_mul_f32_e32 v12, v4, v11
	v_fma_f32 v24, -v2, v12, v4
	v_fmac_f32_e32 v12, v24, v11
	v_fma_f32 v2, -v2, v12, v4
	v_div_fmas_f32 v2, v2, v11, v12
	v_mov_b32_e32 v4, s15
	v_mov_b32_e32 v11, s14
	v_fma_f32 v4, s14, v3, v4
	v_fma_f32 v3, v3, s15, -v11
	v_div_fixup_f32 v1, v2, v1, 1.0
	v_mul_f32_e32 v11, v4, v1
	v_mul_f32_e32 v12, v3, v1
	s_branch .LBB248_3
.LBB248_212:
	s_or_b64 exec, exec, s[12:13]
	s_mov_b64 s[0:1], 0
.LBB248_213:
	s_andn2_b64 vcc, exec, s[0:1]
	s_cbranch_vccnz .LBB248_441
; %bb.214:
	v_cmp_lt_i64_e64 s[0:1], s[8:9], 1
	s_and_b64 vcc, exec, s[0:1]
	s_cbranch_vccnz .LBB248_441
; %bb.215:
	v_mov_b32_e32 v3, 0x10000
	s_load_dword s2, s[4:5], 0xc64
	v_mov_b32_e32 v4, 0
	v_cmp_lt_i64_e32 vcc, s[8:9], v[3:4]
	v_mov_b32_e32 v2, 0
	s_and_b64 s[0:1], vcc, exec
	v_cmp_lt_u64_e32 vcc, s[8:9], v[3:4]
	s_cselect_b32 s21, s9, 0
	s_cselect_b32 s20, s8, 0x10000
	s_waitcnt lgkmcnt(0)
	s_and_b32 s33, s2, 0xffff
	s_and_b64 s[0:1], vcc, exec
	s_cselect_b32 s23, s9, 0
	s_cselect_b32 s22, s8, 0x10000
	s_lshl_b32 s40, s33, 1
	s_mul_i32 s41, s33, 3
	s_lshl_b32 s42, s33, 2
	s_mov_b64 s[24:25], 0
	s_brev_b32 s43, 1
	s_mov_b32 s44, 0x7f800000
	s_mov_b32 s45, 0x8e8e5c
	s_brev_b32 s46, 18
	s_mov_b32 s47, 0xfe5163ab
	s_mov_b32 s48, 0x3c439041
	;; [unrolled: 1-line block ×13, first 2 shown]
	v_mov_b32_e32 v19, 0xbe2aaa9d
	v_mov_b32_e32 v20, 0x3d2aabf7
	;; [unrolled: 1-line block ×3, first 2 shown]
	s_movk_i32 s60, 0x1f8
	s_mov_b32 s61, 0x3fb8aa3b
	s_mov_b32 s62, 0xc2ce8ed0
	;; [unrolled: 1-line block ×3, first 2 shown]
	v_not_b32_e32 v22, 63
	v_not_b32_e32 v23, 31
	v_mov_b32_e32 v24, 0x7f800000
	v_mov_b32_e32 v25, 0x7fc00000
	s_branch .LBB248_217
.LBB248_216:                            ;   in Loop: Header=BB248_217 Depth=1
	s_or_b64 exec, exec, s[0:1]
	s_add_u32 s24, s24, s42
	v_mov_b32_e32 v3, s20
	s_addc_u32 s25, s25, 0
	v_mov_b32_e32 v4, s21
	v_cmp_ge_i64_e32 vcc, s[24:25], v[3:4]
	s_cbranch_vccnz .LBB248_441
.LBB248_217:                            ; =>This Inner Loop Header: Depth=1
	v_mov_b32_e32 v1, s25
	v_add_co_u32_e32 v3, vcc, s24, v0
	v_addc_co_u32_e32 v4, vcc, 0, v1, vcc
	v_cmp_gt_u64_e64 s[0:1], s[22:23], v[3:4]
	v_mov_b32_e32 v14, 0
	v_mov_b32_e32 v13, 0
	s_and_saveexec_b64 s[2:3], s[0:1]
	s_cbranch_execz .LBB248_219
; %bb.218:                              ;   in Loop: Header=BB248_217 Depth=1
	v_lshlrev_b64 v[5:6], 3, v[3:4]
	v_mov_b32_e32 v1, s17
	v_add_co_u32_e32 v5, vcc, s16, v5
	v_addc_co_u32_e32 v6, vcc, v1, v6, vcc
	global_load_dwordx2 v[13:14], v[5:6], off
.LBB248_219:                            ;   in Loop: Header=BB248_217 Depth=1
	s_or_b64 exec, exec, s[2:3]
	v_add_co_u32_e32 v5, vcc, s33, v3
	v_addc_co_u32_e32 v6, vcc, 0, v4, vcc
	v_cmp_gt_u64_e64 s[2:3], s[22:23], v[5:6]
	v_mov_b32_e32 v16, 0
	v_mov_b32_e32 v18, 0
	;; [unrolled: 1-line block ×3, first 2 shown]
	s_and_saveexec_b64 s[4:5], s[2:3]
	s_cbranch_execz .LBB248_221
; %bb.220:                              ;   in Loop: Header=BB248_217 Depth=1
	v_lshlrev_b64 v[7:8], 3, v[5:6]
	v_mov_b32_e32 v1, s17
	v_add_co_u32_e32 v7, vcc, s16, v7
	v_addc_co_u32_e32 v8, vcc, v1, v8, vcc
	global_load_dwordx2 v[17:18], v[7:8], off
.LBB248_221:                            ;   in Loop: Header=BB248_217 Depth=1
	s_or_b64 exec, exec, s[4:5]
	v_add_co_u32_e32 v7, vcc, s40, v3
	v_addc_co_u32_e32 v8, vcc, 0, v4, vcc
	v_cmp_gt_u64_e64 s[4:5], s[22:23], v[7:8]
	v_mov_b32_e32 v15, 0
	s_and_saveexec_b64 s[6:7], s[4:5]
	s_cbranch_execz .LBB248_223
; %bb.222:                              ;   in Loop: Header=BB248_217 Depth=1
	v_lshlrev_b64 v[9:10], 3, v[7:8]
	v_mov_b32_e32 v1, s17
	v_add_co_u32_e32 v9, vcc, s16, v9
	v_addc_co_u32_e32 v10, vcc, v1, v10, vcc
	global_load_dwordx2 v[15:16], v[9:10], off
.LBB248_223:                            ;   in Loop: Header=BB248_217 Depth=1
	s_or_b64 exec, exec, s[6:7]
	v_add_co_u32_e32 v9, vcc, s41, v3
	v_addc_co_u32_e32 v10, vcc, 0, v4, vcc
	v_cmp_gt_u64_e64 s[6:7], s[22:23], v[9:10]
	v_mov_b32_e32 v12, 0
	v_mov_b32_e32 v11, 0
	s_and_saveexec_b64 s[8:9], s[6:7]
	s_cbranch_execz .LBB248_225
; %bb.224:                              ;   in Loop: Header=BB248_217 Depth=1
	v_lshlrev_b64 v[11:12], 3, v[9:10]
	v_mov_b32_e32 v1, s17
	v_add_co_u32_e32 v11, vcc, s16, v11
	v_addc_co_u32_e32 v12, vcc, v1, v12, vcc
	global_load_dwordx2 v[11:12], v[11:12], off
.LBB248_225:                            ;   in Loop: Header=BB248_217 Depth=1
	s_or_b64 exec, exec, s[8:9]
	s_waitcnt vmcnt(0)
	v_and_b32_e32 v27, 0x7fffffff, v14
	v_xor_b32_e32 v26, 0x80000000, v14
	v_cmp_ne_u32_e32 vcc, 0, v27
                                        ; implicit-def: $vgpr1
	s_and_saveexec_b64 s[8:9], vcc
	s_xor_b64 s[26:27], exec, s[8:9]
	s_cbranch_execz .LBB248_266
; %bb.226:                              ;   in Loop: Header=BB248_217 Depth=1
	v_and_b32_e32 v29, 0x7fffffff, v13
	v_cmp_ne_u32_e32 vcc, 0, v29
                                        ; implicit-def: $vgpr1
	s_and_saveexec_b64 s[8:9], vcc
	s_xor_b64 s[28:29], exec, s[8:9]
	s_cbranch_execz .LBB248_255
; %bb.227:                              ;   in Loop: Header=BB248_217 Depth=1
	v_xor_b32_e32 v28, 0x80000000, v13
	v_cmp_gt_u32_e32 vcc, s44, v27
                                        ; implicit-def: $vgpr1
	s_and_saveexec_b64 s[8:9], vcc
	s_xor_b64 s[30:31], exec, s[8:9]
	s_cbranch_execz .LBB248_248
; %bb.228:                              ;   in Loop: Header=BB248_217 Depth=1
	v_add_u32_e32 v1, 0xbd4e8de8, v28
	v_cmp_lt_u32_e32 vcc, s45, v1
                                        ; implicit-def: $vgpr1
	s_and_saveexec_b64 s[8:9], vcc
	s_xor_b64 s[34:35], exec, s[8:9]
	s_cbranch_execz .LBB248_238
; %bb.229:                              ;   in Loop: Header=BB248_217 Depth=1
	v_cmp_nlt_f32_e64 s[36:37], |v14|, s46
                                        ; implicit-def: $vgpr28
                                        ; implicit-def: $vgpr29
	s_and_saveexec_b64 s[8:9], s[36:37]
	s_xor_b64 s[38:39], exec, s[8:9]
	s_cbranch_execz .LBB248_231
; %bb.230:                              ;   in Loop: Header=BB248_217 Depth=1
	v_and_b32_e32 v1, 0x7fffff, v27
	v_or_b32_e32 v35, 0x800000, v1
	v_mad_u64_u32 v[28:29], s[8:9], v35, s47, 0
	v_mov_b32_e32 v1, v29
	v_mad_u64_u32 v[29:30], s[8:9], v35, s48, v[1:2]
	v_mov_b32_e32 v1, v30
	;; [unrolled: 2-line block ×3, first 2 shown]
	v_mad_u64_u32 v[31:32], s[8:9], v35, s50, v[1:2]
	v_lshrrev_b32_e32 v1, 23, v27
	v_add_u32_e32 v34, 0xffffff88, v1
	v_mov_b32_e32 v1, v32
	v_mad_u64_u32 v[32:33], s[8:9], v35, s51, v[1:2]
	v_cmp_lt_u32_e32 vcc, 63, v34
	v_cndmask_b32_e32 v1, 0, v22, vcc
	v_add_u32_e32 v36, v1, v34
	v_mov_b32_e32 v1, v33
	v_mad_u64_u32 v[33:34], s[8:9], v35, s52, v[1:2]
	v_cmp_lt_u32_e64 s[8:9], 31, v36
	v_cndmask_b32_e64 v1, 0, v23, s[8:9]
	v_add_u32_e32 v36, v1, v36
	v_mov_b32_e32 v1, v34
	v_mad_u64_u32 v[34:35], s[10:11], v35, s53, v[1:2]
	v_cmp_lt_u32_e64 s[10:11], 31, v36
	v_cndmask_b32_e64 v1, 0, v23, s[10:11]
	v_add_u32_e32 v1, v1, v36
	v_cndmask_b32_e32 v36, v33, v31, vcc
	v_cndmask_b32_e32 v34, v34, v32, vcc
	;; [unrolled: 1-line block ×4, first 2 shown]
	v_cndmask_b32_e64 v35, v34, v36, s[8:9]
	v_cndmask_b32_e64 v33, v33, v34, s[8:9]
	;; [unrolled: 1-line block ×3, first 2 shown]
	v_cndmask_b32_e32 v29, v31, v29, vcc
	v_cndmask_b32_e64 v33, v33, v35, s[10:11]
	v_cndmask_b32_e64 v35, v35, v34, s[10:11]
	v_sub_u32_e32 v36, 32, v1
	v_cndmask_b32_e64 v31, v32, v29, s[8:9]
	v_alignbit_b32 v37, v33, v35, v36
	v_cmp_eq_u32_e64 s[12:13], 0, v1
	v_cndmask_b32_e64 v32, v34, v31, s[10:11]
	v_cndmask_b32_e64 v1, v37, v33, s[12:13]
	v_alignbit_b32 v33, v35, v32, v36
	v_cndmask_b32_e32 v28, v30, v28, vcc
	v_cndmask_b32_e64 v33, v33, v35, s[12:13]
	v_bfe_u32 v37, v1, 29, 1
	v_cndmask_b32_e64 v28, v29, v28, s[8:9]
	v_alignbit_b32 v34, v1, v33, 30
	v_sub_u32_e32 v38, 0, v37
	v_cndmask_b32_e64 v28, v31, v28, s[10:11]
	v_xor_b32_e32 v34, v34, v38
	v_alignbit_b32 v29, v32, v28, v36
	v_cndmask_b32_e64 v29, v29, v32, s[12:13]
	v_ffbh_u32_e32 v31, v34
	v_alignbit_b32 v30, v33, v29, 30
	v_min_u32_e32 v31, 32, v31
	v_alignbit_b32 v28, v29, v28, 30
	v_xor_b32_e32 v30, v30, v38
	v_sub_u32_e32 v32, 31, v31
	v_xor_b32_e32 v28, v28, v38
	v_alignbit_b32 v33, v34, v30, v32
	v_alignbit_b32 v28, v30, v28, v32
	v_alignbit_b32 v29, v33, v28, 9
	v_ffbh_u32_e32 v30, v29
	v_min_u32_e32 v30, 32, v30
	v_lshrrev_b32_e32 v35, 29, v1
	v_not_b32_e32 v32, v30
	v_alignbit_b32 v28, v29, v28, v32
	v_lshlrev_b32_e32 v29, 31, v35
	v_or_b32_e32 v32, 0x33000000, v29
	v_add_lshl_u32 v30, v30, v31, 23
	v_lshrrev_b32_e32 v28, 9, v28
	v_sub_u32_e32 v30, v32, v30
	v_or_b32_e32 v29, 0.5, v29
	v_lshlrev_b32_e32 v31, 23, v31
	v_or_b32_e32 v28, v30, v28
	v_lshrrev_b32_e32 v30, 9, v33
	v_sub_u32_e32 v29, v29, v31
	v_or_b32_e32 v29, v30, v29
	v_mul_f32_e32 v30, 0x3fc90fda, v29
	v_fma_f32 v31, v29, s54, -v30
	v_fmac_f32_e32 v31, 0x33a22168, v29
	v_fmac_f32_e32 v31, 0x3fc90fda, v28
	v_lshrrev_b32_e32 v1, 30, v1
	v_add_f32_e32 v29, v30, v31
	v_add_u32_e32 v28, v37, v1
	s_andn2_saveexec_b64 s[8:9], s[38:39]
	s_branch .LBB248_232
.LBB248_231:                            ;   in Loop: Header=BB248_217 Depth=1
	s_andn2_saveexec_b64 s[8:9], s[38:39]
.LBB248_232:                            ;   in Loop: Header=BB248_217 Depth=1
	v_mul_f32_e64 v1, |v14|, s55
	v_rndne_f32_e32 v1, v1
	v_cvt_i32_f32_e32 v28, v1
	v_fma_f32 v29, v1, s56, |v14|
	v_fmac_f32_e32 v29, 0xb3a22168, v1
	v_fmac_f32_e32 v29, 0xa7c234c4, v1
; %bb.233:                              ;   in Loop: Header=BB248_217 Depth=1
	s_or_b64 exec, exec, s[8:9]
                                        ; implicit-def: $vgpr30
                                        ; implicit-def: $vgpr31
	s_and_saveexec_b64 s[8:9], s[36:37]
	s_xor_b64 s[36:37], exec, s[8:9]
	s_cbranch_execz .LBB248_235
; %bb.234:                              ;   in Loop: Header=BB248_217 Depth=1
	v_and_b32_e32 v1, 0x7fffff, v27
	v_or_b32_e32 v37, 0x800000, v1
	v_mad_u64_u32 v[30:31], s[8:9], v37, s47, 0
	v_mov_b32_e32 v1, v31
	v_mad_u64_u32 v[31:32], s[8:9], v37, s48, v[1:2]
	v_mov_b32_e32 v1, v32
	;; [unrolled: 2-line block ×3, first 2 shown]
	v_mad_u64_u32 v[33:34], s[8:9], v37, s50, v[1:2]
	v_lshrrev_b32_e32 v1, 23, v27
	v_add_u32_e32 v36, 0xffffff88, v1
	v_mov_b32_e32 v1, v34
	v_mad_u64_u32 v[34:35], s[8:9], v37, s51, v[1:2]
	v_cmp_lt_u32_e32 vcc, 63, v36
	v_cndmask_b32_e32 v1, 0, v22, vcc
	v_add_u32_e32 v38, v1, v36
	v_mov_b32_e32 v1, v35
	v_mad_u64_u32 v[35:36], s[8:9], v37, s52, v[1:2]
	v_cmp_lt_u32_e64 s[8:9], 31, v38
	v_cndmask_b32_e64 v1, 0, v23, s[8:9]
	v_add_u32_e32 v38, v1, v38
	v_mov_b32_e32 v1, v36
	v_mad_u64_u32 v[36:37], s[10:11], v37, s53, v[1:2]
	v_cmp_lt_u32_e64 s[10:11], 31, v38
	v_cndmask_b32_e64 v1, 0, v23, s[10:11]
	v_add_u32_e32 v1, v1, v38
	v_cndmask_b32_e32 v38, v35, v33, vcc
	v_cndmask_b32_e32 v36, v36, v34, vcc
	;; [unrolled: 1-line block ×4, first 2 shown]
	v_cndmask_b32_e64 v37, v36, v38, s[8:9]
	v_cndmask_b32_e64 v35, v35, v36, s[8:9]
	;; [unrolled: 1-line block ×3, first 2 shown]
	v_cndmask_b32_e32 v31, v33, v31, vcc
	v_cndmask_b32_e64 v35, v35, v37, s[10:11]
	v_cndmask_b32_e64 v37, v37, v36, s[10:11]
	v_sub_u32_e32 v38, 32, v1
	v_cndmask_b32_e64 v33, v34, v31, s[8:9]
	v_alignbit_b32 v39, v35, v37, v38
	v_cmp_eq_u32_e64 s[12:13], 0, v1
	v_cndmask_b32_e64 v34, v36, v33, s[10:11]
	v_cndmask_b32_e64 v1, v39, v35, s[12:13]
	v_alignbit_b32 v35, v37, v34, v38
	v_cndmask_b32_e32 v30, v32, v30, vcc
	v_cndmask_b32_e64 v35, v35, v37, s[12:13]
	v_bfe_u32 v39, v1, 29, 1
	v_cndmask_b32_e64 v30, v31, v30, s[8:9]
	v_alignbit_b32 v36, v1, v35, 30
	v_sub_u32_e32 v40, 0, v39
	v_cndmask_b32_e64 v30, v33, v30, s[10:11]
	v_xor_b32_e32 v36, v36, v40
	v_alignbit_b32 v31, v34, v30, v38
	v_cndmask_b32_e64 v31, v31, v34, s[12:13]
	v_ffbh_u32_e32 v33, v36
	v_alignbit_b32 v32, v35, v31, 30
	v_min_u32_e32 v33, 32, v33
	v_alignbit_b32 v30, v31, v30, 30
	v_xor_b32_e32 v32, v32, v40
	v_sub_u32_e32 v34, 31, v33
	v_xor_b32_e32 v30, v30, v40
	v_alignbit_b32 v35, v36, v32, v34
	v_alignbit_b32 v30, v32, v30, v34
	;; [unrolled: 1-line block ×3, first 2 shown]
	v_ffbh_u32_e32 v32, v31
	v_min_u32_e32 v32, 32, v32
	v_lshrrev_b32_e32 v37, 29, v1
	v_not_b32_e32 v34, v32
	v_alignbit_b32 v30, v31, v30, v34
	v_lshlrev_b32_e32 v31, 31, v37
	v_or_b32_e32 v34, 0x33000000, v31
	v_add_lshl_u32 v32, v32, v33, 23
	v_lshrrev_b32_e32 v30, 9, v30
	v_sub_u32_e32 v32, v34, v32
	v_or_b32_e32 v31, 0.5, v31
	v_lshlrev_b32_e32 v33, 23, v33
	v_or_b32_e32 v30, v32, v30
	v_lshrrev_b32_e32 v32, 9, v35
	v_sub_u32_e32 v31, v31, v33
	v_or_b32_e32 v31, v32, v31
	v_mul_f32_e32 v32, 0x3fc90fda, v31
	v_fma_f32 v33, v31, s54, -v32
	v_fmac_f32_e32 v33, 0x33a22168, v31
	v_fmac_f32_e32 v33, 0x3fc90fda, v30
	v_lshrrev_b32_e32 v1, 30, v1
	v_add_f32_e32 v31, v32, v33
	v_add_u32_e32 v30, v39, v1
	s_andn2_saveexec_b64 s[8:9], s[36:37]
	s_cbranch_execnz .LBB248_236
	s_branch .LBB248_237
.LBB248_235:                            ;   in Loop: Header=BB248_217 Depth=1
	s_andn2_saveexec_b64 s[8:9], s[36:37]
.LBB248_236:                            ;   in Loop: Header=BB248_217 Depth=1
	v_mul_f32_e64 v1, |v14|, s55
	v_rndne_f32_e32 v1, v1
	v_cvt_i32_f32_e32 v30, v1
	v_fma_f32 v31, v1, s56, |v14|
	v_fmac_f32_e32 v31, 0xb3a22168, v1
	v_fmac_f32_e32 v31, 0xa7c234c4, v1
.LBB248_237:                            ;   in Loop: Header=BB248_217 Depth=1
	s_or_b64 exec, exec, s[8:9]
	v_mul_f32_e32 v1, 0xbfb8aa3b, v13
	v_rndne_f32_e32 v32, v1
	v_sub_f32_e32 v33, v1, v32
	v_fma_f32 v1, v13, s57, -v1
	v_fmac_f32_e32 v1, 0xb2a5705f, v13
	v_add_f32_e32 v1, v33, v1
	v_cvt_i32_f32_e32 v32, v32
	v_exp_f32_e32 v1, v1
	v_cmp_nlt_f32_e32 vcc, s58, v13
	v_ldexp_f32 v1, v1, v32
	v_cndmask_b32_e32 v1, 0, v1, vcc
	v_cmp_ngt_f32_e32 vcc, s59, v13
	v_cndmask_b32_e32 v13, v24, v1, vcc
	v_mul_f32_e32 v1, v29, v29
	v_mov_b32_e32 v32, 0x3c0881c4
	v_fmac_f32_e32 v32, 0xb94c1982, v1
	v_fma_f32 v32, v1, v32, v19
	v_mul_f32_e32 v32, v1, v32
	v_fmac_f32_e32 v29, v29, v32
	v_mov_b32_e32 v32, 0xbab64f3b
	v_fmac_f32_e32 v32, 0x37d75334, v1
	v_fma_f32 v32, v1, v32, v20
	v_fma_f32 v32, v1, v32, v21
	v_fma_f32 v1, v1, v32, 1.0
	v_and_b32_e32 v32, 1, v28
	v_cmp_eq_u32_e32 vcc, 0, v32
	v_lshlrev_b32_e32 v28, 30, v28
	v_cndmask_b32_e64 v1, -v29, v1, vcc
	v_and_b32_e32 v28, 0x80000000, v28
	v_xor_b32_e32 v1, v28, v1
	v_cmp_class_f32_e64 vcc, v14, s60
	v_mul_f32_e32 v14, v31, v31
	v_mov_b32_e32 v28, 0x3c0881c4
	v_fmac_f32_e32 v28, 0xb94c1982, v14
	v_fma_f32 v28, v14, v28, v19
	v_mul_f32_e32 v28, v14, v28
	v_fmac_f32_e32 v31, v31, v28
	v_mov_b32_e32 v28, 0xbab64f3b
	v_fmac_f32_e32 v28, 0x37d75334, v14
	v_fma_f32 v28, v14, v28, v20
	v_fma_f32 v28, v14, v28, v21
	v_fma_f32 v14, v14, v28, 1.0
	v_and_b32_e32 v28, 1, v30
	v_cmp_eq_u32_e64 s[8:9], 0, v28
	v_lshlrev_b32_e32 v28, 30, v30
	v_cndmask_b32_e64 v14, v14, v31, s[8:9]
	v_and_or_b32 v27, v28, s43, v27
	v_xor_b32_e32 v14, v27, v14
	v_xor_b32_e32 v14, v14, v26
	v_cndmask_b32_e32 v1, v25, v1, vcc
	v_cndmask_b32_e32 v14, v25, v14, vcc
	v_mul_f32_e32 v1, v13, v1
	v_mul_f32_e32 v26, v13, v14
                                        ; implicit-def: $vgpr14
                                        ; implicit-def: $vgpr27
.LBB248_238:                            ;   in Loop: Header=BB248_217 Depth=1
	s_andn2_saveexec_b64 s[34:35], s[34:35]
	s_cbranch_execz .LBB248_282
; %bb.239:                              ;   in Loop: Header=BB248_217 Depth=1
	v_cmp_nlt_f32_e64 s[36:37], |v14|, s46
                                        ; implicit-def: $vgpr29
                                        ; implicit-def: $vgpr28
	s_and_saveexec_b64 s[8:9], s[36:37]
	s_xor_b64 s[38:39], exec, s[8:9]
	s_cbranch_execz .LBB248_241
; %bb.240:                              ;   in Loop: Header=BB248_217 Depth=1
	v_and_b32_e32 v1, 0x7fffff, v27
	v_or_b32_e32 v35, 0x800000, v1
	v_mad_u64_u32 v[28:29], s[8:9], v35, s47, 0
	v_mov_b32_e32 v1, v29
	v_mad_u64_u32 v[29:30], s[8:9], v35, s48, v[1:2]
	v_mov_b32_e32 v1, v30
	;; [unrolled: 2-line block ×3, first 2 shown]
	v_mad_u64_u32 v[31:32], s[8:9], v35, s50, v[1:2]
	v_lshrrev_b32_e32 v1, 23, v27
	v_add_u32_e32 v34, 0xffffff88, v1
	v_mov_b32_e32 v1, v32
	v_mad_u64_u32 v[32:33], s[8:9], v35, s51, v[1:2]
	v_cmp_lt_u32_e32 vcc, 63, v34
	v_cndmask_b32_e32 v1, 0, v22, vcc
	v_add_u32_e32 v36, v1, v34
	v_mov_b32_e32 v1, v33
	v_mad_u64_u32 v[33:34], s[8:9], v35, s52, v[1:2]
	v_cmp_lt_u32_e64 s[8:9], 31, v36
	v_cndmask_b32_e64 v1, 0, v23, s[8:9]
	v_add_u32_e32 v36, v1, v36
	v_mov_b32_e32 v1, v34
	v_mad_u64_u32 v[34:35], s[10:11], v35, s53, v[1:2]
	v_cmp_lt_u32_e64 s[10:11], 31, v36
	v_cndmask_b32_e64 v1, 0, v23, s[10:11]
	v_add_u32_e32 v1, v1, v36
	v_cndmask_b32_e32 v36, v33, v31, vcc
	v_cndmask_b32_e32 v34, v34, v32, vcc
	;; [unrolled: 1-line block ×4, first 2 shown]
	v_cndmask_b32_e64 v35, v34, v36, s[8:9]
	v_cndmask_b32_e64 v33, v33, v34, s[8:9]
	;; [unrolled: 1-line block ×3, first 2 shown]
	v_cndmask_b32_e32 v29, v31, v29, vcc
	v_cndmask_b32_e64 v33, v33, v35, s[10:11]
	v_cndmask_b32_e64 v35, v35, v34, s[10:11]
	v_sub_u32_e32 v36, 32, v1
	v_cndmask_b32_e64 v31, v32, v29, s[8:9]
	v_alignbit_b32 v37, v33, v35, v36
	v_cmp_eq_u32_e64 s[12:13], 0, v1
	v_cndmask_b32_e64 v32, v34, v31, s[10:11]
	v_cndmask_b32_e64 v1, v37, v33, s[12:13]
	v_alignbit_b32 v33, v35, v32, v36
	v_cndmask_b32_e32 v28, v30, v28, vcc
	v_cndmask_b32_e64 v33, v33, v35, s[12:13]
	v_bfe_u32 v37, v1, 29, 1
	v_cndmask_b32_e64 v28, v29, v28, s[8:9]
	v_alignbit_b32 v34, v1, v33, 30
	v_sub_u32_e32 v38, 0, v37
	v_cndmask_b32_e64 v28, v31, v28, s[10:11]
	v_xor_b32_e32 v34, v34, v38
	v_alignbit_b32 v29, v32, v28, v36
	v_cndmask_b32_e64 v29, v29, v32, s[12:13]
	v_ffbh_u32_e32 v31, v34
	v_alignbit_b32 v30, v33, v29, 30
	v_min_u32_e32 v31, 32, v31
	v_alignbit_b32 v28, v29, v28, 30
	v_xor_b32_e32 v30, v30, v38
	v_sub_u32_e32 v32, 31, v31
	v_xor_b32_e32 v28, v28, v38
	v_alignbit_b32 v33, v34, v30, v32
	v_alignbit_b32 v28, v30, v28, v32
	;; [unrolled: 1-line block ×3, first 2 shown]
	v_ffbh_u32_e32 v30, v29
	v_min_u32_e32 v30, 32, v30
	v_lshrrev_b32_e32 v35, 29, v1
	v_not_b32_e32 v32, v30
	v_alignbit_b32 v28, v29, v28, v32
	v_lshlrev_b32_e32 v29, 31, v35
	v_or_b32_e32 v32, 0x33000000, v29
	v_add_lshl_u32 v30, v30, v31, 23
	v_lshrrev_b32_e32 v28, 9, v28
	v_sub_u32_e32 v30, v32, v30
	v_or_b32_e32 v29, 0.5, v29
	v_lshlrev_b32_e32 v31, 23, v31
	v_or_b32_e32 v28, v30, v28
	v_lshrrev_b32_e32 v30, 9, v33
	v_sub_u32_e32 v29, v29, v31
	v_or_b32_e32 v29, v30, v29
	v_mul_f32_e32 v30, 0x3fc90fda, v29
	v_fma_f32 v31, v29, s54, -v30
	v_fmac_f32_e32 v31, 0x33a22168, v29
	v_fmac_f32_e32 v31, 0x3fc90fda, v28
	v_lshrrev_b32_e32 v1, 30, v1
	v_add_f32_e32 v28, v30, v31
	v_add_u32_e32 v29, v37, v1
	s_andn2_saveexec_b64 s[8:9], s[38:39]
	s_branch .LBB248_242
.LBB248_241:                            ;   in Loop: Header=BB248_217 Depth=1
	s_andn2_saveexec_b64 s[8:9], s[38:39]
.LBB248_242:                            ;   in Loop: Header=BB248_217 Depth=1
	v_mul_f32_e64 v1, |v14|, s55
	v_rndne_f32_e32 v1, v1
	v_cvt_i32_f32_e32 v29, v1
	v_fma_f32 v28, v1, s56, |v14|
	v_fmac_f32_e32 v28, 0xb3a22168, v1
	v_fmac_f32_e32 v28, 0xa7c234c4, v1
; %bb.243:                              ;   in Loop: Header=BB248_217 Depth=1
	s_or_b64 exec, exec, s[8:9]
                                        ; implicit-def: $vgpr30
                                        ; implicit-def: $vgpr31
	s_and_saveexec_b64 s[8:9], s[36:37]
	s_xor_b64 s[36:37], exec, s[8:9]
	s_cbranch_execz .LBB248_245
; %bb.244:                              ;   in Loop: Header=BB248_217 Depth=1
	v_and_b32_e32 v1, 0x7fffff, v27
	v_or_b32_e32 v37, 0x800000, v1
	v_mad_u64_u32 v[30:31], s[8:9], v37, s47, 0
	v_mov_b32_e32 v1, v31
	v_mad_u64_u32 v[31:32], s[8:9], v37, s48, v[1:2]
	v_mov_b32_e32 v1, v32
	;; [unrolled: 2-line block ×3, first 2 shown]
	v_mad_u64_u32 v[33:34], s[8:9], v37, s50, v[1:2]
	v_lshrrev_b32_e32 v1, 23, v27
	v_add_u32_e32 v36, 0xffffff88, v1
	v_mov_b32_e32 v1, v34
	v_mad_u64_u32 v[34:35], s[8:9], v37, s51, v[1:2]
	v_cmp_lt_u32_e32 vcc, 63, v36
	v_cndmask_b32_e32 v1, 0, v22, vcc
	v_add_u32_e32 v38, v1, v36
	v_mov_b32_e32 v1, v35
	v_mad_u64_u32 v[35:36], s[8:9], v37, s52, v[1:2]
	v_cmp_lt_u32_e64 s[8:9], 31, v38
	v_cndmask_b32_e64 v1, 0, v23, s[8:9]
	v_add_u32_e32 v38, v1, v38
	v_mov_b32_e32 v1, v36
	v_mad_u64_u32 v[36:37], s[10:11], v37, s53, v[1:2]
	v_cmp_lt_u32_e64 s[10:11], 31, v38
	v_cndmask_b32_e64 v1, 0, v23, s[10:11]
	v_add_u32_e32 v1, v1, v38
	v_cndmask_b32_e32 v38, v35, v33, vcc
	v_cndmask_b32_e32 v36, v36, v34, vcc
	v_cndmask_b32_e32 v35, v37, v35, vcc
	v_cndmask_b32_e32 v34, v34, v32, vcc
	v_cndmask_b32_e64 v37, v36, v38, s[8:9]
	v_cndmask_b32_e64 v35, v35, v36, s[8:9]
	v_cndmask_b32_e64 v36, v38, v34, s[8:9]
	v_cndmask_b32_e32 v31, v33, v31, vcc
	v_cndmask_b32_e64 v35, v35, v37, s[10:11]
	v_cndmask_b32_e64 v37, v37, v36, s[10:11]
	v_sub_u32_e32 v38, 32, v1
	v_cndmask_b32_e64 v33, v34, v31, s[8:9]
	v_alignbit_b32 v39, v35, v37, v38
	v_cmp_eq_u32_e64 s[12:13], 0, v1
	v_cndmask_b32_e64 v34, v36, v33, s[10:11]
	v_cndmask_b32_e64 v1, v39, v35, s[12:13]
	v_alignbit_b32 v35, v37, v34, v38
	v_cndmask_b32_e32 v30, v32, v30, vcc
	v_cndmask_b32_e64 v35, v35, v37, s[12:13]
	v_bfe_u32 v39, v1, 29, 1
	v_cndmask_b32_e64 v30, v31, v30, s[8:9]
	v_alignbit_b32 v36, v1, v35, 30
	v_sub_u32_e32 v40, 0, v39
	v_cndmask_b32_e64 v30, v33, v30, s[10:11]
	v_xor_b32_e32 v36, v36, v40
	v_alignbit_b32 v31, v34, v30, v38
	v_cndmask_b32_e64 v31, v31, v34, s[12:13]
	v_ffbh_u32_e32 v33, v36
	v_alignbit_b32 v32, v35, v31, 30
	v_min_u32_e32 v33, 32, v33
	v_alignbit_b32 v30, v31, v30, 30
	v_xor_b32_e32 v32, v32, v40
	v_sub_u32_e32 v34, 31, v33
	v_xor_b32_e32 v30, v30, v40
	v_alignbit_b32 v35, v36, v32, v34
	v_alignbit_b32 v30, v32, v30, v34
	;; [unrolled: 1-line block ×3, first 2 shown]
	v_ffbh_u32_e32 v32, v31
	v_min_u32_e32 v32, 32, v32
	v_lshrrev_b32_e32 v37, 29, v1
	v_not_b32_e32 v34, v32
	v_alignbit_b32 v30, v31, v30, v34
	v_lshlrev_b32_e32 v31, 31, v37
	v_or_b32_e32 v34, 0x33000000, v31
	v_add_lshl_u32 v32, v32, v33, 23
	v_lshrrev_b32_e32 v30, 9, v30
	v_sub_u32_e32 v32, v34, v32
	v_or_b32_e32 v31, 0.5, v31
	v_lshlrev_b32_e32 v33, 23, v33
	v_or_b32_e32 v30, v32, v30
	v_lshrrev_b32_e32 v32, 9, v35
	v_sub_u32_e32 v31, v31, v33
	v_or_b32_e32 v31, v32, v31
	v_mul_f32_e32 v32, 0x3fc90fda, v31
	v_fma_f32 v33, v31, s54, -v32
	v_fmac_f32_e32 v33, 0x33a22168, v31
	v_fmac_f32_e32 v33, 0x3fc90fda, v30
	v_lshrrev_b32_e32 v1, 30, v1
	v_add_f32_e32 v31, v32, v33
	v_add_u32_e32 v30, v39, v1
	s_andn2_saveexec_b64 s[8:9], s[36:37]
	s_cbranch_execnz .LBB248_246
	s_branch .LBB248_247
.LBB248_245:                            ;   in Loop: Header=BB248_217 Depth=1
	s_andn2_saveexec_b64 s[8:9], s[36:37]
.LBB248_246:                            ;   in Loop: Header=BB248_217 Depth=1
	v_mul_f32_e64 v1, |v14|, s55
	v_rndne_f32_e32 v1, v1
	v_cvt_i32_f32_e32 v30, v1
	v_fma_f32 v31, v1, s56, |v14|
	v_fmac_f32_e32 v31, 0xb3a22168, v1
	v_fmac_f32_e32 v31, 0xa7c234c4, v1
.LBB248_247:                            ;   in Loop: Header=BB248_217 Depth=1
	s_or_b64 exec, exec, s[8:9]
	v_mul_f32_e32 v32, v28, v28
	v_mov_b32_e32 v33, 0xbab64f3b
	v_fmac_f32_e32 v33, 0x37d75334, v32
	v_mov_b32_e32 v34, 0x3c0881c4
	v_fma_f32 v33, v32, v33, v20
	v_fmac_f32_e32 v34, 0xb94c1982, v32
	v_fma_f32 v33, v32, v33, v21
	v_fma_f32 v34, v32, v34, v19
	v_lshlrev_b32_e32 v1, 30, v29
	v_and_b32_e32 v29, 1, v29
	v_fma_f32 v33, v32, v33, 1.0
	v_mul_f32_e32 v32, v32, v34
	v_sub_f32_e32 v13, 0xc322e3bc, v13
	v_fmac_f32_e32 v28, v28, v32
	v_cmp_eq_u32_e32 vcc, 0, v29
	v_mul_f32_e32 v29, 0x3fb8aa3b, v13
	v_cndmask_b32_e64 v28, -v28, v33, vcc
	v_fma_f32 v32, v13, s61, -v29
	v_rndne_f32_e32 v33, v29
	v_fmac_f32_e32 v32, 0x32a5705f, v13
	v_sub_f32_e32 v29, v29, v33
	v_add_f32_e32 v29, v29, v32
	v_exp_f32_e32 v29, v29
	v_cvt_i32_f32_e32 v32, v33
	v_cmp_class_f32_e64 vcc, v14, s60
	v_cmp_ngt_f32_e64 s[8:9], s62, v13
	v_and_b32_e32 v1, 0x80000000, v1
	v_ldexp_f32 v14, v29, v32
	v_cndmask_b32_e64 v14, 0, v14, s[8:9]
	v_cmp_nlt_f32_e64 s[8:9], s63, v13
	v_cndmask_b32_e64 v13, v24, v14, s[8:9]
	v_and_b32_e32 v14, 0x7fffff, v13
	v_lshrrev_b32_e32 v13, 23, v13
	v_subrev_u32_e32 v13, 19, v13
	v_xor_b32_e32 v1, v1, v28
	v_lshrrev_b16_e32 v28, 15, v13
	v_add_u16_e32 v28, v13, v28
	v_ashrrev_i16_e32 v28, 1, v28
	v_bfe_i32 v28, v28, 0, 16
	v_lshl_add_u32 v29, v28, 23, 1.0
	v_sub_u32_e32 v13, v13, v28
	v_mul_f32_e32 v28, v31, v31
	v_mov_b32_e32 v32, 0x3c0881c4
	v_fmac_f32_e32 v32, 0xb94c1982, v28
	v_fma_f32 v32, v28, v32, v19
	v_mul_f32_e32 v32, v28, v32
	v_fmac_f32_e32 v31, v31, v32
	v_mov_b32_e32 v32, 0xbab64f3b
	v_fmac_f32_e32 v32, 0x37d75334, v28
	v_fma_f32 v32, v28, v32, v20
	v_fma_f32 v32, v28, v32, v21
	v_fma_f32 v28, v28, v32, 1.0
	v_and_b32_e32 v32, 1, v30
	v_cmp_eq_u32_e64 s[8:9], 0, v32
	v_lshlrev_b32_e32 v30, 30, v30
	v_cndmask_b32_e64 v28, v28, v31, s[8:9]
	v_and_or_b32 v27, v30, s43, v27
	v_xor_b32_e32 v27, v27, v28
	v_xor_b32_e32 v26, v27, v26
	v_cndmask_b32_e32 v1, v25, v1, vcc
	v_or_b32_e32 v14, 0x7f000000, v14
	v_cndmask_b32_e32 v26, v25, v26, vcc
	v_mul_f32_e32 v1, v1, v14
	v_mul_f32_e32 v14, v26, v14
	;; [unrolled: 1-line block ×3, first 2 shown]
	v_lshl_add_u32 v13, v13, 23, 1.0
	v_mul_f32_e32 v14, v14, v29
	v_mul_f32_e32 v1, v1, v13
	;; [unrolled: 1-line block ×3, first 2 shown]
	s_or_b64 exec, exec, s[34:35]
                                        ; implicit-def: $vgpr28
                                        ; implicit-def: $vgpr14
                                        ; implicit-def: $vgpr29
.LBB248_248:                            ;   in Loop: Header=BB248_217 Depth=1
	s_andn2_saveexec_b64 s[8:9], s[30:31]
	s_cbranch_execz .LBB248_254
.LBB248_249:                            ;   in Loop: Header=BB248_217 Depth=1
	v_cmp_ne_u32_e32 vcc, s44, v29
                                        ; implicit-def: $vgpr26
	s_and_saveexec_b64 s[10:11], vcc
	s_xor_b64 s[10:11], exec, s[10:11]
; %bb.250:                              ;   in Loop: Header=BB248_217 Depth=1
	v_sub_f32_e32 v26, v14, v14
                                        ; implicit-def: $vgpr28
                                        ; implicit-def: $vgpr14
; %bb.251:                              ;   in Loop: Header=BB248_217 Depth=1
	s_or_saveexec_b64 s[10:11], s[10:11]
	v_mov_b32_e32 v1, v26
	s_xor_b64 exec, exec, s[10:11]
; %bb.252:                              ;   in Loop: Header=BB248_217 Depth=1
	v_sub_f32_e32 v14, v14, v14
	v_cmp_lt_i32_e32 vcc, -1, v28
	v_cndmask_b32_e64 v1, 0, -v13, vcc
	v_cndmask_b32_e32 v26, 0, v14, vcc
; %bb.253:                              ;   in Loop: Header=BB248_217 Depth=1
	s_or_b64 exec, exec, s[10:11]
.LBB248_254:                            ;   in Loop: Header=BB248_217 Depth=1
	s_or_b64 exec, exec, s[8:9]
                                        ; implicit-def: $vgpr14
                                        ; implicit-def: $vgpr27
.LBB248_255:                            ;   in Loop: Header=BB248_217 Depth=1
	s_andn2_saveexec_b64 s[28:29], s[28:29]
	s_cbranch_execz .LBB248_265
; %bb.256:                              ;   in Loop: Header=BB248_217 Depth=1
	v_cmp_nlt_f32_e64 s[30:31], |v14|, s46
                                        ; implicit-def: $vgpr13
                                        ; implicit-def: $vgpr28
	s_and_saveexec_b64 s[8:9], s[30:31]
	s_xor_b64 s[34:35], exec, s[8:9]
	s_cbranch_execz .LBB248_258
; %bb.257:                              ;   in Loop: Header=BB248_217 Depth=1
	v_and_b32_e32 v1, 0x7fffff, v27
	v_or_b32_e32 v13, 0x800000, v1
	v_mad_u64_u32 v[28:29], s[8:9], v13, s47, 0
	v_mov_b32_e32 v1, v29
	v_mad_u64_u32 v[29:30], s[8:9], v13, s48, v[1:2]
	v_mov_b32_e32 v1, v30
	;; [unrolled: 2-line block ×3, first 2 shown]
	v_mad_u64_u32 v[31:32], s[8:9], v13, s50, v[1:2]
	v_lshrrev_b32_e32 v1, 23, v27
	v_add_u32_e32 v34, 0xffffff88, v1
	v_mov_b32_e32 v1, v32
	v_mad_u64_u32 v[32:33], s[8:9], v13, s51, v[1:2]
	v_cmp_lt_u32_e32 vcc, 63, v34
	v_cndmask_b32_e32 v1, 0, v22, vcc
	v_add_u32_e32 v35, v1, v34
	v_mov_b32_e32 v1, v33
	v_mad_u64_u32 v[33:34], s[8:9], v13, s52, v[1:2]
	v_cmp_lt_u32_e64 s[8:9], 31, v35
	v_cndmask_b32_e64 v1, 0, v23, s[8:9]
	v_add_u32_e32 v36, v1, v35
	v_mov_b32_e32 v1, v34
	v_mad_u64_u32 v[34:35], s[10:11], v13, s53, v[1:2]
	v_cmp_lt_u32_e64 s[10:11], 31, v36
	v_cndmask_b32_e64 v1, 0, v23, s[10:11]
	v_cndmask_b32_e32 v13, v33, v31, vcc
	v_cndmask_b32_e32 v34, v34, v32, vcc
	;; [unrolled: 1-line block ×4, first 2 shown]
	v_add_u32_e32 v1, v1, v36
	v_cndmask_b32_e64 v35, v34, v13, s[8:9]
	v_cndmask_b32_e64 v33, v33, v34, s[8:9]
	;; [unrolled: 1-line block ×3, first 2 shown]
	v_cndmask_b32_e32 v29, v31, v29, vcc
	v_cndmask_b32_e64 v33, v33, v35, s[10:11]
	v_cndmask_b32_e64 v34, v35, v13, s[10:11]
	v_sub_u32_e32 v35, 32, v1
	v_cndmask_b32_e64 v31, v32, v29, s[8:9]
	v_alignbit_b32 v36, v33, v34, v35
	v_cmp_eq_u32_e64 s[12:13], 0, v1
	v_cndmask_b32_e64 v13, v13, v31, s[10:11]
	v_cndmask_b32_e64 v1, v36, v33, s[12:13]
	v_alignbit_b32 v32, v34, v13, v35
	v_cndmask_b32_e32 v28, v30, v28, vcc
	v_cndmask_b32_e64 v32, v32, v34, s[12:13]
	v_bfe_u32 v36, v1, 29, 1
	v_cndmask_b32_e64 v28, v29, v28, s[8:9]
	v_alignbit_b32 v33, v1, v32, 30
	v_sub_u32_e32 v37, 0, v36
	v_cndmask_b32_e64 v28, v31, v28, s[10:11]
	v_xor_b32_e32 v33, v33, v37
	v_alignbit_b32 v29, v13, v28, v35
	v_cndmask_b32_e64 v13, v29, v13, s[12:13]
	v_ffbh_u32_e32 v30, v33
	v_alignbit_b32 v29, v32, v13, 30
	v_min_u32_e32 v30, 32, v30
	v_alignbit_b32 v13, v13, v28, 30
	v_xor_b32_e32 v29, v29, v37
	v_sub_u32_e32 v31, 31, v30
	v_xor_b32_e32 v13, v13, v37
	v_alignbit_b32 v32, v33, v29, v31
	v_alignbit_b32 v13, v29, v13, v31
	;; [unrolled: 1-line block ×3, first 2 shown]
	v_ffbh_u32_e32 v29, v28
	v_min_u32_e32 v29, 32, v29
	v_lshrrev_b32_e32 v34, 29, v1
	v_not_b32_e32 v31, v29
	v_alignbit_b32 v13, v28, v13, v31
	v_lshlrev_b32_e32 v28, 31, v34
	v_or_b32_e32 v31, 0x33000000, v28
	v_add_lshl_u32 v29, v29, v30, 23
	v_lshrrev_b32_e32 v13, 9, v13
	v_sub_u32_e32 v29, v31, v29
	v_or_b32_e32 v28, 0.5, v28
	v_lshlrev_b32_e32 v30, 23, v30
	v_or_b32_e32 v13, v29, v13
	v_lshrrev_b32_e32 v29, 9, v32
	v_sub_u32_e32 v28, v28, v30
	v_or_b32_e32 v28, v29, v28
	v_mul_f32_e32 v29, 0x3fc90fda, v28
	v_fma_f32 v30, v28, s54, -v29
	v_fmac_f32_e32 v30, 0x33a22168, v28
	v_fmac_f32_e32 v30, 0x3fc90fda, v13
	v_lshrrev_b32_e32 v1, 30, v1
	v_add_f32_e32 v28, v29, v30
	v_add_u32_e32 v13, v36, v1
	s_andn2_saveexec_b64 s[8:9], s[34:35]
	s_branch .LBB248_259
.LBB248_258:                            ;   in Loop: Header=BB248_217 Depth=1
	s_andn2_saveexec_b64 s[8:9], s[34:35]
.LBB248_259:                            ;   in Loop: Header=BB248_217 Depth=1
	v_mul_f32_e64 v1, |v14|, s55
	v_rndne_f32_e32 v1, v1
	v_cvt_i32_f32_e32 v13, v1
	v_fma_f32 v28, v1, s56, |v14|
	v_fmac_f32_e32 v28, 0xb3a22168, v1
	v_fmac_f32_e32 v28, 0xa7c234c4, v1
; %bb.260:                              ;   in Loop: Header=BB248_217 Depth=1
	s_or_b64 exec, exec, s[8:9]
                                        ; implicit-def: $vgpr29
                                        ; implicit-def: $vgpr30
	s_and_saveexec_b64 s[8:9], s[30:31]
	s_xor_b64 s[30:31], exec, s[8:9]
	s_cbranch_execz .LBB248_262
; %bb.261:                              ;   in Loop: Header=BB248_217 Depth=1
	v_and_b32_e32 v1, 0x7fffff, v27
	v_or_b32_e32 v36, 0x800000, v1
	v_mad_u64_u32 v[29:30], s[8:9], v36, s47, 0
	v_mov_b32_e32 v1, v30
	v_mad_u64_u32 v[30:31], s[8:9], v36, s48, v[1:2]
	v_mov_b32_e32 v1, v31
	;; [unrolled: 2-line block ×3, first 2 shown]
	v_mad_u64_u32 v[32:33], s[8:9], v36, s50, v[1:2]
	v_lshrrev_b32_e32 v1, 23, v27
	v_add_u32_e32 v35, 0xffffff88, v1
	v_mov_b32_e32 v1, v33
	v_mad_u64_u32 v[33:34], s[8:9], v36, s51, v[1:2]
	v_cmp_lt_u32_e32 vcc, 63, v35
	v_cndmask_b32_e32 v1, 0, v22, vcc
	v_add_u32_e32 v37, v1, v35
	v_mov_b32_e32 v1, v34
	v_mad_u64_u32 v[34:35], s[10:11], v36, s52, v[1:2]
	v_cmp_lt_u32_e64 s[8:9], 31, v37
	v_cndmask_b32_e64 v1, 0, v23, s[8:9]
	v_add_u32_e32 v37, v1, v37
	v_mov_b32_e32 v1, v35
	v_mad_u64_u32 v[35:36], s[12:13], v36, s53, v[1:2]
	v_cmp_lt_u32_e64 s[10:11], 31, v37
	v_cndmask_b32_e64 v1, 0, v23, s[10:11]
	v_add_u32_e32 v1, v1, v37
	v_cndmask_b32_e32 v37, v34, v32, vcc
	v_cndmask_b32_e32 v35, v35, v33, vcc
	;; [unrolled: 1-line block ×4, first 2 shown]
	v_cndmask_b32_e64 v36, v35, v37, s[8:9]
	v_cndmask_b32_e64 v34, v34, v35, s[8:9]
	;; [unrolled: 1-line block ×3, first 2 shown]
	v_cndmask_b32_e32 v30, v32, v30, vcc
	v_cndmask_b32_e64 v34, v34, v36, s[10:11]
	v_cndmask_b32_e64 v36, v36, v35, s[10:11]
	v_sub_u32_e32 v37, 32, v1
	v_cndmask_b32_e64 v32, v33, v30, s[8:9]
	v_alignbit_b32 v38, v34, v36, v37
	v_cmp_eq_u32_e64 s[12:13], 0, v1
	v_cndmask_b32_e64 v33, v35, v32, s[10:11]
	v_cndmask_b32_e64 v1, v38, v34, s[12:13]
	v_alignbit_b32 v34, v36, v33, v37
	v_cndmask_b32_e32 v29, v31, v29, vcc
	v_cndmask_b32_e64 v34, v34, v36, s[12:13]
	v_bfe_u32 v38, v1, 29, 1
	v_cndmask_b32_e64 v29, v30, v29, s[8:9]
	v_alignbit_b32 v35, v1, v34, 30
	v_sub_u32_e32 v39, 0, v38
	v_cndmask_b32_e64 v29, v32, v29, s[10:11]
	v_xor_b32_e32 v35, v35, v39
	v_alignbit_b32 v30, v33, v29, v37
	v_cndmask_b32_e64 v30, v30, v33, s[12:13]
	v_ffbh_u32_e32 v32, v35
	v_alignbit_b32 v31, v34, v30, 30
	v_min_u32_e32 v32, 32, v32
	v_alignbit_b32 v29, v30, v29, 30
	v_xor_b32_e32 v31, v31, v39
	v_sub_u32_e32 v33, 31, v32
	v_xor_b32_e32 v29, v29, v39
	v_alignbit_b32 v34, v35, v31, v33
	v_alignbit_b32 v29, v31, v29, v33
	;; [unrolled: 1-line block ×3, first 2 shown]
	v_ffbh_u32_e32 v31, v30
	v_min_u32_e32 v31, 32, v31
	v_lshrrev_b32_e32 v36, 29, v1
	v_not_b32_e32 v33, v31
	v_alignbit_b32 v29, v30, v29, v33
	v_lshlrev_b32_e32 v30, 31, v36
	v_or_b32_e32 v33, 0x33000000, v30
	v_add_lshl_u32 v31, v31, v32, 23
	v_lshrrev_b32_e32 v29, 9, v29
	v_sub_u32_e32 v31, v33, v31
	v_or_b32_e32 v30, 0.5, v30
	v_lshlrev_b32_e32 v32, 23, v32
	v_or_b32_e32 v29, v31, v29
	v_lshrrev_b32_e32 v31, 9, v34
	v_sub_u32_e32 v30, v30, v32
	v_or_b32_e32 v30, v31, v30
	v_mul_f32_e32 v31, 0x3fc90fda, v30
	v_fma_f32 v32, v30, s54, -v31
	v_fmac_f32_e32 v32, 0x33a22168, v30
	v_fmac_f32_e32 v32, 0x3fc90fda, v29
	v_lshrrev_b32_e32 v1, 30, v1
	v_add_f32_e32 v30, v31, v32
	v_add_u32_e32 v29, v38, v1
	s_andn2_saveexec_b64 s[8:9], s[30:31]
	s_cbranch_execnz .LBB248_263
	s_branch .LBB248_264
.LBB248_262:                            ;   in Loop: Header=BB248_217 Depth=1
	s_andn2_saveexec_b64 s[8:9], s[30:31]
.LBB248_263:                            ;   in Loop: Header=BB248_217 Depth=1
	v_mul_f32_e64 v1, |v14|, s55
	v_rndne_f32_e32 v1, v1
	v_cvt_i32_f32_e32 v29, v1
	v_fma_f32 v30, v1, s56, |v14|
	v_fmac_f32_e32 v30, 0xb3a22168, v1
	v_fmac_f32_e32 v30, 0xa7c234c4, v1
.LBB248_264:                            ;   in Loop: Header=BB248_217 Depth=1
	s_or_b64 exec, exec, s[8:9]
	v_mul_f32_e32 v1, v28, v28
	v_mov_b32_e32 v31, 0x3c0881c4
	v_fmac_f32_e32 v31, 0xb94c1982, v1
	v_fma_f32 v31, v1, v31, v19
	v_mul_f32_e32 v31, v1, v31
	v_fmac_f32_e32 v28, v28, v31
	v_mov_b32_e32 v31, 0xbab64f3b
	v_fmac_f32_e32 v31, 0x37d75334, v1
	v_fma_f32 v31, v1, v31, v20
	v_fma_f32 v31, v1, v31, v21
	v_fma_f32 v1, v1, v31, 1.0
	v_and_b32_e32 v31, 1, v13
	v_cmp_eq_u32_e32 vcc, 0, v31
	v_lshlrev_b32_e32 v13, 30, v13
	v_cndmask_b32_e64 v1, -v28, v1, vcc
	v_and_b32_e32 v13, 0x80000000, v13
	v_xor_b32_e32 v1, v13, v1
	v_cmp_class_f32_e64 vcc, v14, s60
	v_mul_f32_e32 v13, v30, v30
	v_mov_b32_e32 v14, 0x3c0881c4
	v_fmac_f32_e32 v14, 0xb94c1982, v13
	v_fma_f32 v14, v13, v14, v19
	v_mul_f32_e32 v14, v13, v14
	v_fmac_f32_e32 v30, v30, v14
	v_mov_b32_e32 v14, 0xbab64f3b
	v_fmac_f32_e32 v14, 0x37d75334, v13
	v_fma_f32 v14, v13, v14, v20
	v_fma_f32 v14, v13, v14, v21
	v_fma_f32 v13, v13, v14, 1.0
	v_and_b32_e32 v14, 1, v29
	v_cmp_eq_u32_e64 s[8:9], 0, v14
	v_lshlrev_b32_e32 v14, 30, v29
	v_cndmask_b32_e64 v13, v13, v30, s[8:9]
	v_and_or_b32 v14, v14, s43, v27
	v_xor_b32_e32 v13, v14, v13
	v_xor_b32_e32 v13, v13, v26
	v_cndmask_b32_e32 v1, v25, v1, vcc
	v_cndmask_b32_e32 v26, v25, v13, vcc
.LBB248_265:                            ;   in Loop: Header=BB248_217 Depth=1
	s_or_b64 exec, exec, s[28:29]
                                        ; implicit-def: $vgpr13
.LBB248_266:                            ;   in Loop: Header=BB248_217 Depth=1
	s_andn2_saveexec_b64 s[8:9], s[26:27]
	s_cbranch_execz .LBB248_268
; %bb.267:                              ;   in Loop: Header=BB248_217 Depth=1
	v_mul_f32_e32 v1, 0xbfb8aa3b, v13
	v_rndne_f32_e32 v14, v1
	v_sub_f32_e32 v27, v1, v14
	v_fma_f32 v1, v13, s57, -v1
	v_fmac_f32_e32 v1, 0xb2a5705f, v13
	v_add_f32_e32 v1, v27, v1
	v_cvt_i32_f32_e32 v14, v14
	v_exp_f32_e32 v1, v1
	v_cmp_nlt_f32_e32 vcc, s58, v13
	v_ldexp_f32 v1, v1, v14
	v_cndmask_b32_e32 v1, 0, v1, vcc
	v_cmp_ngt_f32_e32 vcc, s59, v13
	v_cndmask_b32_e32 v1, v24, v1, vcc
.LBB248_268:                            ;   in Loop: Header=BB248_217 Depth=1
	s_or_b64 exec, exec, s[8:9]
	v_add_f32_e32 v27, s14, v1
	v_add_f32_e32 v1, s15, v26
	v_cmp_gt_f32_e32 vcc, 0, v27
	v_cndmask_b32_e64 v26, v27, -v27, vcc
	v_cmp_gt_f32_e32 vcc, 0, v1
	v_cndmask_b32_e64 v28, v1, -v1, vcc
	v_cmp_ge_f32_e32 vcc, v26, v28
                                        ; implicit-def: $vgpr14
	s_and_saveexec_b64 s[8:9], vcc
	s_xor_b64 s[10:11], exec, s[8:9]
	s_cbranch_execz .LBB248_274
; %bb.269:                              ;   in Loop: Header=BB248_217 Depth=1
	v_cmp_neq_f32_e32 vcc, 0, v27
	v_cmp_neq_f32_e64 s[8:9], 0, v1
	s_or_b64 s[8:9], vcc, s[8:9]
                                        ; implicit-def: $vgpr14
	s_and_saveexec_b64 s[12:13], s[8:9]
	s_xor_b64 s[8:9], exec, s[12:13]
	s_cbranch_execz .LBB248_271
; %bb.270:                              ;   in Loop: Header=BB248_217 Depth=1
	v_div_scale_f32 v13, s[12:13], v27, v27, v1
	v_div_scale_f32 v14, vcc, v1, v27, v1
	v_rcp_f32_e32 v26, v13
	v_fma_f32 v28, -v13, v26, 1.0
	v_fmac_f32_e32 v26, v28, v26
	v_mul_f32_e32 v28, v14, v26
	v_fma_f32 v29, -v13, v28, v14
	v_fmac_f32_e32 v28, v29, v26
	v_fma_f32 v13, -v13, v28, v14
	v_div_fmas_f32 v13, v13, v26, v28
	v_div_fixup_f32 v13, v13, v27, v1
	v_fmac_f32_e32 v27, v1, v13
	v_div_scale_f32 v1, s[12:13], v27, v27, 1.0
	v_div_scale_f32 v14, vcc, 1.0, v27, 1.0
	v_rcp_f32_e32 v26, v1
	v_fma_f32 v28, -v1, v26, 1.0
	v_fmac_f32_e32 v26, v28, v26
	v_mul_f32_e32 v28, v14, v26
	v_fma_f32 v29, -v1, v28, v14
	v_fmac_f32_e32 v28, v29, v26
	v_fma_f32 v1, -v1, v28, v14
	v_div_fmas_f32 v1, v1, v26, v28
	v_mov_b32_e32 v14, s14
	v_mov_b32_e32 v26, s15
	v_fma_f32 v14, s15, v13, v14
	v_fma_f32 v26, -v13, s14, v26
                                        ; implicit-def: $vgpr28
	v_div_fixup_f32 v1, v1, v27, 1.0
	v_mul_f32_e32 v13, v14, v1
	v_mul_f32_e32 v14, v26, v1
                                        ; implicit-def: $vgpr26
.LBB248_271:                            ;   in Loop: Header=BB248_217 Depth=1
	s_andn2_saveexec_b64 s[12:13], s[8:9]
	s_cbranch_execz .LBB248_273
; %bb.272:                              ;   in Loop: Header=BB248_217 Depth=1
	v_div_scale_f32 v1, s[8:9], v26, v26, s14
	v_div_scale_f32 v13, s[8:9], v28, v28, s15
	v_div_scale_f32 v14, vcc, s14, v26, s14
	v_div_scale_f32 v27, s[8:9], s15, v28, s15
	v_rcp_f32_e32 v29, v1
	v_rcp_f32_e32 v30, v13
	v_fma_f32 v31, -v1, v29, 1.0
	v_fmac_f32_e32 v29, v31, v29
	v_fma_f32 v32, -v13, v30, 1.0
	v_fmac_f32_e32 v30, v32, v30
	v_mul_f32_e32 v31, v14, v29
	v_mul_f32_e32 v32, v27, v30
	v_fma_f32 v33, -v1, v31, v14
	v_fma_f32 v34, -v13, v32, v27
	v_fmac_f32_e32 v31, v33, v29
	v_fmac_f32_e32 v32, v34, v30
	v_fma_f32 v1, -v1, v31, v14
	v_fma_f32 v13, -v13, v32, v27
	v_div_fmas_f32 v1, v1, v29, v31
	s_mov_b64 vcc, s[8:9]
	v_div_fmas_f32 v14, v13, v30, v32
	v_div_fixup_f32 v13, v1, v26, s14
	v_div_fixup_f32 v14, v14, v28, s15
.LBB248_273:                            ;   in Loop: Header=BB248_217 Depth=1
	s_or_b64 exec, exec, s[12:13]
                                        ; implicit-def: $vgpr1
                                        ; implicit-def: $vgpr27
.LBB248_274:                            ;   in Loop: Header=BB248_217 Depth=1
	s_andn2_saveexec_b64 s[8:9], s[10:11]
	s_cbranch_execz .LBB248_276
; %bb.275:                              ;   in Loop: Header=BB248_217 Depth=1
	v_div_scale_f32 v13, s[10:11], v1, v1, v27
	v_div_scale_f32 v14, vcc, v27, v1, v27
	v_rcp_f32_e32 v26, v13
	v_fma_f32 v28, -v13, v26, 1.0
	v_fmac_f32_e32 v26, v28, v26
	v_mul_f32_e32 v28, v14, v26
	v_fma_f32 v29, -v13, v28, v14
	v_fmac_f32_e32 v28, v29, v26
	v_fma_f32 v13, -v13, v28, v14
	v_div_fmas_f32 v13, v13, v26, v28
	v_div_fixup_f32 v13, v13, v1, v27
	v_fmac_f32_e32 v1, v27, v13
	v_div_scale_f32 v14, s[10:11], v1, v1, 1.0
	v_div_scale_f32 v26, vcc, 1.0, v1, 1.0
	v_rcp_f32_e32 v27, v14
	v_fma_f32 v28, -v14, v27, 1.0
	v_fmac_f32_e32 v27, v28, v27
	v_mul_f32_e32 v28, v26, v27
	v_fma_f32 v29, -v14, v28, v26
	v_fmac_f32_e32 v28, v29, v27
	v_fma_f32 v14, -v14, v28, v26
	v_div_fmas_f32 v14, v14, v27, v28
	v_mov_b32_e32 v26, s15
	v_mov_b32_e32 v27, s14
	v_fma_f32 v26, s14, v13, v26
	v_fma_f32 v27, v13, s15, -v27
	v_div_fixup_f32 v1, v14, v1, 1.0
	v_mul_f32_e32 v13, v26, v1
	v_mul_f32_e32 v14, v27, v1
.LBB248_276:                            ;   in Loop: Header=BB248_217 Depth=1
	s_or_b64 exec, exec, s[8:9]
	v_and_b32_e32 v27, 0x7fffffff, v18
	v_xor_b32_e32 v26, 0x80000000, v18
	v_cmp_ne_u32_e32 vcc, 0, v27
                                        ; implicit-def: $vgpr1
	s_and_saveexec_b64 s[8:9], vcc
	s_xor_b64 s[26:27], exec, s[8:9]
	s_cbranch_execz .LBB248_319
; %bb.277:                              ;   in Loop: Header=BB248_217 Depth=1
	v_and_b32_e32 v29, 0x7fffffff, v17
	v_cmp_ne_u32_e32 vcc, 0, v29
                                        ; implicit-def: $vgpr1
	s_and_saveexec_b64 s[8:9], vcc
	s_xor_b64 s[28:29], exec, s[8:9]
	s_cbranch_execz .LBB248_308
; %bb.278:                              ;   in Loop: Header=BB248_217 Depth=1
	v_xor_b32_e32 v28, 0x80000000, v17
	v_cmp_gt_u32_e32 vcc, s44, v27
                                        ; implicit-def: $vgpr1
	s_and_saveexec_b64 s[8:9], vcc
	s_xor_b64 s[30:31], exec, s[8:9]
	s_cbranch_execz .LBB248_301
; %bb.279:                              ;   in Loop: Header=BB248_217 Depth=1
	v_add_u32_e32 v1, 0xbd4e8de8, v28
	v_cmp_lt_u32_e32 vcc, s45, v1
                                        ; implicit-def: $vgpr1
	s_and_saveexec_b64 s[8:9], vcc
	s_xor_b64 s[34:35], exec, s[8:9]
	s_cbranch_execz .LBB248_290
; %bb.280:                              ;   in Loop: Header=BB248_217 Depth=1
	v_cmp_nlt_f32_e64 s[36:37], |v18|, s46
                                        ; implicit-def: $vgpr28
                                        ; implicit-def: $vgpr29
	s_and_saveexec_b64 s[8:9], s[36:37]
	s_xor_b64 s[38:39], exec, s[8:9]
	s_cbranch_execz .LBB248_283
; %bb.281:                              ;   in Loop: Header=BB248_217 Depth=1
	v_and_b32_e32 v1, 0x7fffff, v27
	v_or_b32_e32 v35, 0x800000, v1
	v_mad_u64_u32 v[28:29], s[8:9], v35, s47, 0
	v_mov_b32_e32 v1, v29
	v_mad_u64_u32 v[29:30], s[8:9], v35, s48, v[1:2]
	v_mov_b32_e32 v1, v30
	;; [unrolled: 2-line block ×3, first 2 shown]
	v_mad_u64_u32 v[31:32], s[8:9], v35, s50, v[1:2]
	v_lshrrev_b32_e32 v1, 23, v27
	v_add_u32_e32 v34, 0xffffff88, v1
	v_mov_b32_e32 v1, v32
	v_mad_u64_u32 v[32:33], s[8:9], v35, s51, v[1:2]
	v_cmp_lt_u32_e32 vcc, 63, v34
	v_cndmask_b32_e32 v1, 0, v22, vcc
	v_add_u32_e32 v36, v1, v34
	v_mov_b32_e32 v1, v33
	v_mad_u64_u32 v[33:34], s[8:9], v35, s52, v[1:2]
	v_cmp_lt_u32_e64 s[8:9], 31, v36
	v_cndmask_b32_e64 v1, 0, v23, s[8:9]
	v_add_u32_e32 v36, v1, v36
	v_mov_b32_e32 v1, v34
	v_mad_u64_u32 v[34:35], s[10:11], v35, s53, v[1:2]
	v_cmp_lt_u32_e64 s[10:11], 31, v36
	v_cndmask_b32_e64 v1, 0, v23, s[10:11]
	v_add_u32_e32 v1, v1, v36
	v_cndmask_b32_e32 v36, v33, v31, vcc
	v_cndmask_b32_e32 v34, v34, v32, vcc
	v_cndmask_b32_e32 v33, v35, v33, vcc
	v_cndmask_b32_e32 v32, v32, v30, vcc
	v_cndmask_b32_e64 v35, v34, v36, s[8:9]
	v_cndmask_b32_e64 v33, v33, v34, s[8:9]
	;; [unrolled: 1-line block ×3, first 2 shown]
	v_cndmask_b32_e32 v29, v31, v29, vcc
	v_cndmask_b32_e64 v33, v33, v35, s[10:11]
	v_cndmask_b32_e64 v35, v35, v34, s[10:11]
	v_sub_u32_e32 v36, 32, v1
	v_cndmask_b32_e64 v31, v32, v29, s[8:9]
	v_alignbit_b32 v37, v33, v35, v36
	v_cmp_eq_u32_e64 s[12:13], 0, v1
	v_cndmask_b32_e64 v32, v34, v31, s[10:11]
	v_cndmask_b32_e64 v1, v37, v33, s[12:13]
	v_alignbit_b32 v33, v35, v32, v36
	v_cndmask_b32_e32 v28, v30, v28, vcc
	v_cndmask_b32_e64 v33, v33, v35, s[12:13]
	v_bfe_u32 v37, v1, 29, 1
	v_cndmask_b32_e64 v28, v29, v28, s[8:9]
	v_alignbit_b32 v34, v1, v33, 30
	v_sub_u32_e32 v38, 0, v37
	v_cndmask_b32_e64 v28, v31, v28, s[10:11]
	v_xor_b32_e32 v34, v34, v38
	v_alignbit_b32 v29, v32, v28, v36
	v_cndmask_b32_e64 v29, v29, v32, s[12:13]
	v_ffbh_u32_e32 v31, v34
	v_alignbit_b32 v30, v33, v29, 30
	v_min_u32_e32 v31, 32, v31
	v_alignbit_b32 v28, v29, v28, 30
	v_xor_b32_e32 v30, v30, v38
	v_sub_u32_e32 v32, 31, v31
	v_xor_b32_e32 v28, v28, v38
	v_alignbit_b32 v33, v34, v30, v32
	v_alignbit_b32 v28, v30, v28, v32
	;; [unrolled: 1-line block ×3, first 2 shown]
	v_ffbh_u32_e32 v30, v29
	v_min_u32_e32 v30, 32, v30
	v_lshrrev_b32_e32 v35, 29, v1
	v_not_b32_e32 v32, v30
	v_alignbit_b32 v28, v29, v28, v32
	v_lshlrev_b32_e32 v29, 31, v35
	v_or_b32_e32 v32, 0x33000000, v29
	v_add_lshl_u32 v30, v30, v31, 23
	v_lshrrev_b32_e32 v28, 9, v28
	v_sub_u32_e32 v30, v32, v30
	v_or_b32_e32 v29, 0.5, v29
	v_lshlrev_b32_e32 v31, 23, v31
	v_or_b32_e32 v28, v30, v28
	v_lshrrev_b32_e32 v30, 9, v33
	v_sub_u32_e32 v29, v29, v31
	v_or_b32_e32 v29, v30, v29
	v_mul_f32_e32 v30, 0x3fc90fda, v29
	v_fma_f32 v31, v29, s54, -v30
	v_fmac_f32_e32 v31, 0x33a22168, v29
	v_fmac_f32_e32 v31, 0x3fc90fda, v28
	v_lshrrev_b32_e32 v1, 30, v1
	v_add_f32_e32 v29, v30, v31
	v_add_u32_e32 v28, v37, v1
	s_andn2_saveexec_b64 s[8:9], s[38:39]
	s_branch .LBB248_284
.LBB248_282:                            ;   in Loop: Header=BB248_217 Depth=1
	s_or_b64 exec, exec, s[34:35]
                                        ; implicit-def: $vgpr28
                                        ; implicit-def: $vgpr14
                                        ; implicit-def: $vgpr29
	s_andn2_saveexec_b64 s[8:9], s[30:31]
	s_cbranch_execnz .LBB248_249
	s_branch .LBB248_254
.LBB248_283:                            ;   in Loop: Header=BB248_217 Depth=1
	s_andn2_saveexec_b64 s[8:9], s[38:39]
.LBB248_284:                            ;   in Loop: Header=BB248_217 Depth=1
	v_mul_f32_e64 v1, |v18|, s55
	v_rndne_f32_e32 v1, v1
	v_cvt_i32_f32_e32 v28, v1
	v_fma_f32 v29, v1, s56, |v18|
	v_fmac_f32_e32 v29, 0xb3a22168, v1
	v_fmac_f32_e32 v29, 0xa7c234c4, v1
; %bb.285:                              ;   in Loop: Header=BB248_217 Depth=1
	s_or_b64 exec, exec, s[8:9]
                                        ; implicit-def: $vgpr30
                                        ; implicit-def: $vgpr31
	s_and_saveexec_b64 s[8:9], s[36:37]
	s_xor_b64 s[36:37], exec, s[8:9]
	s_cbranch_execz .LBB248_287
; %bb.286:                              ;   in Loop: Header=BB248_217 Depth=1
	v_and_b32_e32 v1, 0x7fffff, v27
	v_or_b32_e32 v37, 0x800000, v1
	v_mad_u64_u32 v[30:31], s[8:9], v37, s47, 0
	v_mov_b32_e32 v1, v31
	v_mad_u64_u32 v[31:32], s[8:9], v37, s48, v[1:2]
	v_mov_b32_e32 v1, v32
	;; [unrolled: 2-line block ×3, first 2 shown]
	v_mad_u64_u32 v[33:34], s[8:9], v37, s50, v[1:2]
	v_lshrrev_b32_e32 v1, 23, v27
	v_add_u32_e32 v36, 0xffffff88, v1
	v_mov_b32_e32 v1, v34
	v_mad_u64_u32 v[34:35], s[8:9], v37, s51, v[1:2]
	v_cmp_lt_u32_e32 vcc, 63, v36
	v_cndmask_b32_e32 v1, 0, v22, vcc
	v_add_u32_e32 v38, v1, v36
	v_mov_b32_e32 v1, v35
	v_mad_u64_u32 v[35:36], s[8:9], v37, s52, v[1:2]
	v_cmp_lt_u32_e64 s[8:9], 31, v38
	v_cndmask_b32_e64 v1, 0, v23, s[8:9]
	v_add_u32_e32 v38, v1, v38
	v_mov_b32_e32 v1, v36
	v_mad_u64_u32 v[36:37], s[10:11], v37, s53, v[1:2]
	v_cmp_lt_u32_e64 s[10:11], 31, v38
	v_cndmask_b32_e64 v1, 0, v23, s[10:11]
	v_add_u32_e32 v1, v1, v38
	v_cndmask_b32_e32 v38, v35, v33, vcc
	v_cndmask_b32_e32 v36, v36, v34, vcc
	;; [unrolled: 1-line block ×4, first 2 shown]
	v_cndmask_b32_e64 v37, v36, v38, s[8:9]
	v_cndmask_b32_e64 v35, v35, v36, s[8:9]
	v_cndmask_b32_e64 v36, v38, v34, s[8:9]
	v_cndmask_b32_e32 v31, v33, v31, vcc
	v_cndmask_b32_e64 v35, v35, v37, s[10:11]
	v_cndmask_b32_e64 v37, v37, v36, s[10:11]
	v_sub_u32_e32 v38, 32, v1
	v_cndmask_b32_e64 v33, v34, v31, s[8:9]
	v_alignbit_b32 v39, v35, v37, v38
	v_cmp_eq_u32_e64 s[12:13], 0, v1
	v_cndmask_b32_e64 v34, v36, v33, s[10:11]
	v_cndmask_b32_e64 v1, v39, v35, s[12:13]
	v_alignbit_b32 v35, v37, v34, v38
	v_cndmask_b32_e32 v30, v32, v30, vcc
	v_cndmask_b32_e64 v35, v35, v37, s[12:13]
	v_bfe_u32 v39, v1, 29, 1
	v_cndmask_b32_e64 v30, v31, v30, s[8:9]
	v_alignbit_b32 v36, v1, v35, 30
	v_sub_u32_e32 v40, 0, v39
	v_cndmask_b32_e64 v30, v33, v30, s[10:11]
	v_xor_b32_e32 v36, v36, v40
	v_alignbit_b32 v31, v34, v30, v38
	v_cndmask_b32_e64 v31, v31, v34, s[12:13]
	v_ffbh_u32_e32 v33, v36
	v_alignbit_b32 v32, v35, v31, 30
	v_min_u32_e32 v33, 32, v33
	v_alignbit_b32 v30, v31, v30, 30
	v_xor_b32_e32 v32, v32, v40
	v_sub_u32_e32 v34, 31, v33
	v_xor_b32_e32 v30, v30, v40
	v_alignbit_b32 v35, v36, v32, v34
	v_alignbit_b32 v30, v32, v30, v34
	;; [unrolled: 1-line block ×3, first 2 shown]
	v_ffbh_u32_e32 v32, v31
	v_min_u32_e32 v32, 32, v32
	v_lshrrev_b32_e32 v37, 29, v1
	v_not_b32_e32 v34, v32
	v_alignbit_b32 v30, v31, v30, v34
	v_lshlrev_b32_e32 v31, 31, v37
	v_or_b32_e32 v34, 0x33000000, v31
	v_add_lshl_u32 v32, v32, v33, 23
	v_lshrrev_b32_e32 v30, 9, v30
	v_sub_u32_e32 v32, v34, v32
	v_or_b32_e32 v31, 0.5, v31
	v_lshlrev_b32_e32 v33, 23, v33
	v_or_b32_e32 v30, v32, v30
	v_lshrrev_b32_e32 v32, 9, v35
	v_sub_u32_e32 v31, v31, v33
	v_or_b32_e32 v31, v32, v31
	v_mul_f32_e32 v32, 0x3fc90fda, v31
	v_fma_f32 v33, v31, s54, -v32
	v_fmac_f32_e32 v33, 0x33a22168, v31
	v_fmac_f32_e32 v33, 0x3fc90fda, v30
	v_lshrrev_b32_e32 v1, 30, v1
	v_add_f32_e32 v31, v32, v33
	v_add_u32_e32 v30, v39, v1
	s_andn2_saveexec_b64 s[8:9], s[36:37]
	s_cbranch_execnz .LBB248_288
	s_branch .LBB248_289
.LBB248_287:                            ;   in Loop: Header=BB248_217 Depth=1
	s_andn2_saveexec_b64 s[8:9], s[36:37]
.LBB248_288:                            ;   in Loop: Header=BB248_217 Depth=1
	v_mul_f32_e64 v1, |v18|, s55
	v_rndne_f32_e32 v1, v1
	v_cvt_i32_f32_e32 v30, v1
	v_fma_f32 v31, v1, s56, |v18|
	v_fmac_f32_e32 v31, 0xb3a22168, v1
	v_fmac_f32_e32 v31, 0xa7c234c4, v1
.LBB248_289:                            ;   in Loop: Header=BB248_217 Depth=1
	s_or_b64 exec, exec, s[8:9]
	v_mul_f32_e32 v1, 0xbfb8aa3b, v17
	v_rndne_f32_e32 v32, v1
	v_sub_f32_e32 v33, v1, v32
	v_fma_f32 v1, v17, s57, -v1
	v_fmac_f32_e32 v1, 0xb2a5705f, v17
	v_add_f32_e32 v1, v33, v1
	v_cvt_i32_f32_e32 v32, v32
	v_exp_f32_e32 v1, v1
	v_cmp_nlt_f32_e32 vcc, s58, v17
	v_ldexp_f32 v1, v1, v32
	v_cndmask_b32_e32 v1, 0, v1, vcc
	v_cmp_ngt_f32_e32 vcc, s59, v17
	v_cndmask_b32_e32 v17, v24, v1, vcc
	v_mul_f32_e32 v1, v29, v29
	v_mov_b32_e32 v32, 0x3c0881c4
	v_fmac_f32_e32 v32, 0xb94c1982, v1
	v_fma_f32 v32, v1, v32, v19
	v_mul_f32_e32 v32, v1, v32
	v_fmac_f32_e32 v29, v29, v32
	v_mov_b32_e32 v32, 0xbab64f3b
	v_fmac_f32_e32 v32, 0x37d75334, v1
	v_fma_f32 v32, v1, v32, v20
	v_fma_f32 v32, v1, v32, v21
	v_fma_f32 v1, v1, v32, 1.0
	v_and_b32_e32 v32, 1, v28
	v_cmp_eq_u32_e32 vcc, 0, v32
	v_lshlrev_b32_e32 v28, 30, v28
	v_cndmask_b32_e64 v1, -v29, v1, vcc
	v_and_b32_e32 v28, 0x80000000, v28
	v_xor_b32_e32 v1, v28, v1
	v_cmp_class_f32_e64 vcc, v18, s60
	v_mul_f32_e32 v18, v31, v31
	v_mov_b32_e32 v28, 0x3c0881c4
	v_fmac_f32_e32 v28, 0xb94c1982, v18
	v_fma_f32 v28, v18, v28, v19
	v_mul_f32_e32 v28, v18, v28
	v_fmac_f32_e32 v31, v31, v28
	v_mov_b32_e32 v28, 0xbab64f3b
	v_fmac_f32_e32 v28, 0x37d75334, v18
	v_fma_f32 v28, v18, v28, v20
	v_fma_f32 v28, v18, v28, v21
	v_fma_f32 v18, v18, v28, 1.0
	v_and_b32_e32 v28, 1, v30
	v_cmp_eq_u32_e64 s[8:9], 0, v28
	v_lshlrev_b32_e32 v28, 30, v30
	v_cndmask_b32_e64 v18, v18, v31, s[8:9]
	v_and_or_b32 v27, v28, s43, v27
	v_xor_b32_e32 v18, v27, v18
	v_xor_b32_e32 v18, v18, v26
	v_cndmask_b32_e32 v1, v25, v1, vcc
	v_cndmask_b32_e32 v18, v25, v18, vcc
	v_mul_f32_e32 v1, v17, v1
	v_mul_f32_e32 v26, v17, v18
                                        ; implicit-def: $vgpr18
                                        ; implicit-def: $vgpr27
.LBB248_290:                            ;   in Loop: Header=BB248_217 Depth=1
	s_andn2_saveexec_b64 s[34:35], s[34:35]
	s_cbranch_execz .LBB248_300
; %bb.291:                              ;   in Loop: Header=BB248_217 Depth=1
	v_cmp_nlt_f32_e64 s[36:37], |v18|, s46
                                        ; implicit-def: $vgpr29
                                        ; implicit-def: $vgpr28
	s_and_saveexec_b64 s[8:9], s[36:37]
	s_xor_b64 s[38:39], exec, s[8:9]
	s_cbranch_execz .LBB248_293
; %bb.292:                              ;   in Loop: Header=BB248_217 Depth=1
	v_and_b32_e32 v1, 0x7fffff, v27
	v_or_b32_e32 v35, 0x800000, v1
	v_mad_u64_u32 v[28:29], s[8:9], v35, s47, 0
	v_mov_b32_e32 v1, v29
	v_mad_u64_u32 v[29:30], s[8:9], v35, s48, v[1:2]
	v_mov_b32_e32 v1, v30
	;; [unrolled: 2-line block ×3, first 2 shown]
	v_mad_u64_u32 v[31:32], s[8:9], v35, s50, v[1:2]
	v_lshrrev_b32_e32 v1, 23, v27
	v_add_u32_e32 v34, 0xffffff88, v1
	v_mov_b32_e32 v1, v32
	v_mad_u64_u32 v[32:33], s[8:9], v35, s51, v[1:2]
	v_cmp_lt_u32_e32 vcc, 63, v34
	v_cndmask_b32_e32 v1, 0, v22, vcc
	v_add_u32_e32 v36, v1, v34
	v_mov_b32_e32 v1, v33
	v_mad_u64_u32 v[33:34], s[8:9], v35, s52, v[1:2]
	v_cmp_lt_u32_e64 s[8:9], 31, v36
	v_cndmask_b32_e64 v1, 0, v23, s[8:9]
	v_add_u32_e32 v36, v1, v36
	v_mov_b32_e32 v1, v34
	v_mad_u64_u32 v[34:35], s[10:11], v35, s53, v[1:2]
	v_cmp_lt_u32_e64 s[10:11], 31, v36
	v_cndmask_b32_e64 v1, 0, v23, s[10:11]
	v_add_u32_e32 v1, v1, v36
	v_cndmask_b32_e32 v36, v33, v31, vcc
	v_cndmask_b32_e32 v34, v34, v32, vcc
	;; [unrolled: 1-line block ×4, first 2 shown]
	v_cndmask_b32_e64 v35, v34, v36, s[8:9]
	v_cndmask_b32_e64 v33, v33, v34, s[8:9]
	;; [unrolled: 1-line block ×3, first 2 shown]
	v_cndmask_b32_e32 v29, v31, v29, vcc
	v_cndmask_b32_e64 v33, v33, v35, s[10:11]
	v_cndmask_b32_e64 v35, v35, v34, s[10:11]
	v_sub_u32_e32 v36, 32, v1
	v_cndmask_b32_e64 v31, v32, v29, s[8:9]
	v_alignbit_b32 v37, v33, v35, v36
	v_cmp_eq_u32_e64 s[12:13], 0, v1
	v_cndmask_b32_e64 v32, v34, v31, s[10:11]
	v_cndmask_b32_e64 v1, v37, v33, s[12:13]
	v_alignbit_b32 v33, v35, v32, v36
	v_cndmask_b32_e32 v28, v30, v28, vcc
	v_cndmask_b32_e64 v33, v33, v35, s[12:13]
	v_bfe_u32 v37, v1, 29, 1
	v_cndmask_b32_e64 v28, v29, v28, s[8:9]
	v_alignbit_b32 v34, v1, v33, 30
	v_sub_u32_e32 v38, 0, v37
	v_cndmask_b32_e64 v28, v31, v28, s[10:11]
	v_xor_b32_e32 v34, v34, v38
	v_alignbit_b32 v29, v32, v28, v36
	v_cndmask_b32_e64 v29, v29, v32, s[12:13]
	v_ffbh_u32_e32 v31, v34
	v_alignbit_b32 v30, v33, v29, 30
	v_min_u32_e32 v31, 32, v31
	v_alignbit_b32 v28, v29, v28, 30
	v_xor_b32_e32 v30, v30, v38
	v_sub_u32_e32 v32, 31, v31
	v_xor_b32_e32 v28, v28, v38
	v_alignbit_b32 v33, v34, v30, v32
	v_alignbit_b32 v28, v30, v28, v32
	;; [unrolled: 1-line block ×3, first 2 shown]
	v_ffbh_u32_e32 v30, v29
	v_min_u32_e32 v30, 32, v30
	v_lshrrev_b32_e32 v35, 29, v1
	v_not_b32_e32 v32, v30
	v_alignbit_b32 v28, v29, v28, v32
	v_lshlrev_b32_e32 v29, 31, v35
	v_or_b32_e32 v32, 0x33000000, v29
	v_add_lshl_u32 v30, v30, v31, 23
	v_lshrrev_b32_e32 v28, 9, v28
	v_sub_u32_e32 v30, v32, v30
	v_or_b32_e32 v29, 0.5, v29
	v_lshlrev_b32_e32 v31, 23, v31
	v_or_b32_e32 v28, v30, v28
	v_lshrrev_b32_e32 v30, 9, v33
	v_sub_u32_e32 v29, v29, v31
	v_or_b32_e32 v29, v30, v29
	v_mul_f32_e32 v30, 0x3fc90fda, v29
	v_fma_f32 v31, v29, s54, -v30
	v_fmac_f32_e32 v31, 0x33a22168, v29
	v_fmac_f32_e32 v31, 0x3fc90fda, v28
	v_lshrrev_b32_e32 v1, 30, v1
	v_add_f32_e32 v28, v30, v31
	v_add_u32_e32 v29, v37, v1
	s_andn2_saveexec_b64 s[8:9], s[38:39]
	s_branch .LBB248_294
.LBB248_293:                            ;   in Loop: Header=BB248_217 Depth=1
	s_andn2_saveexec_b64 s[8:9], s[38:39]
.LBB248_294:                            ;   in Loop: Header=BB248_217 Depth=1
	v_mul_f32_e64 v1, |v18|, s55
	v_rndne_f32_e32 v1, v1
	v_cvt_i32_f32_e32 v29, v1
	v_fma_f32 v28, v1, s56, |v18|
	v_fmac_f32_e32 v28, 0xb3a22168, v1
	v_fmac_f32_e32 v28, 0xa7c234c4, v1
; %bb.295:                              ;   in Loop: Header=BB248_217 Depth=1
	s_or_b64 exec, exec, s[8:9]
                                        ; implicit-def: $vgpr30
                                        ; implicit-def: $vgpr31
	s_and_saveexec_b64 s[8:9], s[36:37]
	s_xor_b64 s[36:37], exec, s[8:9]
	s_cbranch_execz .LBB248_297
; %bb.296:                              ;   in Loop: Header=BB248_217 Depth=1
	v_and_b32_e32 v1, 0x7fffff, v27
	v_or_b32_e32 v37, 0x800000, v1
	v_mad_u64_u32 v[30:31], s[8:9], v37, s47, 0
	v_mov_b32_e32 v1, v31
	v_mad_u64_u32 v[31:32], s[8:9], v37, s48, v[1:2]
	v_mov_b32_e32 v1, v32
	;; [unrolled: 2-line block ×3, first 2 shown]
	v_mad_u64_u32 v[33:34], s[8:9], v37, s50, v[1:2]
	v_lshrrev_b32_e32 v1, 23, v27
	v_add_u32_e32 v36, 0xffffff88, v1
	v_mov_b32_e32 v1, v34
	v_mad_u64_u32 v[34:35], s[8:9], v37, s51, v[1:2]
	v_cmp_lt_u32_e32 vcc, 63, v36
	v_cndmask_b32_e32 v1, 0, v22, vcc
	v_add_u32_e32 v38, v1, v36
	v_mov_b32_e32 v1, v35
	v_mad_u64_u32 v[35:36], s[8:9], v37, s52, v[1:2]
	v_cmp_lt_u32_e64 s[8:9], 31, v38
	v_cndmask_b32_e64 v1, 0, v23, s[8:9]
	v_add_u32_e32 v38, v1, v38
	v_mov_b32_e32 v1, v36
	v_mad_u64_u32 v[36:37], s[10:11], v37, s53, v[1:2]
	v_cmp_lt_u32_e64 s[10:11], 31, v38
	v_cndmask_b32_e64 v1, 0, v23, s[10:11]
	v_add_u32_e32 v1, v1, v38
	v_cndmask_b32_e32 v38, v35, v33, vcc
	v_cndmask_b32_e32 v36, v36, v34, vcc
	;; [unrolled: 1-line block ×4, first 2 shown]
	v_cndmask_b32_e64 v37, v36, v38, s[8:9]
	v_cndmask_b32_e64 v35, v35, v36, s[8:9]
	;; [unrolled: 1-line block ×3, first 2 shown]
	v_cndmask_b32_e32 v31, v33, v31, vcc
	v_cndmask_b32_e64 v35, v35, v37, s[10:11]
	v_cndmask_b32_e64 v37, v37, v36, s[10:11]
	v_sub_u32_e32 v38, 32, v1
	v_cndmask_b32_e64 v33, v34, v31, s[8:9]
	v_alignbit_b32 v39, v35, v37, v38
	v_cmp_eq_u32_e64 s[12:13], 0, v1
	v_cndmask_b32_e64 v34, v36, v33, s[10:11]
	v_cndmask_b32_e64 v1, v39, v35, s[12:13]
	v_alignbit_b32 v35, v37, v34, v38
	v_cndmask_b32_e32 v30, v32, v30, vcc
	v_cndmask_b32_e64 v35, v35, v37, s[12:13]
	v_bfe_u32 v39, v1, 29, 1
	v_cndmask_b32_e64 v30, v31, v30, s[8:9]
	v_alignbit_b32 v36, v1, v35, 30
	v_sub_u32_e32 v40, 0, v39
	v_cndmask_b32_e64 v30, v33, v30, s[10:11]
	v_xor_b32_e32 v36, v36, v40
	v_alignbit_b32 v31, v34, v30, v38
	v_cndmask_b32_e64 v31, v31, v34, s[12:13]
	v_ffbh_u32_e32 v33, v36
	v_alignbit_b32 v32, v35, v31, 30
	v_min_u32_e32 v33, 32, v33
	v_alignbit_b32 v30, v31, v30, 30
	v_xor_b32_e32 v32, v32, v40
	v_sub_u32_e32 v34, 31, v33
	v_xor_b32_e32 v30, v30, v40
	v_alignbit_b32 v35, v36, v32, v34
	v_alignbit_b32 v30, v32, v30, v34
	;; [unrolled: 1-line block ×3, first 2 shown]
	v_ffbh_u32_e32 v32, v31
	v_min_u32_e32 v32, 32, v32
	v_lshrrev_b32_e32 v37, 29, v1
	v_not_b32_e32 v34, v32
	v_alignbit_b32 v30, v31, v30, v34
	v_lshlrev_b32_e32 v31, 31, v37
	v_or_b32_e32 v34, 0x33000000, v31
	v_add_lshl_u32 v32, v32, v33, 23
	v_lshrrev_b32_e32 v30, 9, v30
	v_sub_u32_e32 v32, v34, v32
	v_or_b32_e32 v31, 0.5, v31
	v_lshlrev_b32_e32 v33, 23, v33
	v_or_b32_e32 v30, v32, v30
	v_lshrrev_b32_e32 v32, 9, v35
	v_sub_u32_e32 v31, v31, v33
	v_or_b32_e32 v31, v32, v31
	v_mul_f32_e32 v32, 0x3fc90fda, v31
	v_fma_f32 v33, v31, s54, -v32
	v_fmac_f32_e32 v33, 0x33a22168, v31
	v_fmac_f32_e32 v33, 0x3fc90fda, v30
	v_lshrrev_b32_e32 v1, 30, v1
	v_add_f32_e32 v31, v32, v33
	v_add_u32_e32 v30, v39, v1
	s_andn2_saveexec_b64 s[8:9], s[36:37]
	s_cbranch_execnz .LBB248_298
	s_branch .LBB248_299
.LBB248_297:                            ;   in Loop: Header=BB248_217 Depth=1
	s_andn2_saveexec_b64 s[8:9], s[36:37]
.LBB248_298:                            ;   in Loop: Header=BB248_217 Depth=1
	v_mul_f32_e64 v1, |v18|, s55
	v_rndne_f32_e32 v1, v1
	v_cvt_i32_f32_e32 v30, v1
	v_fma_f32 v31, v1, s56, |v18|
	v_fmac_f32_e32 v31, 0xb3a22168, v1
	v_fmac_f32_e32 v31, 0xa7c234c4, v1
.LBB248_299:                            ;   in Loop: Header=BB248_217 Depth=1
	s_or_b64 exec, exec, s[8:9]
	v_mul_f32_e32 v32, v28, v28
	v_mov_b32_e32 v33, 0xbab64f3b
	v_fmac_f32_e32 v33, 0x37d75334, v32
	v_mov_b32_e32 v34, 0x3c0881c4
	v_fma_f32 v33, v32, v33, v20
	v_fmac_f32_e32 v34, 0xb94c1982, v32
	v_fma_f32 v33, v32, v33, v21
	v_fma_f32 v34, v32, v34, v19
	v_lshlrev_b32_e32 v1, 30, v29
	v_and_b32_e32 v29, 1, v29
	v_fma_f32 v33, v32, v33, 1.0
	v_mul_f32_e32 v32, v32, v34
	v_sub_f32_e32 v17, 0xc322e3bc, v17
	v_fmac_f32_e32 v28, v28, v32
	v_cmp_eq_u32_e32 vcc, 0, v29
	v_mul_f32_e32 v29, 0x3fb8aa3b, v17
	v_cndmask_b32_e64 v28, -v28, v33, vcc
	v_fma_f32 v32, v17, s61, -v29
	v_rndne_f32_e32 v33, v29
	v_fmac_f32_e32 v32, 0x32a5705f, v17
	v_sub_f32_e32 v29, v29, v33
	v_add_f32_e32 v29, v29, v32
	v_exp_f32_e32 v29, v29
	v_cvt_i32_f32_e32 v32, v33
	v_cmp_class_f32_e64 vcc, v18, s60
	v_cmp_ngt_f32_e64 s[8:9], s62, v17
	v_and_b32_e32 v1, 0x80000000, v1
	v_ldexp_f32 v18, v29, v32
	v_cndmask_b32_e64 v18, 0, v18, s[8:9]
	v_cmp_nlt_f32_e64 s[8:9], s63, v17
	v_cndmask_b32_e64 v17, v24, v18, s[8:9]
	v_and_b32_e32 v18, 0x7fffff, v17
	v_lshrrev_b32_e32 v17, 23, v17
	v_subrev_u32_e32 v17, 19, v17
	v_xor_b32_e32 v1, v1, v28
	v_lshrrev_b16_e32 v28, 15, v17
	v_add_u16_e32 v28, v17, v28
	v_ashrrev_i16_e32 v28, 1, v28
	v_bfe_i32 v28, v28, 0, 16
	v_lshl_add_u32 v29, v28, 23, 1.0
	v_sub_u32_e32 v17, v17, v28
	v_mul_f32_e32 v28, v31, v31
	v_mov_b32_e32 v32, 0x3c0881c4
	v_fmac_f32_e32 v32, 0xb94c1982, v28
	v_fma_f32 v32, v28, v32, v19
	v_mul_f32_e32 v32, v28, v32
	v_fmac_f32_e32 v31, v31, v32
	v_mov_b32_e32 v32, 0xbab64f3b
	v_fmac_f32_e32 v32, 0x37d75334, v28
	v_fma_f32 v32, v28, v32, v20
	v_fma_f32 v32, v28, v32, v21
	v_fma_f32 v28, v28, v32, 1.0
	v_and_b32_e32 v32, 1, v30
	v_cmp_eq_u32_e64 s[8:9], 0, v32
	v_lshlrev_b32_e32 v30, 30, v30
	v_cndmask_b32_e64 v28, v28, v31, s[8:9]
	v_and_or_b32 v27, v30, s43, v27
	v_xor_b32_e32 v27, v27, v28
	v_xor_b32_e32 v26, v27, v26
	v_cndmask_b32_e32 v1, v25, v1, vcc
	v_or_b32_e32 v18, 0x7f000000, v18
	v_cndmask_b32_e32 v26, v25, v26, vcc
	v_mul_f32_e32 v1, v1, v18
	v_mul_f32_e32 v18, v26, v18
	;; [unrolled: 1-line block ×3, first 2 shown]
	v_lshl_add_u32 v17, v17, 23, 1.0
	v_mul_f32_e32 v18, v18, v29
	v_mul_f32_e32 v1, v1, v17
	;; [unrolled: 1-line block ×3, first 2 shown]
.LBB248_300:                            ;   in Loop: Header=BB248_217 Depth=1
	s_or_b64 exec, exec, s[34:35]
                                        ; implicit-def: $vgpr28
                                        ; implicit-def: $vgpr18
                                        ; implicit-def: $vgpr29
.LBB248_301:                            ;   in Loop: Header=BB248_217 Depth=1
	s_andn2_saveexec_b64 s[8:9], s[30:31]
	s_cbranch_execz .LBB248_307
; %bb.302:                              ;   in Loop: Header=BB248_217 Depth=1
	v_cmp_ne_u32_e32 vcc, s44, v29
                                        ; implicit-def: $vgpr26
	s_and_saveexec_b64 s[10:11], vcc
	s_xor_b64 s[10:11], exec, s[10:11]
; %bb.303:                              ;   in Loop: Header=BB248_217 Depth=1
	v_sub_f32_e32 v26, v18, v18
                                        ; implicit-def: $vgpr28
                                        ; implicit-def: $vgpr18
; %bb.304:                              ;   in Loop: Header=BB248_217 Depth=1
	s_or_saveexec_b64 s[10:11], s[10:11]
	v_mov_b32_e32 v1, v26
	s_xor_b64 exec, exec, s[10:11]
; %bb.305:                              ;   in Loop: Header=BB248_217 Depth=1
	v_sub_f32_e32 v18, v18, v18
	v_cmp_lt_i32_e32 vcc, -1, v28
	v_cndmask_b32_e64 v1, 0, -v17, vcc
	v_cndmask_b32_e32 v26, 0, v18, vcc
; %bb.306:                              ;   in Loop: Header=BB248_217 Depth=1
	s_or_b64 exec, exec, s[10:11]
.LBB248_307:                            ;   in Loop: Header=BB248_217 Depth=1
	s_or_b64 exec, exec, s[8:9]
                                        ; implicit-def: $vgpr18
                                        ; implicit-def: $vgpr27
.LBB248_308:                            ;   in Loop: Header=BB248_217 Depth=1
	s_andn2_saveexec_b64 s[28:29], s[28:29]
	s_cbranch_execz .LBB248_318
; %bb.309:                              ;   in Loop: Header=BB248_217 Depth=1
	v_cmp_nlt_f32_e64 s[30:31], |v18|, s46
                                        ; implicit-def: $vgpr17
                                        ; implicit-def: $vgpr28
	s_and_saveexec_b64 s[8:9], s[30:31]
	s_xor_b64 s[34:35], exec, s[8:9]
	s_cbranch_execz .LBB248_311
; %bb.310:                              ;   in Loop: Header=BB248_217 Depth=1
	v_and_b32_e32 v1, 0x7fffff, v27
	v_or_b32_e32 v17, 0x800000, v1
	v_mad_u64_u32 v[28:29], s[8:9], v17, s47, 0
	v_mov_b32_e32 v1, v29
	v_mad_u64_u32 v[29:30], s[8:9], v17, s48, v[1:2]
	v_mov_b32_e32 v1, v30
	;; [unrolled: 2-line block ×3, first 2 shown]
	v_mad_u64_u32 v[31:32], s[8:9], v17, s50, v[1:2]
	v_lshrrev_b32_e32 v1, 23, v27
	v_add_u32_e32 v34, 0xffffff88, v1
	v_mov_b32_e32 v1, v32
	v_mad_u64_u32 v[32:33], s[8:9], v17, s51, v[1:2]
	v_cmp_lt_u32_e32 vcc, 63, v34
	v_cndmask_b32_e32 v1, 0, v22, vcc
	v_add_u32_e32 v35, v1, v34
	v_mov_b32_e32 v1, v33
	v_mad_u64_u32 v[33:34], s[8:9], v17, s52, v[1:2]
	v_cmp_lt_u32_e64 s[8:9], 31, v35
	v_cndmask_b32_e64 v1, 0, v23, s[8:9]
	v_add_u32_e32 v36, v1, v35
	v_mov_b32_e32 v1, v34
	v_mad_u64_u32 v[34:35], s[10:11], v17, s53, v[1:2]
	v_cmp_lt_u32_e64 s[10:11], 31, v36
	v_cndmask_b32_e64 v1, 0, v23, s[10:11]
	v_cndmask_b32_e32 v17, v33, v31, vcc
	v_cndmask_b32_e32 v34, v34, v32, vcc
	;; [unrolled: 1-line block ×4, first 2 shown]
	v_add_u32_e32 v1, v1, v36
	v_cndmask_b32_e64 v35, v34, v17, s[8:9]
	v_cndmask_b32_e64 v33, v33, v34, s[8:9]
	;; [unrolled: 1-line block ×3, first 2 shown]
	v_cndmask_b32_e32 v29, v31, v29, vcc
	v_cndmask_b32_e64 v33, v33, v35, s[10:11]
	v_cndmask_b32_e64 v34, v35, v17, s[10:11]
	v_sub_u32_e32 v35, 32, v1
	v_cndmask_b32_e64 v31, v32, v29, s[8:9]
	v_alignbit_b32 v36, v33, v34, v35
	v_cmp_eq_u32_e64 s[12:13], 0, v1
	v_cndmask_b32_e64 v17, v17, v31, s[10:11]
	v_cndmask_b32_e64 v1, v36, v33, s[12:13]
	v_alignbit_b32 v32, v34, v17, v35
	v_cndmask_b32_e32 v28, v30, v28, vcc
	v_cndmask_b32_e64 v32, v32, v34, s[12:13]
	v_bfe_u32 v36, v1, 29, 1
	v_cndmask_b32_e64 v28, v29, v28, s[8:9]
	v_alignbit_b32 v33, v1, v32, 30
	v_sub_u32_e32 v37, 0, v36
	v_cndmask_b32_e64 v28, v31, v28, s[10:11]
	v_xor_b32_e32 v33, v33, v37
	v_alignbit_b32 v29, v17, v28, v35
	v_cndmask_b32_e64 v17, v29, v17, s[12:13]
	v_ffbh_u32_e32 v30, v33
	v_alignbit_b32 v29, v32, v17, 30
	v_min_u32_e32 v30, 32, v30
	v_alignbit_b32 v17, v17, v28, 30
	v_xor_b32_e32 v29, v29, v37
	v_sub_u32_e32 v31, 31, v30
	v_xor_b32_e32 v17, v17, v37
	v_alignbit_b32 v32, v33, v29, v31
	v_alignbit_b32 v17, v29, v17, v31
	;; [unrolled: 1-line block ×3, first 2 shown]
	v_ffbh_u32_e32 v29, v28
	v_min_u32_e32 v29, 32, v29
	v_lshrrev_b32_e32 v34, 29, v1
	v_not_b32_e32 v31, v29
	v_alignbit_b32 v17, v28, v17, v31
	v_lshlrev_b32_e32 v28, 31, v34
	v_or_b32_e32 v31, 0x33000000, v28
	v_add_lshl_u32 v29, v29, v30, 23
	v_lshrrev_b32_e32 v17, 9, v17
	v_sub_u32_e32 v29, v31, v29
	v_or_b32_e32 v28, 0.5, v28
	v_lshlrev_b32_e32 v30, 23, v30
	v_or_b32_e32 v17, v29, v17
	v_lshrrev_b32_e32 v29, 9, v32
	v_sub_u32_e32 v28, v28, v30
	v_or_b32_e32 v28, v29, v28
	v_mul_f32_e32 v29, 0x3fc90fda, v28
	v_fma_f32 v30, v28, s54, -v29
	v_fmac_f32_e32 v30, 0x33a22168, v28
	v_fmac_f32_e32 v30, 0x3fc90fda, v17
	v_lshrrev_b32_e32 v1, 30, v1
	v_add_f32_e32 v28, v29, v30
	v_add_u32_e32 v17, v36, v1
	s_andn2_saveexec_b64 s[8:9], s[34:35]
	s_branch .LBB248_312
.LBB248_311:                            ;   in Loop: Header=BB248_217 Depth=1
	s_andn2_saveexec_b64 s[8:9], s[34:35]
.LBB248_312:                            ;   in Loop: Header=BB248_217 Depth=1
	v_mul_f32_e64 v1, |v18|, s55
	v_rndne_f32_e32 v1, v1
	v_cvt_i32_f32_e32 v17, v1
	v_fma_f32 v28, v1, s56, |v18|
	v_fmac_f32_e32 v28, 0xb3a22168, v1
	v_fmac_f32_e32 v28, 0xa7c234c4, v1
; %bb.313:                              ;   in Loop: Header=BB248_217 Depth=1
	s_or_b64 exec, exec, s[8:9]
                                        ; implicit-def: $vgpr29
                                        ; implicit-def: $vgpr30
	s_and_saveexec_b64 s[8:9], s[30:31]
	s_xor_b64 s[30:31], exec, s[8:9]
	s_cbranch_execz .LBB248_315
; %bb.314:                              ;   in Loop: Header=BB248_217 Depth=1
	v_and_b32_e32 v1, 0x7fffff, v27
	v_or_b32_e32 v36, 0x800000, v1
	v_mad_u64_u32 v[29:30], s[8:9], v36, s47, 0
	v_mov_b32_e32 v1, v30
	v_mad_u64_u32 v[30:31], s[8:9], v36, s48, v[1:2]
	v_mov_b32_e32 v1, v31
	;; [unrolled: 2-line block ×3, first 2 shown]
	v_mad_u64_u32 v[32:33], s[8:9], v36, s50, v[1:2]
	v_lshrrev_b32_e32 v1, 23, v27
	v_add_u32_e32 v35, 0xffffff88, v1
	v_mov_b32_e32 v1, v33
	v_mad_u64_u32 v[33:34], s[8:9], v36, s51, v[1:2]
	v_cmp_lt_u32_e32 vcc, 63, v35
	v_cndmask_b32_e32 v1, 0, v22, vcc
	v_add_u32_e32 v37, v1, v35
	v_mov_b32_e32 v1, v34
	v_mad_u64_u32 v[34:35], s[8:9], v36, s52, v[1:2]
	v_cmp_lt_u32_e64 s[8:9], 31, v37
	v_cndmask_b32_e64 v1, 0, v23, s[8:9]
	v_add_u32_e32 v37, v1, v37
	v_mov_b32_e32 v1, v35
	v_mad_u64_u32 v[35:36], s[10:11], v36, s53, v[1:2]
	v_cmp_lt_u32_e64 s[10:11], 31, v37
	v_cndmask_b32_e64 v1, 0, v23, s[10:11]
	v_add_u32_e32 v1, v1, v37
	v_cndmask_b32_e32 v37, v34, v32, vcc
	v_cndmask_b32_e32 v35, v35, v33, vcc
	;; [unrolled: 1-line block ×4, first 2 shown]
	v_cndmask_b32_e64 v36, v35, v37, s[8:9]
	v_cndmask_b32_e64 v34, v34, v35, s[8:9]
	;; [unrolled: 1-line block ×3, first 2 shown]
	v_cndmask_b32_e32 v30, v32, v30, vcc
	v_cndmask_b32_e64 v34, v34, v36, s[10:11]
	v_cndmask_b32_e64 v36, v36, v35, s[10:11]
	v_sub_u32_e32 v37, 32, v1
	v_cndmask_b32_e64 v32, v33, v30, s[8:9]
	v_alignbit_b32 v38, v34, v36, v37
	v_cmp_eq_u32_e64 s[12:13], 0, v1
	v_cndmask_b32_e64 v33, v35, v32, s[10:11]
	v_cndmask_b32_e64 v1, v38, v34, s[12:13]
	v_alignbit_b32 v34, v36, v33, v37
	v_cndmask_b32_e32 v29, v31, v29, vcc
	v_cndmask_b32_e64 v34, v34, v36, s[12:13]
	v_bfe_u32 v38, v1, 29, 1
	v_cndmask_b32_e64 v29, v30, v29, s[8:9]
	v_alignbit_b32 v35, v1, v34, 30
	v_sub_u32_e32 v39, 0, v38
	v_cndmask_b32_e64 v29, v32, v29, s[10:11]
	v_xor_b32_e32 v35, v35, v39
	v_alignbit_b32 v30, v33, v29, v37
	v_cndmask_b32_e64 v30, v30, v33, s[12:13]
	v_ffbh_u32_e32 v32, v35
	v_alignbit_b32 v31, v34, v30, 30
	v_min_u32_e32 v32, 32, v32
	v_alignbit_b32 v29, v30, v29, 30
	v_xor_b32_e32 v31, v31, v39
	v_sub_u32_e32 v33, 31, v32
	v_xor_b32_e32 v29, v29, v39
	v_alignbit_b32 v34, v35, v31, v33
	v_alignbit_b32 v29, v31, v29, v33
	;; [unrolled: 1-line block ×3, first 2 shown]
	v_ffbh_u32_e32 v31, v30
	v_min_u32_e32 v31, 32, v31
	v_lshrrev_b32_e32 v36, 29, v1
	v_not_b32_e32 v33, v31
	v_alignbit_b32 v29, v30, v29, v33
	v_lshlrev_b32_e32 v30, 31, v36
	v_or_b32_e32 v33, 0x33000000, v30
	v_add_lshl_u32 v31, v31, v32, 23
	v_lshrrev_b32_e32 v29, 9, v29
	v_sub_u32_e32 v31, v33, v31
	v_or_b32_e32 v30, 0.5, v30
	v_lshlrev_b32_e32 v32, 23, v32
	v_or_b32_e32 v29, v31, v29
	v_lshrrev_b32_e32 v31, 9, v34
	v_sub_u32_e32 v30, v30, v32
	v_or_b32_e32 v30, v31, v30
	v_mul_f32_e32 v31, 0x3fc90fda, v30
	v_fma_f32 v32, v30, s54, -v31
	v_fmac_f32_e32 v32, 0x33a22168, v30
	v_fmac_f32_e32 v32, 0x3fc90fda, v29
	v_lshrrev_b32_e32 v1, 30, v1
	v_add_f32_e32 v30, v31, v32
	v_add_u32_e32 v29, v38, v1
	s_andn2_saveexec_b64 s[8:9], s[30:31]
	s_cbranch_execnz .LBB248_316
	s_branch .LBB248_317
.LBB248_315:                            ;   in Loop: Header=BB248_217 Depth=1
	s_andn2_saveexec_b64 s[8:9], s[30:31]
.LBB248_316:                            ;   in Loop: Header=BB248_217 Depth=1
	v_mul_f32_e64 v1, |v18|, s55
	v_rndne_f32_e32 v1, v1
	v_cvt_i32_f32_e32 v29, v1
	v_fma_f32 v30, v1, s56, |v18|
	v_fmac_f32_e32 v30, 0xb3a22168, v1
	v_fmac_f32_e32 v30, 0xa7c234c4, v1
.LBB248_317:                            ;   in Loop: Header=BB248_217 Depth=1
	s_or_b64 exec, exec, s[8:9]
	v_mul_f32_e32 v1, v28, v28
	v_mov_b32_e32 v31, 0x3c0881c4
	v_fmac_f32_e32 v31, 0xb94c1982, v1
	v_fma_f32 v31, v1, v31, v19
	v_mul_f32_e32 v31, v1, v31
	v_fmac_f32_e32 v28, v28, v31
	v_mov_b32_e32 v31, 0xbab64f3b
	v_fmac_f32_e32 v31, 0x37d75334, v1
	v_fma_f32 v31, v1, v31, v20
	v_fma_f32 v31, v1, v31, v21
	v_fma_f32 v1, v1, v31, 1.0
	v_and_b32_e32 v31, 1, v17
	v_cmp_eq_u32_e32 vcc, 0, v31
	v_lshlrev_b32_e32 v17, 30, v17
	v_cndmask_b32_e64 v1, -v28, v1, vcc
	v_and_b32_e32 v17, 0x80000000, v17
	v_xor_b32_e32 v1, v17, v1
	v_cmp_class_f32_e64 vcc, v18, s60
	v_mul_f32_e32 v17, v30, v30
	v_mov_b32_e32 v18, 0x3c0881c4
	v_fmac_f32_e32 v18, 0xb94c1982, v17
	v_fma_f32 v18, v17, v18, v19
	v_mul_f32_e32 v18, v17, v18
	v_fmac_f32_e32 v30, v30, v18
	v_mov_b32_e32 v18, 0xbab64f3b
	v_fmac_f32_e32 v18, 0x37d75334, v17
	v_fma_f32 v18, v17, v18, v20
	v_fma_f32 v18, v17, v18, v21
	v_fma_f32 v17, v17, v18, 1.0
	v_and_b32_e32 v18, 1, v29
	v_cmp_eq_u32_e64 s[8:9], 0, v18
	v_lshlrev_b32_e32 v18, 30, v29
	v_cndmask_b32_e64 v17, v17, v30, s[8:9]
	v_and_or_b32 v18, v18, s43, v27
	v_xor_b32_e32 v17, v18, v17
	v_xor_b32_e32 v17, v17, v26
	v_cndmask_b32_e32 v1, v25, v1, vcc
	v_cndmask_b32_e32 v26, v25, v17, vcc
.LBB248_318:                            ;   in Loop: Header=BB248_217 Depth=1
	s_or_b64 exec, exec, s[28:29]
                                        ; implicit-def: $vgpr17
.LBB248_319:                            ;   in Loop: Header=BB248_217 Depth=1
	s_andn2_saveexec_b64 s[8:9], s[26:27]
	s_cbranch_execz .LBB248_321
; %bb.320:                              ;   in Loop: Header=BB248_217 Depth=1
	v_mul_f32_e32 v1, 0xbfb8aa3b, v17
	v_rndne_f32_e32 v18, v1
	v_sub_f32_e32 v27, v1, v18
	v_fma_f32 v1, v17, s57, -v1
	v_fmac_f32_e32 v1, 0xb2a5705f, v17
	v_add_f32_e32 v1, v27, v1
	v_cvt_i32_f32_e32 v18, v18
	v_exp_f32_e32 v1, v1
	v_cmp_nlt_f32_e32 vcc, s58, v17
	v_ldexp_f32 v1, v1, v18
	v_cndmask_b32_e32 v1, 0, v1, vcc
	v_cmp_ngt_f32_e32 vcc, s59, v17
	v_cndmask_b32_e32 v1, v24, v1, vcc
.LBB248_321:                            ;   in Loop: Header=BB248_217 Depth=1
	s_or_b64 exec, exec, s[8:9]
	v_add_f32_e32 v27, s14, v1
	v_add_f32_e32 v1, s15, v26
	v_cmp_gt_f32_e32 vcc, 0, v27
	v_cndmask_b32_e64 v26, v27, -v27, vcc
	v_cmp_gt_f32_e32 vcc, 0, v1
	v_cndmask_b32_e64 v28, v1, -v1, vcc
	v_cmp_ge_f32_e32 vcc, v26, v28
                                        ; implicit-def: $vgpr18
	s_and_saveexec_b64 s[8:9], vcc
	s_xor_b64 s[10:11], exec, s[8:9]
	s_cbranch_execz .LBB248_327
; %bb.322:                              ;   in Loop: Header=BB248_217 Depth=1
	v_cmp_neq_f32_e32 vcc, 0, v27
	v_cmp_neq_f32_e64 s[8:9], 0, v1
	s_or_b64 s[8:9], vcc, s[8:9]
                                        ; implicit-def: $vgpr18
	s_and_saveexec_b64 s[12:13], s[8:9]
	s_xor_b64 s[8:9], exec, s[12:13]
	s_cbranch_execz .LBB248_324
; %bb.323:                              ;   in Loop: Header=BB248_217 Depth=1
	v_div_scale_f32 v17, s[12:13], v27, v27, v1
	v_div_scale_f32 v18, vcc, v1, v27, v1
	v_rcp_f32_e32 v26, v17
	v_fma_f32 v28, -v17, v26, 1.0
	v_fmac_f32_e32 v26, v28, v26
	v_mul_f32_e32 v28, v18, v26
	v_fma_f32 v29, -v17, v28, v18
	v_fmac_f32_e32 v28, v29, v26
	v_fma_f32 v17, -v17, v28, v18
	v_div_fmas_f32 v17, v17, v26, v28
	v_div_fixup_f32 v17, v17, v27, v1
	v_fmac_f32_e32 v27, v1, v17
	v_div_scale_f32 v1, s[12:13], v27, v27, 1.0
	v_div_scale_f32 v18, vcc, 1.0, v27, 1.0
	v_rcp_f32_e32 v26, v1
	v_fma_f32 v28, -v1, v26, 1.0
	v_fmac_f32_e32 v26, v28, v26
	v_mul_f32_e32 v28, v18, v26
	v_fma_f32 v29, -v1, v28, v18
	v_fmac_f32_e32 v28, v29, v26
	v_fma_f32 v1, -v1, v28, v18
	v_div_fmas_f32 v1, v1, v26, v28
	v_mov_b32_e32 v18, s14
	v_mov_b32_e32 v26, s15
	v_fma_f32 v18, s15, v17, v18
	v_fma_f32 v26, -v17, s14, v26
                                        ; implicit-def: $vgpr28
	v_div_fixup_f32 v1, v1, v27, 1.0
	v_mul_f32_e32 v17, v18, v1
	v_mul_f32_e32 v18, v26, v1
                                        ; implicit-def: $vgpr26
.LBB248_324:                            ;   in Loop: Header=BB248_217 Depth=1
	s_andn2_saveexec_b64 s[12:13], s[8:9]
	s_cbranch_execz .LBB248_326
; %bb.325:                              ;   in Loop: Header=BB248_217 Depth=1
	v_div_scale_f32 v1, s[8:9], v26, v26, s14
	v_div_scale_f32 v17, s[8:9], v28, v28, s15
	v_div_scale_f32 v18, vcc, s14, v26, s14
	v_div_scale_f32 v27, s[8:9], s15, v28, s15
	v_rcp_f32_e32 v29, v1
	v_rcp_f32_e32 v30, v17
	v_fma_f32 v31, -v1, v29, 1.0
	v_fmac_f32_e32 v29, v31, v29
	v_fma_f32 v32, -v17, v30, 1.0
	v_fmac_f32_e32 v30, v32, v30
	v_mul_f32_e32 v31, v18, v29
	v_mul_f32_e32 v32, v27, v30
	v_fma_f32 v33, -v1, v31, v18
	v_fma_f32 v34, -v17, v32, v27
	v_fmac_f32_e32 v31, v33, v29
	v_fmac_f32_e32 v32, v34, v30
	v_fma_f32 v1, -v1, v31, v18
	v_fma_f32 v17, -v17, v32, v27
	v_div_fmas_f32 v1, v1, v29, v31
	s_mov_b64 vcc, s[8:9]
	v_div_fmas_f32 v18, v17, v30, v32
	v_div_fixup_f32 v17, v1, v26, s14
	v_div_fixup_f32 v18, v18, v28, s15
.LBB248_326:                            ;   in Loop: Header=BB248_217 Depth=1
	s_or_b64 exec, exec, s[12:13]
                                        ; implicit-def: $vgpr1
                                        ; implicit-def: $vgpr27
.LBB248_327:                            ;   in Loop: Header=BB248_217 Depth=1
	s_andn2_saveexec_b64 s[8:9], s[10:11]
	s_cbranch_execz .LBB248_329
; %bb.328:                              ;   in Loop: Header=BB248_217 Depth=1
	v_div_scale_f32 v17, s[10:11], v1, v1, v27
	v_div_scale_f32 v18, vcc, v27, v1, v27
	v_rcp_f32_e32 v26, v17
	v_fma_f32 v28, -v17, v26, 1.0
	v_fmac_f32_e32 v26, v28, v26
	v_mul_f32_e32 v28, v18, v26
	v_fma_f32 v29, -v17, v28, v18
	v_fmac_f32_e32 v28, v29, v26
	v_fma_f32 v17, -v17, v28, v18
	v_div_fmas_f32 v17, v17, v26, v28
	v_div_fixup_f32 v17, v17, v1, v27
	v_fmac_f32_e32 v1, v27, v17
	v_div_scale_f32 v18, s[10:11], v1, v1, 1.0
	v_div_scale_f32 v26, vcc, 1.0, v1, 1.0
	v_rcp_f32_e32 v27, v18
	v_fma_f32 v28, -v18, v27, 1.0
	v_fmac_f32_e32 v27, v28, v27
	v_mul_f32_e32 v28, v26, v27
	v_fma_f32 v29, -v18, v28, v26
	v_fmac_f32_e32 v28, v29, v27
	v_fma_f32 v18, -v18, v28, v26
	v_div_fmas_f32 v18, v18, v27, v28
	v_mov_b32_e32 v26, s15
	v_mov_b32_e32 v27, s14
	v_fma_f32 v26, s14, v17, v26
	v_fma_f32 v27, v17, s15, -v27
	v_div_fixup_f32 v1, v18, v1, 1.0
	v_mul_f32_e32 v17, v26, v1
	v_mul_f32_e32 v18, v27, v1
.LBB248_329:                            ;   in Loop: Header=BB248_217 Depth=1
	s_or_b64 exec, exec, s[8:9]
	v_and_b32_e32 v27, 0x7fffffff, v16
	v_xor_b32_e32 v26, 0x80000000, v16
	v_cmp_ne_u32_e32 vcc, 0, v27
                                        ; implicit-def: $vgpr1
	s_and_saveexec_b64 s[8:9], vcc
	s_xor_b64 s[26:27], exec, s[8:9]
	s_cbranch_execz .LBB248_371
; %bb.330:                              ;   in Loop: Header=BB248_217 Depth=1
	v_and_b32_e32 v29, 0x7fffffff, v15
	v_cmp_ne_u32_e32 vcc, 0, v29
                                        ; implicit-def: $vgpr1
	s_and_saveexec_b64 s[8:9], vcc
	s_xor_b64 s[28:29], exec, s[8:9]
	s_cbranch_execz .LBB248_360
; %bb.331:                              ;   in Loop: Header=BB248_217 Depth=1
	v_xor_b32_e32 v28, 0x80000000, v15
	v_cmp_gt_u32_e32 vcc, s44, v27
                                        ; implicit-def: $vgpr1
	s_and_saveexec_b64 s[8:9], vcc
	s_xor_b64 s[30:31], exec, s[8:9]
	s_cbranch_execz .LBB248_353
; %bb.332:                              ;   in Loop: Header=BB248_217 Depth=1
	v_add_u32_e32 v1, 0xbd4e8de8, v28
	v_cmp_lt_u32_e32 vcc, s45, v1
                                        ; implicit-def: $vgpr1
	s_and_saveexec_b64 s[8:9], vcc
	s_xor_b64 s[34:35], exec, s[8:9]
	s_cbranch_execz .LBB248_342
; %bb.333:                              ;   in Loop: Header=BB248_217 Depth=1
	v_cmp_nlt_f32_e64 s[36:37], |v16|, s46
                                        ; implicit-def: $vgpr28
                                        ; implicit-def: $vgpr29
	s_and_saveexec_b64 s[8:9], s[36:37]
	s_xor_b64 s[38:39], exec, s[8:9]
	s_cbranch_execz .LBB248_335
; %bb.334:                              ;   in Loop: Header=BB248_217 Depth=1
	v_and_b32_e32 v1, 0x7fffff, v27
	v_or_b32_e32 v35, 0x800000, v1
	v_mad_u64_u32 v[28:29], s[8:9], v35, s47, 0
	v_mov_b32_e32 v1, v29
	v_mad_u64_u32 v[29:30], s[8:9], v35, s48, v[1:2]
	v_mov_b32_e32 v1, v30
	;; [unrolled: 2-line block ×3, first 2 shown]
	v_mad_u64_u32 v[31:32], s[8:9], v35, s50, v[1:2]
	v_lshrrev_b32_e32 v1, 23, v27
	v_add_u32_e32 v34, 0xffffff88, v1
	v_mov_b32_e32 v1, v32
	v_mad_u64_u32 v[32:33], s[8:9], v35, s51, v[1:2]
	v_cmp_lt_u32_e32 vcc, 63, v34
	v_cndmask_b32_e32 v1, 0, v22, vcc
	v_add_u32_e32 v36, v1, v34
	v_mov_b32_e32 v1, v33
	v_mad_u64_u32 v[33:34], s[8:9], v35, s52, v[1:2]
	v_cmp_lt_u32_e64 s[8:9], 31, v36
	v_cndmask_b32_e64 v1, 0, v23, s[8:9]
	v_add_u32_e32 v36, v1, v36
	v_mov_b32_e32 v1, v34
	v_mad_u64_u32 v[34:35], s[10:11], v35, s53, v[1:2]
	v_cmp_lt_u32_e64 s[10:11], 31, v36
	v_cndmask_b32_e64 v1, 0, v23, s[10:11]
	v_add_u32_e32 v1, v1, v36
	v_cndmask_b32_e32 v36, v33, v31, vcc
	v_cndmask_b32_e32 v34, v34, v32, vcc
	;; [unrolled: 1-line block ×4, first 2 shown]
	v_cndmask_b32_e64 v35, v34, v36, s[8:9]
	v_cndmask_b32_e64 v33, v33, v34, s[8:9]
	v_cndmask_b32_e64 v34, v36, v32, s[8:9]
	v_cndmask_b32_e32 v29, v31, v29, vcc
	v_cndmask_b32_e64 v33, v33, v35, s[10:11]
	v_cndmask_b32_e64 v35, v35, v34, s[10:11]
	v_sub_u32_e32 v36, 32, v1
	v_cndmask_b32_e64 v31, v32, v29, s[8:9]
	v_alignbit_b32 v37, v33, v35, v36
	v_cmp_eq_u32_e64 s[12:13], 0, v1
	v_cndmask_b32_e64 v32, v34, v31, s[10:11]
	v_cndmask_b32_e64 v1, v37, v33, s[12:13]
	v_alignbit_b32 v33, v35, v32, v36
	v_cndmask_b32_e32 v28, v30, v28, vcc
	v_cndmask_b32_e64 v33, v33, v35, s[12:13]
	v_bfe_u32 v37, v1, 29, 1
	v_cndmask_b32_e64 v28, v29, v28, s[8:9]
	v_alignbit_b32 v34, v1, v33, 30
	v_sub_u32_e32 v38, 0, v37
	v_cndmask_b32_e64 v28, v31, v28, s[10:11]
	v_xor_b32_e32 v34, v34, v38
	v_alignbit_b32 v29, v32, v28, v36
	v_cndmask_b32_e64 v29, v29, v32, s[12:13]
	v_ffbh_u32_e32 v31, v34
	v_alignbit_b32 v30, v33, v29, 30
	v_min_u32_e32 v31, 32, v31
	v_alignbit_b32 v28, v29, v28, 30
	v_xor_b32_e32 v30, v30, v38
	v_sub_u32_e32 v32, 31, v31
	v_xor_b32_e32 v28, v28, v38
	v_alignbit_b32 v33, v34, v30, v32
	v_alignbit_b32 v28, v30, v28, v32
	;; [unrolled: 1-line block ×3, first 2 shown]
	v_ffbh_u32_e32 v30, v29
	v_min_u32_e32 v30, 32, v30
	v_lshrrev_b32_e32 v35, 29, v1
	v_not_b32_e32 v32, v30
	v_alignbit_b32 v28, v29, v28, v32
	v_lshlrev_b32_e32 v29, 31, v35
	v_or_b32_e32 v32, 0x33000000, v29
	v_add_lshl_u32 v30, v30, v31, 23
	v_lshrrev_b32_e32 v28, 9, v28
	v_sub_u32_e32 v30, v32, v30
	v_or_b32_e32 v29, 0.5, v29
	v_lshlrev_b32_e32 v31, 23, v31
	v_or_b32_e32 v28, v30, v28
	v_lshrrev_b32_e32 v30, 9, v33
	v_sub_u32_e32 v29, v29, v31
	v_or_b32_e32 v29, v30, v29
	v_mul_f32_e32 v30, 0x3fc90fda, v29
	v_fma_f32 v31, v29, s54, -v30
	v_fmac_f32_e32 v31, 0x33a22168, v29
	v_fmac_f32_e32 v31, 0x3fc90fda, v28
	v_lshrrev_b32_e32 v1, 30, v1
	v_add_f32_e32 v29, v30, v31
	v_add_u32_e32 v28, v37, v1
	s_andn2_saveexec_b64 s[8:9], s[38:39]
	s_branch .LBB248_336
.LBB248_335:                            ;   in Loop: Header=BB248_217 Depth=1
	s_andn2_saveexec_b64 s[8:9], s[38:39]
.LBB248_336:                            ;   in Loop: Header=BB248_217 Depth=1
	v_mul_f32_e64 v1, |v16|, s55
	v_rndne_f32_e32 v1, v1
	v_cvt_i32_f32_e32 v28, v1
	v_fma_f32 v29, v1, s56, |v16|
	v_fmac_f32_e32 v29, 0xb3a22168, v1
	v_fmac_f32_e32 v29, 0xa7c234c4, v1
; %bb.337:                              ;   in Loop: Header=BB248_217 Depth=1
	s_or_b64 exec, exec, s[8:9]
                                        ; implicit-def: $vgpr30
                                        ; implicit-def: $vgpr31
	s_and_saveexec_b64 s[8:9], s[36:37]
	s_xor_b64 s[36:37], exec, s[8:9]
	s_cbranch_execz .LBB248_339
; %bb.338:                              ;   in Loop: Header=BB248_217 Depth=1
	v_and_b32_e32 v1, 0x7fffff, v27
	v_or_b32_e32 v37, 0x800000, v1
	v_mad_u64_u32 v[30:31], s[8:9], v37, s47, 0
	v_mov_b32_e32 v1, v31
	v_mad_u64_u32 v[31:32], s[8:9], v37, s48, v[1:2]
	v_mov_b32_e32 v1, v32
	;; [unrolled: 2-line block ×3, first 2 shown]
	v_mad_u64_u32 v[33:34], s[8:9], v37, s50, v[1:2]
	v_lshrrev_b32_e32 v1, 23, v27
	v_add_u32_e32 v36, 0xffffff88, v1
	v_mov_b32_e32 v1, v34
	v_mad_u64_u32 v[34:35], s[8:9], v37, s51, v[1:2]
	v_cmp_lt_u32_e32 vcc, 63, v36
	v_cndmask_b32_e32 v1, 0, v22, vcc
	v_add_u32_e32 v38, v1, v36
	v_mov_b32_e32 v1, v35
	v_mad_u64_u32 v[35:36], s[8:9], v37, s52, v[1:2]
	v_cmp_lt_u32_e64 s[8:9], 31, v38
	v_cndmask_b32_e64 v1, 0, v23, s[8:9]
	v_add_u32_e32 v38, v1, v38
	v_mov_b32_e32 v1, v36
	v_mad_u64_u32 v[36:37], s[10:11], v37, s53, v[1:2]
	v_cmp_lt_u32_e64 s[10:11], 31, v38
	v_cndmask_b32_e64 v1, 0, v23, s[10:11]
	v_add_u32_e32 v1, v1, v38
	v_cndmask_b32_e32 v38, v35, v33, vcc
	v_cndmask_b32_e32 v36, v36, v34, vcc
	;; [unrolled: 1-line block ×4, first 2 shown]
	v_cndmask_b32_e64 v37, v36, v38, s[8:9]
	v_cndmask_b32_e64 v35, v35, v36, s[8:9]
	v_cndmask_b32_e64 v36, v38, v34, s[8:9]
	v_cndmask_b32_e32 v31, v33, v31, vcc
	v_cndmask_b32_e64 v35, v35, v37, s[10:11]
	v_cndmask_b32_e64 v37, v37, v36, s[10:11]
	v_sub_u32_e32 v38, 32, v1
	v_cndmask_b32_e64 v33, v34, v31, s[8:9]
	v_alignbit_b32 v39, v35, v37, v38
	v_cmp_eq_u32_e64 s[12:13], 0, v1
	v_cndmask_b32_e64 v34, v36, v33, s[10:11]
	v_cndmask_b32_e64 v1, v39, v35, s[12:13]
	v_alignbit_b32 v35, v37, v34, v38
	v_cndmask_b32_e32 v30, v32, v30, vcc
	v_cndmask_b32_e64 v35, v35, v37, s[12:13]
	v_bfe_u32 v39, v1, 29, 1
	v_cndmask_b32_e64 v30, v31, v30, s[8:9]
	v_alignbit_b32 v36, v1, v35, 30
	v_sub_u32_e32 v40, 0, v39
	v_cndmask_b32_e64 v30, v33, v30, s[10:11]
	v_xor_b32_e32 v36, v36, v40
	v_alignbit_b32 v31, v34, v30, v38
	v_cndmask_b32_e64 v31, v31, v34, s[12:13]
	v_ffbh_u32_e32 v33, v36
	v_alignbit_b32 v32, v35, v31, 30
	v_min_u32_e32 v33, 32, v33
	v_alignbit_b32 v30, v31, v30, 30
	v_xor_b32_e32 v32, v32, v40
	v_sub_u32_e32 v34, 31, v33
	v_xor_b32_e32 v30, v30, v40
	v_alignbit_b32 v35, v36, v32, v34
	v_alignbit_b32 v30, v32, v30, v34
	;; [unrolled: 1-line block ×3, first 2 shown]
	v_ffbh_u32_e32 v32, v31
	v_min_u32_e32 v32, 32, v32
	v_lshrrev_b32_e32 v37, 29, v1
	v_not_b32_e32 v34, v32
	v_alignbit_b32 v30, v31, v30, v34
	v_lshlrev_b32_e32 v31, 31, v37
	v_or_b32_e32 v34, 0x33000000, v31
	v_add_lshl_u32 v32, v32, v33, 23
	v_lshrrev_b32_e32 v30, 9, v30
	v_sub_u32_e32 v32, v34, v32
	v_or_b32_e32 v31, 0.5, v31
	v_lshlrev_b32_e32 v33, 23, v33
	v_or_b32_e32 v30, v32, v30
	v_lshrrev_b32_e32 v32, 9, v35
	v_sub_u32_e32 v31, v31, v33
	v_or_b32_e32 v31, v32, v31
	v_mul_f32_e32 v32, 0x3fc90fda, v31
	v_fma_f32 v33, v31, s54, -v32
	v_fmac_f32_e32 v33, 0x33a22168, v31
	v_fmac_f32_e32 v33, 0x3fc90fda, v30
	v_lshrrev_b32_e32 v1, 30, v1
	v_add_f32_e32 v31, v32, v33
	v_add_u32_e32 v30, v39, v1
	s_andn2_saveexec_b64 s[8:9], s[36:37]
	s_cbranch_execnz .LBB248_340
	s_branch .LBB248_341
.LBB248_339:                            ;   in Loop: Header=BB248_217 Depth=1
	s_andn2_saveexec_b64 s[8:9], s[36:37]
.LBB248_340:                            ;   in Loop: Header=BB248_217 Depth=1
	v_mul_f32_e64 v1, |v16|, s55
	v_rndne_f32_e32 v1, v1
	v_cvt_i32_f32_e32 v30, v1
	v_fma_f32 v31, v1, s56, |v16|
	v_fmac_f32_e32 v31, 0xb3a22168, v1
	v_fmac_f32_e32 v31, 0xa7c234c4, v1
.LBB248_341:                            ;   in Loop: Header=BB248_217 Depth=1
	s_or_b64 exec, exec, s[8:9]
	v_mul_f32_e32 v1, 0xbfb8aa3b, v15
	v_rndne_f32_e32 v32, v1
	v_sub_f32_e32 v33, v1, v32
	v_fma_f32 v1, v15, s57, -v1
	v_fmac_f32_e32 v1, 0xb2a5705f, v15
	v_add_f32_e32 v1, v33, v1
	v_cvt_i32_f32_e32 v32, v32
	v_exp_f32_e32 v1, v1
	v_cmp_nlt_f32_e32 vcc, s58, v15
	v_ldexp_f32 v1, v1, v32
	v_cndmask_b32_e32 v1, 0, v1, vcc
	v_cmp_ngt_f32_e32 vcc, s59, v15
	v_cndmask_b32_e32 v15, v24, v1, vcc
	v_mul_f32_e32 v1, v29, v29
	v_mov_b32_e32 v32, 0x3c0881c4
	v_fmac_f32_e32 v32, 0xb94c1982, v1
	v_fma_f32 v32, v1, v32, v19
	v_mul_f32_e32 v32, v1, v32
	v_fmac_f32_e32 v29, v29, v32
	v_mov_b32_e32 v32, 0xbab64f3b
	v_fmac_f32_e32 v32, 0x37d75334, v1
	v_fma_f32 v32, v1, v32, v20
	v_fma_f32 v32, v1, v32, v21
	v_fma_f32 v1, v1, v32, 1.0
	v_and_b32_e32 v32, 1, v28
	v_cmp_eq_u32_e32 vcc, 0, v32
	v_lshlrev_b32_e32 v28, 30, v28
	v_cndmask_b32_e64 v1, -v29, v1, vcc
	v_and_b32_e32 v28, 0x80000000, v28
	v_xor_b32_e32 v1, v28, v1
	v_cmp_class_f32_e64 vcc, v16, s60
	v_mul_f32_e32 v16, v31, v31
	v_mov_b32_e32 v28, 0x3c0881c4
	v_fmac_f32_e32 v28, 0xb94c1982, v16
	v_fma_f32 v28, v16, v28, v19
	v_mul_f32_e32 v28, v16, v28
	v_fmac_f32_e32 v31, v31, v28
	v_mov_b32_e32 v28, 0xbab64f3b
	v_fmac_f32_e32 v28, 0x37d75334, v16
	v_fma_f32 v28, v16, v28, v20
	v_fma_f32 v28, v16, v28, v21
	v_fma_f32 v16, v16, v28, 1.0
	v_and_b32_e32 v28, 1, v30
	v_cmp_eq_u32_e64 s[8:9], 0, v28
	v_lshlrev_b32_e32 v28, 30, v30
	v_cndmask_b32_e64 v16, v16, v31, s[8:9]
	v_and_or_b32 v27, v28, s43, v27
	v_xor_b32_e32 v16, v27, v16
	v_xor_b32_e32 v16, v16, v26
	v_cndmask_b32_e32 v1, v25, v1, vcc
	v_cndmask_b32_e32 v16, v25, v16, vcc
	v_mul_f32_e32 v1, v15, v1
	v_mul_f32_e32 v26, v15, v16
                                        ; implicit-def: $vgpr16
                                        ; implicit-def: $vgpr27
.LBB248_342:                            ;   in Loop: Header=BB248_217 Depth=1
	s_andn2_saveexec_b64 s[34:35], s[34:35]
	s_cbranch_execz .LBB248_352
; %bb.343:                              ;   in Loop: Header=BB248_217 Depth=1
	v_cmp_nlt_f32_e64 s[36:37], |v16|, s46
                                        ; implicit-def: $vgpr29
                                        ; implicit-def: $vgpr28
	s_and_saveexec_b64 s[8:9], s[36:37]
	s_xor_b64 s[38:39], exec, s[8:9]
	s_cbranch_execz .LBB248_345
; %bb.344:                              ;   in Loop: Header=BB248_217 Depth=1
	v_and_b32_e32 v1, 0x7fffff, v27
	v_or_b32_e32 v35, 0x800000, v1
	v_mad_u64_u32 v[28:29], s[8:9], v35, s47, 0
	v_mov_b32_e32 v1, v29
	v_mad_u64_u32 v[29:30], s[8:9], v35, s48, v[1:2]
	v_mov_b32_e32 v1, v30
	;; [unrolled: 2-line block ×3, first 2 shown]
	v_mad_u64_u32 v[31:32], s[8:9], v35, s50, v[1:2]
	v_lshrrev_b32_e32 v1, 23, v27
	v_add_u32_e32 v34, 0xffffff88, v1
	v_mov_b32_e32 v1, v32
	v_mad_u64_u32 v[32:33], s[8:9], v35, s51, v[1:2]
	v_cmp_lt_u32_e32 vcc, 63, v34
	v_cndmask_b32_e32 v1, 0, v22, vcc
	v_add_u32_e32 v36, v1, v34
	v_mov_b32_e32 v1, v33
	v_mad_u64_u32 v[33:34], s[8:9], v35, s52, v[1:2]
	v_cmp_lt_u32_e64 s[8:9], 31, v36
	v_cndmask_b32_e64 v1, 0, v23, s[8:9]
	v_add_u32_e32 v36, v1, v36
	v_mov_b32_e32 v1, v34
	v_mad_u64_u32 v[34:35], s[10:11], v35, s53, v[1:2]
	v_cmp_lt_u32_e64 s[10:11], 31, v36
	v_cndmask_b32_e64 v1, 0, v23, s[10:11]
	v_add_u32_e32 v1, v1, v36
	v_cndmask_b32_e32 v36, v33, v31, vcc
	v_cndmask_b32_e32 v34, v34, v32, vcc
	;; [unrolled: 1-line block ×4, first 2 shown]
	v_cndmask_b32_e64 v35, v34, v36, s[8:9]
	v_cndmask_b32_e64 v33, v33, v34, s[8:9]
	;; [unrolled: 1-line block ×3, first 2 shown]
	v_cndmask_b32_e32 v29, v31, v29, vcc
	v_cndmask_b32_e64 v33, v33, v35, s[10:11]
	v_cndmask_b32_e64 v35, v35, v34, s[10:11]
	v_sub_u32_e32 v36, 32, v1
	v_cndmask_b32_e64 v31, v32, v29, s[8:9]
	v_alignbit_b32 v37, v33, v35, v36
	v_cmp_eq_u32_e64 s[12:13], 0, v1
	v_cndmask_b32_e64 v32, v34, v31, s[10:11]
	v_cndmask_b32_e64 v1, v37, v33, s[12:13]
	v_alignbit_b32 v33, v35, v32, v36
	v_cndmask_b32_e32 v28, v30, v28, vcc
	v_cndmask_b32_e64 v33, v33, v35, s[12:13]
	v_bfe_u32 v37, v1, 29, 1
	v_cndmask_b32_e64 v28, v29, v28, s[8:9]
	v_alignbit_b32 v34, v1, v33, 30
	v_sub_u32_e32 v38, 0, v37
	v_cndmask_b32_e64 v28, v31, v28, s[10:11]
	v_xor_b32_e32 v34, v34, v38
	v_alignbit_b32 v29, v32, v28, v36
	v_cndmask_b32_e64 v29, v29, v32, s[12:13]
	v_ffbh_u32_e32 v31, v34
	v_alignbit_b32 v30, v33, v29, 30
	v_min_u32_e32 v31, 32, v31
	v_alignbit_b32 v28, v29, v28, 30
	v_xor_b32_e32 v30, v30, v38
	v_sub_u32_e32 v32, 31, v31
	v_xor_b32_e32 v28, v28, v38
	v_alignbit_b32 v33, v34, v30, v32
	v_alignbit_b32 v28, v30, v28, v32
	;; [unrolled: 1-line block ×3, first 2 shown]
	v_ffbh_u32_e32 v30, v29
	v_min_u32_e32 v30, 32, v30
	v_lshrrev_b32_e32 v35, 29, v1
	v_not_b32_e32 v32, v30
	v_alignbit_b32 v28, v29, v28, v32
	v_lshlrev_b32_e32 v29, 31, v35
	v_or_b32_e32 v32, 0x33000000, v29
	v_add_lshl_u32 v30, v30, v31, 23
	v_lshrrev_b32_e32 v28, 9, v28
	v_sub_u32_e32 v30, v32, v30
	v_or_b32_e32 v29, 0.5, v29
	v_lshlrev_b32_e32 v31, 23, v31
	v_or_b32_e32 v28, v30, v28
	v_lshrrev_b32_e32 v30, 9, v33
	v_sub_u32_e32 v29, v29, v31
	v_or_b32_e32 v29, v30, v29
	v_mul_f32_e32 v30, 0x3fc90fda, v29
	v_fma_f32 v31, v29, s54, -v30
	v_fmac_f32_e32 v31, 0x33a22168, v29
	v_fmac_f32_e32 v31, 0x3fc90fda, v28
	v_lshrrev_b32_e32 v1, 30, v1
	v_add_f32_e32 v28, v30, v31
	v_add_u32_e32 v29, v37, v1
	s_andn2_saveexec_b64 s[8:9], s[38:39]
	s_branch .LBB248_346
.LBB248_345:                            ;   in Loop: Header=BB248_217 Depth=1
	s_andn2_saveexec_b64 s[8:9], s[38:39]
.LBB248_346:                            ;   in Loop: Header=BB248_217 Depth=1
	v_mul_f32_e64 v1, |v16|, s55
	v_rndne_f32_e32 v1, v1
	v_cvt_i32_f32_e32 v29, v1
	v_fma_f32 v28, v1, s56, |v16|
	v_fmac_f32_e32 v28, 0xb3a22168, v1
	v_fmac_f32_e32 v28, 0xa7c234c4, v1
; %bb.347:                              ;   in Loop: Header=BB248_217 Depth=1
	s_or_b64 exec, exec, s[8:9]
                                        ; implicit-def: $vgpr30
                                        ; implicit-def: $vgpr31
	s_and_saveexec_b64 s[8:9], s[36:37]
	s_xor_b64 s[36:37], exec, s[8:9]
	s_cbranch_execz .LBB248_349
; %bb.348:                              ;   in Loop: Header=BB248_217 Depth=1
	v_and_b32_e32 v1, 0x7fffff, v27
	v_or_b32_e32 v37, 0x800000, v1
	v_mad_u64_u32 v[30:31], s[8:9], v37, s47, 0
	v_mov_b32_e32 v1, v31
	v_mad_u64_u32 v[31:32], s[8:9], v37, s48, v[1:2]
	v_mov_b32_e32 v1, v32
	;; [unrolled: 2-line block ×3, first 2 shown]
	v_mad_u64_u32 v[33:34], s[8:9], v37, s50, v[1:2]
	v_lshrrev_b32_e32 v1, 23, v27
	v_add_u32_e32 v36, 0xffffff88, v1
	v_mov_b32_e32 v1, v34
	v_mad_u64_u32 v[34:35], s[8:9], v37, s51, v[1:2]
	v_cmp_lt_u32_e32 vcc, 63, v36
	v_cndmask_b32_e32 v1, 0, v22, vcc
	v_add_u32_e32 v38, v1, v36
	v_mov_b32_e32 v1, v35
	v_mad_u64_u32 v[35:36], s[8:9], v37, s52, v[1:2]
	v_cmp_lt_u32_e64 s[8:9], 31, v38
	v_cndmask_b32_e64 v1, 0, v23, s[8:9]
	v_add_u32_e32 v38, v1, v38
	v_mov_b32_e32 v1, v36
	v_mad_u64_u32 v[36:37], s[10:11], v37, s53, v[1:2]
	v_cmp_lt_u32_e64 s[10:11], 31, v38
	v_cndmask_b32_e64 v1, 0, v23, s[10:11]
	v_add_u32_e32 v1, v1, v38
	v_cndmask_b32_e32 v38, v35, v33, vcc
	v_cndmask_b32_e32 v36, v36, v34, vcc
	;; [unrolled: 1-line block ×4, first 2 shown]
	v_cndmask_b32_e64 v37, v36, v38, s[8:9]
	v_cndmask_b32_e64 v35, v35, v36, s[8:9]
	;; [unrolled: 1-line block ×3, first 2 shown]
	v_cndmask_b32_e32 v31, v33, v31, vcc
	v_cndmask_b32_e64 v35, v35, v37, s[10:11]
	v_cndmask_b32_e64 v37, v37, v36, s[10:11]
	v_sub_u32_e32 v38, 32, v1
	v_cndmask_b32_e64 v33, v34, v31, s[8:9]
	v_alignbit_b32 v39, v35, v37, v38
	v_cmp_eq_u32_e64 s[12:13], 0, v1
	v_cndmask_b32_e64 v34, v36, v33, s[10:11]
	v_cndmask_b32_e64 v1, v39, v35, s[12:13]
	v_alignbit_b32 v35, v37, v34, v38
	v_cndmask_b32_e32 v30, v32, v30, vcc
	v_cndmask_b32_e64 v35, v35, v37, s[12:13]
	v_bfe_u32 v39, v1, 29, 1
	v_cndmask_b32_e64 v30, v31, v30, s[8:9]
	v_alignbit_b32 v36, v1, v35, 30
	v_sub_u32_e32 v40, 0, v39
	v_cndmask_b32_e64 v30, v33, v30, s[10:11]
	v_xor_b32_e32 v36, v36, v40
	v_alignbit_b32 v31, v34, v30, v38
	v_cndmask_b32_e64 v31, v31, v34, s[12:13]
	v_ffbh_u32_e32 v33, v36
	v_alignbit_b32 v32, v35, v31, 30
	v_min_u32_e32 v33, 32, v33
	v_alignbit_b32 v30, v31, v30, 30
	v_xor_b32_e32 v32, v32, v40
	v_sub_u32_e32 v34, 31, v33
	v_xor_b32_e32 v30, v30, v40
	v_alignbit_b32 v35, v36, v32, v34
	v_alignbit_b32 v30, v32, v30, v34
	;; [unrolled: 1-line block ×3, first 2 shown]
	v_ffbh_u32_e32 v32, v31
	v_min_u32_e32 v32, 32, v32
	v_lshrrev_b32_e32 v37, 29, v1
	v_not_b32_e32 v34, v32
	v_alignbit_b32 v30, v31, v30, v34
	v_lshlrev_b32_e32 v31, 31, v37
	v_or_b32_e32 v34, 0x33000000, v31
	v_add_lshl_u32 v32, v32, v33, 23
	v_lshrrev_b32_e32 v30, 9, v30
	v_sub_u32_e32 v32, v34, v32
	v_or_b32_e32 v31, 0.5, v31
	v_lshlrev_b32_e32 v33, 23, v33
	v_or_b32_e32 v30, v32, v30
	v_lshrrev_b32_e32 v32, 9, v35
	v_sub_u32_e32 v31, v31, v33
	v_or_b32_e32 v31, v32, v31
	v_mul_f32_e32 v32, 0x3fc90fda, v31
	v_fma_f32 v33, v31, s54, -v32
	v_fmac_f32_e32 v33, 0x33a22168, v31
	v_fmac_f32_e32 v33, 0x3fc90fda, v30
	v_lshrrev_b32_e32 v1, 30, v1
	v_add_f32_e32 v31, v32, v33
	v_add_u32_e32 v30, v39, v1
	s_andn2_saveexec_b64 s[8:9], s[36:37]
	s_cbranch_execnz .LBB248_350
	s_branch .LBB248_351
.LBB248_349:                            ;   in Loop: Header=BB248_217 Depth=1
	s_andn2_saveexec_b64 s[8:9], s[36:37]
.LBB248_350:                            ;   in Loop: Header=BB248_217 Depth=1
	v_mul_f32_e64 v1, |v16|, s55
	v_rndne_f32_e32 v1, v1
	v_cvt_i32_f32_e32 v30, v1
	v_fma_f32 v31, v1, s56, |v16|
	v_fmac_f32_e32 v31, 0xb3a22168, v1
	v_fmac_f32_e32 v31, 0xa7c234c4, v1
.LBB248_351:                            ;   in Loop: Header=BB248_217 Depth=1
	s_or_b64 exec, exec, s[8:9]
	v_mul_f32_e32 v32, v28, v28
	v_mov_b32_e32 v33, 0xbab64f3b
	v_fmac_f32_e32 v33, 0x37d75334, v32
	v_mov_b32_e32 v34, 0x3c0881c4
	v_fma_f32 v33, v32, v33, v20
	v_fmac_f32_e32 v34, 0xb94c1982, v32
	v_fma_f32 v33, v32, v33, v21
	v_fma_f32 v34, v32, v34, v19
	v_lshlrev_b32_e32 v1, 30, v29
	v_and_b32_e32 v29, 1, v29
	v_fma_f32 v33, v32, v33, 1.0
	v_mul_f32_e32 v32, v32, v34
	v_sub_f32_e32 v15, 0xc322e3bc, v15
	v_fmac_f32_e32 v28, v28, v32
	v_cmp_eq_u32_e32 vcc, 0, v29
	v_mul_f32_e32 v29, 0x3fb8aa3b, v15
	v_cndmask_b32_e64 v28, -v28, v33, vcc
	v_fma_f32 v32, v15, s61, -v29
	v_rndne_f32_e32 v33, v29
	v_fmac_f32_e32 v32, 0x32a5705f, v15
	v_sub_f32_e32 v29, v29, v33
	v_add_f32_e32 v29, v29, v32
	v_exp_f32_e32 v29, v29
	v_cvt_i32_f32_e32 v32, v33
	v_cmp_class_f32_e64 vcc, v16, s60
	v_cmp_ngt_f32_e64 s[8:9], s62, v15
	v_and_b32_e32 v1, 0x80000000, v1
	v_ldexp_f32 v16, v29, v32
	v_cndmask_b32_e64 v16, 0, v16, s[8:9]
	v_cmp_nlt_f32_e64 s[8:9], s63, v15
	v_cndmask_b32_e64 v15, v24, v16, s[8:9]
	v_and_b32_e32 v16, 0x7fffff, v15
	v_lshrrev_b32_e32 v15, 23, v15
	v_subrev_u32_e32 v15, 19, v15
	v_xor_b32_e32 v1, v1, v28
	v_lshrrev_b16_e32 v28, 15, v15
	v_add_u16_e32 v28, v15, v28
	v_ashrrev_i16_e32 v28, 1, v28
	v_bfe_i32 v28, v28, 0, 16
	v_lshl_add_u32 v29, v28, 23, 1.0
	v_sub_u32_e32 v15, v15, v28
	v_mul_f32_e32 v28, v31, v31
	v_mov_b32_e32 v32, 0x3c0881c4
	v_fmac_f32_e32 v32, 0xb94c1982, v28
	v_fma_f32 v32, v28, v32, v19
	v_mul_f32_e32 v32, v28, v32
	v_fmac_f32_e32 v31, v31, v32
	v_mov_b32_e32 v32, 0xbab64f3b
	v_fmac_f32_e32 v32, 0x37d75334, v28
	v_fma_f32 v32, v28, v32, v20
	v_fma_f32 v32, v28, v32, v21
	v_fma_f32 v28, v28, v32, 1.0
	v_and_b32_e32 v32, 1, v30
	v_cmp_eq_u32_e64 s[8:9], 0, v32
	v_lshlrev_b32_e32 v30, 30, v30
	v_cndmask_b32_e64 v28, v28, v31, s[8:9]
	v_and_or_b32 v27, v30, s43, v27
	v_xor_b32_e32 v27, v27, v28
	v_xor_b32_e32 v26, v27, v26
	v_cndmask_b32_e32 v1, v25, v1, vcc
	v_or_b32_e32 v16, 0x7f000000, v16
	v_cndmask_b32_e32 v26, v25, v26, vcc
	v_mul_f32_e32 v1, v1, v16
	v_mul_f32_e32 v16, v26, v16
	;; [unrolled: 1-line block ×3, first 2 shown]
	v_lshl_add_u32 v15, v15, 23, 1.0
	v_mul_f32_e32 v16, v16, v29
	v_mul_f32_e32 v1, v1, v15
	;; [unrolled: 1-line block ×3, first 2 shown]
.LBB248_352:                            ;   in Loop: Header=BB248_217 Depth=1
	s_or_b64 exec, exec, s[34:35]
                                        ; implicit-def: $vgpr28
                                        ; implicit-def: $vgpr16
                                        ; implicit-def: $vgpr29
.LBB248_353:                            ;   in Loop: Header=BB248_217 Depth=1
	s_andn2_saveexec_b64 s[8:9], s[30:31]
	s_cbranch_execz .LBB248_359
; %bb.354:                              ;   in Loop: Header=BB248_217 Depth=1
	v_cmp_ne_u32_e32 vcc, s44, v29
                                        ; implicit-def: $vgpr26
	s_and_saveexec_b64 s[10:11], vcc
	s_xor_b64 s[10:11], exec, s[10:11]
; %bb.355:                              ;   in Loop: Header=BB248_217 Depth=1
	v_sub_f32_e32 v26, v16, v16
                                        ; implicit-def: $vgpr28
                                        ; implicit-def: $vgpr16
; %bb.356:                              ;   in Loop: Header=BB248_217 Depth=1
	s_or_saveexec_b64 s[10:11], s[10:11]
	v_mov_b32_e32 v1, v26
	s_xor_b64 exec, exec, s[10:11]
; %bb.357:                              ;   in Loop: Header=BB248_217 Depth=1
	v_sub_f32_e32 v16, v16, v16
	v_cmp_lt_i32_e32 vcc, -1, v28
	v_cndmask_b32_e64 v1, 0, -v15, vcc
	v_cndmask_b32_e32 v26, 0, v16, vcc
; %bb.358:                              ;   in Loop: Header=BB248_217 Depth=1
	s_or_b64 exec, exec, s[10:11]
.LBB248_359:                            ;   in Loop: Header=BB248_217 Depth=1
	s_or_b64 exec, exec, s[8:9]
                                        ; implicit-def: $vgpr16
                                        ; implicit-def: $vgpr27
.LBB248_360:                            ;   in Loop: Header=BB248_217 Depth=1
	s_andn2_saveexec_b64 s[28:29], s[28:29]
	s_cbranch_execz .LBB248_370
; %bb.361:                              ;   in Loop: Header=BB248_217 Depth=1
	v_cmp_nlt_f32_e64 s[30:31], |v16|, s46
                                        ; implicit-def: $vgpr15
                                        ; implicit-def: $vgpr28
	s_and_saveexec_b64 s[8:9], s[30:31]
	s_xor_b64 s[34:35], exec, s[8:9]
	s_cbranch_execz .LBB248_363
; %bb.362:                              ;   in Loop: Header=BB248_217 Depth=1
	v_and_b32_e32 v1, 0x7fffff, v27
	v_or_b32_e32 v15, 0x800000, v1
	v_mad_u64_u32 v[28:29], s[8:9], v15, s47, 0
	v_mov_b32_e32 v1, v29
	v_mad_u64_u32 v[29:30], s[8:9], v15, s48, v[1:2]
	v_mov_b32_e32 v1, v30
	;; [unrolled: 2-line block ×3, first 2 shown]
	v_mad_u64_u32 v[31:32], s[8:9], v15, s50, v[1:2]
	v_lshrrev_b32_e32 v1, 23, v27
	v_add_u32_e32 v34, 0xffffff88, v1
	v_mov_b32_e32 v1, v32
	v_mad_u64_u32 v[32:33], s[8:9], v15, s51, v[1:2]
	v_cmp_lt_u32_e32 vcc, 63, v34
	v_cndmask_b32_e32 v1, 0, v22, vcc
	v_add_u32_e32 v35, v1, v34
	v_mov_b32_e32 v1, v33
	v_mad_u64_u32 v[33:34], s[8:9], v15, s52, v[1:2]
	v_cmp_lt_u32_e64 s[8:9], 31, v35
	v_cndmask_b32_e64 v1, 0, v23, s[8:9]
	v_add_u32_e32 v36, v1, v35
	v_mov_b32_e32 v1, v34
	v_mad_u64_u32 v[34:35], s[10:11], v15, s53, v[1:2]
	v_cmp_lt_u32_e64 s[10:11], 31, v36
	v_cndmask_b32_e64 v1, 0, v23, s[10:11]
	v_cndmask_b32_e32 v15, v33, v31, vcc
	v_cndmask_b32_e32 v34, v34, v32, vcc
	;; [unrolled: 1-line block ×4, first 2 shown]
	v_add_u32_e32 v1, v1, v36
	v_cndmask_b32_e64 v35, v34, v15, s[8:9]
	v_cndmask_b32_e64 v33, v33, v34, s[8:9]
	;; [unrolled: 1-line block ×3, first 2 shown]
	v_cndmask_b32_e32 v29, v31, v29, vcc
	v_cndmask_b32_e64 v33, v33, v35, s[10:11]
	v_cndmask_b32_e64 v34, v35, v15, s[10:11]
	v_sub_u32_e32 v35, 32, v1
	v_cndmask_b32_e64 v31, v32, v29, s[8:9]
	v_alignbit_b32 v36, v33, v34, v35
	v_cmp_eq_u32_e64 s[12:13], 0, v1
	v_cndmask_b32_e64 v15, v15, v31, s[10:11]
	v_cndmask_b32_e64 v1, v36, v33, s[12:13]
	v_alignbit_b32 v32, v34, v15, v35
	v_cndmask_b32_e32 v28, v30, v28, vcc
	v_cndmask_b32_e64 v32, v32, v34, s[12:13]
	v_bfe_u32 v36, v1, 29, 1
	v_cndmask_b32_e64 v28, v29, v28, s[8:9]
	v_alignbit_b32 v33, v1, v32, 30
	v_sub_u32_e32 v37, 0, v36
	v_cndmask_b32_e64 v28, v31, v28, s[10:11]
	v_xor_b32_e32 v33, v33, v37
	v_alignbit_b32 v29, v15, v28, v35
	v_cndmask_b32_e64 v15, v29, v15, s[12:13]
	v_ffbh_u32_e32 v30, v33
	v_alignbit_b32 v29, v32, v15, 30
	v_min_u32_e32 v30, 32, v30
	v_alignbit_b32 v15, v15, v28, 30
	v_xor_b32_e32 v29, v29, v37
	v_sub_u32_e32 v31, 31, v30
	v_xor_b32_e32 v15, v15, v37
	v_alignbit_b32 v32, v33, v29, v31
	v_alignbit_b32 v15, v29, v15, v31
	;; [unrolled: 1-line block ×3, first 2 shown]
	v_ffbh_u32_e32 v29, v28
	v_min_u32_e32 v29, 32, v29
	v_lshrrev_b32_e32 v34, 29, v1
	v_not_b32_e32 v31, v29
	v_alignbit_b32 v15, v28, v15, v31
	v_lshlrev_b32_e32 v28, 31, v34
	v_or_b32_e32 v31, 0x33000000, v28
	v_add_lshl_u32 v29, v29, v30, 23
	v_lshrrev_b32_e32 v15, 9, v15
	v_sub_u32_e32 v29, v31, v29
	v_or_b32_e32 v28, 0.5, v28
	v_lshlrev_b32_e32 v30, 23, v30
	v_or_b32_e32 v15, v29, v15
	v_lshrrev_b32_e32 v29, 9, v32
	v_sub_u32_e32 v28, v28, v30
	v_or_b32_e32 v28, v29, v28
	v_mul_f32_e32 v29, 0x3fc90fda, v28
	v_fma_f32 v30, v28, s54, -v29
	v_fmac_f32_e32 v30, 0x33a22168, v28
	v_fmac_f32_e32 v30, 0x3fc90fda, v15
	v_lshrrev_b32_e32 v1, 30, v1
	v_add_f32_e32 v28, v29, v30
	v_add_u32_e32 v15, v36, v1
	s_andn2_saveexec_b64 s[8:9], s[34:35]
	s_branch .LBB248_364
.LBB248_363:                            ;   in Loop: Header=BB248_217 Depth=1
	s_andn2_saveexec_b64 s[8:9], s[34:35]
.LBB248_364:                            ;   in Loop: Header=BB248_217 Depth=1
	v_mul_f32_e64 v1, |v16|, s55
	v_rndne_f32_e32 v1, v1
	v_cvt_i32_f32_e32 v15, v1
	v_fma_f32 v28, v1, s56, |v16|
	v_fmac_f32_e32 v28, 0xb3a22168, v1
	v_fmac_f32_e32 v28, 0xa7c234c4, v1
; %bb.365:                              ;   in Loop: Header=BB248_217 Depth=1
	s_or_b64 exec, exec, s[8:9]
                                        ; implicit-def: $vgpr29
                                        ; implicit-def: $vgpr30
	s_and_saveexec_b64 s[8:9], s[30:31]
	s_xor_b64 s[30:31], exec, s[8:9]
	s_cbranch_execz .LBB248_367
; %bb.366:                              ;   in Loop: Header=BB248_217 Depth=1
	v_and_b32_e32 v1, 0x7fffff, v27
	v_or_b32_e32 v36, 0x800000, v1
	v_mad_u64_u32 v[29:30], s[8:9], v36, s47, 0
	v_mov_b32_e32 v1, v30
	v_mad_u64_u32 v[30:31], s[8:9], v36, s48, v[1:2]
	v_mov_b32_e32 v1, v31
	;; [unrolled: 2-line block ×3, first 2 shown]
	v_mad_u64_u32 v[32:33], s[8:9], v36, s50, v[1:2]
	v_lshrrev_b32_e32 v1, 23, v27
	v_add_u32_e32 v35, 0xffffff88, v1
	v_mov_b32_e32 v1, v33
	v_mad_u64_u32 v[33:34], s[8:9], v36, s51, v[1:2]
	v_cmp_lt_u32_e32 vcc, 63, v35
	v_cndmask_b32_e32 v1, 0, v22, vcc
	v_add_u32_e32 v37, v1, v35
	v_mov_b32_e32 v1, v34
	v_mad_u64_u32 v[34:35], s[8:9], v36, s52, v[1:2]
	v_cmp_lt_u32_e64 s[8:9], 31, v37
	v_cndmask_b32_e64 v1, 0, v23, s[8:9]
	v_add_u32_e32 v37, v1, v37
	v_mov_b32_e32 v1, v35
	v_mad_u64_u32 v[35:36], s[10:11], v36, s53, v[1:2]
	v_cmp_lt_u32_e64 s[10:11], 31, v37
	v_cndmask_b32_e64 v1, 0, v23, s[10:11]
	v_add_u32_e32 v1, v1, v37
	v_cndmask_b32_e32 v37, v34, v32, vcc
	v_cndmask_b32_e32 v35, v35, v33, vcc
	;; [unrolled: 1-line block ×4, first 2 shown]
	v_cndmask_b32_e64 v36, v35, v37, s[8:9]
	v_cndmask_b32_e64 v34, v34, v35, s[8:9]
	;; [unrolled: 1-line block ×3, first 2 shown]
	v_cndmask_b32_e32 v30, v32, v30, vcc
	v_cndmask_b32_e64 v34, v34, v36, s[10:11]
	v_cndmask_b32_e64 v36, v36, v35, s[10:11]
	v_sub_u32_e32 v37, 32, v1
	v_cndmask_b32_e64 v32, v33, v30, s[8:9]
	v_alignbit_b32 v38, v34, v36, v37
	v_cmp_eq_u32_e64 s[12:13], 0, v1
	v_cndmask_b32_e64 v33, v35, v32, s[10:11]
	v_cndmask_b32_e64 v1, v38, v34, s[12:13]
	v_alignbit_b32 v34, v36, v33, v37
	v_cndmask_b32_e32 v29, v31, v29, vcc
	v_cndmask_b32_e64 v34, v34, v36, s[12:13]
	v_bfe_u32 v38, v1, 29, 1
	v_cndmask_b32_e64 v29, v30, v29, s[8:9]
	v_alignbit_b32 v35, v1, v34, 30
	v_sub_u32_e32 v39, 0, v38
	v_cndmask_b32_e64 v29, v32, v29, s[10:11]
	v_xor_b32_e32 v35, v35, v39
	v_alignbit_b32 v30, v33, v29, v37
	v_cndmask_b32_e64 v30, v30, v33, s[12:13]
	v_ffbh_u32_e32 v32, v35
	v_alignbit_b32 v31, v34, v30, 30
	v_min_u32_e32 v32, 32, v32
	v_alignbit_b32 v29, v30, v29, 30
	v_xor_b32_e32 v31, v31, v39
	v_sub_u32_e32 v33, 31, v32
	v_xor_b32_e32 v29, v29, v39
	v_alignbit_b32 v34, v35, v31, v33
	v_alignbit_b32 v29, v31, v29, v33
	;; [unrolled: 1-line block ×3, first 2 shown]
	v_ffbh_u32_e32 v31, v30
	v_min_u32_e32 v31, 32, v31
	v_lshrrev_b32_e32 v36, 29, v1
	v_not_b32_e32 v33, v31
	v_alignbit_b32 v29, v30, v29, v33
	v_lshlrev_b32_e32 v30, 31, v36
	v_or_b32_e32 v33, 0x33000000, v30
	v_add_lshl_u32 v31, v31, v32, 23
	v_lshrrev_b32_e32 v29, 9, v29
	v_sub_u32_e32 v31, v33, v31
	v_or_b32_e32 v30, 0.5, v30
	v_lshlrev_b32_e32 v32, 23, v32
	v_or_b32_e32 v29, v31, v29
	v_lshrrev_b32_e32 v31, 9, v34
	v_sub_u32_e32 v30, v30, v32
	v_or_b32_e32 v30, v31, v30
	v_mul_f32_e32 v31, 0x3fc90fda, v30
	v_fma_f32 v32, v30, s54, -v31
	v_fmac_f32_e32 v32, 0x33a22168, v30
	v_fmac_f32_e32 v32, 0x3fc90fda, v29
	v_lshrrev_b32_e32 v1, 30, v1
	v_add_f32_e32 v30, v31, v32
	v_add_u32_e32 v29, v38, v1
	s_andn2_saveexec_b64 s[8:9], s[30:31]
	s_cbranch_execnz .LBB248_368
	s_branch .LBB248_369
.LBB248_367:                            ;   in Loop: Header=BB248_217 Depth=1
	s_andn2_saveexec_b64 s[8:9], s[30:31]
.LBB248_368:                            ;   in Loop: Header=BB248_217 Depth=1
	v_mul_f32_e64 v1, |v16|, s55
	v_rndne_f32_e32 v1, v1
	v_cvt_i32_f32_e32 v29, v1
	v_fma_f32 v30, v1, s56, |v16|
	v_fmac_f32_e32 v30, 0xb3a22168, v1
	v_fmac_f32_e32 v30, 0xa7c234c4, v1
.LBB248_369:                            ;   in Loop: Header=BB248_217 Depth=1
	s_or_b64 exec, exec, s[8:9]
	v_mul_f32_e32 v1, v28, v28
	v_mov_b32_e32 v31, 0x3c0881c4
	v_fmac_f32_e32 v31, 0xb94c1982, v1
	v_fma_f32 v31, v1, v31, v19
	v_mul_f32_e32 v31, v1, v31
	v_fmac_f32_e32 v28, v28, v31
	v_mov_b32_e32 v31, 0xbab64f3b
	v_fmac_f32_e32 v31, 0x37d75334, v1
	v_fma_f32 v31, v1, v31, v20
	v_fma_f32 v31, v1, v31, v21
	v_fma_f32 v1, v1, v31, 1.0
	v_and_b32_e32 v31, 1, v15
	v_cmp_eq_u32_e32 vcc, 0, v31
	v_lshlrev_b32_e32 v15, 30, v15
	v_cndmask_b32_e64 v1, -v28, v1, vcc
	v_and_b32_e32 v15, 0x80000000, v15
	v_xor_b32_e32 v1, v15, v1
	v_cmp_class_f32_e64 vcc, v16, s60
	v_mul_f32_e32 v15, v30, v30
	v_mov_b32_e32 v16, 0x3c0881c4
	v_fmac_f32_e32 v16, 0xb94c1982, v15
	v_fma_f32 v16, v15, v16, v19
	v_mul_f32_e32 v16, v15, v16
	v_fmac_f32_e32 v30, v30, v16
	v_mov_b32_e32 v16, 0xbab64f3b
	v_fmac_f32_e32 v16, 0x37d75334, v15
	v_fma_f32 v16, v15, v16, v20
	v_fma_f32 v16, v15, v16, v21
	v_fma_f32 v15, v15, v16, 1.0
	v_and_b32_e32 v16, 1, v29
	v_cmp_eq_u32_e64 s[8:9], 0, v16
	v_lshlrev_b32_e32 v16, 30, v29
	v_cndmask_b32_e64 v15, v15, v30, s[8:9]
	v_and_or_b32 v16, v16, s43, v27
	v_xor_b32_e32 v15, v16, v15
	v_xor_b32_e32 v15, v15, v26
	v_cndmask_b32_e32 v1, v25, v1, vcc
	v_cndmask_b32_e32 v26, v25, v15, vcc
.LBB248_370:                            ;   in Loop: Header=BB248_217 Depth=1
	s_or_b64 exec, exec, s[28:29]
                                        ; implicit-def: $vgpr15
.LBB248_371:                            ;   in Loop: Header=BB248_217 Depth=1
	s_andn2_saveexec_b64 s[8:9], s[26:27]
	s_cbranch_execz .LBB248_373
; %bb.372:                              ;   in Loop: Header=BB248_217 Depth=1
	v_mul_f32_e32 v1, 0xbfb8aa3b, v15
	v_rndne_f32_e32 v16, v1
	v_sub_f32_e32 v27, v1, v16
	v_fma_f32 v1, v15, s57, -v1
	v_fmac_f32_e32 v1, 0xb2a5705f, v15
	v_add_f32_e32 v1, v27, v1
	v_cvt_i32_f32_e32 v16, v16
	v_exp_f32_e32 v1, v1
	v_cmp_nlt_f32_e32 vcc, s58, v15
	v_ldexp_f32 v1, v1, v16
	v_cndmask_b32_e32 v1, 0, v1, vcc
	v_cmp_ngt_f32_e32 vcc, s59, v15
	v_cndmask_b32_e32 v1, v24, v1, vcc
.LBB248_373:                            ;   in Loop: Header=BB248_217 Depth=1
	s_or_b64 exec, exec, s[8:9]
	v_add_f32_e32 v27, s14, v1
	v_add_f32_e32 v1, s15, v26
	v_cmp_gt_f32_e32 vcc, 0, v27
	v_cndmask_b32_e64 v26, v27, -v27, vcc
	v_cmp_gt_f32_e32 vcc, 0, v1
	v_cndmask_b32_e64 v28, v1, -v1, vcc
	v_cmp_ge_f32_e32 vcc, v26, v28
                                        ; implicit-def: $vgpr16
	s_and_saveexec_b64 s[8:9], vcc
	s_xor_b64 s[10:11], exec, s[8:9]
	s_cbranch_execz .LBB248_379
; %bb.374:                              ;   in Loop: Header=BB248_217 Depth=1
	v_cmp_neq_f32_e32 vcc, 0, v27
	v_cmp_neq_f32_e64 s[8:9], 0, v1
	s_or_b64 s[8:9], vcc, s[8:9]
                                        ; implicit-def: $vgpr16
	s_and_saveexec_b64 s[12:13], s[8:9]
	s_xor_b64 s[8:9], exec, s[12:13]
	s_cbranch_execz .LBB248_376
; %bb.375:                              ;   in Loop: Header=BB248_217 Depth=1
	v_div_scale_f32 v15, s[12:13], v27, v27, v1
	v_div_scale_f32 v16, vcc, v1, v27, v1
	v_rcp_f32_e32 v26, v15
	v_fma_f32 v28, -v15, v26, 1.0
	v_fmac_f32_e32 v26, v28, v26
	v_mul_f32_e32 v28, v16, v26
	v_fma_f32 v29, -v15, v28, v16
	v_fmac_f32_e32 v28, v29, v26
	v_fma_f32 v15, -v15, v28, v16
	v_div_fmas_f32 v15, v15, v26, v28
	v_div_fixup_f32 v15, v15, v27, v1
	v_fmac_f32_e32 v27, v1, v15
	v_div_scale_f32 v1, s[12:13], v27, v27, 1.0
	v_div_scale_f32 v16, vcc, 1.0, v27, 1.0
	v_rcp_f32_e32 v26, v1
	v_fma_f32 v28, -v1, v26, 1.0
	v_fmac_f32_e32 v26, v28, v26
	v_mul_f32_e32 v28, v16, v26
	v_fma_f32 v29, -v1, v28, v16
	v_fmac_f32_e32 v28, v29, v26
	v_fma_f32 v1, -v1, v28, v16
	v_div_fmas_f32 v1, v1, v26, v28
	v_mov_b32_e32 v16, s14
	v_mov_b32_e32 v26, s15
	v_fma_f32 v16, s15, v15, v16
	v_fma_f32 v26, -v15, s14, v26
                                        ; implicit-def: $vgpr28
	v_div_fixup_f32 v1, v1, v27, 1.0
	v_mul_f32_e32 v15, v16, v1
	v_mul_f32_e32 v16, v26, v1
                                        ; implicit-def: $vgpr26
.LBB248_376:                            ;   in Loop: Header=BB248_217 Depth=1
	s_andn2_saveexec_b64 s[12:13], s[8:9]
	s_cbranch_execz .LBB248_378
; %bb.377:                              ;   in Loop: Header=BB248_217 Depth=1
	v_div_scale_f32 v1, s[8:9], v26, v26, s14
	v_div_scale_f32 v15, s[8:9], v28, v28, s15
	v_div_scale_f32 v16, vcc, s14, v26, s14
	v_div_scale_f32 v27, s[8:9], s15, v28, s15
	v_rcp_f32_e32 v29, v1
	v_rcp_f32_e32 v30, v15
	v_fma_f32 v31, -v1, v29, 1.0
	v_fmac_f32_e32 v29, v31, v29
	v_fma_f32 v32, -v15, v30, 1.0
	v_fmac_f32_e32 v30, v32, v30
	v_mul_f32_e32 v31, v16, v29
	v_mul_f32_e32 v32, v27, v30
	v_fma_f32 v33, -v1, v31, v16
	v_fma_f32 v34, -v15, v32, v27
	v_fmac_f32_e32 v31, v33, v29
	v_fmac_f32_e32 v32, v34, v30
	v_fma_f32 v1, -v1, v31, v16
	v_fma_f32 v15, -v15, v32, v27
	v_div_fmas_f32 v1, v1, v29, v31
	s_mov_b64 vcc, s[8:9]
	v_div_fmas_f32 v16, v15, v30, v32
	v_div_fixup_f32 v15, v1, v26, s14
	v_div_fixup_f32 v16, v16, v28, s15
.LBB248_378:                            ;   in Loop: Header=BB248_217 Depth=1
	s_or_b64 exec, exec, s[12:13]
                                        ; implicit-def: $vgpr1
                                        ; implicit-def: $vgpr27
.LBB248_379:                            ;   in Loop: Header=BB248_217 Depth=1
	s_andn2_saveexec_b64 s[8:9], s[10:11]
	s_cbranch_execz .LBB248_381
; %bb.380:                              ;   in Loop: Header=BB248_217 Depth=1
	v_div_scale_f32 v15, s[10:11], v1, v1, v27
	v_div_scale_f32 v16, vcc, v27, v1, v27
	v_rcp_f32_e32 v26, v15
	v_fma_f32 v28, -v15, v26, 1.0
	v_fmac_f32_e32 v26, v28, v26
	v_mul_f32_e32 v28, v16, v26
	v_fma_f32 v29, -v15, v28, v16
	v_fmac_f32_e32 v28, v29, v26
	v_fma_f32 v15, -v15, v28, v16
	v_div_fmas_f32 v15, v15, v26, v28
	v_div_fixup_f32 v15, v15, v1, v27
	v_fmac_f32_e32 v1, v27, v15
	v_div_scale_f32 v16, s[10:11], v1, v1, 1.0
	v_div_scale_f32 v26, vcc, 1.0, v1, 1.0
	v_rcp_f32_e32 v27, v16
	v_fma_f32 v28, -v16, v27, 1.0
	v_fmac_f32_e32 v27, v28, v27
	v_mul_f32_e32 v28, v26, v27
	v_fma_f32 v29, -v16, v28, v26
	v_fmac_f32_e32 v28, v29, v27
	v_fma_f32 v16, -v16, v28, v26
	v_div_fmas_f32 v16, v16, v27, v28
	v_mov_b32_e32 v26, s15
	v_mov_b32_e32 v27, s14
	v_fma_f32 v26, s14, v15, v26
	v_fma_f32 v27, v15, s15, -v27
	v_div_fixup_f32 v1, v16, v1, 1.0
	v_mul_f32_e32 v15, v26, v1
	v_mul_f32_e32 v16, v27, v1
.LBB248_381:                            ;   in Loop: Header=BB248_217 Depth=1
	s_or_b64 exec, exec, s[8:9]
	v_and_b32_e32 v27, 0x7fffffff, v12
	v_xor_b32_e32 v26, 0x80000000, v12
	v_cmp_ne_u32_e32 vcc, 0, v27
                                        ; implicit-def: $vgpr1
	s_and_saveexec_b64 s[8:9], vcc
	s_xor_b64 s[26:27], exec, s[8:9]
	s_cbranch_execz .LBB248_423
; %bb.382:                              ;   in Loop: Header=BB248_217 Depth=1
	v_and_b32_e32 v29, 0x7fffffff, v11
	v_cmp_ne_u32_e32 vcc, 0, v29
                                        ; implicit-def: $vgpr1
	s_and_saveexec_b64 s[8:9], vcc
	s_xor_b64 s[28:29], exec, s[8:9]
	s_cbranch_execz .LBB248_412
; %bb.383:                              ;   in Loop: Header=BB248_217 Depth=1
	v_xor_b32_e32 v28, 0x80000000, v11
	v_cmp_gt_u32_e32 vcc, s44, v27
                                        ; implicit-def: $vgpr1
	s_and_saveexec_b64 s[8:9], vcc
	s_xor_b64 s[30:31], exec, s[8:9]
	s_cbranch_execz .LBB248_405
; %bb.384:                              ;   in Loop: Header=BB248_217 Depth=1
	v_add_u32_e32 v1, 0xbd4e8de8, v28
	v_cmp_lt_u32_e32 vcc, s45, v1
                                        ; implicit-def: $vgpr1
	s_and_saveexec_b64 s[8:9], vcc
	s_xor_b64 s[34:35], exec, s[8:9]
	s_cbranch_execz .LBB248_394
; %bb.385:                              ;   in Loop: Header=BB248_217 Depth=1
	v_cmp_nlt_f32_e64 s[36:37], |v12|, s46
                                        ; implicit-def: $vgpr28
                                        ; implicit-def: $vgpr29
	s_and_saveexec_b64 s[8:9], s[36:37]
	s_xor_b64 s[38:39], exec, s[8:9]
	s_cbranch_execz .LBB248_387
; %bb.386:                              ;   in Loop: Header=BB248_217 Depth=1
	v_and_b32_e32 v1, 0x7fffff, v27
	v_or_b32_e32 v35, 0x800000, v1
	v_mad_u64_u32 v[28:29], s[8:9], v35, s47, 0
	v_mov_b32_e32 v1, v29
	v_mad_u64_u32 v[29:30], s[8:9], v35, s48, v[1:2]
	v_mov_b32_e32 v1, v30
	;; [unrolled: 2-line block ×3, first 2 shown]
	v_mad_u64_u32 v[31:32], s[8:9], v35, s50, v[1:2]
	v_lshrrev_b32_e32 v1, 23, v27
	v_add_u32_e32 v34, 0xffffff88, v1
	v_mov_b32_e32 v1, v32
	v_mad_u64_u32 v[32:33], s[8:9], v35, s51, v[1:2]
	v_cmp_lt_u32_e32 vcc, 63, v34
	v_cndmask_b32_e32 v1, 0, v22, vcc
	v_add_u32_e32 v36, v1, v34
	v_mov_b32_e32 v1, v33
	v_mad_u64_u32 v[33:34], s[8:9], v35, s52, v[1:2]
	v_cmp_lt_u32_e64 s[8:9], 31, v36
	v_cndmask_b32_e64 v1, 0, v23, s[8:9]
	v_add_u32_e32 v36, v1, v36
	v_mov_b32_e32 v1, v34
	v_mad_u64_u32 v[34:35], s[10:11], v35, s53, v[1:2]
	v_cmp_lt_u32_e64 s[10:11], 31, v36
	v_cndmask_b32_e64 v1, 0, v23, s[10:11]
	v_add_u32_e32 v1, v1, v36
	v_cndmask_b32_e32 v36, v33, v31, vcc
	v_cndmask_b32_e32 v34, v34, v32, vcc
	;; [unrolled: 1-line block ×4, first 2 shown]
	v_cndmask_b32_e64 v35, v34, v36, s[8:9]
	v_cndmask_b32_e64 v33, v33, v34, s[8:9]
	;; [unrolled: 1-line block ×3, first 2 shown]
	v_cndmask_b32_e32 v29, v31, v29, vcc
	v_cndmask_b32_e64 v33, v33, v35, s[10:11]
	v_cndmask_b32_e64 v35, v35, v34, s[10:11]
	v_sub_u32_e32 v36, 32, v1
	v_cndmask_b32_e64 v31, v32, v29, s[8:9]
	v_alignbit_b32 v37, v33, v35, v36
	v_cmp_eq_u32_e64 s[12:13], 0, v1
	v_cndmask_b32_e64 v32, v34, v31, s[10:11]
	v_cndmask_b32_e64 v1, v37, v33, s[12:13]
	v_alignbit_b32 v33, v35, v32, v36
	v_cndmask_b32_e32 v28, v30, v28, vcc
	v_cndmask_b32_e64 v33, v33, v35, s[12:13]
	v_bfe_u32 v37, v1, 29, 1
	v_cndmask_b32_e64 v28, v29, v28, s[8:9]
	v_alignbit_b32 v34, v1, v33, 30
	v_sub_u32_e32 v38, 0, v37
	v_cndmask_b32_e64 v28, v31, v28, s[10:11]
	v_xor_b32_e32 v34, v34, v38
	v_alignbit_b32 v29, v32, v28, v36
	v_cndmask_b32_e64 v29, v29, v32, s[12:13]
	v_ffbh_u32_e32 v31, v34
	v_alignbit_b32 v30, v33, v29, 30
	v_min_u32_e32 v31, 32, v31
	v_alignbit_b32 v28, v29, v28, 30
	v_xor_b32_e32 v30, v30, v38
	v_sub_u32_e32 v32, 31, v31
	v_xor_b32_e32 v28, v28, v38
	v_alignbit_b32 v33, v34, v30, v32
	v_alignbit_b32 v28, v30, v28, v32
	v_alignbit_b32 v29, v33, v28, 9
	v_ffbh_u32_e32 v30, v29
	v_min_u32_e32 v30, 32, v30
	v_lshrrev_b32_e32 v35, 29, v1
	v_not_b32_e32 v32, v30
	v_alignbit_b32 v28, v29, v28, v32
	v_lshlrev_b32_e32 v29, 31, v35
	v_or_b32_e32 v32, 0x33000000, v29
	v_add_lshl_u32 v30, v30, v31, 23
	v_lshrrev_b32_e32 v28, 9, v28
	v_sub_u32_e32 v30, v32, v30
	v_or_b32_e32 v29, 0.5, v29
	v_lshlrev_b32_e32 v31, 23, v31
	v_or_b32_e32 v28, v30, v28
	v_lshrrev_b32_e32 v30, 9, v33
	v_sub_u32_e32 v29, v29, v31
	v_or_b32_e32 v29, v30, v29
	v_mul_f32_e32 v30, 0x3fc90fda, v29
	v_fma_f32 v31, v29, s54, -v30
	v_fmac_f32_e32 v31, 0x33a22168, v29
	v_fmac_f32_e32 v31, 0x3fc90fda, v28
	v_lshrrev_b32_e32 v1, 30, v1
	v_add_f32_e32 v29, v30, v31
	v_add_u32_e32 v28, v37, v1
	s_andn2_saveexec_b64 s[8:9], s[38:39]
	s_branch .LBB248_388
.LBB248_387:                            ;   in Loop: Header=BB248_217 Depth=1
	s_andn2_saveexec_b64 s[8:9], s[38:39]
.LBB248_388:                            ;   in Loop: Header=BB248_217 Depth=1
	v_mul_f32_e64 v1, |v12|, s55
	v_rndne_f32_e32 v1, v1
	v_cvt_i32_f32_e32 v28, v1
	v_fma_f32 v29, v1, s56, |v12|
	v_fmac_f32_e32 v29, 0xb3a22168, v1
	v_fmac_f32_e32 v29, 0xa7c234c4, v1
; %bb.389:                              ;   in Loop: Header=BB248_217 Depth=1
	s_or_b64 exec, exec, s[8:9]
                                        ; implicit-def: $vgpr30
                                        ; implicit-def: $vgpr31
	s_and_saveexec_b64 s[8:9], s[36:37]
	s_xor_b64 s[36:37], exec, s[8:9]
	s_cbranch_execz .LBB248_391
; %bb.390:                              ;   in Loop: Header=BB248_217 Depth=1
	v_and_b32_e32 v1, 0x7fffff, v27
	v_or_b32_e32 v37, 0x800000, v1
	v_mad_u64_u32 v[30:31], s[8:9], v37, s47, 0
	v_mov_b32_e32 v1, v31
	v_mad_u64_u32 v[31:32], s[8:9], v37, s48, v[1:2]
	v_mov_b32_e32 v1, v32
	;; [unrolled: 2-line block ×3, first 2 shown]
	v_mad_u64_u32 v[33:34], s[8:9], v37, s50, v[1:2]
	v_lshrrev_b32_e32 v1, 23, v27
	v_add_u32_e32 v36, 0xffffff88, v1
	v_mov_b32_e32 v1, v34
	v_mad_u64_u32 v[34:35], s[8:9], v37, s51, v[1:2]
	v_cmp_lt_u32_e32 vcc, 63, v36
	v_cndmask_b32_e32 v1, 0, v22, vcc
	v_add_u32_e32 v38, v1, v36
	v_mov_b32_e32 v1, v35
	v_mad_u64_u32 v[35:36], s[8:9], v37, s52, v[1:2]
	v_cmp_lt_u32_e64 s[8:9], 31, v38
	v_cndmask_b32_e64 v1, 0, v23, s[8:9]
	v_add_u32_e32 v38, v1, v38
	v_mov_b32_e32 v1, v36
	v_mad_u64_u32 v[36:37], s[10:11], v37, s53, v[1:2]
	v_cmp_lt_u32_e64 s[10:11], 31, v38
	v_cndmask_b32_e64 v1, 0, v23, s[10:11]
	v_add_u32_e32 v1, v1, v38
	v_cndmask_b32_e32 v38, v35, v33, vcc
	v_cndmask_b32_e32 v36, v36, v34, vcc
	;; [unrolled: 1-line block ×4, first 2 shown]
	v_cndmask_b32_e64 v37, v36, v38, s[8:9]
	v_cndmask_b32_e64 v35, v35, v36, s[8:9]
	;; [unrolled: 1-line block ×3, first 2 shown]
	v_cndmask_b32_e32 v31, v33, v31, vcc
	v_cndmask_b32_e64 v35, v35, v37, s[10:11]
	v_cndmask_b32_e64 v37, v37, v36, s[10:11]
	v_sub_u32_e32 v38, 32, v1
	v_cndmask_b32_e64 v33, v34, v31, s[8:9]
	v_alignbit_b32 v39, v35, v37, v38
	v_cmp_eq_u32_e64 s[12:13], 0, v1
	v_cndmask_b32_e64 v34, v36, v33, s[10:11]
	v_cndmask_b32_e64 v1, v39, v35, s[12:13]
	v_alignbit_b32 v35, v37, v34, v38
	v_cndmask_b32_e32 v30, v32, v30, vcc
	v_cndmask_b32_e64 v35, v35, v37, s[12:13]
	v_bfe_u32 v39, v1, 29, 1
	v_cndmask_b32_e64 v30, v31, v30, s[8:9]
	v_alignbit_b32 v36, v1, v35, 30
	v_sub_u32_e32 v40, 0, v39
	v_cndmask_b32_e64 v30, v33, v30, s[10:11]
	v_xor_b32_e32 v36, v36, v40
	v_alignbit_b32 v31, v34, v30, v38
	v_cndmask_b32_e64 v31, v31, v34, s[12:13]
	v_ffbh_u32_e32 v33, v36
	v_alignbit_b32 v32, v35, v31, 30
	v_min_u32_e32 v33, 32, v33
	v_alignbit_b32 v30, v31, v30, 30
	v_xor_b32_e32 v32, v32, v40
	v_sub_u32_e32 v34, 31, v33
	v_xor_b32_e32 v30, v30, v40
	v_alignbit_b32 v35, v36, v32, v34
	v_alignbit_b32 v30, v32, v30, v34
	v_alignbit_b32 v31, v35, v30, 9
	v_ffbh_u32_e32 v32, v31
	v_min_u32_e32 v32, 32, v32
	v_lshrrev_b32_e32 v37, 29, v1
	v_not_b32_e32 v34, v32
	v_alignbit_b32 v30, v31, v30, v34
	v_lshlrev_b32_e32 v31, 31, v37
	v_or_b32_e32 v34, 0x33000000, v31
	v_add_lshl_u32 v32, v32, v33, 23
	v_lshrrev_b32_e32 v30, 9, v30
	v_sub_u32_e32 v32, v34, v32
	v_or_b32_e32 v31, 0.5, v31
	v_lshlrev_b32_e32 v33, 23, v33
	v_or_b32_e32 v30, v32, v30
	v_lshrrev_b32_e32 v32, 9, v35
	v_sub_u32_e32 v31, v31, v33
	v_or_b32_e32 v31, v32, v31
	v_mul_f32_e32 v32, 0x3fc90fda, v31
	v_fma_f32 v33, v31, s54, -v32
	v_fmac_f32_e32 v33, 0x33a22168, v31
	v_fmac_f32_e32 v33, 0x3fc90fda, v30
	v_lshrrev_b32_e32 v1, 30, v1
	v_add_f32_e32 v31, v32, v33
	v_add_u32_e32 v30, v39, v1
	s_andn2_saveexec_b64 s[8:9], s[36:37]
	s_cbranch_execnz .LBB248_392
	s_branch .LBB248_393
.LBB248_391:                            ;   in Loop: Header=BB248_217 Depth=1
	s_andn2_saveexec_b64 s[8:9], s[36:37]
.LBB248_392:                            ;   in Loop: Header=BB248_217 Depth=1
	v_mul_f32_e64 v1, |v12|, s55
	v_rndne_f32_e32 v1, v1
	v_cvt_i32_f32_e32 v30, v1
	v_fma_f32 v31, v1, s56, |v12|
	v_fmac_f32_e32 v31, 0xb3a22168, v1
	v_fmac_f32_e32 v31, 0xa7c234c4, v1
.LBB248_393:                            ;   in Loop: Header=BB248_217 Depth=1
	s_or_b64 exec, exec, s[8:9]
	v_mul_f32_e32 v1, 0xbfb8aa3b, v11
	v_rndne_f32_e32 v32, v1
	v_sub_f32_e32 v33, v1, v32
	v_fma_f32 v1, v11, s57, -v1
	v_fmac_f32_e32 v1, 0xb2a5705f, v11
	v_add_f32_e32 v1, v33, v1
	v_cvt_i32_f32_e32 v32, v32
	v_exp_f32_e32 v1, v1
	v_cmp_nlt_f32_e32 vcc, s58, v11
	v_ldexp_f32 v1, v1, v32
	v_cndmask_b32_e32 v1, 0, v1, vcc
	v_cmp_ngt_f32_e32 vcc, s59, v11
	v_cndmask_b32_e32 v11, v24, v1, vcc
	v_mul_f32_e32 v1, v29, v29
	v_mov_b32_e32 v32, 0x3c0881c4
	v_fmac_f32_e32 v32, 0xb94c1982, v1
	v_fma_f32 v32, v1, v32, v19
	v_mul_f32_e32 v32, v1, v32
	v_fmac_f32_e32 v29, v29, v32
	v_mov_b32_e32 v32, 0xbab64f3b
	v_fmac_f32_e32 v32, 0x37d75334, v1
	v_fma_f32 v32, v1, v32, v20
	v_fma_f32 v32, v1, v32, v21
	v_fma_f32 v1, v1, v32, 1.0
	v_and_b32_e32 v32, 1, v28
	v_cmp_eq_u32_e32 vcc, 0, v32
	v_lshlrev_b32_e32 v28, 30, v28
	v_cndmask_b32_e64 v1, -v29, v1, vcc
	v_and_b32_e32 v28, 0x80000000, v28
	v_xor_b32_e32 v1, v28, v1
	v_cmp_class_f32_e64 vcc, v12, s60
	v_mul_f32_e32 v12, v31, v31
	v_mov_b32_e32 v28, 0x3c0881c4
	v_fmac_f32_e32 v28, 0xb94c1982, v12
	v_fma_f32 v28, v12, v28, v19
	v_mul_f32_e32 v28, v12, v28
	v_fmac_f32_e32 v31, v31, v28
	v_mov_b32_e32 v28, 0xbab64f3b
	v_fmac_f32_e32 v28, 0x37d75334, v12
	v_fma_f32 v28, v12, v28, v20
	v_fma_f32 v28, v12, v28, v21
	v_fma_f32 v12, v12, v28, 1.0
	v_and_b32_e32 v28, 1, v30
	v_cmp_eq_u32_e64 s[8:9], 0, v28
	v_lshlrev_b32_e32 v28, 30, v30
	v_cndmask_b32_e64 v12, v12, v31, s[8:9]
	v_and_or_b32 v27, v28, s43, v27
	v_xor_b32_e32 v12, v27, v12
	v_xor_b32_e32 v12, v12, v26
	v_cndmask_b32_e32 v1, v25, v1, vcc
	v_cndmask_b32_e32 v12, v25, v12, vcc
	v_mul_f32_e32 v1, v11, v1
	v_mul_f32_e32 v26, v11, v12
                                        ; implicit-def: $vgpr12
                                        ; implicit-def: $vgpr27
.LBB248_394:                            ;   in Loop: Header=BB248_217 Depth=1
	s_andn2_saveexec_b64 s[34:35], s[34:35]
	s_cbranch_execz .LBB248_404
; %bb.395:                              ;   in Loop: Header=BB248_217 Depth=1
	v_cmp_nlt_f32_e64 s[36:37], |v12|, s46
                                        ; implicit-def: $vgpr29
                                        ; implicit-def: $vgpr28
	s_and_saveexec_b64 s[8:9], s[36:37]
	s_xor_b64 s[38:39], exec, s[8:9]
	s_cbranch_execz .LBB248_397
; %bb.396:                              ;   in Loop: Header=BB248_217 Depth=1
	v_and_b32_e32 v1, 0x7fffff, v27
	v_or_b32_e32 v35, 0x800000, v1
	v_mad_u64_u32 v[28:29], s[8:9], v35, s47, 0
	v_mov_b32_e32 v1, v29
	v_mad_u64_u32 v[29:30], s[8:9], v35, s48, v[1:2]
	v_mov_b32_e32 v1, v30
	;; [unrolled: 2-line block ×3, first 2 shown]
	v_mad_u64_u32 v[31:32], s[8:9], v35, s50, v[1:2]
	v_lshrrev_b32_e32 v1, 23, v27
	v_add_u32_e32 v34, 0xffffff88, v1
	v_mov_b32_e32 v1, v32
	v_mad_u64_u32 v[32:33], s[8:9], v35, s51, v[1:2]
	v_cmp_lt_u32_e32 vcc, 63, v34
	v_cndmask_b32_e32 v1, 0, v22, vcc
	v_add_u32_e32 v36, v1, v34
	v_mov_b32_e32 v1, v33
	v_mad_u64_u32 v[33:34], s[8:9], v35, s52, v[1:2]
	v_cmp_lt_u32_e64 s[8:9], 31, v36
	v_cndmask_b32_e64 v1, 0, v23, s[8:9]
	v_add_u32_e32 v36, v1, v36
	v_mov_b32_e32 v1, v34
	v_mad_u64_u32 v[34:35], s[10:11], v35, s53, v[1:2]
	v_cmp_lt_u32_e64 s[10:11], 31, v36
	v_cndmask_b32_e64 v1, 0, v23, s[10:11]
	v_add_u32_e32 v1, v1, v36
	v_cndmask_b32_e32 v36, v33, v31, vcc
	v_cndmask_b32_e32 v34, v34, v32, vcc
	;; [unrolled: 1-line block ×4, first 2 shown]
	v_cndmask_b32_e64 v35, v34, v36, s[8:9]
	v_cndmask_b32_e64 v33, v33, v34, s[8:9]
	;; [unrolled: 1-line block ×3, first 2 shown]
	v_cndmask_b32_e32 v29, v31, v29, vcc
	v_cndmask_b32_e64 v33, v33, v35, s[10:11]
	v_cndmask_b32_e64 v35, v35, v34, s[10:11]
	v_sub_u32_e32 v36, 32, v1
	v_cndmask_b32_e64 v31, v32, v29, s[8:9]
	v_alignbit_b32 v37, v33, v35, v36
	v_cmp_eq_u32_e64 s[12:13], 0, v1
	v_cndmask_b32_e64 v32, v34, v31, s[10:11]
	v_cndmask_b32_e64 v1, v37, v33, s[12:13]
	v_alignbit_b32 v33, v35, v32, v36
	v_cndmask_b32_e32 v28, v30, v28, vcc
	v_cndmask_b32_e64 v33, v33, v35, s[12:13]
	v_bfe_u32 v37, v1, 29, 1
	v_cndmask_b32_e64 v28, v29, v28, s[8:9]
	v_alignbit_b32 v34, v1, v33, 30
	v_sub_u32_e32 v38, 0, v37
	v_cndmask_b32_e64 v28, v31, v28, s[10:11]
	v_xor_b32_e32 v34, v34, v38
	v_alignbit_b32 v29, v32, v28, v36
	v_cndmask_b32_e64 v29, v29, v32, s[12:13]
	v_ffbh_u32_e32 v31, v34
	v_alignbit_b32 v30, v33, v29, 30
	v_min_u32_e32 v31, 32, v31
	v_alignbit_b32 v28, v29, v28, 30
	v_xor_b32_e32 v30, v30, v38
	v_sub_u32_e32 v32, 31, v31
	v_xor_b32_e32 v28, v28, v38
	v_alignbit_b32 v33, v34, v30, v32
	v_alignbit_b32 v28, v30, v28, v32
	;; [unrolled: 1-line block ×3, first 2 shown]
	v_ffbh_u32_e32 v30, v29
	v_min_u32_e32 v30, 32, v30
	v_lshrrev_b32_e32 v35, 29, v1
	v_not_b32_e32 v32, v30
	v_alignbit_b32 v28, v29, v28, v32
	v_lshlrev_b32_e32 v29, 31, v35
	v_or_b32_e32 v32, 0x33000000, v29
	v_add_lshl_u32 v30, v30, v31, 23
	v_lshrrev_b32_e32 v28, 9, v28
	v_sub_u32_e32 v30, v32, v30
	v_or_b32_e32 v29, 0.5, v29
	v_lshlrev_b32_e32 v31, 23, v31
	v_or_b32_e32 v28, v30, v28
	v_lshrrev_b32_e32 v30, 9, v33
	v_sub_u32_e32 v29, v29, v31
	v_or_b32_e32 v29, v30, v29
	v_mul_f32_e32 v30, 0x3fc90fda, v29
	v_fma_f32 v31, v29, s54, -v30
	v_fmac_f32_e32 v31, 0x33a22168, v29
	v_fmac_f32_e32 v31, 0x3fc90fda, v28
	v_lshrrev_b32_e32 v1, 30, v1
	v_add_f32_e32 v28, v30, v31
	v_add_u32_e32 v29, v37, v1
	s_andn2_saveexec_b64 s[8:9], s[38:39]
	s_branch .LBB248_398
.LBB248_397:                            ;   in Loop: Header=BB248_217 Depth=1
	s_andn2_saveexec_b64 s[8:9], s[38:39]
.LBB248_398:                            ;   in Loop: Header=BB248_217 Depth=1
	v_mul_f32_e64 v1, |v12|, s55
	v_rndne_f32_e32 v1, v1
	v_cvt_i32_f32_e32 v29, v1
	v_fma_f32 v28, v1, s56, |v12|
	v_fmac_f32_e32 v28, 0xb3a22168, v1
	v_fmac_f32_e32 v28, 0xa7c234c4, v1
; %bb.399:                              ;   in Loop: Header=BB248_217 Depth=1
	s_or_b64 exec, exec, s[8:9]
                                        ; implicit-def: $vgpr30
                                        ; implicit-def: $vgpr31
	s_and_saveexec_b64 s[8:9], s[36:37]
	s_xor_b64 s[36:37], exec, s[8:9]
	s_cbranch_execz .LBB248_401
; %bb.400:                              ;   in Loop: Header=BB248_217 Depth=1
	v_and_b32_e32 v1, 0x7fffff, v27
	v_or_b32_e32 v37, 0x800000, v1
	v_mad_u64_u32 v[30:31], s[8:9], v37, s47, 0
	v_mov_b32_e32 v1, v31
	v_mad_u64_u32 v[31:32], s[8:9], v37, s48, v[1:2]
	v_mov_b32_e32 v1, v32
	;; [unrolled: 2-line block ×3, first 2 shown]
	v_mad_u64_u32 v[33:34], s[8:9], v37, s50, v[1:2]
	v_lshrrev_b32_e32 v1, 23, v27
	v_add_u32_e32 v36, 0xffffff88, v1
	v_mov_b32_e32 v1, v34
	v_mad_u64_u32 v[34:35], s[8:9], v37, s51, v[1:2]
	v_cmp_lt_u32_e32 vcc, 63, v36
	v_cndmask_b32_e32 v1, 0, v22, vcc
	v_add_u32_e32 v38, v1, v36
	v_mov_b32_e32 v1, v35
	v_mad_u64_u32 v[35:36], s[8:9], v37, s52, v[1:2]
	v_cmp_lt_u32_e64 s[8:9], 31, v38
	v_cndmask_b32_e64 v1, 0, v23, s[8:9]
	v_add_u32_e32 v38, v1, v38
	v_mov_b32_e32 v1, v36
	v_mad_u64_u32 v[36:37], s[10:11], v37, s53, v[1:2]
	v_cmp_lt_u32_e64 s[10:11], 31, v38
	v_cndmask_b32_e64 v1, 0, v23, s[10:11]
	v_add_u32_e32 v1, v1, v38
	v_cndmask_b32_e32 v38, v35, v33, vcc
	v_cndmask_b32_e32 v36, v36, v34, vcc
	;; [unrolled: 1-line block ×4, first 2 shown]
	v_cndmask_b32_e64 v37, v36, v38, s[8:9]
	v_cndmask_b32_e64 v35, v35, v36, s[8:9]
	;; [unrolled: 1-line block ×3, first 2 shown]
	v_cndmask_b32_e32 v31, v33, v31, vcc
	v_cndmask_b32_e64 v35, v35, v37, s[10:11]
	v_cndmask_b32_e64 v37, v37, v36, s[10:11]
	v_sub_u32_e32 v38, 32, v1
	v_cndmask_b32_e64 v33, v34, v31, s[8:9]
	v_alignbit_b32 v39, v35, v37, v38
	v_cmp_eq_u32_e64 s[12:13], 0, v1
	v_cndmask_b32_e64 v34, v36, v33, s[10:11]
	v_cndmask_b32_e64 v1, v39, v35, s[12:13]
	v_alignbit_b32 v35, v37, v34, v38
	v_cndmask_b32_e32 v30, v32, v30, vcc
	v_cndmask_b32_e64 v35, v35, v37, s[12:13]
	v_bfe_u32 v39, v1, 29, 1
	v_cndmask_b32_e64 v30, v31, v30, s[8:9]
	v_alignbit_b32 v36, v1, v35, 30
	v_sub_u32_e32 v40, 0, v39
	v_cndmask_b32_e64 v30, v33, v30, s[10:11]
	v_xor_b32_e32 v36, v36, v40
	v_alignbit_b32 v31, v34, v30, v38
	v_cndmask_b32_e64 v31, v31, v34, s[12:13]
	v_ffbh_u32_e32 v33, v36
	v_alignbit_b32 v32, v35, v31, 30
	v_min_u32_e32 v33, 32, v33
	v_alignbit_b32 v30, v31, v30, 30
	v_xor_b32_e32 v32, v32, v40
	v_sub_u32_e32 v34, 31, v33
	v_xor_b32_e32 v30, v30, v40
	v_alignbit_b32 v35, v36, v32, v34
	v_alignbit_b32 v30, v32, v30, v34
	;; [unrolled: 1-line block ×3, first 2 shown]
	v_ffbh_u32_e32 v32, v31
	v_min_u32_e32 v32, 32, v32
	v_lshrrev_b32_e32 v37, 29, v1
	v_not_b32_e32 v34, v32
	v_alignbit_b32 v30, v31, v30, v34
	v_lshlrev_b32_e32 v31, 31, v37
	v_or_b32_e32 v34, 0x33000000, v31
	v_add_lshl_u32 v32, v32, v33, 23
	v_lshrrev_b32_e32 v30, 9, v30
	v_sub_u32_e32 v32, v34, v32
	v_or_b32_e32 v31, 0.5, v31
	v_lshlrev_b32_e32 v33, 23, v33
	v_or_b32_e32 v30, v32, v30
	v_lshrrev_b32_e32 v32, 9, v35
	v_sub_u32_e32 v31, v31, v33
	v_or_b32_e32 v31, v32, v31
	v_mul_f32_e32 v32, 0x3fc90fda, v31
	v_fma_f32 v33, v31, s54, -v32
	v_fmac_f32_e32 v33, 0x33a22168, v31
	v_fmac_f32_e32 v33, 0x3fc90fda, v30
	v_lshrrev_b32_e32 v1, 30, v1
	v_add_f32_e32 v31, v32, v33
	v_add_u32_e32 v30, v39, v1
	s_andn2_saveexec_b64 s[8:9], s[36:37]
	s_cbranch_execnz .LBB248_402
	s_branch .LBB248_403
.LBB248_401:                            ;   in Loop: Header=BB248_217 Depth=1
	s_andn2_saveexec_b64 s[8:9], s[36:37]
.LBB248_402:                            ;   in Loop: Header=BB248_217 Depth=1
	v_mul_f32_e64 v1, |v12|, s55
	v_rndne_f32_e32 v1, v1
	v_cvt_i32_f32_e32 v30, v1
	v_fma_f32 v31, v1, s56, |v12|
	v_fmac_f32_e32 v31, 0xb3a22168, v1
	v_fmac_f32_e32 v31, 0xa7c234c4, v1
.LBB248_403:                            ;   in Loop: Header=BB248_217 Depth=1
	s_or_b64 exec, exec, s[8:9]
	v_mul_f32_e32 v32, v28, v28
	v_mov_b32_e32 v33, 0xbab64f3b
	v_fmac_f32_e32 v33, 0x37d75334, v32
	v_mov_b32_e32 v34, 0x3c0881c4
	v_fma_f32 v33, v32, v33, v20
	v_fmac_f32_e32 v34, 0xb94c1982, v32
	v_fma_f32 v33, v32, v33, v21
	v_fma_f32 v34, v32, v34, v19
	v_lshlrev_b32_e32 v1, 30, v29
	v_and_b32_e32 v29, 1, v29
	v_fma_f32 v33, v32, v33, 1.0
	v_mul_f32_e32 v32, v32, v34
	v_sub_f32_e32 v11, 0xc322e3bc, v11
	v_fmac_f32_e32 v28, v28, v32
	v_cmp_eq_u32_e32 vcc, 0, v29
	v_mul_f32_e32 v29, 0x3fb8aa3b, v11
	v_cndmask_b32_e64 v28, -v28, v33, vcc
	v_fma_f32 v32, v11, s61, -v29
	v_rndne_f32_e32 v33, v29
	v_fmac_f32_e32 v32, 0x32a5705f, v11
	v_sub_f32_e32 v29, v29, v33
	v_add_f32_e32 v29, v29, v32
	v_exp_f32_e32 v29, v29
	v_cvt_i32_f32_e32 v32, v33
	v_cmp_class_f32_e64 vcc, v12, s60
	v_cmp_ngt_f32_e64 s[8:9], s62, v11
	v_and_b32_e32 v1, 0x80000000, v1
	v_ldexp_f32 v12, v29, v32
	v_cndmask_b32_e64 v12, 0, v12, s[8:9]
	v_cmp_nlt_f32_e64 s[8:9], s63, v11
	v_cndmask_b32_e64 v11, v24, v12, s[8:9]
	v_and_b32_e32 v12, 0x7fffff, v11
	v_lshrrev_b32_e32 v11, 23, v11
	v_subrev_u32_e32 v11, 19, v11
	v_xor_b32_e32 v1, v1, v28
	v_lshrrev_b16_e32 v28, 15, v11
	v_add_u16_e32 v28, v11, v28
	v_ashrrev_i16_e32 v28, 1, v28
	v_bfe_i32 v28, v28, 0, 16
	v_lshl_add_u32 v29, v28, 23, 1.0
	v_sub_u32_e32 v11, v11, v28
	v_mul_f32_e32 v28, v31, v31
	v_mov_b32_e32 v32, 0x3c0881c4
	v_fmac_f32_e32 v32, 0xb94c1982, v28
	v_fma_f32 v32, v28, v32, v19
	v_mul_f32_e32 v32, v28, v32
	v_fmac_f32_e32 v31, v31, v32
	v_mov_b32_e32 v32, 0xbab64f3b
	v_fmac_f32_e32 v32, 0x37d75334, v28
	v_fma_f32 v32, v28, v32, v20
	v_fma_f32 v32, v28, v32, v21
	v_fma_f32 v28, v28, v32, 1.0
	v_and_b32_e32 v32, 1, v30
	v_cmp_eq_u32_e64 s[8:9], 0, v32
	v_lshlrev_b32_e32 v30, 30, v30
	v_cndmask_b32_e64 v28, v28, v31, s[8:9]
	v_and_or_b32 v27, v30, s43, v27
	v_xor_b32_e32 v27, v27, v28
	v_xor_b32_e32 v26, v27, v26
	v_cndmask_b32_e32 v1, v25, v1, vcc
	v_or_b32_e32 v12, 0x7f000000, v12
	v_cndmask_b32_e32 v26, v25, v26, vcc
	v_mul_f32_e32 v1, v1, v12
	v_mul_f32_e32 v12, v26, v12
	;; [unrolled: 1-line block ×3, first 2 shown]
	v_lshl_add_u32 v11, v11, 23, 1.0
	v_mul_f32_e32 v12, v12, v29
	v_mul_f32_e32 v1, v1, v11
	v_mul_f32_e32 v26, v12, v11
.LBB248_404:                            ;   in Loop: Header=BB248_217 Depth=1
	s_or_b64 exec, exec, s[34:35]
                                        ; implicit-def: $vgpr28
                                        ; implicit-def: $vgpr12
                                        ; implicit-def: $vgpr29
.LBB248_405:                            ;   in Loop: Header=BB248_217 Depth=1
	s_andn2_saveexec_b64 s[8:9], s[30:31]
	s_cbranch_execz .LBB248_411
; %bb.406:                              ;   in Loop: Header=BB248_217 Depth=1
	v_cmp_ne_u32_e32 vcc, s44, v29
                                        ; implicit-def: $vgpr26
	s_and_saveexec_b64 s[10:11], vcc
	s_xor_b64 s[10:11], exec, s[10:11]
; %bb.407:                              ;   in Loop: Header=BB248_217 Depth=1
	v_sub_f32_e32 v26, v12, v12
                                        ; implicit-def: $vgpr28
                                        ; implicit-def: $vgpr12
; %bb.408:                              ;   in Loop: Header=BB248_217 Depth=1
	s_or_saveexec_b64 s[10:11], s[10:11]
	v_mov_b32_e32 v1, v26
	s_xor_b64 exec, exec, s[10:11]
; %bb.409:                              ;   in Loop: Header=BB248_217 Depth=1
	v_sub_f32_e32 v12, v12, v12
	v_cmp_lt_i32_e32 vcc, -1, v28
	v_cndmask_b32_e64 v1, 0, -v11, vcc
	v_cndmask_b32_e32 v26, 0, v12, vcc
; %bb.410:                              ;   in Loop: Header=BB248_217 Depth=1
	s_or_b64 exec, exec, s[10:11]
.LBB248_411:                            ;   in Loop: Header=BB248_217 Depth=1
	s_or_b64 exec, exec, s[8:9]
                                        ; implicit-def: $vgpr12
                                        ; implicit-def: $vgpr27
.LBB248_412:                            ;   in Loop: Header=BB248_217 Depth=1
	s_andn2_saveexec_b64 s[28:29], s[28:29]
	s_cbranch_execz .LBB248_422
; %bb.413:                              ;   in Loop: Header=BB248_217 Depth=1
	v_cmp_nlt_f32_e64 s[30:31], |v12|, s46
                                        ; implicit-def: $vgpr11
                                        ; implicit-def: $vgpr28
	s_and_saveexec_b64 s[8:9], s[30:31]
	s_xor_b64 s[34:35], exec, s[8:9]
	s_cbranch_execz .LBB248_415
; %bb.414:                              ;   in Loop: Header=BB248_217 Depth=1
	v_and_b32_e32 v1, 0x7fffff, v27
	v_or_b32_e32 v11, 0x800000, v1
	v_mad_u64_u32 v[28:29], s[8:9], v11, s47, 0
	v_mov_b32_e32 v1, v29
	v_mad_u64_u32 v[29:30], s[8:9], v11, s48, v[1:2]
	v_mov_b32_e32 v1, v30
	v_mad_u64_u32 v[30:31], s[8:9], v11, s49, v[1:2]
	v_mov_b32_e32 v1, v31
	v_mad_u64_u32 v[31:32], s[8:9], v11, s50, v[1:2]
	v_lshrrev_b32_e32 v1, 23, v27
	v_add_u32_e32 v34, 0xffffff88, v1
	v_mov_b32_e32 v1, v32
	v_mad_u64_u32 v[32:33], s[8:9], v11, s51, v[1:2]
	v_cmp_lt_u32_e32 vcc, 63, v34
	v_cndmask_b32_e32 v1, 0, v22, vcc
	v_add_u32_e32 v35, v1, v34
	v_mov_b32_e32 v1, v33
	v_mad_u64_u32 v[33:34], s[8:9], v11, s52, v[1:2]
	v_cmp_lt_u32_e64 s[8:9], 31, v35
	v_cndmask_b32_e64 v1, 0, v23, s[8:9]
	v_add_u32_e32 v36, v1, v35
	v_mov_b32_e32 v1, v34
	v_mad_u64_u32 v[34:35], s[10:11], v11, s53, v[1:2]
	v_cmp_lt_u32_e64 s[10:11], 31, v36
	v_cndmask_b32_e64 v1, 0, v23, s[10:11]
	v_cndmask_b32_e32 v11, v33, v31, vcc
	v_cndmask_b32_e32 v34, v34, v32, vcc
	;; [unrolled: 1-line block ×4, first 2 shown]
	v_add_u32_e32 v1, v1, v36
	v_cndmask_b32_e64 v35, v34, v11, s[8:9]
	v_cndmask_b32_e64 v33, v33, v34, s[8:9]
	;; [unrolled: 1-line block ×3, first 2 shown]
	v_cndmask_b32_e32 v29, v31, v29, vcc
	v_cndmask_b32_e64 v33, v33, v35, s[10:11]
	v_cndmask_b32_e64 v34, v35, v11, s[10:11]
	v_sub_u32_e32 v35, 32, v1
	v_cndmask_b32_e64 v31, v32, v29, s[8:9]
	v_alignbit_b32 v36, v33, v34, v35
	v_cmp_eq_u32_e64 s[12:13], 0, v1
	v_cndmask_b32_e64 v11, v11, v31, s[10:11]
	v_cndmask_b32_e64 v1, v36, v33, s[12:13]
	v_alignbit_b32 v32, v34, v11, v35
	v_cndmask_b32_e32 v28, v30, v28, vcc
	v_cndmask_b32_e64 v32, v32, v34, s[12:13]
	v_bfe_u32 v36, v1, 29, 1
	v_cndmask_b32_e64 v28, v29, v28, s[8:9]
	v_alignbit_b32 v33, v1, v32, 30
	v_sub_u32_e32 v37, 0, v36
	v_cndmask_b32_e64 v28, v31, v28, s[10:11]
	v_xor_b32_e32 v33, v33, v37
	v_alignbit_b32 v29, v11, v28, v35
	v_cndmask_b32_e64 v11, v29, v11, s[12:13]
	v_ffbh_u32_e32 v30, v33
	v_alignbit_b32 v29, v32, v11, 30
	v_min_u32_e32 v30, 32, v30
	v_alignbit_b32 v11, v11, v28, 30
	v_xor_b32_e32 v29, v29, v37
	v_sub_u32_e32 v31, 31, v30
	v_xor_b32_e32 v11, v11, v37
	v_alignbit_b32 v32, v33, v29, v31
	v_alignbit_b32 v11, v29, v11, v31
	v_alignbit_b32 v28, v32, v11, 9
	v_ffbh_u32_e32 v29, v28
	v_min_u32_e32 v29, 32, v29
	v_lshrrev_b32_e32 v34, 29, v1
	v_not_b32_e32 v31, v29
	v_alignbit_b32 v11, v28, v11, v31
	v_lshlrev_b32_e32 v28, 31, v34
	v_or_b32_e32 v31, 0x33000000, v28
	v_add_lshl_u32 v29, v29, v30, 23
	v_lshrrev_b32_e32 v11, 9, v11
	v_sub_u32_e32 v29, v31, v29
	v_or_b32_e32 v28, 0.5, v28
	v_lshlrev_b32_e32 v30, 23, v30
	v_or_b32_e32 v11, v29, v11
	v_lshrrev_b32_e32 v29, 9, v32
	v_sub_u32_e32 v28, v28, v30
	v_or_b32_e32 v28, v29, v28
	v_mul_f32_e32 v29, 0x3fc90fda, v28
	v_fma_f32 v30, v28, s54, -v29
	v_fmac_f32_e32 v30, 0x33a22168, v28
	v_fmac_f32_e32 v30, 0x3fc90fda, v11
	v_lshrrev_b32_e32 v1, 30, v1
	v_add_f32_e32 v28, v29, v30
	v_add_u32_e32 v11, v36, v1
	s_andn2_saveexec_b64 s[8:9], s[34:35]
	s_branch .LBB248_416
.LBB248_415:                            ;   in Loop: Header=BB248_217 Depth=1
	s_andn2_saveexec_b64 s[8:9], s[34:35]
.LBB248_416:                            ;   in Loop: Header=BB248_217 Depth=1
	v_mul_f32_e64 v1, |v12|, s55
	v_rndne_f32_e32 v1, v1
	v_cvt_i32_f32_e32 v11, v1
	v_fma_f32 v28, v1, s56, |v12|
	v_fmac_f32_e32 v28, 0xb3a22168, v1
	v_fmac_f32_e32 v28, 0xa7c234c4, v1
; %bb.417:                              ;   in Loop: Header=BB248_217 Depth=1
	s_or_b64 exec, exec, s[8:9]
                                        ; implicit-def: $vgpr29
                                        ; implicit-def: $vgpr30
	s_and_saveexec_b64 s[8:9], s[30:31]
	s_xor_b64 s[30:31], exec, s[8:9]
	s_cbranch_execz .LBB248_419
; %bb.418:                              ;   in Loop: Header=BB248_217 Depth=1
	v_and_b32_e32 v1, 0x7fffff, v27
	v_or_b32_e32 v36, 0x800000, v1
	v_mad_u64_u32 v[29:30], s[8:9], v36, s47, 0
	v_mov_b32_e32 v1, v30
	v_mad_u64_u32 v[30:31], s[8:9], v36, s48, v[1:2]
	v_mov_b32_e32 v1, v31
	;; [unrolled: 2-line block ×3, first 2 shown]
	v_mad_u64_u32 v[32:33], s[8:9], v36, s50, v[1:2]
	v_lshrrev_b32_e32 v1, 23, v27
	v_add_u32_e32 v35, 0xffffff88, v1
	v_mov_b32_e32 v1, v33
	v_mad_u64_u32 v[33:34], s[8:9], v36, s51, v[1:2]
	v_cmp_lt_u32_e32 vcc, 63, v35
	v_cndmask_b32_e32 v1, 0, v22, vcc
	v_add_u32_e32 v37, v1, v35
	v_mov_b32_e32 v1, v34
	v_mad_u64_u32 v[34:35], s[8:9], v36, s52, v[1:2]
	v_cmp_lt_u32_e64 s[8:9], 31, v37
	v_cndmask_b32_e64 v1, 0, v23, s[8:9]
	v_add_u32_e32 v37, v1, v37
	v_mov_b32_e32 v1, v35
	v_mad_u64_u32 v[35:36], s[10:11], v36, s53, v[1:2]
	v_cmp_lt_u32_e64 s[10:11], 31, v37
	v_cndmask_b32_e64 v1, 0, v23, s[10:11]
	v_add_u32_e32 v1, v1, v37
	v_cndmask_b32_e32 v37, v34, v32, vcc
	v_cndmask_b32_e32 v35, v35, v33, vcc
	;; [unrolled: 1-line block ×4, first 2 shown]
	v_cndmask_b32_e64 v36, v35, v37, s[8:9]
	v_cndmask_b32_e64 v34, v34, v35, s[8:9]
	v_cndmask_b32_e64 v35, v37, v33, s[8:9]
	v_cndmask_b32_e32 v30, v32, v30, vcc
	v_cndmask_b32_e64 v34, v34, v36, s[10:11]
	v_cndmask_b32_e64 v36, v36, v35, s[10:11]
	v_sub_u32_e32 v37, 32, v1
	v_cndmask_b32_e64 v32, v33, v30, s[8:9]
	v_alignbit_b32 v38, v34, v36, v37
	v_cmp_eq_u32_e64 s[12:13], 0, v1
	v_cndmask_b32_e64 v33, v35, v32, s[10:11]
	v_cndmask_b32_e64 v1, v38, v34, s[12:13]
	v_alignbit_b32 v34, v36, v33, v37
	v_cndmask_b32_e32 v29, v31, v29, vcc
	v_cndmask_b32_e64 v34, v34, v36, s[12:13]
	v_bfe_u32 v38, v1, 29, 1
	v_cndmask_b32_e64 v29, v30, v29, s[8:9]
	v_alignbit_b32 v35, v1, v34, 30
	v_sub_u32_e32 v39, 0, v38
	v_cndmask_b32_e64 v29, v32, v29, s[10:11]
	v_xor_b32_e32 v35, v35, v39
	v_alignbit_b32 v30, v33, v29, v37
	v_cndmask_b32_e64 v30, v30, v33, s[12:13]
	v_ffbh_u32_e32 v32, v35
	v_alignbit_b32 v31, v34, v30, 30
	v_min_u32_e32 v32, 32, v32
	v_alignbit_b32 v29, v30, v29, 30
	v_xor_b32_e32 v31, v31, v39
	v_sub_u32_e32 v33, 31, v32
	v_xor_b32_e32 v29, v29, v39
	v_alignbit_b32 v34, v35, v31, v33
	v_alignbit_b32 v29, v31, v29, v33
	;; [unrolled: 1-line block ×3, first 2 shown]
	v_ffbh_u32_e32 v31, v30
	v_min_u32_e32 v31, 32, v31
	v_lshrrev_b32_e32 v36, 29, v1
	v_not_b32_e32 v33, v31
	v_alignbit_b32 v29, v30, v29, v33
	v_lshlrev_b32_e32 v30, 31, v36
	v_or_b32_e32 v33, 0x33000000, v30
	v_add_lshl_u32 v31, v31, v32, 23
	v_lshrrev_b32_e32 v29, 9, v29
	v_sub_u32_e32 v31, v33, v31
	v_or_b32_e32 v30, 0.5, v30
	v_lshlrev_b32_e32 v32, 23, v32
	v_or_b32_e32 v29, v31, v29
	v_lshrrev_b32_e32 v31, 9, v34
	v_sub_u32_e32 v30, v30, v32
	v_or_b32_e32 v30, v31, v30
	v_mul_f32_e32 v31, 0x3fc90fda, v30
	v_fma_f32 v32, v30, s54, -v31
	v_fmac_f32_e32 v32, 0x33a22168, v30
	v_fmac_f32_e32 v32, 0x3fc90fda, v29
	v_lshrrev_b32_e32 v1, 30, v1
	v_add_f32_e32 v30, v31, v32
	v_add_u32_e32 v29, v38, v1
	s_andn2_saveexec_b64 s[8:9], s[30:31]
	s_cbranch_execnz .LBB248_420
	s_branch .LBB248_421
.LBB248_419:                            ;   in Loop: Header=BB248_217 Depth=1
	s_andn2_saveexec_b64 s[8:9], s[30:31]
.LBB248_420:                            ;   in Loop: Header=BB248_217 Depth=1
	v_mul_f32_e64 v1, |v12|, s55
	v_rndne_f32_e32 v1, v1
	v_cvt_i32_f32_e32 v29, v1
	v_fma_f32 v30, v1, s56, |v12|
	v_fmac_f32_e32 v30, 0xb3a22168, v1
	v_fmac_f32_e32 v30, 0xa7c234c4, v1
.LBB248_421:                            ;   in Loop: Header=BB248_217 Depth=1
	s_or_b64 exec, exec, s[8:9]
	v_mul_f32_e32 v1, v28, v28
	v_mov_b32_e32 v31, 0x3c0881c4
	v_fmac_f32_e32 v31, 0xb94c1982, v1
	v_fma_f32 v31, v1, v31, v19
	v_mul_f32_e32 v31, v1, v31
	v_fmac_f32_e32 v28, v28, v31
	v_mov_b32_e32 v31, 0xbab64f3b
	v_fmac_f32_e32 v31, 0x37d75334, v1
	v_fma_f32 v31, v1, v31, v20
	v_fma_f32 v31, v1, v31, v21
	v_fma_f32 v1, v1, v31, 1.0
	v_and_b32_e32 v31, 1, v11
	v_cmp_eq_u32_e32 vcc, 0, v31
	v_lshlrev_b32_e32 v11, 30, v11
	v_cndmask_b32_e64 v1, -v28, v1, vcc
	v_and_b32_e32 v11, 0x80000000, v11
	v_xor_b32_e32 v1, v11, v1
	v_cmp_class_f32_e64 vcc, v12, s60
	v_mul_f32_e32 v11, v30, v30
	v_mov_b32_e32 v12, 0x3c0881c4
	v_fmac_f32_e32 v12, 0xb94c1982, v11
	v_fma_f32 v12, v11, v12, v19
	v_mul_f32_e32 v12, v11, v12
	v_fmac_f32_e32 v30, v30, v12
	v_mov_b32_e32 v12, 0xbab64f3b
	v_fmac_f32_e32 v12, 0x37d75334, v11
	v_fma_f32 v12, v11, v12, v20
	v_fma_f32 v12, v11, v12, v21
	v_fma_f32 v11, v11, v12, 1.0
	v_and_b32_e32 v12, 1, v29
	v_cmp_eq_u32_e64 s[8:9], 0, v12
	v_lshlrev_b32_e32 v12, 30, v29
	v_cndmask_b32_e64 v11, v11, v30, s[8:9]
	v_and_or_b32 v12, v12, s43, v27
	v_xor_b32_e32 v11, v12, v11
	v_xor_b32_e32 v11, v11, v26
	v_cndmask_b32_e32 v1, v25, v1, vcc
	v_cndmask_b32_e32 v26, v25, v11, vcc
.LBB248_422:                            ;   in Loop: Header=BB248_217 Depth=1
	s_or_b64 exec, exec, s[28:29]
                                        ; implicit-def: $vgpr11
.LBB248_423:                            ;   in Loop: Header=BB248_217 Depth=1
	s_andn2_saveexec_b64 s[8:9], s[26:27]
	s_cbranch_execz .LBB248_425
; %bb.424:                              ;   in Loop: Header=BB248_217 Depth=1
	v_mul_f32_e32 v1, 0xbfb8aa3b, v11
	v_rndne_f32_e32 v12, v1
	v_sub_f32_e32 v27, v1, v12
	v_fma_f32 v1, v11, s57, -v1
	v_fmac_f32_e32 v1, 0xb2a5705f, v11
	v_add_f32_e32 v1, v27, v1
	v_cvt_i32_f32_e32 v12, v12
	v_exp_f32_e32 v1, v1
	v_cmp_nlt_f32_e32 vcc, s58, v11
	v_ldexp_f32 v1, v1, v12
	v_cndmask_b32_e32 v1, 0, v1, vcc
	v_cmp_ngt_f32_e32 vcc, s59, v11
	v_cndmask_b32_e32 v1, v24, v1, vcc
.LBB248_425:                            ;   in Loop: Header=BB248_217 Depth=1
	s_or_b64 exec, exec, s[8:9]
	v_add_f32_e32 v27, s14, v1
	v_add_f32_e32 v1, s15, v26
	v_cmp_gt_f32_e32 vcc, 0, v27
	v_cndmask_b32_e64 v26, v27, -v27, vcc
	v_cmp_gt_f32_e32 vcc, 0, v1
	v_cndmask_b32_e64 v28, v1, -v1, vcc
	v_cmp_ge_f32_e32 vcc, v26, v28
                                        ; implicit-def: $vgpr12
	s_and_saveexec_b64 s[8:9], vcc
	s_xor_b64 s[10:11], exec, s[8:9]
	s_cbranch_execz .LBB248_435
; %bb.426:                              ;   in Loop: Header=BB248_217 Depth=1
	v_cmp_neq_f32_e32 vcc, 0, v27
	v_cmp_neq_f32_e64 s[8:9], 0, v1
	s_or_b64 s[8:9], vcc, s[8:9]
                                        ; implicit-def: $vgpr12
	s_and_saveexec_b64 s[12:13], s[8:9]
	s_xor_b64 s[8:9], exec, s[12:13]
	s_cbranch_execz .LBB248_428
; %bb.427:                              ;   in Loop: Header=BB248_217 Depth=1
	v_div_scale_f32 v11, s[12:13], v27, v27, v1
	v_div_scale_f32 v12, vcc, v1, v27, v1
	v_rcp_f32_e32 v26, v11
	v_fma_f32 v28, -v11, v26, 1.0
	v_fmac_f32_e32 v26, v28, v26
	v_mul_f32_e32 v28, v12, v26
	v_fma_f32 v29, -v11, v28, v12
	v_fmac_f32_e32 v28, v29, v26
	v_fma_f32 v11, -v11, v28, v12
	v_div_fmas_f32 v11, v11, v26, v28
	v_div_fixup_f32 v11, v11, v27, v1
	v_fmac_f32_e32 v27, v1, v11
	v_div_scale_f32 v1, s[12:13], v27, v27, 1.0
	v_div_scale_f32 v12, vcc, 1.0, v27, 1.0
	v_rcp_f32_e32 v26, v1
	v_fma_f32 v28, -v1, v26, 1.0
	v_fmac_f32_e32 v26, v28, v26
	v_mul_f32_e32 v28, v12, v26
	v_fma_f32 v29, -v1, v28, v12
	v_fmac_f32_e32 v28, v29, v26
	v_fma_f32 v1, -v1, v28, v12
	v_div_fmas_f32 v1, v1, v26, v28
	v_mov_b32_e32 v12, s14
	v_mov_b32_e32 v26, s15
	v_fma_f32 v12, s15, v11, v12
	v_fma_f32 v26, -v11, s14, v26
                                        ; implicit-def: $vgpr28
	v_div_fixup_f32 v1, v1, v27, 1.0
	v_mul_f32_e32 v11, v12, v1
	v_mul_f32_e32 v12, v26, v1
                                        ; implicit-def: $vgpr26
.LBB248_428:                            ;   in Loop: Header=BB248_217 Depth=1
	s_andn2_saveexec_b64 s[12:13], s[8:9]
	s_cbranch_execz .LBB248_430
; %bb.429:                              ;   in Loop: Header=BB248_217 Depth=1
	v_div_scale_f32 v1, s[8:9], v26, v26, s14
	v_div_scale_f32 v11, s[8:9], v28, v28, s15
	v_div_scale_f32 v12, vcc, s14, v26, s14
	v_div_scale_f32 v27, s[8:9], s15, v28, s15
	v_rcp_f32_e32 v29, v1
	v_rcp_f32_e32 v30, v11
	v_fma_f32 v31, -v1, v29, 1.0
	v_fmac_f32_e32 v29, v31, v29
	v_fma_f32 v32, -v11, v30, 1.0
	v_fmac_f32_e32 v30, v32, v30
	v_mul_f32_e32 v31, v12, v29
	v_mul_f32_e32 v32, v27, v30
	v_fma_f32 v33, -v1, v31, v12
	v_fma_f32 v34, -v11, v32, v27
	v_fmac_f32_e32 v31, v33, v29
	v_fmac_f32_e32 v32, v34, v30
	v_fma_f32 v1, -v1, v31, v12
	v_fma_f32 v11, -v11, v32, v27
	v_div_fmas_f32 v1, v1, v29, v31
	s_mov_b64 vcc, s[8:9]
	v_div_fmas_f32 v12, v11, v30, v32
	v_div_fixup_f32 v11, v1, v26, s14
	v_div_fixup_f32 v12, v12, v28, s15
.LBB248_430:                            ;   in Loop: Header=BB248_217 Depth=1
	s_or_b64 exec, exec, s[12:13]
                                        ; implicit-def: $vgpr1
                                        ; implicit-def: $vgpr27
	s_andn2_saveexec_b64 s[8:9], s[10:11]
	s_cbranch_execnz .LBB248_436
.LBB248_431:                            ;   in Loop: Header=BB248_217 Depth=1
	s_or_b64 exec, exec, s[8:9]
	s_and_saveexec_b64 s[8:9], s[0:1]
	s_xor_b64 s[0:1], exec, s[8:9]
	s_cbranch_execz .LBB248_437
.LBB248_432:                            ;   in Loop: Header=BB248_217 Depth=1
	v_lshlrev_b64 v[3:4], 3, v[3:4]
	v_mov_b32_e32 v1, s19
	v_add_co_u32_e32 v3, vcc, s18, v3
	v_addc_co_u32_e32 v4, vcc, v1, v4, vcc
	global_store_dwordx2 v[3:4], v[13:14], off
	s_or_b64 exec, exec, s[0:1]
	s_and_saveexec_b64 s[0:1], s[2:3]
	s_cbranch_execnz .LBB248_438
.LBB248_433:                            ;   in Loop: Header=BB248_217 Depth=1
	s_or_b64 exec, exec, s[0:1]
	s_and_saveexec_b64 s[0:1], s[4:5]
	s_cbranch_execz .LBB248_439
.LBB248_434:                            ;   in Loop: Header=BB248_217 Depth=1
	v_lshlrev_b64 v[3:4], 3, v[7:8]
	v_mov_b32_e32 v1, s19
	v_add_co_u32_e32 v3, vcc, s18, v3
	v_addc_co_u32_e32 v4, vcc, v1, v4, vcc
	global_store_dwordx2 v[3:4], v[15:16], off
	s_or_b64 exec, exec, s[0:1]
	s_and_saveexec_b64 s[0:1], s[6:7]
	s_cbranch_execz .LBB248_216
	s_branch .LBB248_440
.LBB248_435:                            ;   in Loop: Header=BB248_217 Depth=1
	s_andn2_saveexec_b64 s[8:9], s[10:11]
	s_cbranch_execz .LBB248_431
.LBB248_436:                            ;   in Loop: Header=BB248_217 Depth=1
	v_div_scale_f32 v11, s[10:11], v1, v1, v27
	v_div_scale_f32 v12, vcc, v27, v1, v27
	v_rcp_f32_e32 v26, v11
	v_fma_f32 v28, -v11, v26, 1.0
	v_fmac_f32_e32 v26, v28, v26
	v_mul_f32_e32 v28, v12, v26
	v_fma_f32 v29, -v11, v28, v12
	v_fmac_f32_e32 v28, v29, v26
	v_fma_f32 v11, -v11, v28, v12
	v_div_fmas_f32 v11, v11, v26, v28
	v_div_fixup_f32 v11, v11, v1, v27
	v_fmac_f32_e32 v1, v27, v11
	v_div_scale_f32 v12, s[10:11], v1, v1, 1.0
	v_div_scale_f32 v26, vcc, 1.0, v1, 1.0
	v_rcp_f32_e32 v27, v12
	v_fma_f32 v28, -v12, v27, 1.0
	v_fmac_f32_e32 v27, v28, v27
	v_mul_f32_e32 v28, v26, v27
	v_fma_f32 v29, -v12, v28, v26
	v_fmac_f32_e32 v28, v29, v27
	v_fma_f32 v12, -v12, v28, v26
	v_div_fmas_f32 v12, v12, v27, v28
	v_mov_b32_e32 v26, s15
	v_mov_b32_e32 v27, s14
	v_fma_f32 v26, s14, v11, v26
	v_fma_f32 v27, v11, s15, -v27
	v_div_fixup_f32 v1, v12, v1, 1.0
	v_mul_f32_e32 v11, v26, v1
	v_mul_f32_e32 v12, v27, v1
	s_or_b64 exec, exec, s[8:9]
	s_and_saveexec_b64 s[8:9], s[0:1]
	s_xor_b64 s[0:1], exec, s[8:9]
	s_cbranch_execnz .LBB248_432
.LBB248_437:                            ;   in Loop: Header=BB248_217 Depth=1
	s_or_b64 exec, exec, s[0:1]
	s_and_saveexec_b64 s[0:1], s[2:3]
	s_cbranch_execz .LBB248_433
.LBB248_438:                            ;   in Loop: Header=BB248_217 Depth=1
	v_lshlrev_b64 v[3:4], 3, v[5:6]
	v_mov_b32_e32 v1, s19
	v_add_co_u32_e32 v3, vcc, s18, v3
	v_addc_co_u32_e32 v4, vcc, v1, v4, vcc
	global_store_dwordx2 v[3:4], v[17:18], off
	s_or_b64 exec, exec, s[0:1]
	s_and_saveexec_b64 s[0:1], s[4:5]
	s_cbranch_execnz .LBB248_434
.LBB248_439:                            ;   in Loop: Header=BB248_217 Depth=1
	s_or_b64 exec, exec, s[0:1]
	s_and_saveexec_b64 s[0:1], s[6:7]
	s_cbranch_execz .LBB248_216
.LBB248_440:                            ;   in Loop: Header=BB248_217 Depth=1
	v_lshlrev_b64 v[3:4], 3, v[9:10]
	v_mov_b32_e32 v1, s19
	v_add_co_u32_e32 v3, vcc, s18, v3
	v_addc_co_u32_e32 v4, vcc, v1, v4, vcc
	global_store_dwordx2 v[3:4], v[11:12], off
	s_branch .LBB248_216
.LBB248_441:
	s_endpgm
	.section	.rodata,"a",@progbits
	.p2align	6, 0x0
	.amdhsa_kernel _ZN2at6native12_GLOBAL__N_125multi_tensor_apply_kernelINS1_18TensorListMetadataILi2EEENS1_14UnaryOpFunctorIN3c107complexIfEELi2ELi1ELi1EEEJNS0_7SigmoidIS8_EEEEEvT_T0_DpT1_
		.amdhsa_group_segment_fixed_size 0
		.amdhsa_private_segment_fixed_size 0
		.amdhsa_kernarg_size 3416
		.amdhsa_user_sgpr_count 6
		.amdhsa_user_sgpr_private_segment_buffer 1
		.amdhsa_user_sgpr_dispatch_ptr 0
		.amdhsa_user_sgpr_queue_ptr 0
		.amdhsa_user_sgpr_kernarg_segment_ptr 1
		.amdhsa_user_sgpr_dispatch_id 0
		.amdhsa_user_sgpr_flat_scratch_init 0
		.amdhsa_user_sgpr_private_segment_size 0
		.amdhsa_uses_dynamic_stack 0
		.amdhsa_system_sgpr_private_segment_wavefront_offset 0
		.amdhsa_system_sgpr_workgroup_id_x 1
		.amdhsa_system_sgpr_workgroup_id_y 0
		.amdhsa_system_sgpr_workgroup_id_z 0
		.amdhsa_system_sgpr_workgroup_info 0
		.amdhsa_system_vgpr_workitem_id 0
		.amdhsa_next_free_vgpr 41
		.amdhsa_next_free_sgpr 64
		.amdhsa_reserve_vcc 1
		.amdhsa_reserve_flat_scratch 0
		.amdhsa_float_round_mode_32 0
		.amdhsa_float_round_mode_16_64 0
		.amdhsa_float_denorm_mode_32 3
		.amdhsa_float_denorm_mode_16_64 3
		.amdhsa_dx10_clamp 1
		.amdhsa_ieee_mode 1
		.amdhsa_fp16_overflow 0
		.amdhsa_exception_fp_ieee_invalid_op 0
		.amdhsa_exception_fp_denorm_src 0
		.amdhsa_exception_fp_ieee_div_zero 0
		.amdhsa_exception_fp_ieee_overflow 0
		.amdhsa_exception_fp_ieee_underflow 0
		.amdhsa_exception_fp_ieee_inexact 0
		.amdhsa_exception_int_div_zero 0
	.end_amdhsa_kernel
	.section	.text._ZN2at6native12_GLOBAL__N_125multi_tensor_apply_kernelINS1_18TensorListMetadataILi2EEENS1_14UnaryOpFunctorIN3c107complexIfEELi2ELi1ELi1EEEJNS0_7SigmoidIS8_EEEEEvT_T0_DpT1_,"axG",@progbits,_ZN2at6native12_GLOBAL__N_125multi_tensor_apply_kernelINS1_18TensorListMetadataILi2EEENS1_14UnaryOpFunctorIN3c107complexIfEELi2ELi1ELi1EEEJNS0_7SigmoidIS8_EEEEEvT_T0_DpT1_,comdat
.Lfunc_end248:
	.size	_ZN2at6native12_GLOBAL__N_125multi_tensor_apply_kernelINS1_18TensorListMetadataILi2EEENS1_14UnaryOpFunctorIN3c107complexIfEELi2ELi1ELi1EEEJNS0_7SigmoidIS8_EEEEEvT_T0_DpT1_, .Lfunc_end248-_ZN2at6native12_GLOBAL__N_125multi_tensor_apply_kernelINS1_18TensorListMetadataILi2EEENS1_14UnaryOpFunctorIN3c107complexIfEELi2ELi1ELi1EEEJNS0_7SigmoidIS8_EEEEEvT_T0_DpT1_
                                        ; -- End function
	.set _ZN2at6native12_GLOBAL__N_125multi_tensor_apply_kernelINS1_18TensorListMetadataILi2EEENS1_14UnaryOpFunctorIN3c107complexIfEELi2ELi1ELi1EEEJNS0_7SigmoidIS8_EEEEEvT_T0_DpT1_.num_vgpr, 41
	.set _ZN2at6native12_GLOBAL__N_125multi_tensor_apply_kernelINS1_18TensorListMetadataILi2EEENS1_14UnaryOpFunctorIN3c107complexIfEELi2ELi1ELi1EEEJNS0_7SigmoidIS8_EEEEEvT_T0_DpT1_.num_agpr, 0
	.set _ZN2at6native12_GLOBAL__N_125multi_tensor_apply_kernelINS1_18TensorListMetadataILi2EEENS1_14UnaryOpFunctorIN3c107complexIfEELi2ELi1ELi1EEEJNS0_7SigmoidIS8_EEEEEvT_T0_DpT1_.numbered_sgpr, 64
	.set _ZN2at6native12_GLOBAL__N_125multi_tensor_apply_kernelINS1_18TensorListMetadataILi2EEENS1_14UnaryOpFunctorIN3c107complexIfEELi2ELi1ELi1EEEJNS0_7SigmoidIS8_EEEEEvT_T0_DpT1_.num_named_barrier, 0
	.set _ZN2at6native12_GLOBAL__N_125multi_tensor_apply_kernelINS1_18TensorListMetadataILi2EEENS1_14UnaryOpFunctorIN3c107complexIfEELi2ELi1ELi1EEEJNS0_7SigmoidIS8_EEEEEvT_T0_DpT1_.private_seg_size, 0
	.set _ZN2at6native12_GLOBAL__N_125multi_tensor_apply_kernelINS1_18TensorListMetadataILi2EEENS1_14UnaryOpFunctorIN3c107complexIfEELi2ELi1ELi1EEEJNS0_7SigmoidIS8_EEEEEvT_T0_DpT1_.uses_vcc, 1
	.set _ZN2at6native12_GLOBAL__N_125multi_tensor_apply_kernelINS1_18TensorListMetadataILi2EEENS1_14UnaryOpFunctorIN3c107complexIfEELi2ELi1ELi1EEEJNS0_7SigmoidIS8_EEEEEvT_T0_DpT1_.uses_flat_scratch, 0
	.set _ZN2at6native12_GLOBAL__N_125multi_tensor_apply_kernelINS1_18TensorListMetadataILi2EEENS1_14UnaryOpFunctorIN3c107complexIfEELi2ELi1ELi1EEEJNS0_7SigmoidIS8_EEEEEvT_T0_DpT1_.has_dyn_sized_stack, 0
	.set _ZN2at6native12_GLOBAL__N_125multi_tensor_apply_kernelINS1_18TensorListMetadataILi2EEENS1_14UnaryOpFunctorIN3c107complexIfEELi2ELi1ELi1EEEJNS0_7SigmoidIS8_EEEEEvT_T0_DpT1_.has_recursion, 0
	.set _ZN2at6native12_GLOBAL__N_125multi_tensor_apply_kernelINS1_18TensorListMetadataILi2EEENS1_14UnaryOpFunctorIN3c107complexIfEELi2ELi1ELi1EEEJNS0_7SigmoidIS8_EEEEEvT_T0_DpT1_.has_indirect_call, 0
	.section	.AMDGPU.csdata,"",@progbits
; Kernel info:
; codeLenInByte = 44640
; TotalNumSgprs: 68
; NumVgprs: 41
; ScratchSize: 0
; MemoryBound: 0
; FloatMode: 240
; IeeeMode: 1
; LDSByteSize: 0 bytes/workgroup (compile time only)
; SGPRBlocks: 8
; VGPRBlocks: 10
; NumSGPRsForWavesPerEU: 68
; NumVGPRsForWavesPerEU: 41
; Occupancy: 5
; WaveLimiterHint : 0
; COMPUTE_PGM_RSRC2:SCRATCH_EN: 0
; COMPUTE_PGM_RSRC2:USER_SGPR: 6
; COMPUTE_PGM_RSRC2:TRAP_HANDLER: 0
; COMPUTE_PGM_RSRC2:TGID_X_EN: 1
; COMPUTE_PGM_RSRC2:TGID_Y_EN: 0
; COMPUTE_PGM_RSRC2:TGID_Z_EN: 0
; COMPUTE_PGM_RSRC2:TIDIG_COMP_CNT: 0
	.section	.text._ZN2at6native12_GLOBAL__N_125multi_tensor_apply_kernelINS1_18TensorListMetadataILi2EEENS1_14UnaryOpFunctorIN3c104HalfELi2ELi1ELi1EEEJNS0_7SigmoidIfEEEEEvT_T0_DpT1_,"axG",@progbits,_ZN2at6native12_GLOBAL__N_125multi_tensor_apply_kernelINS1_18TensorListMetadataILi2EEENS1_14UnaryOpFunctorIN3c104HalfELi2ELi1ELi1EEEJNS0_7SigmoidIfEEEEEvT_T0_DpT1_,comdat
	.globl	_ZN2at6native12_GLOBAL__N_125multi_tensor_apply_kernelINS1_18TensorListMetadataILi2EEENS1_14UnaryOpFunctorIN3c104HalfELi2ELi1ELi1EEEJNS0_7SigmoidIfEEEEEvT_T0_DpT1_ ; -- Begin function _ZN2at6native12_GLOBAL__N_125multi_tensor_apply_kernelINS1_18TensorListMetadataILi2EEENS1_14UnaryOpFunctorIN3c104HalfELi2ELi1ELi1EEEJNS0_7SigmoidIfEEEEEvT_T0_DpT1_
	.p2align	8
	.type	_ZN2at6native12_GLOBAL__N_125multi_tensor_apply_kernelINS1_18TensorListMetadataILi2EEENS1_14UnaryOpFunctorIN3c104HalfELi2ELi1ELi1EEEJNS0_7SigmoidIfEEEEEvT_T0_DpT1_,@function
_ZN2at6native12_GLOBAL__N_125multi_tensor_apply_kernelINS1_18TensorListMetadataILi2EEENS1_14UnaryOpFunctorIN3c104HalfELi2ELi1ELi1EEEJNS0_7SigmoidIfEEEEEvT_T0_DpT1_: ; @_ZN2at6native12_GLOBAL__N_125multi_tensor_apply_kernelINS1_18TensorListMetadataILi2EEENS1_14UnaryOpFunctorIN3c104HalfELi2ELi1ELi1EEEJNS0_7SigmoidIfEEEEEvT_T0_DpT1_
; %bb.0:
	v_mov_b32_e32 v1, s6
	global_load_ubyte v1, v1, s[4:5] offset:1536
	s_add_u32 s0, s4, s6
	s_mul_hi_u32 s2, s6, 3
	s_mul_i32 s6, s6, 3
	s_addc_u32 s7, s5, 0
	s_add_u32 s6, s0, s6
	s_addc_u32 s7, s7, s2
	s_load_dword s6, s[6:7], 0x740
	s_mov_b32 s1, 0
	s_mov_b32 s3, s1
	s_waitcnt lgkmcnt(0)
	s_ashr_i32 s7, s6, 31
	s_lshl_b64 s[8:9], s[6:7], 17
	s_lshl_b64 s[6:7], s[6:7], 16
	s_waitcnt vmcnt(0)
	v_readfirstlane_b32 s0, v1
	s_lshl_b32 s0, s0, 3
	s_load_dword s22, s[4:5], 0xc4c
	s_load_dwordx2 s[14:15], s[4:5], s0 offset:0x400
	s_load_dwordx2 s[12:13], s[4:5], s0 offset:0x0
	;; [unrolled: 1-line block ×3, first 2 shown]
	s_waitcnt lgkmcnt(0)
	s_add_u32 s0, s12, s8
	s_and_b32 s2, s10, 7
	s_and_b32 s0, s0, 7
	s_sub_u32 s16, s14, s6
	s_subb_u32 s17, s15, s7
	s_and_b32 s6, s14, 3
	s_mov_b32 s7, s1
	s_or_b64 s[2:3], s[2:3], s[6:7]
	s_or_b64 s[0:1], s[2:3], s[0:1]
	s_cmp_eq_u64 s[0:1], 0
	s_mov_b64 s[0:1], -1
	s_cbranch_scc0 .LBB249_5
; %bb.1:
	v_mov_b32_e32 v1, 0x10000
	v_mov_b32_e32 v2, 0
	v_cmp_lt_i64_e32 vcc, s[16:17], v[1:2]
	v_mov_b32_e32 v2, 0
	s_and_b64 s[0:1], vcc, exec
	s_cselect_b32 s15, s17, 0
	s_cselect_b32 s14, s16, 0x10000
	v_lshlrev_b32_e32 v1, 2, v0
	v_cmp_gt_i64_e32 vcc, s[14:15], v[1:2]
	s_and_saveexec_b64 s[18:19], vcc
	s_cbranch_execz .LBB249_4
; %bb.2:
	s_load_dword s0, s[4:5], 0xc5c
	v_mov_b32_e32 v1, v2
	v_lshlrev_b32_e32 v2, 3, v0
	v_mov_b32_e32 v4, s9
	v_add_co_u32_e32 v3, vcc, s8, v2
	s_waitcnt lgkmcnt(0)
	s_and_b32 s23, s0, 0xffff
	v_mov_b32_e32 v2, v1
	v_addc_co_u32_e32 v4, vcc, 0, v4, vcc
	s_lshl_b32 s24, s23, 3
	s_mov_b64 s[20:21], 0
	v_mov_b32_e32 v5, s13
	s_mov_b32 s25, 0x3fb8aa3b
	s_mov_b32 s26, 0x32a5705f
	;; [unrolled: 1-line block ×4, first 2 shown]
	v_mov_b32_e32 v6, 0x7f800000
	v_mov_b32_e32 v7, s11
	;; [unrolled: 1-line block ×3, first 2 shown]
.LBB249_3:                              ; =>This Inner Loop Header: Depth=1
	v_add_co_u32_e32 v8, vcc, s12, v3
	v_addc_co_u32_e32 v9, vcc, v5, v4, vcc
	global_load_dwordx2 v[8:9], v[8:9], off
	v_add_co_u32_e32 v10, vcc, s10, v3
	v_addc_co_u32_e32 v11, vcc, v7, v4, vcc
	s_waitcnt vmcnt(0)
	v_cvt_f32_f16_e64 v12, -v8
	v_cvt_f32_f16_sdwa v13, -v8 dst_sel:DWORD dst_unused:UNUSED_PAD src0_sel:WORD_1
	v_cvt_f32_f16_e64 v14, -v9
	v_cvt_f32_f16_sdwa v15, -v9 dst_sel:DWORD dst_unused:UNUSED_PAD src0_sel:WORD_1
	v_mul_f32_e32 v16, 0x3fb8aa3b, v12
	v_mul_f32_e32 v17, 0x3fb8aa3b, v13
	v_fma_mix_f32 v20, -v8, s25, -v16 op_sel_hi:[1,0,0]
	v_rndne_f32_e32 v24, v16
	v_mul_f32_e32 v18, 0x3fb8aa3b, v14
	v_mul_f32_e32 v19, 0x3fb8aa3b, v15
	v_fma_mix_f32 v21, -v8, s25, -v17 op_sel:[1,0,0] op_sel_hi:[1,0,0]
	v_rndne_f32_e32 v25, v17
	v_fma_mix_f32 v20, -v8, s26, v20 op_sel_hi:[1,0,0]
	v_sub_f32_e32 v16, v16, v24
	v_fma_mix_f32 v22, -v9, s25, -v18 op_sel_hi:[1,0,0]
	v_fma_mix_f32 v23, -v9, s25, -v19 op_sel:[1,0,0] op_sel_hi:[1,0,0]
	v_rndne_f32_e32 v26, v18
	v_rndne_f32_e32 v27, v19
	v_fma_mix_f32 v8, -v8, s26, v21 op_sel:[1,0,0] op_sel_hi:[1,0,0]
	v_sub_f32_e32 v17, v17, v25
	v_add_f32_e32 v16, v16, v20
	v_fma_mix_f32 v21, -v9, s26, v22 op_sel_hi:[1,0,0]
	v_fma_mix_f32 v9, -v9, s26, v23 op_sel:[1,0,0] op_sel_hi:[1,0,0]
	v_sub_f32_e32 v18, v18, v26
	v_cvt_i32_f32_e32 v22, v24
	v_sub_f32_e32 v19, v19, v27
	v_add_f32_e32 v8, v17, v8
	v_exp_f32_e32 v16, v16
	v_cvt_i32_f32_e32 v23, v25
	v_add_f32_e32 v17, v18, v21
	v_add_f32_e32 v9, v19, v9
	v_exp_f32_e32 v8, v8
	v_cvt_i32_f32_e32 v24, v26
	v_cvt_i32_f32_e32 v25, v27
	v_exp_f32_e32 v17, v17
	v_exp_f32_e32 v9, v9
	v_ldexp_f32 v16, v16, v22
	v_cmp_ngt_f32_e64 s[6:7], s27, v12
	v_ldexp_f32 v8, v8, v23
	v_cmp_ngt_f32_e32 vcc, s27, v13
	v_cndmask_b32_e64 v16, 0, v16, s[6:7]
	v_cmp_nlt_f32_e64 s[6:7], s28, v12
	v_ldexp_f32 v17, v17, v24
	v_cmp_ngt_f32_e64 s[0:1], s27, v14
	v_ldexp_f32 v9, v9, v25
	v_cmp_ngt_f32_e64 s[2:3], s27, v15
	v_cndmask_b32_e32 v8, 0, v8, vcc
	v_cmp_nlt_f32_e32 vcc, s28, v13
	v_cndmask_b32_e64 v12, v6, v16, s[6:7]
	v_cndmask_b32_e64 v13, 0, v17, s[0:1]
	v_cmp_nlt_f32_e64 s[0:1], s28, v14
	v_cndmask_b32_e64 v9, 0, v9, s[2:3]
	v_cmp_nlt_f32_e64 s[2:3], s28, v15
	v_cndmask_b32_e32 v8, v6, v8, vcc
	v_add_f32_e32 v12, s22, v12
	v_cndmask_b32_e64 v13, v6, v13, s[0:1]
	v_cndmask_b32_e64 v9, v6, v9, s[2:3]
	v_add_f32_e32 v14, s22, v8
	v_div_scale_f32 v8, s[0:1], v12, v12, s22
	v_add_f32_e32 v13, s22, v13
	v_add_f32_e32 v15, s22, v9
	v_div_scale_f32 v9, s[0:1], v14, v14, s22
	v_div_scale_f32 v16, s[0:1], v13, v13, s22
	;; [unrolled: 1-line block ×3, first 2 shown]
	v_div_scale_f32 v18, vcc, s22, v12, s22
	v_div_scale_f32 v19, s[0:1], s22, v14, s22
	v_div_scale_f32 v20, s[2:3], s22, v13, s22
	;; [unrolled: 1-line block ×3, first 2 shown]
	v_rcp_f32_e32 v22, v8
	v_rcp_f32_e32 v23, v9
	;; [unrolled: 1-line block ×3, first 2 shown]
	v_fma_f32 v26, -v8, v22, 1.0
	v_rcp_f32_e32 v25, v17
	v_fma_f32 v27, -v9, v23, 1.0
	v_fmac_f32_e32 v22, v26, v22
	v_fma_f32 v28, -v16, v24, 1.0
	v_fmac_f32_e32 v23, v27, v23
	v_mul_f32_e32 v26, v18, v22
	v_fma_f32 v29, -v17, v25, 1.0
	v_fmac_f32_e32 v24, v28, v24
	v_mul_f32_e32 v27, v19, v23
	v_fma_f32 v30, -v8, v26, v18
	v_fmac_f32_e32 v25, v29, v25
	v_mul_f32_e32 v28, v20, v24
	v_fma_f32 v31, -v9, v27, v19
	;; [unrolled: 3-line block ×3, first 2 shown]
	v_fmac_f32_e32 v27, v31, v23
	v_fma_f32 v8, -v8, v26, v18
	v_fma_f32 v30, -v17, v29, v21
	v_fmac_f32_e32 v28, v32, v24
	v_fma_f32 v9, -v9, v27, v19
	v_div_fmas_f32 v18, v8, v22, v26
	s_mov_b64 vcc, s[0:1]
	v_fmac_f32_e32 v29, v30, v25
	v_fma_f32 v16, -v16, v28, v20
	v_div_fmas_f32 v19, v9, v23, v27
	s_mov_b64 vcc, s[2:3]
	v_fma_f32 v17, -v17, v29, v21
	v_div_fmas_f32 v16, v16, v24, v28
	s_mov_b64 vcc, s[6:7]
	v_div_fmas_f32 v17, v17, v25, v29
	v_add_co_u32_e32 v1, vcc, s23, v1
	v_addc_co_u32_e32 v2, vcc, 0, v2, vcc
	v_add_co_u32_e32 v3, vcc, s24, v3
	v_div_fixup_f32 v12, v18, v12, s22
	v_lshlrev_b64 v[8:9], 2, v[1:2]
	v_cvt_f16_f32_e32 v12, v12
	v_addc_co_u32_e32 v4, vcc, 0, v4, vcc
	v_div_fixup_f32 v14, v19, v14, s22
	v_cvt_f16_f32_e32 v14, v14
	v_div_fixup_f32 v13, v16, v13, s22
	v_cvt_f16_f32_e32 v13, v13
	;; [unrolled: 2-line block ×3, first 2 shown]
	v_cmp_le_i64_e32 vcc, s[14:15], v[8:9]
	v_pack_b32_f16 v8, v12, v14
	s_or_b64 s[20:21], vcc, s[20:21]
	v_pack_b32_f16 v9, v13, v15
	global_store_dwordx2 v[10:11], v[8:9], off
	s_andn2_b64 exec, exec, s[20:21]
	s_cbranch_execnz .LBB249_3
.LBB249_4:
	s_or_b64 exec, exec, s[18:19]
	s_mov_b64 s[0:1], 0
.LBB249_5:
	s_andn2_b64 vcc, exec, s[0:1]
	s_cbranch_vccnz .LBB249_25
; %bb.6:
	v_cmp_lt_i64_e64 s[0:1], s[16:17], 1
	s_and_b64 vcc, exec, s[0:1]
	s_cbranch_vccnz .LBB249_25
; %bb.7:
	v_mov_b32_e32 v1, 0x10000
	s_load_dword s2, s[4:5], 0xc5c
	v_mov_b32_e32 v2, 0
	v_cmp_lt_i64_e32 vcc, s[16:17], v[1:2]
	v_mov_b32_e32 v10, 0
	s_and_b64 s[0:1], vcc, exec
	v_cmp_lt_u64_e32 vcc, s[16:17], v[1:2]
	s_cselect_b32 s15, s17, 0
	s_cselect_b32 s14, s16, 0x10000
	s_waitcnt lgkmcnt(0)
	s_and_b32 s2, s2, 0xffff
	v_lshlrev_b32_e32 v9, 1, v0
	s_and_b64 s[0:1], vcc, exec
	v_mov_b32_e32 v2, s13
	v_add_co_u32_e32 v1, vcc, s12, v9
	v_mad_u64_u32 v[7:8], s[0:1], s2, 6, v[9:10]
	v_addc_co_u32_e32 v2, vcc, 0, v2, vcc
	v_mov_b32_e32 v4, s11
	v_add_co_u32_e32 v3, vcc, s10, v9
	v_addc_co_u32_e32 v4, vcc, 0, v4, vcc
	v_mov_b32_e32 v6, s13
	v_add_co_u32_e32 v5, vcc, s12, v7
	;; [unrolled: 3-line block ×3, first 2 shown]
	s_cselect_b32 s17, s17, 0
	s_cselect_b32 s16, s16, 0x10000
	s_lshl_b32 s18, s2, 2
	v_addc_co_u32_e32 v8, vcc, v10, v8, vcc
	v_add_co_u32_e32 v11, vcc, s18, v9
	v_addc_co_u32_e64 v12, s[0:1], 0, 0, vcc
	v_mov_b32_e32 v10, s13
	v_add_co_u32_e32 v9, vcc, s12, v11
	v_addc_co_u32_e32 v10, vcc, v10, v12, vcc
	v_mov_b32_e32 v13, s11
	v_add_co_u32_e32 v11, vcc, s10, v11
	v_addc_co_u32_e32 v12, vcc, v13, v12, vcc
	v_add_co_u32_e32 v13, vcc, s2, v0
	v_lshlrev_b32_e32 v17, 1, v13
	v_addc_co_u32_e64 v14, s[0:1], 0, 0, vcc
	v_mov_b32_e32 v16, s13
	v_add_co_u32_e32 v15, vcc, s12, v17
	v_addc_co_u32_e32 v16, vcc, 0, v16, vcc
	v_mov_b32_e32 v18, s11
	v_add_co_u32_e32 v17, vcc, s10, v17
	s_mul_i32 s4, s2, 3
	v_addc_co_u32_e32 v18, vcc, 0, v18, vcc
	s_lshl_b32 s3, s2, 1
	v_add_co_u32_e32 v19, vcc, s4, v0
	v_addc_co_u32_e64 v20, s[0:1], 0, 0, vcc
	v_add_co_u32_e32 v21, vcc, s3, v0
	s_lshl_b32 s19, s2, 3
	s_mov_b64 s[10:11], 0
	s_mov_b32 s20, 0xbfb8aa3b
	s_mov_b32 s21, 0x42ce8ed0
	s_mov_b32 s23, 0xc2b17218
	v_addc_co_u32_e64 v22, s[0:1], 0, 0, vcc
	v_mov_b32_e32 v23, 0x7f800000
	s_branch .LBB249_9
.LBB249_8:                              ;   in Loop: Header=BB249_9 Depth=1
	s_or_b64 exec, exec, s[2:3]
	v_add_co_u32_e32 v1, vcc, s19, v1
	v_addc_co_u32_e32 v2, vcc, 0, v2, vcc
	v_add_co_u32_e32 v3, vcc, s19, v3
	v_addc_co_u32_e32 v4, vcc, 0, v4, vcc
	;; [unrolled: 2-line block ×6, first 2 shown]
	s_add_u32 s10, s10, s18
	v_add_co_u32_e32 v15, vcc, s19, v15
	v_mov_b32_e32 v25, s15
	s_addc_u32 s11, s11, 0
	v_addc_co_u32_e32 v16, vcc, 0, v16, vcc
	v_mov_b32_e32 v24, s14
	v_cmp_ge_i64_e32 vcc, s[10:11], v[24:25]
	v_add_co_u32_e64 v17, s[0:1], s19, v17
	v_addc_co_u32_e64 v18, s[0:1], 0, v18, s[0:1]
	s_cbranch_vccnz .LBB249_25
.LBB249_9:                              ; =>This Inner Loop Header: Depth=1
	v_mov_b32_e32 v25, s11
	v_add_co_u32_e32 v24, vcc, s10, v0
	v_addc_co_u32_e32 v25, vcc, 0, v25, vcc
	v_cmp_gt_u64_e32 vcc, s[16:17], v[24:25]
	v_mov_b32_e32 v27, 0
	s_and_saveexec_b64 s[2:3], vcc
	s_cbranch_execz .LBB249_11
; %bb.10:                               ;   in Loop: Header=BB249_9 Depth=1
	v_mov_b32_e32 v25, s9
	v_add_co_u32_e64 v24, s[0:1], s8, v1
	v_addc_co_u32_e64 v25, s[0:1], v2, v25, s[0:1]
	global_load_ushort v24, v[24:25], off
	s_waitcnt vmcnt(0)
	v_cvt_f32_f16_e32 v27, v24
.LBB249_11:                             ;   in Loop: Header=BB249_9 Depth=1
	s_or_b64 exec, exec, s[2:3]
	v_mov_b32_e32 v25, s11
	v_add_co_u32_e64 v24, s[0:1], s10, v13
	v_addc_co_u32_e64 v25, s[0:1], v14, v25, s[0:1]
	v_cmp_gt_u64_e64 s[4:5], s[16:17], v[24:25]
	v_mov_b32_e32 v24, 0
	v_mov_b32_e32 v26, 0
	s_and_saveexec_b64 s[2:3], s[4:5]
	s_cbranch_execz .LBB249_13
; %bb.12:                               ;   in Loop: Header=BB249_9 Depth=1
	v_mov_b32_e32 v26, s9
	v_add_co_u32_e64 v25, s[0:1], s8, v15
	v_addc_co_u32_e64 v26, s[0:1], v16, v26, s[0:1]
	global_load_ushort v25, v[25:26], off
	s_waitcnt vmcnt(0)
	v_cvt_f32_f16_e32 v26, v25
.LBB249_13:                             ;   in Loop: Header=BB249_9 Depth=1
	s_or_b64 exec, exec, s[2:3]
	v_mov_b32_e32 v25, s11
	v_add_co_u32_e64 v28, s[0:1], s10, v21
	v_addc_co_u32_e64 v29, s[0:1], v22, v25, s[0:1]
	v_cmp_gt_u64_e64 s[2:3], s[16:17], v[28:29]
	s_and_saveexec_b64 s[6:7], s[2:3]
	s_cbranch_execz .LBB249_15
; %bb.14:                               ;   in Loop: Header=BB249_9 Depth=1
	v_mov_b32_e32 v25, s9
	v_add_co_u32_e64 v24, s[0:1], s8, v9
	v_addc_co_u32_e64 v25, s[0:1], v10, v25, s[0:1]
	global_load_ushort v24, v[24:25], off
	s_waitcnt vmcnt(0)
	v_cvt_f32_f16_e32 v24, v24
.LBB249_15:                             ;   in Loop: Header=BB249_9 Depth=1
	s_or_b64 exec, exec, s[6:7]
	v_mov_b32_e32 v25, s11
	v_add_co_u32_e64 v28, s[0:1], s10, v19
	v_addc_co_u32_e64 v29, s[0:1], v20, v25, s[0:1]
	v_cmp_gt_u64_e64 s[0:1], s[16:17], v[28:29]
	v_mov_b32_e32 v25, 0
	s_and_saveexec_b64 s[12:13], s[0:1]
	s_cbranch_execnz .LBB249_20
; %bb.16:                               ;   in Loop: Header=BB249_9 Depth=1
	s_or_b64 exec, exec, s[12:13]
	s_and_saveexec_b64 s[6:7], vcc
	s_cbranch_execnz .LBB249_21
.LBB249_17:                             ;   in Loop: Header=BB249_9 Depth=1
	s_or_b64 exec, exec, s[6:7]
	s_and_saveexec_b64 s[6:7], s[4:5]
	s_cbranch_execnz .LBB249_22
.LBB249_18:                             ;   in Loop: Header=BB249_9 Depth=1
	s_or_b64 exec, exec, s[6:7]
	s_and_saveexec_b64 s[4:5], s[2:3]
	s_cbranch_execnz .LBB249_23
.LBB249_19:                             ;   in Loop: Header=BB249_9 Depth=1
	s_or_b64 exec, exec, s[4:5]
	s_and_saveexec_b64 s[2:3], s[0:1]
	s_cbranch_execz .LBB249_8
	s_branch .LBB249_24
.LBB249_20:                             ;   in Loop: Header=BB249_9 Depth=1
	v_mov_b32_e32 v25, s9
	v_add_co_u32_e64 v28, s[6:7], s8, v5
	v_addc_co_u32_e64 v29, s[6:7], v6, v25, s[6:7]
	global_load_ushort v25, v[28:29], off
	s_waitcnt vmcnt(0)
	v_cvt_f32_f16_e32 v25, v25
	s_or_b64 exec, exec, s[12:13]
	s_and_saveexec_b64 s[6:7], vcc
	s_cbranch_execz .LBB249_17
.LBB249_21:                             ;   in Loop: Header=BB249_9 Depth=1
	v_mul_f32_e32 v28, 0xbfb8aa3b, v27
	v_rndne_f32_e32 v29, v28
	v_sub_f32_e32 v30, v28, v29
	v_fma_f32 v28, v27, s20, -v28
	v_fmac_f32_e32 v28, 0xb2a5705f, v27
	v_add_f32_e32 v28, v30, v28
	v_cvt_i32_f32_e32 v29, v29
	v_exp_f32_e32 v28, v28
	v_cmp_nlt_f32_e32 vcc, s21, v27
	v_ldexp_f32 v28, v28, v29
	v_cndmask_b32_e32 v28, 0, v28, vcc
	v_cmp_ngt_f32_e32 vcc, s23, v27
	v_cndmask_b32_e32 v27, v23, v28, vcc
	v_add_f32_e32 v27, s22, v27
	v_div_scale_f32 v28, s[12:13], v27, v27, s22
	v_div_scale_f32 v29, vcc, s22, v27, s22
	v_rcp_f32_e32 v30, v28
	v_fma_f32 v31, -v28, v30, 1.0
	v_fmac_f32_e32 v30, v31, v30
	v_mul_f32_e32 v31, v29, v30
	v_fma_f32 v32, -v28, v31, v29
	v_fmac_f32_e32 v31, v32, v30
	v_fma_f32 v28, -v28, v31, v29
	v_div_fmas_f32 v28, v28, v30, v31
	v_mov_b32_e32 v29, s9
	v_div_fixup_f32 v27, v28, v27, s22
	v_cvt_f16_f32_e32 v30, v27
	v_add_co_u32_e32 v27, vcc, s8, v3
	v_addc_co_u32_e32 v28, vcc, v4, v29, vcc
	global_store_short v[27:28], v30, off
	s_or_b64 exec, exec, s[6:7]
	s_and_saveexec_b64 s[6:7], s[4:5]
	s_cbranch_execz .LBB249_18
.LBB249_22:                             ;   in Loop: Header=BB249_9 Depth=1
	v_mul_f32_e32 v27, 0xbfb8aa3b, v26
	v_rndne_f32_e32 v28, v27
	v_sub_f32_e32 v29, v27, v28
	v_fma_f32 v27, v26, s20, -v27
	v_fmac_f32_e32 v27, 0xb2a5705f, v26
	v_add_f32_e32 v27, v29, v27
	v_cvt_i32_f32_e32 v28, v28
	v_exp_f32_e32 v27, v27
	v_cmp_nlt_f32_e32 vcc, s21, v26
	v_ldexp_f32 v27, v27, v28
	v_cndmask_b32_e32 v27, 0, v27, vcc
	v_cmp_ngt_f32_e32 vcc, s23, v26
	v_cndmask_b32_e32 v26, v23, v27, vcc
	v_add_f32_e32 v26, s22, v26
	v_div_scale_f32 v27, s[4:5], v26, v26, s22
	v_div_scale_f32 v28, vcc, s22, v26, s22
	v_rcp_f32_e32 v29, v27
	v_fma_f32 v30, -v27, v29, 1.0
	v_fmac_f32_e32 v29, v30, v29
	v_mul_f32_e32 v30, v28, v29
	v_fma_f32 v31, -v27, v30, v28
	v_fmac_f32_e32 v30, v31, v29
	v_fma_f32 v27, -v27, v30, v28
	v_div_fmas_f32 v27, v27, v29, v30
	v_mov_b32_e32 v28, s9
	v_div_fixup_f32 v26, v27, v26, s22
	v_cvt_f16_f32_e32 v29, v26
	v_add_co_u32_e32 v26, vcc, s8, v17
	v_addc_co_u32_e32 v27, vcc, v18, v28, vcc
	global_store_short v[26:27], v29, off
	s_or_b64 exec, exec, s[6:7]
	s_and_saveexec_b64 s[4:5], s[2:3]
	s_cbranch_execz .LBB249_19
.LBB249_23:                             ;   in Loop: Header=BB249_9 Depth=1
	v_mul_f32_e32 v26, 0xbfb8aa3b, v24
	v_rndne_f32_e32 v27, v26
	v_sub_f32_e32 v28, v26, v27
	v_fma_f32 v26, v24, s20, -v26
	v_fmac_f32_e32 v26, 0xb2a5705f, v24
	v_add_f32_e32 v26, v28, v26
	v_cvt_i32_f32_e32 v27, v27
	v_exp_f32_e32 v26, v26
	v_cmp_nlt_f32_e32 vcc, s21, v24
	v_ldexp_f32 v26, v26, v27
	v_cndmask_b32_e32 v26, 0, v26, vcc
	v_cmp_ngt_f32_e32 vcc, s23, v24
	v_cndmask_b32_e32 v24, v23, v26, vcc
	v_add_f32_e32 v24, s22, v24
	v_div_scale_f32 v26, s[2:3], v24, v24, s22
	v_div_scale_f32 v27, vcc, s22, v24, s22
	v_rcp_f32_e32 v28, v26
	v_fma_f32 v29, -v26, v28, 1.0
	v_fmac_f32_e32 v28, v29, v28
	v_mul_f32_e32 v29, v27, v28
	v_fma_f32 v30, -v26, v29, v27
	v_fmac_f32_e32 v29, v30, v28
	v_fma_f32 v26, -v26, v29, v27
	v_div_fmas_f32 v26, v26, v28, v29
	v_mov_b32_e32 v27, s9
	v_div_fixup_f32 v24, v26, v24, s22
	v_cvt_f16_f32_e32 v24, v24
	v_add_co_u32_e32 v26, vcc, s8, v11
	v_addc_co_u32_e32 v27, vcc, v12, v27, vcc
	global_store_short v[26:27], v24, off
	s_or_b64 exec, exec, s[4:5]
	s_and_saveexec_b64 s[2:3], s[0:1]
	s_cbranch_execz .LBB249_8
.LBB249_24:                             ;   in Loop: Header=BB249_9 Depth=1
	v_mul_f32_e32 v24, 0xbfb8aa3b, v25
	v_rndne_f32_e32 v26, v24
	v_sub_f32_e32 v27, v24, v26
	v_fma_f32 v24, v25, s20, -v24
	v_fmac_f32_e32 v24, 0xb2a5705f, v25
	v_add_f32_e32 v24, v27, v24
	v_cvt_i32_f32_e32 v26, v26
	v_exp_f32_e32 v24, v24
	v_cmp_nlt_f32_e32 vcc, s21, v25
	v_ldexp_f32 v24, v24, v26
	v_cndmask_b32_e32 v24, 0, v24, vcc
	v_cmp_ngt_f32_e32 vcc, s23, v25
	v_cndmask_b32_e32 v24, v23, v24, vcc
	v_add_f32_e32 v24, s22, v24
	v_div_scale_f32 v25, s[0:1], v24, v24, s22
	v_div_scale_f32 v26, vcc, s22, v24, s22
	v_rcp_f32_e32 v27, v25
	v_fma_f32 v28, -v25, v27, 1.0
	v_fmac_f32_e32 v27, v28, v27
	v_mul_f32_e32 v28, v26, v27
	v_fma_f32 v29, -v25, v28, v26
	v_fmac_f32_e32 v28, v29, v27
	v_fma_f32 v25, -v25, v28, v26
	v_div_fmas_f32 v25, v25, v27, v28
	v_mov_b32_e32 v26, s9
	v_div_fixup_f32 v24, v25, v24, s22
	v_cvt_f16_f32_e32 v27, v24
	v_add_co_u32_e32 v24, vcc, s8, v7
	v_addc_co_u32_e32 v25, vcc, v8, v26, vcc
	global_store_short v[24:25], v27, off
	s_branch .LBB249_8
.LBB249_25:
	s_endpgm
	.section	.rodata,"a",@progbits
	.p2align	6, 0x0
	.amdhsa_kernel _ZN2at6native12_GLOBAL__N_125multi_tensor_apply_kernelINS1_18TensorListMetadataILi2EEENS1_14UnaryOpFunctorIN3c104HalfELi2ELi1ELi1EEEJNS0_7SigmoidIfEEEEEvT_T0_DpT1_
		.amdhsa_group_segment_fixed_size 0
		.amdhsa_private_segment_fixed_size 0
		.amdhsa_kernarg_size 3408
		.amdhsa_user_sgpr_count 6
		.amdhsa_user_sgpr_private_segment_buffer 1
		.amdhsa_user_sgpr_dispatch_ptr 0
		.amdhsa_user_sgpr_queue_ptr 0
		.amdhsa_user_sgpr_kernarg_segment_ptr 1
		.amdhsa_user_sgpr_dispatch_id 0
		.amdhsa_user_sgpr_flat_scratch_init 0
		.amdhsa_user_sgpr_private_segment_size 0
		.amdhsa_uses_dynamic_stack 0
		.amdhsa_system_sgpr_private_segment_wavefront_offset 0
		.amdhsa_system_sgpr_workgroup_id_x 1
		.amdhsa_system_sgpr_workgroup_id_y 0
		.amdhsa_system_sgpr_workgroup_id_z 0
		.amdhsa_system_sgpr_workgroup_info 0
		.amdhsa_system_vgpr_workitem_id 0
		.amdhsa_next_free_vgpr 33
		.amdhsa_next_free_sgpr 29
		.amdhsa_reserve_vcc 1
		.amdhsa_reserve_flat_scratch 0
		.amdhsa_float_round_mode_32 0
		.amdhsa_float_round_mode_16_64 0
		.amdhsa_float_denorm_mode_32 3
		.amdhsa_float_denorm_mode_16_64 3
		.amdhsa_dx10_clamp 1
		.amdhsa_ieee_mode 1
		.amdhsa_fp16_overflow 0
		.amdhsa_exception_fp_ieee_invalid_op 0
		.amdhsa_exception_fp_denorm_src 0
		.amdhsa_exception_fp_ieee_div_zero 0
		.amdhsa_exception_fp_ieee_overflow 0
		.amdhsa_exception_fp_ieee_underflow 0
		.amdhsa_exception_fp_ieee_inexact 0
		.amdhsa_exception_int_div_zero 0
	.end_amdhsa_kernel
	.section	.text._ZN2at6native12_GLOBAL__N_125multi_tensor_apply_kernelINS1_18TensorListMetadataILi2EEENS1_14UnaryOpFunctorIN3c104HalfELi2ELi1ELi1EEEJNS0_7SigmoidIfEEEEEvT_T0_DpT1_,"axG",@progbits,_ZN2at6native12_GLOBAL__N_125multi_tensor_apply_kernelINS1_18TensorListMetadataILi2EEENS1_14UnaryOpFunctorIN3c104HalfELi2ELi1ELi1EEEJNS0_7SigmoidIfEEEEEvT_T0_DpT1_,comdat
.Lfunc_end249:
	.size	_ZN2at6native12_GLOBAL__N_125multi_tensor_apply_kernelINS1_18TensorListMetadataILi2EEENS1_14UnaryOpFunctorIN3c104HalfELi2ELi1ELi1EEEJNS0_7SigmoidIfEEEEEvT_T0_DpT1_, .Lfunc_end249-_ZN2at6native12_GLOBAL__N_125multi_tensor_apply_kernelINS1_18TensorListMetadataILi2EEENS1_14UnaryOpFunctorIN3c104HalfELi2ELi1ELi1EEEJNS0_7SigmoidIfEEEEEvT_T0_DpT1_
                                        ; -- End function
	.set _ZN2at6native12_GLOBAL__N_125multi_tensor_apply_kernelINS1_18TensorListMetadataILi2EEENS1_14UnaryOpFunctorIN3c104HalfELi2ELi1ELi1EEEJNS0_7SigmoidIfEEEEEvT_T0_DpT1_.num_vgpr, 33
	.set _ZN2at6native12_GLOBAL__N_125multi_tensor_apply_kernelINS1_18TensorListMetadataILi2EEENS1_14UnaryOpFunctorIN3c104HalfELi2ELi1ELi1EEEJNS0_7SigmoidIfEEEEEvT_T0_DpT1_.num_agpr, 0
	.set _ZN2at6native12_GLOBAL__N_125multi_tensor_apply_kernelINS1_18TensorListMetadataILi2EEENS1_14UnaryOpFunctorIN3c104HalfELi2ELi1ELi1EEEJNS0_7SigmoidIfEEEEEvT_T0_DpT1_.numbered_sgpr, 29
	.set _ZN2at6native12_GLOBAL__N_125multi_tensor_apply_kernelINS1_18TensorListMetadataILi2EEENS1_14UnaryOpFunctorIN3c104HalfELi2ELi1ELi1EEEJNS0_7SigmoidIfEEEEEvT_T0_DpT1_.num_named_barrier, 0
	.set _ZN2at6native12_GLOBAL__N_125multi_tensor_apply_kernelINS1_18TensorListMetadataILi2EEENS1_14UnaryOpFunctorIN3c104HalfELi2ELi1ELi1EEEJNS0_7SigmoidIfEEEEEvT_T0_DpT1_.private_seg_size, 0
	.set _ZN2at6native12_GLOBAL__N_125multi_tensor_apply_kernelINS1_18TensorListMetadataILi2EEENS1_14UnaryOpFunctorIN3c104HalfELi2ELi1ELi1EEEJNS0_7SigmoidIfEEEEEvT_T0_DpT1_.uses_vcc, 1
	.set _ZN2at6native12_GLOBAL__N_125multi_tensor_apply_kernelINS1_18TensorListMetadataILi2EEENS1_14UnaryOpFunctorIN3c104HalfELi2ELi1ELi1EEEJNS0_7SigmoidIfEEEEEvT_T0_DpT1_.uses_flat_scratch, 0
	.set _ZN2at6native12_GLOBAL__N_125multi_tensor_apply_kernelINS1_18TensorListMetadataILi2EEENS1_14UnaryOpFunctorIN3c104HalfELi2ELi1ELi1EEEJNS0_7SigmoidIfEEEEEvT_T0_DpT1_.has_dyn_sized_stack, 0
	.set _ZN2at6native12_GLOBAL__N_125multi_tensor_apply_kernelINS1_18TensorListMetadataILi2EEENS1_14UnaryOpFunctorIN3c104HalfELi2ELi1ELi1EEEJNS0_7SigmoidIfEEEEEvT_T0_DpT1_.has_recursion, 0
	.set _ZN2at6native12_GLOBAL__N_125multi_tensor_apply_kernelINS1_18TensorListMetadataILi2EEENS1_14UnaryOpFunctorIN3c104HalfELi2ELi1ELi1EEEJNS0_7SigmoidIfEEEEEvT_T0_DpT1_.has_indirect_call, 0
	.section	.AMDGPU.csdata,"",@progbits
; Kernel info:
; codeLenInByte = 2604
; TotalNumSgprs: 33
; NumVgprs: 33
; ScratchSize: 0
; MemoryBound: 0
; FloatMode: 240
; IeeeMode: 1
; LDSByteSize: 0 bytes/workgroup (compile time only)
; SGPRBlocks: 4
; VGPRBlocks: 8
; NumSGPRsForWavesPerEU: 33
; NumVGPRsForWavesPerEU: 33
; Occupancy: 7
; WaveLimiterHint : 0
; COMPUTE_PGM_RSRC2:SCRATCH_EN: 0
; COMPUTE_PGM_RSRC2:USER_SGPR: 6
; COMPUTE_PGM_RSRC2:TRAP_HANDLER: 0
; COMPUTE_PGM_RSRC2:TGID_X_EN: 1
; COMPUTE_PGM_RSRC2:TGID_Y_EN: 0
; COMPUTE_PGM_RSRC2:TGID_Z_EN: 0
; COMPUTE_PGM_RSRC2:TIDIG_COMP_CNT: 0
	.section	.text._ZN2at6native12_GLOBAL__N_125multi_tensor_apply_kernelINS1_18TensorListMetadataILi2EEENS1_14UnaryOpFunctorIN3c108BFloat16ELi2ELi1ELi1EEEJNS0_7SigmoidIfEEEEEvT_T0_DpT1_,"axG",@progbits,_ZN2at6native12_GLOBAL__N_125multi_tensor_apply_kernelINS1_18TensorListMetadataILi2EEENS1_14UnaryOpFunctorIN3c108BFloat16ELi2ELi1ELi1EEEJNS0_7SigmoidIfEEEEEvT_T0_DpT1_,comdat
	.globl	_ZN2at6native12_GLOBAL__N_125multi_tensor_apply_kernelINS1_18TensorListMetadataILi2EEENS1_14UnaryOpFunctorIN3c108BFloat16ELi2ELi1ELi1EEEJNS0_7SigmoidIfEEEEEvT_T0_DpT1_ ; -- Begin function _ZN2at6native12_GLOBAL__N_125multi_tensor_apply_kernelINS1_18TensorListMetadataILi2EEENS1_14UnaryOpFunctorIN3c108BFloat16ELi2ELi1ELi1EEEJNS0_7SigmoidIfEEEEEvT_T0_DpT1_
	.p2align	8
	.type	_ZN2at6native12_GLOBAL__N_125multi_tensor_apply_kernelINS1_18TensorListMetadataILi2EEENS1_14UnaryOpFunctorIN3c108BFloat16ELi2ELi1ELi1EEEJNS0_7SigmoidIfEEEEEvT_T0_DpT1_,@function
_ZN2at6native12_GLOBAL__N_125multi_tensor_apply_kernelINS1_18TensorListMetadataILi2EEENS1_14UnaryOpFunctorIN3c108BFloat16ELi2ELi1ELi1EEEJNS0_7SigmoidIfEEEEEvT_T0_DpT1_: ; @_ZN2at6native12_GLOBAL__N_125multi_tensor_apply_kernelINS1_18TensorListMetadataILi2EEENS1_14UnaryOpFunctorIN3c108BFloat16ELi2ELi1ELi1EEEJNS0_7SigmoidIfEEEEEvT_T0_DpT1_
; %bb.0:
	v_mov_b32_e32 v1, s6
	global_load_ubyte v1, v1, s[4:5] offset:1536
	s_add_u32 s0, s4, s6
	s_mul_hi_u32 s2, s6, 3
	s_mul_i32 s6, s6, 3
	s_addc_u32 s7, s5, 0
	s_add_u32 s6, s0, s6
	s_addc_u32 s7, s7, s2
	s_load_dword s6, s[6:7], 0x740
	s_mov_b32 s1, 0
	s_mov_b32 s3, s1
	s_waitcnt lgkmcnt(0)
	s_ashr_i32 s7, s6, 31
	s_lshl_b64 s[8:9], s[6:7], 17
	s_lshl_b64 s[6:7], s[6:7], 16
	s_waitcnt vmcnt(0)
	v_readfirstlane_b32 s0, v1
	s_lshl_b32 s0, s0, 3
	s_load_dword s22, s[4:5], 0xc4c
	s_load_dwordx2 s[16:17], s[4:5], s0 offset:0x400
	s_load_dwordx2 s[12:13], s[4:5], s0 offset:0x0
	;; [unrolled: 1-line block ×3, first 2 shown]
	s_waitcnt lgkmcnt(0)
	s_add_u32 s0, s12, s8
	s_and_b32 s2, s10, 7
	s_and_b32 s0, s0, 7
	s_sub_u32 s14, s16, s6
	s_subb_u32 s15, s17, s7
	s_and_b32 s6, s16, 3
	s_mov_b32 s7, s1
	s_or_b64 s[2:3], s[2:3], s[6:7]
	s_or_b64 s[0:1], s[2:3], s[0:1]
	s_cmp_eq_u64 s[0:1], 0
	s_mov_b64 s[0:1], -1
	s_cbranch_scc0 .LBB250_5
; %bb.1:
	v_mov_b32_e32 v1, 0x10000
	v_mov_b32_e32 v2, 0
	v_cmp_lt_i64_e32 vcc, s[14:15], v[1:2]
	v_mov_b32_e32 v2, 0
	s_and_b64 s[0:1], vcc, exec
	s_cselect_b32 s17, s15, 0
	s_cselect_b32 s16, s14, 0x10000
	v_lshlrev_b32_e32 v1, 2, v0
	v_cmp_gt_i64_e32 vcc, s[16:17], v[1:2]
	s_and_saveexec_b64 s[18:19], vcc
	s_cbranch_execz .LBB250_4
; %bb.2:
	s_load_dword s0, s[4:5], 0xc5c
	v_mov_b32_e32 v1, v2
	v_lshlrev_b32_e32 v2, 3, v0
	v_mov_b32_e32 v3, s9
	v_add_co_u32_e32 v5, vcc, s8, v2
	s_waitcnt lgkmcnt(0)
	s_and_b32 s23, s0, 0xffff
	v_mov_b32_e32 v2, v1
	v_addc_co_u32_e32 v6, vcc, 0, v3, vcc
	s_lshl_b32 s24, s23, 3
	s_mov_b64 s[20:21], 0
	v_mov_b32_e32 v7, s13
	s_mov_b32 s25, 0xbfb8aa3b
	s_mov_b32 s26, 0x42ce8ed0
	;; [unrolled: 1-line block ×3, first 2 shown]
	v_mov_b32_e32 v8, 0x7f800000
	s_movk_i32 s28, 0x7fff
	v_mov_b32_e32 v9, s11
	v_mov_b32_e32 v10, 0x7fc00000
	;; [unrolled: 1-line block ×4, first 2 shown]
.LBB250_3:                              ; =>This Inner Loop Header: Depth=1
	v_add_co_u32_e32 v3, vcc, s12, v5
	v_addc_co_u32_e32 v4, vcc, v7, v6, vcc
	global_load_dwordx2 v[3:4], v[3:4], off
	v_add_co_u32_e32 v1, vcc, s23, v1
	v_addc_co_u32_e32 v2, vcc, 0, v2, vcc
	v_add_co_u32_e32 v12, vcc, s10, v5
	v_addc_co_u32_e32 v13, vcc, v9, v6, vcc
	v_add_co_u32_e32 v5, vcc, s24, v5
	v_lshlrev_b64 v[14:15], 2, v[1:2]
	v_addc_co_u32_e32 v6, vcc, 0, v6, vcc
	v_cmp_le_i64_e32 vcc, s[16:17], v[14:15]
	s_or_b64 s[20:21], vcc, s[20:21]
	s_waitcnt vmcnt(0)
	v_and_b32_e32 v14, 0xffff0000, v3
	v_lshlrev_b32_e32 v15, 16, v3
	v_alignbit_b32 v3, v4, v3, 16
	v_and_b32_e32 v4, 0xffff0000, v4
	v_mul_f32_e32 v16, 0xbfb8aa3b, v15
	v_mul_f32_e32 v17, 0xbfb8aa3b, v14
	v_and_b32_e32 v3, 0xffff0000, v3
	v_mul_f32_e32 v18, 0xbfb8aa3b, v4
	v_fma_f32 v19, v15, s25, -v16
	v_rndne_f32_e32 v20, v16
	v_fma_f32 v21, v14, s25, -v17
	v_rndne_f32_e32 v22, v17
	v_mul_f32_e32 v23, 0xbfb8aa3b, v3
	v_fma_f32 v24, v4, s25, -v18
	v_rndne_f32_e32 v25, v18
	v_fmac_f32_e32 v19, 0xb2a5705f, v15
	v_sub_f32_e32 v16, v16, v20
	v_fmac_f32_e32 v21, 0xb2a5705f, v14
	v_sub_f32_e32 v17, v17, v22
	v_fma_f32 v26, v3, s25, -v23
	v_rndne_f32_e32 v27, v23
	v_fmac_f32_e32 v24, 0xb2a5705f, v4
	v_sub_f32_e32 v18, v18, v25
	v_add_f32_e32 v16, v16, v19
	v_add_f32_e32 v17, v17, v21
	v_cvt_i32_f32_e32 v20, v20
	v_cvt_i32_f32_e32 v22, v22
	v_fmac_f32_e32 v26, 0xb2a5705f, v3
	v_sub_f32_e32 v19, v23, v27
	v_add_f32_e32 v18, v18, v24
	v_exp_f32_e32 v16, v16
	v_exp_f32_e32 v17, v17
	v_cvt_i32_f32_e32 v25, v25
	v_add_f32_e32 v19, v19, v26
	v_exp_f32_e32 v18, v18
	v_cvt_i32_f32_e32 v21, v27
	v_exp_f32_e32 v19, v19
	v_ldexp_f32 v16, v16, v20
	v_ldexp_f32 v17, v17, v22
	v_cmp_nlt_f32_e32 vcc, s26, v14
	v_cmp_nlt_f32_e64 s[2:3], s26, v15
	v_ldexp_f32 v18, v18, v25
	v_cmp_nlt_f32_e64 s[0:1], s26, v4
	v_cndmask_b32_e64 v16, 0, v16, s[2:3]
	v_cndmask_b32_e32 v17, 0, v17, vcc
	v_cmp_ngt_f32_e32 vcc, s27, v14
	v_cmp_ngt_f32_e64 s[6:7], s27, v15
	v_ldexp_f32 v14, v19, v21
	v_cmp_nlt_f32_e64 s[2:3], s26, v3
	v_cndmask_b32_e64 v18, 0, v18, s[0:1]
	v_cmp_ngt_f32_e64 s[0:1], s27, v4
	v_cndmask_b32_e64 v4, v8, v16, s[6:7]
	v_cndmask_b32_e32 v15, v8, v17, vcc
	v_cndmask_b32_e64 v14, 0, v14, s[2:3]
	v_cmp_ngt_f32_e32 vcc, s27, v3
	v_cndmask_b32_e64 v3, v8, v18, s[0:1]
	v_add_f32_e32 v4, s22, v4
	v_add_f32_e32 v15, s22, v15
	v_cndmask_b32_e32 v14, v8, v14, vcc
	v_add_f32_e32 v3, s22, v3
	v_div_scale_f32 v16, s[0:1], v4, v4, s22
	v_div_scale_f32 v18, s[0:1], v15, v15, s22
	v_add_f32_e32 v14, s22, v14
	v_div_scale_f32 v20, s[2:3], v3, v3, s22
	v_div_scale_f32 v22, s[6:7], v14, v14, s22
	v_div_scale_f32 v17, vcc, s22, v4, s22
	v_div_scale_f32 v19, s[0:1], s22, v15, s22
	v_div_scale_f32 v21, s[2:3], s22, v3, s22
	;; [unrolled: 1-line block ×3, first 2 shown]
	v_rcp_f32_e32 v24, v16
	v_rcp_f32_e32 v25, v18
	v_rcp_f32_e32 v26, v20
	v_fma_f32 v28, -v16, v24, 1.0
	v_rcp_f32_e32 v27, v22
	v_fma_f32 v29, -v18, v25, 1.0
	v_fma_f32 v30, -v20, v26, 1.0
	v_fmac_f32_e32 v24, v28, v24
	v_fmac_f32_e32 v25, v29, v25
	v_fma_f32 v28, -v22, v27, 1.0
	v_fmac_f32_e32 v26, v30, v26
	v_mul_f32_e32 v29, v17, v24
	v_mul_f32_e32 v30, v19, v25
	v_fmac_f32_e32 v27, v28, v27
	v_mul_f32_e32 v28, v21, v26
	v_fma_f32 v31, -v16, v29, v17
	v_fma_f32 v32, -v18, v30, v19
	v_fmac_f32_e32 v29, v31, v24
	v_fma_f32 v31, -v20, v28, v21
	v_fmac_f32_e32 v30, v32, v25
	v_mul_f32_e32 v32, v23, v27
	v_fmac_f32_e32 v28, v31, v26
	v_fma_f32 v31, -v22, v32, v23
	v_fma_f32 v16, -v16, v29, v17
	;; [unrolled: 1-line block ×3, first 2 shown]
	v_fmac_f32_e32 v32, v31, v27
	v_div_fmas_f32 v16, v16, v24, v29
	s_mov_b64 vcc, s[0:1]
	v_fma_f32 v19, -v22, v32, v23
	v_div_fmas_f32 v17, v17, v25, v30
	s_mov_b64 vcc, s[6:7]
	v_fma_f32 v18, -v20, v28, v21
	v_div_fmas_f32 v19, v19, v27, v32
	s_mov_b64 vcc, s[2:3]
	v_div_fmas_f32 v18, v18, v26, v28
	v_div_fixup_f32 v4, v16, v4, s22
	v_bfe_u32 v16, v4, 16, 1
	v_add3_u32 v16, v4, v16, s28
	v_div_fixup_f32 v15, v17, v15, s22
	v_bfe_u32 v17, v15, 16, 1
	v_add3_u32 v17, v15, v17, s28
	v_div_fixup_f32 v14, v19, v14, s22
	v_bfe_u32 v19, v14, 16, 1
	v_div_fixup_f32 v3, v18, v3, s22
	v_lshrrev_b32_e32 v16, 16, v16
	v_cmp_o_f32_e32 vcc, v4, v4
	v_and_b32_e32 v4, 0xffff0000, v17
	v_add3_u32 v17, v14, v19, s28
	v_bfe_u32 v18, v3, 16, 1
	v_cmp_o_f32_e64 s[0:1], v15, v15
	v_cndmask_b32_e32 v15, v11, v16, vcc
	v_lshrrev_b32_e32 v16, 16, v17
	v_add3_u32 v17, v3, v18, s28
	v_cmp_o_f32_e32 vcc, v14, v14
	v_cndmask_b32_e64 v4, v10, v4, s[0:1]
	v_and_b32_e32 v14, 0xffff0000, v17
	v_cndmask_b32_e32 v16, v11, v16, vcc
	v_cmp_o_f32_e32 vcc, v3, v3
	v_or_b32_e32 v4, v15, v4
	v_cndmask_b32_e32 v14, v10, v14, vcc
	v_or3_b32 v3, v4, 0, 0
	v_or3_b32 v4, 0, v16, v14
	global_store_dwordx2 v[12:13], v[3:4], off
	s_andn2_b64 exec, exec, s[20:21]
	s_cbranch_execnz .LBB250_3
.LBB250_4:
	s_or_b64 exec, exec, s[18:19]
	s_mov_b64 s[0:1], 0
.LBB250_5:
	s_andn2_b64 vcc, exec, s[0:1]
	s_cbranch_vccnz .LBB250_25
; %bb.6:
	v_cmp_lt_i64_e64 s[0:1], s[14:15], 1
	s_and_b64 vcc, exec, s[0:1]
	s_cbranch_vccnz .LBB250_25
; %bb.7:
	v_mov_b32_e32 v1, 0x10000
	s_load_dword s2, s[4:5], 0xc5c
	v_mov_b32_e32 v2, 0
	v_cmp_lt_i64_e32 vcc, s[14:15], v[1:2]
	v_mov_b32_e32 v10, 0
	s_and_b64 s[0:1], vcc, exec
	v_cmp_lt_u64_e32 vcc, s[14:15], v[1:2]
	s_cselect_b32 s17, s15, 0
	s_cselect_b32 s16, s14, 0x10000
	s_waitcnt lgkmcnt(0)
	s_and_b32 s2, s2, 0xffff
	v_lshlrev_b32_e32 v9, 1, v0
	s_and_b64 s[0:1], vcc, exec
	v_mov_b32_e32 v2, s13
	v_add_co_u32_e32 v1, vcc, s12, v9
	v_mad_u64_u32 v[7:8], s[0:1], s2, 6, v[9:10]
	v_addc_co_u32_e32 v2, vcc, 0, v2, vcc
	v_mov_b32_e32 v4, s11
	v_add_co_u32_e32 v3, vcc, s10, v9
	v_addc_co_u32_e32 v4, vcc, 0, v4, vcc
	v_mov_b32_e32 v6, s13
	v_add_co_u32_e32 v5, vcc, s12, v7
	;; [unrolled: 3-line block ×3, first 2 shown]
	s_cselect_b32 s15, s15, 0
	s_cselect_b32 s14, s14, 0x10000
	s_lshl_b32 s18, s2, 2
	v_addc_co_u32_e32 v8, vcc, v10, v8, vcc
	v_add_co_u32_e32 v11, vcc, s18, v9
	v_addc_co_u32_e64 v12, s[0:1], 0, 0, vcc
	v_mov_b32_e32 v10, s13
	v_add_co_u32_e32 v9, vcc, s12, v11
	v_addc_co_u32_e32 v10, vcc, v10, v12, vcc
	v_mov_b32_e32 v13, s11
	v_add_co_u32_e32 v11, vcc, s10, v11
	v_addc_co_u32_e32 v12, vcc, v13, v12, vcc
	v_add_co_u32_e32 v13, vcc, s2, v0
	v_lshlrev_b32_e32 v17, 1, v13
	v_addc_co_u32_e64 v14, s[0:1], 0, 0, vcc
	v_mov_b32_e32 v16, s13
	v_add_co_u32_e32 v15, vcc, s12, v17
	v_addc_co_u32_e32 v16, vcc, 0, v16, vcc
	v_mov_b32_e32 v18, s11
	v_add_co_u32_e32 v17, vcc, s10, v17
	s_mul_i32 s4, s2, 3
	v_addc_co_u32_e32 v18, vcc, 0, v18, vcc
	s_lshl_b32 s3, s2, 1
	v_add_co_u32_e32 v19, vcc, s4, v0
	v_addc_co_u32_e64 v20, s[0:1], 0, 0, vcc
	v_add_co_u32_e32 v21, vcc, s3, v0
	s_lshl_b32 s19, s2, 3
	s_mov_b64 s[10:11], 0
	s_mov_b32 s20, 0xbfb8aa3b
	s_mov_b32 s21, 0x42ce8ed0
	;; [unrolled: 1-line block ×3, first 2 shown]
	s_movk_i32 s24, 0x7fff
	v_addc_co_u32_e64 v22, s[0:1], 0, 0, vcc
	v_mov_b32_e32 v23, 0x7f800000
	v_mov_b32_e32 v24, 0x7fc0
	s_branch .LBB250_9
.LBB250_8:                              ;   in Loop: Header=BB250_9 Depth=1
	s_or_b64 exec, exec, s[2:3]
	v_add_co_u32_e32 v1, vcc, s19, v1
	v_addc_co_u32_e32 v2, vcc, 0, v2, vcc
	v_add_co_u32_e32 v3, vcc, s19, v3
	v_addc_co_u32_e32 v4, vcc, 0, v4, vcc
	;; [unrolled: 2-line block ×6, first 2 shown]
	s_add_u32 s10, s10, s18
	v_add_co_u32_e32 v15, vcc, s19, v15
	v_mov_b32_e32 v26, s17
	s_addc_u32 s11, s11, 0
	v_addc_co_u32_e32 v16, vcc, 0, v16, vcc
	v_mov_b32_e32 v25, s16
	v_cmp_ge_i64_e32 vcc, s[10:11], v[25:26]
	v_add_co_u32_e64 v17, s[0:1], s19, v17
	v_addc_co_u32_e64 v18, s[0:1], 0, v18, s[0:1]
	s_cbranch_vccnz .LBB250_25
.LBB250_9:                              ; =>This Inner Loop Header: Depth=1
	v_mov_b32_e32 v26, s11
	v_add_co_u32_e32 v25, vcc, s10, v0
	v_addc_co_u32_e32 v26, vcc, 0, v26, vcc
	v_cmp_gt_u64_e32 vcc, s[14:15], v[25:26]
	v_mov_b32_e32 v28, 0
	s_and_saveexec_b64 s[2:3], vcc
	s_cbranch_execz .LBB250_11
; %bb.10:                               ;   in Loop: Header=BB250_9 Depth=1
	v_mov_b32_e32 v26, s9
	v_add_co_u32_e64 v25, s[0:1], s8, v1
	v_addc_co_u32_e64 v26, s[0:1], v2, v26, s[0:1]
	global_load_ushort v25, v[25:26], off
	s_waitcnt vmcnt(0)
	v_lshlrev_b32_e32 v28, 16, v25
.LBB250_11:                             ;   in Loop: Header=BB250_9 Depth=1
	s_or_b64 exec, exec, s[2:3]
	v_mov_b32_e32 v26, s11
	v_add_co_u32_e64 v25, s[0:1], s10, v13
	v_addc_co_u32_e64 v26, s[0:1], v14, v26, s[0:1]
	v_cmp_gt_u64_e64 s[4:5], s[14:15], v[25:26]
	v_mov_b32_e32 v26, 0
	v_mov_b32_e32 v27, 0
	s_and_saveexec_b64 s[2:3], s[4:5]
	s_cbranch_execz .LBB250_13
; %bb.12:                               ;   in Loop: Header=BB250_9 Depth=1
	v_mov_b32_e32 v25, s9
	v_add_co_u32_e64 v29, s[0:1], s8, v15
	v_addc_co_u32_e64 v30, s[0:1], v16, v25, s[0:1]
	global_load_ushort v25, v[29:30], off
	s_waitcnt vmcnt(0)
	v_lshlrev_b32_e32 v27, 16, v25
.LBB250_13:                             ;   in Loop: Header=BB250_9 Depth=1
	s_or_b64 exec, exec, s[2:3]
	v_mov_b32_e32 v25, s11
	v_add_co_u32_e64 v29, s[0:1], s10, v21
	v_addc_co_u32_e64 v30, s[0:1], v22, v25, s[0:1]
	v_cmp_gt_u64_e64 s[2:3], s[14:15], v[29:30]
	s_and_saveexec_b64 s[6:7], s[2:3]
	s_cbranch_execz .LBB250_15
; %bb.14:                               ;   in Loop: Header=BB250_9 Depth=1
	v_mov_b32_e32 v26, s9
	v_add_co_u32_e64 v25, s[0:1], s8, v9
	v_addc_co_u32_e64 v26, s[0:1], v10, v26, s[0:1]
	global_load_ushort v25, v[25:26], off
	s_waitcnt vmcnt(0)
	v_lshlrev_b32_e32 v26, 16, v25
.LBB250_15:                             ;   in Loop: Header=BB250_9 Depth=1
	s_or_b64 exec, exec, s[6:7]
	v_mov_b32_e32 v25, s11
	v_add_co_u32_e64 v29, s[0:1], s10, v19
	v_addc_co_u32_e64 v30, s[0:1], v20, v25, s[0:1]
	v_cmp_gt_u64_e64 s[0:1], s[14:15], v[29:30]
	v_mov_b32_e32 v25, 0
	s_and_saveexec_b64 s[12:13], s[0:1]
	s_cbranch_execnz .LBB250_20
; %bb.16:                               ;   in Loop: Header=BB250_9 Depth=1
	s_or_b64 exec, exec, s[12:13]
	s_and_saveexec_b64 s[12:13], vcc
	s_cbranch_execnz .LBB250_21
.LBB250_17:                             ;   in Loop: Header=BB250_9 Depth=1
	s_or_b64 exec, exec, s[12:13]
	s_and_saveexec_b64 s[6:7], s[4:5]
	s_cbranch_execnz .LBB250_22
.LBB250_18:                             ;   in Loop: Header=BB250_9 Depth=1
	s_or_b64 exec, exec, s[6:7]
	s_and_saveexec_b64 s[4:5], s[2:3]
	s_cbranch_execnz .LBB250_23
.LBB250_19:                             ;   in Loop: Header=BB250_9 Depth=1
	s_or_b64 exec, exec, s[4:5]
	s_and_saveexec_b64 s[2:3], s[0:1]
	s_cbranch_execz .LBB250_8
	s_branch .LBB250_24
.LBB250_20:                             ;   in Loop: Header=BB250_9 Depth=1
	v_mov_b32_e32 v25, s9
	v_add_co_u32_e64 v29, s[6:7], s8, v5
	v_addc_co_u32_e64 v30, s[6:7], v6, v25, s[6:7]
	global_load_ushort v25, v[29:30], off
	s_waitcnt vmcnt(0)
	v_lshlrev_b32_e32 v25, 16, v25
	s_or_b64 exec, exec, s[12:13]
	s_and_saveexec_b64 s[12:13], vcc
	s_cbranch_execz .LBB250_17
.LBB250_21:                             ;   in Loop: Header=BB250_9 Depth=1
	v_mul_f32_e32 v29, 0xbfb8aa3b, v28
	v_rndne_f32_e32 v30, v29
	v_sub_f32_e32 v31, v29, v30
	v_fma_f32 v29, v28, s20, -v29
	v_fmac_f32_e32 v29, 0xb2a5705f, v28
	v_add_f32_e32 v29, v31, v29
	v_cvt_i32_f32_e32 v30, v30
	v_exp_f32_e32 v29, v29
	v_cmp_nlt_f32_e32 vcc, s21, v28
	v_ldexp_f32 v29, v29, v30
	v_cndmask_b32_e32 v29, 0, v29, vcc
	v_cmp_ngt_f32_e32 vcc, s23, v28
	v_cndmask_b32_e32 v28, v23, v29, vcc
	v_add_f32_e32 v29, s22, v28
	v_div_scale_f32 v28, s[6:7], v29, v29, s22
	v_div_scale_f32 v30, vcc, s22, v29, s22
	v_rcp_f32_e32 v31, v28
	v_fma_f32 v32, -v28, v31, 1.0
	v_fmac_f32_e32 v31, v32, v31
	v_mul_f32_e32 v32, v30, v31
	v_fma_f32 v33, -v28, v32, v30
	v_fmac_f32_e32 v32, v33, v31
	v_fma_f32 v28, -v28, v32, v30
	v_div_fmas_f32 v30, v28, v31, v32
	v_mov_b32_e32 v31, s9
	v_add_co_u32_e64 v28, s[6:7], s8, v3
	v_div_fixup_f32 v29, v30, v29, s22
	v_bfe_u32 v30, v29, 16, 1
	v_cmp_o_f32_e32 vcc, v29, v29
	v_add3_u32 v29, v29, v30, s24
	v_cndmask_b32_sdwa v30, v24, v29, vcc dst_sel:DWORD dst_unused:UNUSED_PAD src0_sel:DWORD src1_sel:WORD_1
	v_addc_co_u32_e64 v29, vcc, v4, v31, s[6:7]
	global_store_short v[28:29], v30, off
	s_or_b64 exec, exec, s[12:13]
	s_and_saveexec_b64 s[6:7], s[4:5]
	s_cbranch_execz .LBB250_18
.LBB250_22:                             ;   in Loop: Header=BB250_9 Depth=1
	v_mul_f32_e32 v28, 0xbfb8aa3b, v27
	v_rndne_f32_e32 v29, v28
	v_sub_f32_e32 v30, v28, v29
	v_fma_f32 v28, v27, s20, -v28
	v_fmac_f32_e32 v28, 0xb2a5705f, v27
	v_add_f32_e32 v28, v30, v28
	v_cvt_i32_f32_e32 v29, v29
	v_exp_f32_e32 v28, v28
	v_cmp_nlt_f32_e32 vcc, s21, v27
	v_ldexp_f32 v28, v28, v29
	v_cndmask_b32_e32 v28, 0, v28, vcc
	v_cmp_ngt_f32_e32 vcc, s23, v27
	v_cndmask_b32_e32 v27, v23, v28, vcc
	v_add_f32_e32 v27, s22, v27
	v_div_scale_f32 v28, s[4:5], v27, v27, s22
	v_div_scale_f32 v29, vcc, s22, v27, s22
	v_rcp_f32_e32 v30, v28
	v_fma_f32 v31, -v28, v30, 1.0
	v_fmac_f32_e32 v30, v31, v30
	v_mul_f32_e32 v31, v29, v30
	v_fma_f32 v32, -v28, v31, v29
	v_fmac_f32_e32 v31, v32, v30
	v_fma_f32 v28, -v28, v31, v29
	v_div_fmas_f32 v28, v28, v30, v31
	v_mov_b32_e32 v29, s9
	v_div_fixup_f32 v27, v28, v27, s22
	v_bfe_u32 v28, v27, 16, 1
	v_cmp_o_f32_e32 vcc, v27, v27
	v_add3_u32 v27, v27, v28, s24
	v_cndmask_b32_sdwa v30, v24, v27, vcc dst_sel:DWORD dst_unused:UNUSED_PAD src0_sel:DWORD src1_sel:WORD_1
	v_add_co_u32_e32 v27, vcc, s8, v17
	v_addc_co_u32_e32 v28, vcc, v18, v29, vcc
	global_store_short v[27:28], v30, off
	s_or_b64 exec, exec, s[6:7]
	s_and_saveexec_b64 s[4:5], s[2:3]
	s_cbranch_execz .LBB250_19
.LBB250_23:                             ;   in Loop: Header=BB250_9 Depth=1
	v_mul_f32_e32 v27, 0xbfb8aa3b, v26
	v_rndne_f32_e32 v28, v27
	v_sub_f32_e32 v29, v27, v28
	v_fma_f32 v27, v26, s20, -v27
	v_fmac_f32_e32 v27, 0xb2a5705f, v26
	v_add_f32_e32 v27, v29, v27
	v_cvt_i32_f32_e32 v28, v28
	v_exp_f32_e32 v27, v27
	v_cmp_nlt_f32_e32 vcc, s21, v26
	v_ldexp_f32 v27, v27, v28
	v_cndmask_b32_e32 v27, 0, v27, vcc
	v_cmp_ngt_f32_e32 vcc, s23, v26
	v_cndmask_b32_e32 v26, v23, v27, vcc
	v_add_f32_e32 v26, s22, v26
	v_div_scale_f32 v27, s[2:3], v26, v26, s22
	v_div_scale_f32 v28, vcc, s22, v26, s22
	v_rcp_f32_e32 v29, v27
	v_fma_f32 v30, -v27, v29, 1.0
	v_fmac_f32_e32 v29, v30, v29
	v_mul_f32_e32 v30, v28, v29
	v_fma_f32 v31, -v27, v30, v28
	v_fmac_f32_e32 v30, v31, v29
	v_fma_f32 v27, -v27, v30, v28
	v_div_fmas_f32 v27, v27, v29, v30
	v_mov_b32_e32 v28, s9
	v_div_fixup_f32 v26, v27, v26, s22
	v_bfe_u32 v27, v26, 16, 1
	v_cmp_o_f32_e32 vcc, v26, v26
	v_add3_u32 v26, v26, v27, s24
	v_cndmask_b32_sdwa v29, v24, v26, vcc dst_sel:DWORD dst_unused:UNUSED_PAD src0_sel:DWORD src1_sel:WORD_1
	v_add_co_u32_e32 v26, vcc, s8, v11
	v_addc_co_u32_e32 v27, vcc, v12, v28, vcc
	global_store_short v[26:27], v29, off
	s_or_b64 exec, exec, s[4:5]
	s_and_saveexec_b64 s[2:3], s[0:1]
	s_cbranch_execz .LBB250_8
.LBB250_24:                             ;   in Loop: Header=BB250_9 Depth=1
	v_mul_f32_e32 v26, 0xbfb8aa3b, v25
	v_rndne_f32_e32 v27, v26
	v_sub_f32_e32 v28, v26, v27
	v_fma_f32 v26, v25, s20, -v26
	v_fmac_f32_e32 v26, 0xb2a5705f, v25
	v_add_f32_e32 v26, v28, v26
	v_cvt_i32_f32_e32 v27, v27
	v_exp_f32_e32 v26, v26
	v_cmp_nlt_f32_e32 vcc, s21, v25
	v_ldexp_f32 v26, v26, v27
	v_cndmask_b32_e32 v26, 0, v26, vcc
	v_cmp_ngt_f32_e32 vcc, s23, v25
	v_cndmask_b32_e32 v25, v23, v26, vcc
	v_add_f32_e32 v25, s22, v25
	v_div_scale_f32 v26, s[0:1], v25, v25, s22
	v_div_scale_f32 v27, vcc, s22, v25, s22
	v_rcp_f32_e32 v28, v26
	v_fma_f32 v29, -v26, v28, 1.0
	v_fmac_f32_e32 v28, v29, v28
	v_mul_f32_e32 v29, v27, v28
	v_fma_f32 v30, -v26, v29, v27
	v_fmac_f32_e32 v29, v30, v28
	v_fma_f32 v26, -v26, v29, v27
	v_div_fmas_f32 v26, v26, v28, v29
	v_mov_b32_e32 v27, s9
	v_div_fixup_f32 v25, v26, v25, s22
	v_bfe_u32 v26, v25, 16, 1
	v_cmp_o_f32_e32 vcc, v25, v25
	v_add3_u32 v25, v25, v26, s24
	v_cndmask_b32_sdwa v28, v24, v25, vcc dst_sel:DWORD dst_unused:UNUSED_PAD src0_sel:DWORD src1_sel:WORD_1
	v_add_co_u32_e32 v25, vcc, s8, v7
	v_addc_co_u32_e32 v26, vcc, v8, v27, vcc
	global_store_short v[25:26], v28, off
	s_branch .LBB250_8
.LBB250_25:
	s_endpgm
	.section	.rodata,"a",@progbits
	.p2align	6, 0x0
	.amdhsa_kernel _ZN2at6native12_GLOBAL__N_125multi_tensor_apply_kernelINS1_18TensorListMetadataILi2EEENS1_14UnaryOpFunctorIN3c108BFloat16ELi2ELi1ELi1EEEJNS0_7SigmoidIfEEEEEvT_T0_DpT1_
		.amdhsa_group_segment_fixed_size 0
		.amdhsa_private_segment_fixed_size 0
		.amdhsa_kernarg_size 3408
		.amdhsa_user_sgpr_count 6
		.amdhsa_user_sgpr_private_segment_buffer 1
		.amdhsa_user_sgpr_dispatch_ptr 0
		.amdhsa_user_sgpr_queue_ptr 0
		.amdhsa_user_sgpr_kernarg_segment_ptr 1
		.amdhsa_user_sgpr_dispatch_id 0
		.amdhsa_user_sgpr_flat_scratch_init 0
		.amdhsa_user_sgpr_private_segment_size 0
		.amdhsa_uses_dynamic_stack 0
		.amdhsa_system_sgpr_private_segment_wavefront_offset 0
		.amdhsa_system_sgpr_workgroup_id_x 1
		.amdhsa_system_sgpr_workgroup_id_y 0
		.amdhsa_system_sgpr_workgroup_id_z 0
		.amdhsa_system_sgpr_workgroup_info 0
		.amdhsa_system_vgpr_workitem_id 0
		.amdhsa_next_free_vgpr 34
		.amdhsa_next_free_sgpr 29
		.amdhsa_reserve_vcc 1
		.amdhsa_reserve_flat_scratch 0
		.amdhsa_float_round_mode_32 0
		.amdhsa_float_round_mode_16_64 0
		.amdhsa_float_denorm_mode_32 3
		.amdhsa_float_denorm_mode_16_64 3
		.amdhsa_dx10_clamp 1
		.amdhsa_ieee_mode 1
		.amdhsa_fp16_overflow 0
		.amdhsa_exception_fp_ieee_invalid_op 0
		.amdhsa_exception_fp_denorm_src 0
		.amdhsa_exception_fp_ieee_div_zero 0
		.amdhsa_exception_fp_ieee_overflow 0
		.amdhsa_exception_fp_ieee_underflow 0
		.amdhsa_exception_fp_ieee_inexact 0
		.amdhsa_exception_int_div_zero 0
	.end_amdhsa_kernel
	.section	.text._ZN2at6native12_GLOBAL__N_125multi_tensor_apply_kernelINS1_18TensorListMetadataILi2EEENS1_14UnaryOpFunctorIN3c108BFloat16ELi2ELi1ELi1EEEJNS0_7SigmoidIfEEEEEvT_T0_DpT1_,"axG",@progbits,_ZN2at6native12_GLOBAL__N_125multi_tensor_apply_kernelINS1_18TensorListMetadataILi2EEENS1_14UnaryOpFunctorIN3c108BFloat16ELi2ELi1ELi1EEEJNS0_7SigmoidIfEEEEEvT_T0_DpT1_,comdat
.Lfunc_end250:
	.size	_ZN2at6native12_GLOBAL__N_125multi_tensor_apply_kernelINS1_18TensorListMetadataILi2EEENS1_14UnaryOpFunctorIN3c108BFloat16ELi2ELi1ELi1EEEJNS0_7SigmoidIfEEEEEvT_T0_DpT1_, .Lfunc_end250-_ZN2at6native12_GLOBAL__N_125multi_tensor_apply_kernelINS1_18TensorListMetadataILi2EEENS1_14UnaryOpFunctorIN3c108BFloat16ELi2ELi1ELi1EEEJNS0_7SigmoidIfEEEEEvT_T0_DpT1_
                                        ; -- End function
	.set _ZN2at6native12_GLOBAL__N_125multi_tensor_apply_kernelINS1_18TensorListMetadataILi2EEENS1_14UnaryOpFunctorIN3c108BFloat16ELi2ELi1ELi1EEEJNS0_7SigmoidIfEEEEEvT_T0_DpT1_.num_vgpr, 34
	.set _ZN2at6native12_GLOBAL__N_125multi_tensor_apply_kernelINS1_18TensorListMetadataILi2EEENS1_14UnaryOpFunctorIN3c108BFloat16ELi2ELi1ELi1EEEJNS0_7SigmoidIfEEEEEvT_T0_DpT1_.num_agpr, 0
	.set _ZN2at6native12_GLOBAL__N_125multi_tensor_apply_kernelINS1_18TensorListMetadataILi2EEENS1_14UnaryOpFunctorIN3c108BFloat16ELi2ELi1ELi1EEEJNS0_7SigmoidIfEEEEEvT_T0_DpT1_.numbered_sgpr, 29
	.set _ZN2at6native12_GLOBAL__N_125multi_tensor_apply_kernelINS1_18TensorListMetadataILi2EEENS1_14UnaryOpFunctorIN3c108BFloat16ELi2ELi1ELi1EEEJNS0_7SigmoidIfEEEEEvT_T0_DpT1_.num_named_barrier, 0
	.set _ZN2at6native12_GLOBAL__N_125multi_tensor_apply_kernelINS1_18TensorListMetadataILi2EEENS1_14UnaryOpFunctorIN3c108BFloat16ELi2ELi1ELi1EEEJNS0_7SigmoidIfEEEEEvT_T0_DpT1_.private_seg_size, 0
	.set _ZN2at6native12_GLOBAL__N_125multi_tensor_apply_kernelINS1_18TensorListMetadataILi2EEENS1_14UnaryOpFunctorIN3c108BFloat16ELi2ELi1ELi1EEEJNS0_7SigmoidIfEEEEEvT_T0_DpT1_.uses_vcc, 1
	.set _ZN2at6native12_GLOBAL__N_125multi_tensor_apply_kernelINS1_18TensorListMetadataILi2EEENS1_14UnaryOpFunctorIN3c108BFloat16ELi2ELi1ELi1EEEJNS0_7SigmoidIfEEEEEvT_T0_DpT1_.uses_flat_scratch, 0
	.set _ZN2at6native12_GLOBAL__N_125multi_tensor_apply_kernelINS1_18TensorListMetadataILi2EEENS1_14UnaryOpFunctorIN3c108BFloat16ELi2ELi1ELi1EEEJNS0_7SigmoidIfEEEEEvT_T0_DpT1_.has_dyn_sized_stack, 0
	.set _ZN2at6native12_GLOBAL__N_125multi_tensor_apply_kernelINS1_18TensorListMetadataILi2EEENS1_14UnaryOpFunctorIN3c108BFloat16ELi2ELi1ELi1EEEJNS0_7SigmoidIfEEEEEvT_T0_DpT1_.has_recursion, 0
	.set _ZN2at6native12_GLOBAL__N_125multi_tensor_apply_kernelINS1_18TensorListMetadataILi2EEENS1_14UnaryOpFunctorIN3c108BFloat16ELi2ELi1ELi1EEEJNS0_7SigmoidIfEEEEEvT_T0_DpT1_.has_indirect_call, 0
	.section	.AMDGPU.csdata,"",@progbits
; Kernel info:
; codeLenInByte = 2844
; TotalNumSgprs: 33
; NumVgprs: 34
; ScratchSize: 0
; MemoryBound: 0
; FloatMode: 240
; IeeeMode: 1
; LDSByteSize: 0 bytes/workgroup (compile time only)
; SGPRBlocks: 4
; VGPRBlocks: 8
; NumSGPRsForWavesPerEU: 33
; NumVGPRsForWavesPerEU: 34
; Occupancy: 7
; WaveLimiterHint : 0
; COMPUTE_PGM_RSRC2:SCRATCH_EN: 0
; COMPUTE_PGM_RSRC2:USER_SGPR: 6
; COMPUTE_PGM_RSRC2:TRAP_HANDLER: 0
; COMPUTE_PGM_RSRC2:TGID_X_EN: 1
; COMPUTE_PGM_RSRC2:TGID_Y_EN: 0
; COMPUTE_PGM_RSRC2:TGID_Z_EN: 0
; COMPUTE_PGM_RSRC2:TIDIG_COMP_CNT: 0
	.section	.text._ZN2at6native12_GLOBAL__N_125multi_tensor_apply_kernelINS1_18TensorListMetadataILi1EEENS1_14UnaryOpFunctorIdLi1ELi1ELi0EEEJNS0_7SigmoidIdEEEEEvT_T0_DpT1_,"axG",@progbits,_ZN2at6native12_GLOBAL__N_125multi_tensor_apply_kernelINS1_18TensorListMetadataILi1EEENS1_14UnaryOpFunctorIdLi1ELi1ELi0EEEJNS0_7SigmoidIdEEEEEvT_T0_DpT1_,comdat
	.globl	_ZN2at6native12_GLOBAL__N_125multi_tensor_apply_kernelINS1_18TensorListMetadataILi1EEENS1_14UnaryOpFunctorIdLi1ELi1ELi0EEEJNS0_7SigmoidIdEEEEEvT_T0_DpT1_ ; -- Begin function _ZN2at6native12_GLOBAL__N_125multi_tensor_apply_kernelINS1_18TensorListMetadataILi1EEENS1_14UnaryOpFunctorIdLi1ELi1ELi0EEEJNS0_7SigmoidIdEEEEEvT_T0_DpT1_
	.p2align	8
	.type	_ZN2at6native12_GLOBAL__N_125multi_tensor_apply_kernelINS1_18TensorListMetadataILi1EEENS1_14UnaryOpFunctorIdLi1ELi1ELi0EEEJNS0_7SigmoidIdEEEEEvT_T0_DpT1_,@function
_ZN2at6native12_GLOBAL__N_125multi_tensor_apply_kernelINS1_18TensorListMetadataILi1EEENS1_14UnaryOpFunctorIdLi1ELi1ELi0EEEJNS0_7SigmoidIdEEEEEvT_T0_DpT1_: ; @_ZN2at6native12_GLOBAL__N_125multi_tensor_apply_kernelINS1_18TensorListMetadataILi1EEENS1_14UnaryOpFunctorIdLi1ELi1ELi0EEEJNS0_7SigmoidIdEEEEEvT_T0_DpT1_
; %bb.0:
	v_mov_b32_e32 v1, s6
	global_load_ubyte v1, v1, s[4:5] offset:1760
	s_add_u32 s0, s4, s6
	s_mul_hi_u32 s1, s6, 3
	s_mul_i32 s6, s6, 3
	s_addc_u32 s2, s5, 0
	s_add_u32 s0, s0, s6
	s_addc_u32 s1, s2, s1
	s_load_dword s0, s[0:1], 0x820
	s_mov_b32 s7, 0
	s_waitcnt vmcnt(0)
	v_readfirstlane_b32 s1, v1
	s_lshl_b32 s1, s1, 3
	s_load_dwordx2 s[12:13], s[4:5], 0xd30
	s_load_dwordx2 s[2:3], s[4:5], s1 offset:0x370
	s_load_dwordx2 s[14:15], s[4:5], s1 offset:0x0
	s_waitcnt lgkmcnt(0)
	s_ashr_i32 s1, s0, 31
	s_lshl_b64 s[16:17], s[0:1], 19
	s_lshl_b64 s[0:1], s[0:1], 16
	s_and_b32 s6, s14, 31
	s_sub_u32 s18, s2, s0
	s_subb_u32 s19, s3, s1
	s_and_b32 s0, s2, 3
	s_mov_b32 s1, s7
	s_or_b64 s[0:1], s[6:7], s[0:1]
	s_cmp_eq_u64 s[0:1], 0
	s_cbranch_scc1 .LBB251_21
; %bb.1:
	v_cmp_lt_i64_e64 s[0:1], s[18:19], 1
	s_and_b64 vcc, exec, s[0:1]
	s_cbranch_vccnz .LBB251_20
; %bb.2:
	v_mov_b32_e32 v1, 0x10000
	s_load_dword s2, s[4:5], 0xd44
	v_mov_b32_e32 v2, 0
	v_cmp_lt_i64_e32 vcc, s[18:19], v[1:2]
	s_mov_b32 s26, 0x652b82fe
	s_and_b64 s[0:1], vcc, exec
	v_cmp_lt_u64_e32 vcc, s[18:19], v[1:2]
	s_cselect_b32 s21, s19, 0
	s_cselect_b32 s20, s18, 0x10000
	s_waitcnt lgkmcnt(0)
	s_and_b32 s2, s2, 0xffff
	s_and_b64 s[0:1], vcc, exec
	s_cselect_b32 s23, s19, 0
	s_cselect_b32 s22, s18, 0x10000
	s_lshl_b32 s3, s2, 1
	s_lshl_b32 s33, s2, 2
	s_add_u32 s6, s14, s16
	v_lshlrev_b32_e32 v1, 3, v0
	s_addc_u32 s7, s15, s17
	v_mov_b32_e32 v2, s7
	v_add_co_u32_e32 v1, vcc, s6, v1
	s_mul_i32 s0, s2, 3
	v_addc_co_u32_e32 v2, vcc, 0, v2, vcc
	v_add_co_u32_e32 v15, vcc, s0, v0
	v_addc_co_u32_e64 v16, s[0:1], 0, 0, vcc
	v_add_co_u32_e32 v17, vcc, s3, v0
	v_addc_co_u32_e64 v18, s[0:1], 0, 0, vcc
	v_add_co_u32_e32 v19, vcc, s2, v0
	v_lshlrev_b32_e32 v3, 3, v19
	v_addc_co_u32_e64 v20, s[0:1], 0, 0, vcc
	v_mov_b32_e32 v4, s7
	v_add_co_u32_e32 v3, vcc, s6, v3
	s_mov_b32 s28, 0xfefa39ef
	s_mov_b32 s30, 0x3b39803f
	;; [unrolled: 1-line block ×13, first 2 shown]
	s_lshl_b32 s58, s2, 5
	s_mul_i32 s59, s2, 24
	s_lshl_b32 s60, s2, 4
	v_addc_co_u32_e32 v4, vcc, 0, v4, vcc
	s_mov_b64 s[24:25], 0
	s_mov_b32 s27, 0xbff71547
	s_mov_b32 s29, 0xbfe62e42
	;; [unrolled: 1-line block ×14, first 2 shown]
	v_mov_b32_e32 v5, 0xfca7ab0c
	v_mov_b32_e32 v6, 0x3e928af3
	v_mov_b32_e32 v21, 0x7ff00000
	s_branch .LBB251_4
.LBB251_3:                              ;   in Loop: Header=BB251_4 Depth=1
	s_or_b64 exec, exec, s[2:3]
	s_add_u32 s24, s24, s33
	v_add_co_u32_e32 v1, vcc, s58, v1
	s_waitcnt vmcnt(0)
	v_mov_b32_e32 v7, s20
	s_addc_u32 s25, s25, 0
	v_addc_co_u32_e32 v2, vcc, 0, v2, vcc
	v_mov_b32_e32 v8, s21
	v_cmp_lt_i64_e32 vcc, s[24:25], v[7:8]
	v_add_co_u32_e64 v3, s[0:1], s58, v3
	v_addc_co_u32_e64 v4, s[0:1], 0, v4, s[0:1]
	s_cbranch_vccz .LBB251_20
.LBB251_4:                              ; =>This Inner Loop Header: Depth=1
	v_mov_b32_e32 v8, s25
	v_add_co_u32_e32 v7, vcc, s24, v0
	v_addc_co_u32_e32 v8, vcc, 0, v8, vcc
	v_cmp_gt_u64_e32 vcc, s[22:23], v[7:8]
	v_mov_b32_e32 v11, 0
	v_mov_b32_e32 v13, 0
	;; [unrolled: 1-line block ×4, first 2 shown]
	s_and_saveexec_b64 s[0:1], vcc
	s_cbranch_execz .LBB251_6
; %bb.5:                                ;   in Loop: Header=BB251_4 Depth=1
	global_load_dwordx2 v[13:14], v[1:2], off
.LBB251_6:                              ;   in Loop: Header=BB251_4 Depth=1
	s_or_b64 exec, exec, s[0:1]
	v_mov_b32_e32 v8, s25
	v_add_co_u32_e64 v7, s[0:1], s24, v19
	v_addc_co_u32_e64 v8, s[0:1], v20, v8, s[0:1]
	v_cmp_gt_u64_e64 s[6:7], s[22:23], v[7:8]
	s_and_saveexec_b64 s[0:1], s[6:7]
	s_cbranch_execz .LBB251_8
; %bb.7:                                ;   in Loop: Header=BB251_4 Depth=1
	global_load_dwordx2 v[11:12], v[3:4], off
.LBB251_8:                              ;   in Loop: Header=BB251_4 Depth=1
	s_or_b64 exec, exec, s[0:1]
	v_mov_b32_e32 v8, s25
	v_add_co_u32_e64 v7, s[0:1], s24, v17
	v_addc_co_u32_e64 v8, s[0:1], v18, v8, s[0:1]
	v_cmp_gt_u64_e64 s[2:3], s[22:23], v[7:8]
	v_mov_b32_e32 v7, 0
	v_mov_b32_e32 v9, 0
	;; [unrolled: 1-line block ×4, first 2 shown]
	s_and_saveexec_b64 s[8:9], s[2:3]
	s_cbranch_execz .LBB251_10
; %bb.9:                                ;   in Loop: Header=BB251_4 Depth=1
	v_add_co_u32_e64 v9, s[0:1], s60, v1
	v_addc_co_u32_e64 v10, s[0:1], 0, v2, s[0:1]
	global_load_dwordx2 v[9:10], v[9:10], off
.LBB251_10:                             ;   in Loop: Header=BB251_4 Depth=1
	s_or_b64 exec, exec, s[8:9]
	v_mov_b32_e32 v23, s25
	v_add_co_u32_e64 v22, s[0:1], s24, v15
	v_addc_co_u32_e64 v23, s[0:1], v16, v23, s[0:1]
	v_cmp_gt_u64_e64 s[0:1], s[22:23], v[22:23]
	s_and_saveexec_b64 s[10:11], s[0:1]
	s_cbranch_execnz .LBB251_15
; %bb.11:                               ;   in Loop: Header=BB251_4 Depth=1
	s_or_b64 exec, exec, s[10:11]
	s_and_saveexec_b64 s[56:57], vcc
	s_cbranch_execnz .LBB251_16
.LBB251_12:                             ;   in Loop: Header=BB251_4 Depth=1
	s_or_b64 exec, exec, s[56:57]
	s_and_saveexec_b64 s[8:9], s[6:7]
	s_cbranch_execnz .LBB251_17
.LBB251_13:                             ;   in Loop: Header=BB251_4 Depth=1
	s_or_b64 exec, exec, s[8:9]
	s_and_saveexec_b64 s[6:7], s[2:3]
	s_cbranch_execnz .LBB251_18
.LBB251_14:                             ;   in Loop: Header=BB251_4 Depth=1
	s_or_b64 exec, exec, s[6:7]
	s_and_saveexec_b64 s[2:3], s[0:1]
	s_cbranch_execz .LBB251_3
	s_branch .LBB251_19
.LBB251_15:                             ;   in Loop: Header=BB251_4 Depth=1
	v_add_co_u32_e64 v7, s[8:9], s59, v1
	v_addc_co_u32_e64 v8, s[8:9], 0, v2, s[8:9]
	global_load_dwordx2 v[7:8], v[7:8], off
	s_or_b64 exec, exec, s[10:11]
	s_and_saveexec_b64 s[56:57], vcc
	s_cbranch_execz .LBB251_12
.LBB251_16:                             ;   in Loop: Header=BB251_4 Depth=1
	s_waitcnt vmcnt(0)
	v_mul_f64 v[22:23], v[13:14], s[26:27]
	v_cmp_ngt_f64_e32 vcc, s[52:53], v[13:14]
	v_cmp_nlt_f64_e64 s[8:9], s[54:55], v[13:14]
	v_rndne_f64_e32 v[22:23], v[22:23]
	s_and_b64 s[10:11], s[8:9], vcc
	v_fma_f64 v[24:25], v[22:23], s[28:29], -v[13:14]
	v_fma_f64 v[24:25], v[22:23], s[30:31], v[24:25]
	v_cvt_i32_f64_e32 v22, v[22:23]
	v_fma_f64 v[26:27], v[24:25], s[34:35], v[5:6]
	v_fma_f64 v[26:27], v[24:25], v[26:27], s[36:37]
	;; [unrolled: 1-line block ×9, first 2 shown]
	v_fma_f64 v[26:27], v[24:25], v[26:27], 1.0
	v_fma_f64 v[24:25], v[24:25], v[26:27], 1.0
	v_ldexp_f64 v[13:14], v[24:25], v22
	v_cndmask_b32_e32 v14, v21, v14, vcc
	v_cndmask_b32_e64 v13, 0, v13, s[10:11]
	v_cndmask_b32_e64 v14, 0, v14, s[8:9]
	v_add_f64 v[13:14], s[12:13], v[13:14]
	v_div_scale_f64 v[22:23], s[8:9], v[13:14], v[13:14], s[12:13]
	v_div_scale_f64 v[28:29], vcc, s[12:13], v[13:14], s[12:13]
	v_rcp_f64_e32 v[24:25], v[22:23]
	v_fma_f64 v[26:27], -v[22:23], v[24:25], 1.0
	v_fma_f64 v[24:25], v[24:25], v[26:27], v[24:25]
	v_fma_f64 v[26:27], -v[22:23], v[24:25], 1.0
	v_fma_f64 v[24:25], v[24:25], v[26:27], v[24:25]
	v_mul_f64 v[26:27], v[28:29], v[24:25]
	v_fma_f64 v[22:23], -v[22:23], v[26:27], v[28:29]
	v_div_fmas_f64 v[22:23], v[22:23], v[24:25], v[26:27]
	v_div_fixup_f64 v[13:14], v[22:23], v[13:14], s[12:13]
	global_store_dwordx2 v[1:2], v[13:14], off
	s_or_b64 exec, exec, s[56:57]
	s_and_saveexec_b64 s[8:9], s[6:7]
	s_cbranch_execz .LBB251_13
.LBB251_17:                             ;   in Loop: Header=BB251_4 Depth=1
	s_waitcnt vmcnt(0)
	v_mul_f64 v[13:14], v[11:12], s[26:27]
	v_cmp_ngt_f64_e32 vcc, s[52:53], v[11:12]
	v_cmp_nlt_f64_e64 s[6:7], s[54:55], v[11:12]
	v_rndne_f64_e32 v[13:14], v[13:14]
	v_fma_f64 v[22:23], v[13:14], s[28:29], -v[11:12]
	v_fma_f64 v[22:23], v[13:14], s[30:31], v[22:23]
	v_cvt_i32_f64_e32 v13, v[13:14]
	v_fma_f64 v[24:25], v[22:23], s[34:35], v[5:6]
	v_fma_f64 v[24:25], v[22:23], v[24:25], s[36:37]
	;; [unrolled: 1-line block ×9, first 2 shown]
	v_fma_f64 v[24:25], v[22:23], v[24:25], 1.0
	v_fma_f64 v[22:23], v[22:23], v[24:25], 1.0
	v_ldexp_f64 v[13:14], v[22:23], v13
	v_cndmask_b32_e32 v14, v21, v14, vcc
	s_and_b64 vcc, s[6:7], vcc
	v_cndmask_b32_e64 v12, 0, v14, s[6:7]
	v_cndmask_b32_e32 v11, 0, v13, vcc
	v_add_f64 v[11:12], s[12:13], v[11:12]
	v_div_scale_f64 v[13:14], s[6:7], v[11:12], v[11:12], s[12:13]
	v_div_scale_f64 v[26:27], vcc, s[12:13], v[11:12], s[12:13]
	v_rcp_f64_e32 v[22:23], v[13:14]
	v_fma_f64 v[24:25], -v[13:14], v[22:23], 1.0
	v_fma_f64 v[22:23], v[22:23], v[24:25], v[22:23]
	v_fma_f64 v[24:25], -v[13:14], v[22:23], 1.0
	v_fma_f64 v[22:23], v[22:23], v[24:25], v[22:23]
	v_mul_f64 v[24:25], v[26:27], v[22:23]
	v_fma_f64 v[13:14], -v[13:14], v[24:25], v[26:27]
	v_div_fmas_f64 v[13:14], v[13:14], v[22:23], v[24:25]
	v_div_fixup_f64 v[11:12], v[13:14], v[11:12], s[12:13]
	global_store_dwordx2 v[3:4], v[11:12], off
	s_or_b64 exec, exec, s[8:9]
	s_and_saveexec_b64 s[6:7], s[2:3]
	s_cbranch_execz .LBB251_14
.LBB251_18:                             ;   in Loop: Header=BB251_4 Depth=1
	s_waitcnt vmcnt(0)
	v_mul_f64 v[11:12], v[9:10], s[26:27]
	v_cmp_ngt_f64_e32 vcc, s[52:53], v[9:10]
	v_cmp_nlt_f64_e64 s[2:3], s[54:55], v[9:10]
	v_rndne_f64_e32 v[11:12], v[11:12]
	v_fma_f64 v[13:14], v[11:12], s[28:29], -v[9:10]
	v_fma_f64 v[13:14], v[11:12], s[30:31], v[13:14]
	v_cvt_i32_f64_e32 v11, v[11:12]
	v_fma_f64 v[22:23], v[13:14], s[34:35], v[5:6]
	v_fma_f64 v[22:23], v[13:14], v[22:23], s[36:37]
	;; [unrolled: 1-line block ×9, first 2 shown]
	v_fma_f64 v[22:23], v[13:14], v[22:23], 1.0
	v_fma_f64 v[13:14], v[13:14], v[22:23], 1.0
	v_ldexp_f64 v[11:12], v[13:14], v11
	v_cndmask_b32_e32 v12, v21, v12, vcc
	s_and_b64 vcc, s[2:3], vcc
	v_cndmask_b32_e64 v10, 0, v12, s[2:3]
	v_cndmask_b32_e32 v9, 0, v11, vcc
	v_add_f64 v[9:10], s[12:13], v[9:10]
	v_div_scale_f64 v[11:12], s[2:3], v[9:10], v[9:10], s[12:13]
	v_div_scale_f64 v[24:25], vcc, s[12:13], v[9:10], s[12:13]
	v_rcp_f64_e32 v[13:14], v[11:12]
	v_fma_f64 v[22:23], -v[11:12], v[13:14], 1.0
	v_fma_f64 v[13:14], v[13:14], v[22:23], v[13:14]
	v_fma_f64 v[22:23], -v[11:12], v[13:14], 1.0
	v_fma_f64 v[13:14], v[13:14], v[22:23], v[13:14]
	v_mul_f64 v[22:23], v[24:25], v[13:14]
	v_fma_f64 v[11:12], -v[11:12], v[22:23], v[24:25]
	v_div_fmas_f64 v[11:12], v[11:12], v[13:14], v[22:23]
	v_div_fixup_f64 v[9:10], v[11:12], v[9:10], s[12:13]
	v_add_co_u32_e32 v11, vcc, s60, v1
	v_addc_co_u32_e32 v12, vcc, 0, v2, vcc
	global_store_dwordx2 v[11:12], v[9:10], off
	s_or_b64 exec, exec, s[6:7]
	s_and_saveexec_b64 s[2:3], s[0:1]
	s_cbranch_execz .LBB251_3
.LBB251_19:                             ;   in Loop: Header=BB251_4 Depth=1
	s_waitcnt vmcnt(0)
	v_mul_f64 v[9:10], v[7:8], s[26:27]
	v_cmp_ngt_f64_e32 vcc, s[52:53], v[7:8]
	v_cmp_nlt_f64_e64 s[0:1], s[54:55], v[7:8]
	v_rndne_f64_e32 v[9:10], v[9:10]
	v_fma_f64 v[11:12], v[9:10], s[28:29], -v[7:8]
	v_fma_f64 v[11:12], v[9:10], s[30:31], v[11:12]
	v_cvt_i32_f64_e32 v9, v[9:10]
	v_fma_f64 v[13:14], v[11:12], s[34:35], v[5:6]
	v_fma_f64 v[13:14], v[11:12], v[13:14], s[36:37]
	;; [unrolled: 1-line block ×9, first 2 shown]
	v_fma_f64 v[13:14], v[11:12], v[13:14], 1.0
	v_fma_f64 v[11:12], v[11:12], v[13:14], 1.0
	v_ldexp_f64 v[9:10], v[11:12], v9
	v_cndmask_b32_e32 v10, v21, v10, vcc
	s_and_b64 vcc, s[0:1], vcc
	v_cndmask_b32_e64 v8, 0, v10, s[0:1]
	v_cndmask_b32_e32 v7, 0, v9, vcc
	v_add_f64 v[7:8], s[12:13], v[7:8]
	v_div_scale_f64 v[9:10], s[0:1], v[7:8], v[7:8], s[12:13]
	v_div_scale_f64 v[22:23], vcc, s[12:13], v[7:8], s[12:13]
	v_rcp_f64_e32 v[11:12], v[9:10]
	v_fma_f64 v[13:14], -v[9:10], v[11:12], 1.0
	v_fma_f64 v[11:12], v[11:12], v[13:14], v[11:12]
	v_fma_f64 v[13:14], -v[9:10], v[11:12], 1.0
	v_fma_f64 v[11:12], v[11:12], v[13:14], v[11:12]
	v_mul_f64 v[13:14], v[22:23], v[11:12]
	v_fma_f64 v[9:10], -v[9:10], v[13:14], v[22:23]
	v_div_fmas_f64 v[9:10], v[9:10], v[11:12], v[13:14]
	v_div_fixup_f64 v[7:8], v[9:10], v[7:8], s[12:13]
	v_add_co_u32_e32 v9, vcc, s59, v1
	v_addc_co_u32_e32 v10, vcc, 0, v2, vcc
	global_store_dwordx2 v[9:10], v[7:8], off
	s_branch .LBB251_3
.LBB251_20:
	s_cbranch_execz .LBB251_22
	s_branch .LBB251_25
.LBB251_21:
.LBB251_22:
	v_mov_b32_e32 v1, 0x10000
	v_mov_b32_e32 v2, 0
	v_cmp_lt_i64_e32 vcc, s[18:19], v[1:2]
	v_mov_b32_e32 v2, 0
	s_and_b64 s[0:1], vcc, exec
	s_cselect_b32 s7, s19, 0
	s_cselect_b32 s6, s18, 0x10000
	v_lshlrev_b32_e32 v1, 2, v0
	v_cmp_gt_i64_e32 vcc, s[6:7], v[1:2]
	s_and_saveexec_b64 s[0:1], vcc
	s_cbranch_execz .LBB251_25
; %bb.23:
	s_load_dword s0, s[4:5], 0xd44
	v_mov_b32_e32 v1, v2
	v_lshlrev_b32_e32 v2, 5, v0
	s_mov_b32 s10, 0x652b82fe
	s_mov_b32 s18, 0x6a5dcb37
	s_waitcnt lgkmcnt(0)
	s_and_b32 s33, s0, 0xffff
	s_add_u32 s0, s14, s16
	s_addc_u32 s1, s15, s17
	v_mov_b32_e32 v3, s1
	v_add_co_u32_e32 v2, vcc, s0, v2
	s_mov_b32 s0, 0xfca7ab0c
	v_addc_co_u32_e32 v3, vcc, 0, v3, vcc
	s_mov_b32 s1, 0x3e928af3
	v_add_co_u32_e32 v2, vcc, 16, v2
	s_mov_b32 s14, 0xfefa39ef
	s_mov_b32 s16, 0x3b39803f
	v_mov_b32_e32 v5, s1
	s_mov_b32 s20, 0x623fde64
	s_mov_b32 s22, 0x7c89e6b0
	;; [unrolled: 1-line block ×10, first 2 shown]
	v_addc_co_u32_e32 v3, vcc, 0, v3, vcc
	s_lshl_b32 s42, s33, 5
	s_mov_b64 s[8:9], 0
	s_mov_b32 s11, 0xbff71547
	s_mov_b32 s15, 0xbfe62e42
	;; [unrolled: 1-line block ×4, first 2 shown]
	v_mov_b32_e32 v4, s0
	s_mov_b32 s21, 0x3ec71dee
	s_mov_b32 s23, 0x3efa0199
	;; [unrolled: 1-line block ×10, first 2 shown]
	v_mov_b32_e32 v6, 0x7ff00000
.LBB251_24:                             ; =>This Inner Loop Header: Depth=1
	global_load_dwordx4 v[7:10], v[2:3], off offset:-16
	s_waitcnt vmcnt(0)
	v_mul_f64 v[11:12], v[7:8], s[10:11]
	v_mul_f64 v[13:14], v[9:10], s[10:11]
	v_cmp_ngt_f64_e64 s[2:3], s[38:39], v[9:10]
	v_cmp_nlt_f64_e64 s[4:5], s[40:41], v[9:10]
	v_cmp_ngt_f64_e32 vcc, s[38:39], v[7:8]
	v_cmp_nlt_f64_e64 s[0:1], s[40:41], v[7:8]
	v_rndne_f64_e32 v[15:16], v[11:12]
	v_rndne_f64_e32 v[17:18], v[13:14]
	v_fma_f64 v[11:12], v[15:16], s[14:15], -v[7:8]
	v_fma_f64 v[13:14], v[17:18], s[14:15], -v[9:10]
	v_fma_f64 v[19:20], v[15:16], s[16:17], v[11:12]
	v_fma_f64 v[21:22], v[17:18], s[16:17], v[13:14]
	global_load_dwordx4 v[11:14], v[2:3], off
	v_fma_f64 v[23:24], v[19:20], s[18:19], v[4:5]
	v_fma_f64 v[25:26], v[21:22], s[18:19], v[4:5]
	;; [unrolled: 1-line block ×18, first 2 shown]
	v_fma_f64 v[23:24], v[19:20], v[23:24], 1.0
	v_fma_f64 v[25:26], v[21:22], v[25:26], 1.0
	;; [unrolled: 1-line block ×3, first 2 shown]
	s_waitcnt vmcnt(0)
	v_mul_f64 v[23:24], v[11:12], s[10:11]
	v_fma_f64 v[21:22], v[21:22], v[25:26], 1.0
	v_cvt_i32_f64_e32 v25, v[15:16]
	v_mul_f64 v[15:16], v[13:14], s[10:11]
	v_cvt_i32_f64_e32 v26, v[17:18]
	v_ldexp_f64 v[17:18], v[19:20], v25
	v_rndne_f64_e32 v[23:24], v[23:24]
	v_ldexp_f64 v[19:20], v[21:22], v26
	v_rndne_f64_e32 v[15:16], v[15:16]
	v_cndmask_b32_e32 v18, v6, v18, vcc
	v_fma_f64 v[21:22], v[23:24], s[14:15], -v[11:12]
	v_cndmask_b32_e64 v27, v6, v20, s[2:3]
	s_and_b64 vcc, s[0:1], vcc
	v_fma_f64 v[7:8], v[15:16], s[14:15], -v[13:14]
	v_cndmask_b32_e64 v18, 0, v18, s[0:1]
	v_cndmask_b32_e32 v17, 0, v17, vcc
	v_add_f64 v[17:18], s[12:13], v[17:18]
	s_and_b64 vcc, s[4:5], s[2:3]
	v_fma_f64 v[9:10], v[23:24], s[16:17], v[21:22]
	v_cndmask_b32_e32 v19, 0, v19, vcc
	v_cmp_ngt_f64_e32 vcc, s[38:39], v[11:12]
	v_fma_f64 v[7:8], v[15:16], s[16:17], v[7:8]
	v_cvt_i32_f64_e32 v15, v[15:16]
	v_cmp_ngt_f64_e64 s[2:3], s[38:39], v[13:14]
	v_fma_f64 v[20:21], v[9:10], s[18:19], v[4:5]
	v_fma_f64 v[25:26], v[7:8], s[18:19], v[4:5]
	;; [unrolled: 1-line block ×18, first 2 shown]
	v_fma_f64 v[20:21], v[9:10], v[20:21], 1.0
	v_fma_f64 v[25:26], v[7:8], v[25:26], 1.0
	;; [unrolled: 1-line block ×3, first 2 shown]
	v_cndmask_b32_e64 v20, 0, v27, s[4:5]
	v_div_scale_f64 v[21:22], s[0:1], v[17:18], v[17:18], s[12:13]
	v_add_f64 v[19:20], s[12:13], v[19:20]
	v_cvt_i32_f64_e32 v27, v[23:24]
	v_fma_f64 v[7:8], v[7:8], v[25:26], 1.0
	v_cmp_nlt_f64_e64 s[4:5], s[40:41], v[13:14]
	v_ldexp_f64 v[9:10], v[9:10], v27
	v_div_scale_f64 v[23:24], s[0:1], v[19:20], v[19:20], s[12:13]
	v_ldexp_f64 v[7:8], v[7:8], v15
	v_cmp_nlt_f64_e64 s[0:1], s[40:41], v[11:12]
	v_cndmask_b32_e32 v25, v6, v10, vcc
	v_rcp_f64_e32 v[15:16], v[21:22]
	v_cndmask_b32_e64 v29, v6, v8, s[2:3]
	s_and_b64 vcc, s[0:1], vcc
	v_cndmask_b32_e64 v26, 0, v25, s[0:1]
	v_cndmask_b32_e32 v25, 0, v9, vcc
	v_add_f64 v[25:26], s[12:13], v[25:26]
	v_rcp_f64_e32 v[10:11], v[23:24]
	v_fma_f64 v[12:13], -v[21:22], v[15:16], 1.0
	v_fma_f64 v[12:13], v[15:16], v[12:13], v[15:16]
	v_fma_f64 v[14:15], -v[23:24], v[10:11], 1.0
	v_fma_f64 v[8:9], v[10:11], v[14:15], v[10:11]
	v_fma_f64 v[10:11], -v[21:22], v[12:13], 1.0
	v_div_scale_f64 v[14:15], vcc, s[12:13], v[17:18], s[12:13]
	v_fma_f64 v[10:11], v[12:13], v[10:11], v[12:13]
	v_fma_f64 v[12:13], -v[23:24], v[8:9], 1.0
	v_fma_f64 v[8:9], v[8:9], v[12:13], v[8:9]
	v_mul_f64 v[12:13], v[14:15], v[10:11]
	v_fma_f64 v[14:15], -v[21:22], v[12:13], v[14:15]
	v_div_scale_f64 v[21:22], s[0:1], s[12:13], v[19:20], s[12:13]
	v_div_fmas_f64 v[10:11], v[14:15], v[10:11], v[12:13]
	v_div_scale_f64 v[12:13], s[44:45], v[25:26], v[25:26], s[12:13]
	s_mov_b64 vcc, s[0:1]
	s_and_b64 s[0:1], s[4:5], s[2:3]
	v_mul_f64 v[14:15], v[21:22], v[8:9]
	v_fma_f64 v[21:22], -v[23:24], v[14:15], v[21:22]
	v_rcp_f64_e32 v[23:24], v[12:13]
	v_div_fmas_f64 v[14:15], v[21:22], v[8:9], v[14:15]
	v_div_scale_f64 v[8:9], vcc, s[12:13], v[25:26], s[12:13]
	v_fma_f64 v[27:28], -v[12:13], v[23:24], 1.0
	v_fma_f64 v[23:24], v[23:24], v[27:28], v[23:24]
	v_fma_f64 v[21:22], -v[12:13], v[23:24], 1.0
	v_fma_f64 v[21:22], v[23:24], v[21:22], v[23:24]
	v_cndmask_b32_e64 v24, 0, v29, s[4:5]
	v_cndmask_b32_e64 v23, 0, v7, s[0:1]
	v_add_f64 v[23:24], s[12:13], v[23:24]
	v_mul_f64 v[27:28], v[8:9], v[21:22]
	v_fma_f64 v[7:8], -v[12:13], v[27:28], v[8:9]
	v_div_scale_f64 v[12:13], s[0:1], v[23:24], v[23:24], s[12:13]
	v_div_fmas_f64 v[21:22], v[7:8], v[21:22], v[27:28]
	v_rcp_f64_e32 v[7:8], v[12:13]
	v_fma_f64 v[27:28], -v[12:13], v[7:8], 1.0
	v_fma_f64 v[7:8], v[7:8], v[27:28], v[7:8]
	v_fma_f64 v[27:28], -v[12:13], v[7:8], 1.0
	v_fma_f64 v[7:8], v[7:8], v[27:28], v[7:8]
	v_div_scale_f64 v[27:28], vcc, s[12:13], v[23:24], s[12:13]
	v_mul_f64 v[29:30], v[27:28], v[7:8]
	v_fma_f64 v[12:13], -v[12:13], v[29:30], v[27:28]
	s_nop 1
	v_div_fmas_f64 v[27:28], v[12:13], v[7:8], v[29:30]
	v_div_fixup_f64 v[7:8], v[10:11], v[17:18], s[12:13]
	v_div_fixup_f64 v[9:10], v[14:15], v[19:20], s[12:13]
	;; [unrolled: 1-line block ×3, first 2 shown]
	v_add_co_u32_e32 v0, vcc, s33, v0
	v_addc_co_u32_e32 v1, vcc, 0, v1, vcc
	v_lshlrev_b64 v[15:16], 2, v[0:1]
	v_cmp_le_i64_e32 vcc, s[6:7], v[15:16]
	s_or_b64 s[8:9], vcc, s[8:9]
	v_div_fixup_f64 v[13:14], v[27:28], v[23:24], s[12:13]
	global_store_dwordx4 v[2:3], v[7:10], off offset:-16
	global_store_dwordx4 v[2:3], v[11:14], off
	v_add_co_u32_e32 v2, vcc, s42, v2
	v_addc_co_u32_e32 v3, vcc, 0, v3, vcc
	s_andn2_b64 exec, exec, s[8:9]
	s_cbranch_execnz .LBB251_24
.LBB251_25:
	s_endpgm
	.section	.rodata,"a",@progbits
	.p2align	6, 0x0
	.amdhsa_kernel _ZN2at6native12_GLOBAL__N_125multi_tensor_apply_kernelINS1_18TensorListMetadataILi1EEENS1_14UnaryOpFunctorIdLi1ELi1ELi0EEEJNS0_7SigmoidIdEEEEEvT_T0_DpT1_
		.amdhsa_group_segment_fixed_size 0
		.amdhsa_private_segment_fixed_size 0
		.amdhsa_kernarg_size 3640
		.amdhsa_user_sgpr_count 6
		.amdhsa_user_sgpr_private_segment_buffer 1
		.amdhsa_user_sgpr_dispatch_ptr 0
		.amdhsa_user_sgpr_queue_ptr 0
		.amdhsa_user_sgpr_kernarg_segment_ptr 1
		.amdhsa_user_sgpr_dispatch_id 0
		.amdhsa_user_sgpr_flat_scratch_init 0
		.amdhsa_user_sgpr_private_segment_size 0
		.amdhsa_uses_dynamic_stack 0
		.amdhsa_system_sgpr_private_segment_wavefront_offset 0
		.amdhsa_system_sgpr_workgroup_id_x 1
		.amdhsa_system_sgpr_workgroup_id_y 0
		.amdhsa_system_sgpr_workgroup_id_z 0
		.amdhsa_system_sgpr_workgroup_info 0
		.amdhsa_system_vgpr_workitem_id 0
		.amdhsa_next_free_vgpr 31
		.amdhsa_next_free_sgpr 61
		.amdhsa_reserve_vcc 1
		.amdhsa_reserve_flat_scratch 0
		.amdhsa_float_round_mode_32 0
		.amdhsa_float_round_mode_16_64 0
		.amdhsa_float_denorm_mode_32 3
		.amdhsa_float_denorm_mode_16_64 3
		.amdhsa_dx10_clamp 1
		.amdhsa_ieee_mode 1
		.amdhsa_fp16_overflow 0
		.amdhsa_exception_fp_ieee_invalid_op 0
		.amdhsa_exception_fp_denorm_src 0
		.amdhsa_exception_fp_ieee_div_zero 0
		.amdhsa_exception_fp_ieee_overflow 0
		.amdhsa_exception_fp_ieee_underflow 0
		.amdhsa_exception_fp_ieee_inexact 0
		.amdhsa_exception_int_div_zero 0
	.end_amdhsa_kernel
	.section	.text._ZN2at6native12_GLOBAL__N_125multi_tensor_apply_kernelINS1_18TensorListMetadataILi1EEENS1_14UnaryOpFunctorIdLi1ELi1ELi0EEEJNS0_7SigmoidIdEEEEEvT_T0_DpT1_,"axG",@progbits,_ZN2at6native12_GLOBAL__N_125multi_tensor_apply_kernelINS1_18TensorListMetadataILi1EEENS1_14UnaryOpFunctorIdLi1ELi1ELi0EEEJNS0_7SigmoidIdEEEEEvT_T0_DpT1_,comdat
.Lfunc_end251:
	.size	_ZN2at6native12_GLOBAL__N_125multi_tensor_apply_kernelINS1_18TensorListMetadataILi1EEENS1_14UnaryOpFunctorIdLi1ELi1ELi0EEEJNS0_7SigmoidIdEEEEEvT_T0_DpT1_, .Lfunc_end251-_ZN2at6native12_GLOBAL__N_125multi_tensor_apply_kernelINS1_18TensorListMetadataILi1EEENS1_14UnaryOpFunctorIdLi1ELi1ELi0EEEJNS0_7SigmoidIdEEEEEvT_T0_DpT1_
                                        ; -- End function
	.set _ZN2at6native12_GLOBAL__N_125multi_tensor_apply_kernelINS1_18TensorListMetadataILi1EEENS1_14UnaryOpFunctorIdLi1ELi1ELi0EEEJNS0_7SigmoidIdEEEEEvT_T0_DpT1_.num_vgpr, 31
	.set _ZN2at6native12_GLOBAL__N_125multi_tensor_apply_kernelINS1_18TensorListMetadataILi1EEENS1_14UnaryOpFunctorIdLi1ELi1ELi0EEEJNS0_7SigmoidIdEEEEEvT_T0_DpT1_.num_agpr, 0
	.set _ZN2at6native12_GLOBAL__N_125multi_tensor_apply_kernelINS1_18TensorListMetadataILi1EEENS1_14UnaryOpFunctorIdLi1ELi1ELi0EEEJNS0_7SigmoidIdEEEEEvT_T0_DpT1_.numbered_sgpr, 61
	.set _ZN2at6native12_GLOBAL__N_125multi_tensor_apply_kernelINS1_18TensorListMetadataILi1EEENS1_14UnaryOpFunctorIdLi1ELi1ELi0EEEJNS0_7SigmoidIdEEEEEvT_T0_DpT1_.num_named_barrier, 0
	.set _ZN2at6native12_GLOBAL__N_125multi_tensor_apply_kernelINS1_18TensorListMetadataILi1EEENS1_14UnaryOpFunctorIdLi1ELi1ELi0EEEJNS0_7SigmoidIdEEEEEvT_T0_DpT1_.private_seg_size, 0
	.set _ZN2at6native12_GLOBAL__N_125multi_tensor_apply_kernelINS1_18TensorListMetadataILi1EEENS1_14UnaryOpFunctorIdLi1ELi1ELi0EEEJNS0_7SigmoidIdEEEEEvT_T0_DpT1_.uses_vcc, 1
	.set _ZN2at6native12_GLOBAL__N_125multi_tensor_apply_kernelINS1_18TensorListMetadataILi1EEENS1_14UnaryOpFunctorIdLi1ELi1ELi0EEEJNS0_7SigmoidIdEEEEEvT_T0_DpT1_.uses_flat_scratch, 0
	.set _ZN2at6native12_GLOBAL__N_125multi_tensor_apply_kernelINS1_18TensorListMetadataILi1EEENS1_14UnaryOpFunctorIdLi1ELi1ELi0EEEJNS0_7SigmoidIdEEEEEvT_T0_DpT1_.has_dyn_sized_stack, 0
	.set _ZN2at6native12_GLOBAL__N_125multi_tensor_apply_kernelINS1_18TensorListMetadataILi1EEENS1_14UnaryOpFunctorIdLi1ELi1ELi0EEEJNS0_7SigmoidIdEEEEEvT_T0_DpT1_.has_recursion, 0
	.set _ZN2at6native12_GLOBAL__N_125multi_tensor_apply_kernelINS1_18TensorListMetadataILi1EEENS1_14UnaryOpFunctorIdLi1ELi1ELi0EEEJNS0_7SigmoidIdEEEEEvT_T0_DpT1_.has_indirect_call, 0
	.section	.AMDGPU.csdata,"",@progbits
; Kernel info:
; codeLenInByte = 3528
; TotalNumSgprs: 65
; NumVgprs: 31
; ScratchSize: 0
; MemoryBound: 0
; FloatMode: 240
; IeeeMode: 1
; LDSByteSize: 0 bytes/workgroup (compile time only)
; SGPRBlocks: 8
; VGPRBlocks: 7
; NumSGPRsForWavesPerEU: 65
; NumVGPRsForWavesPerEU: 31
; Occupancy: 8
; WaveLimiterHint : 0
; COMPUTE_PGM_RSRC2:SCRATCH_EN: 0
; COMPUTE_PGM_RSRC2:USER_SGPR: 6
; COMPUTE_PGM_RSRC2:TRAP_HANDLER: 0
; COMPUTE_PGM_RSRC2:TGID_X_EN: 1
; COMPUTE_PGM_RSRC2:TGID_Y_EN: 0
; COMPUTE_PGM_RSRC2:TGID_Z_EN: 0
; COMPUTE_PGM_RSRC2:TIDIG_COMP_CNT: 0
	.section	.text._ZN2at6native12_GLOBAL__N_125multi_tensor_apply_kernelINS1_18TensorListMetadataILi1EEENS1_14UnaryOpFunctorIfLi1ELi1ELi0EEEJNS0_7SigmoidIfEEEEEvT_T0_DpT1_,"axG",@progbits,_ZN2at6native12_GLOBAL__N_125multi_tensor_apply_kernelINS1_18TensorListMetadataILi1EEENS1_14UnaryOpFunctorIfLi1ELi1ELi0EEEJNS0_7SigmoidIfEEEEEvT_T0_DpT1_,comdat
	.globl	_ZN2at6native12_GLOBAL__N_125multi_tensor_apply_kernelINS1_18TensorListMetadataILi1EEENS1_14UnaryOpFunctorIfLi1ELi1ELi0EEEJNS0_7SigmoidIfEEEEEvT_T0_DpT1_ ; -- Begin function _ZN2at6native12_GLOBAL__N_125multi_tensor_apply_kernelINS1_18TensorListMetadataILi1EEENS1_14UnaryOpFunctorIfLi1ELi1ELi0EEEJNS0_7SigmoidIfEEEEEvT_T0_DpT1_
	.p2align	8
	.type	_ZN2at6native12_GLOBAL__N_125multi_tensor_apply_kernelINS1_18TensorListMetadataILi1EEENS1_14UnaryOpFunctorIfLi1ELi1ELi0EEEJNS0_7SigmoidIfEEEEEvT_T0_DpT1_,@function
_ZN2at6native12_GLOBAL__N_125multi_tensor_apply_kernelINS1_18TensorListMetadataILi1EEENS1_14UnaryOpFunctorIfLi1ELi1ELi0EEEJNS0_7SigmoidIfEEEEEvT_T0_DpT1_: ; @_ZN2at6native12_GLOBAL__N_125multi_tensor_apply_kernelINS1_18TensorListMetadataILi1EEENS1_14UnaryOpFunctorIfLi1ELi1ELi0EEEJNS0_7SigmoidIfEEEEEvT_T0_DpT1_
; %bb.0:
	v_mov_b32_e32 v1, s6
	global_load_ubyte v1, v1, s[4:5] offset:1760
	s_add_u32 s0, s4, s6
	s_mul_hi_u32 s1, s6, 3
	s_mul_i32 s6, s6, 3
	s_addc_u32 s2, s5, 0
	s_add_u32 s0, s0, s6
	s_addc_u32 s1, s2, s1
	s_load_dword s0, s[0:1], 0x820
	s_mov_b32 s7, 0
	s_waitcnt vmcnt(0)
	v_readfirstlane_b32 s1, v1
	s_lshl_b32 s1, s1, 3
	s_load_dword s24, s[4:5], 0xd2c
	s_load_dwordx2 s[2:3], s[4:5], s1 offset:0x370
	s_load_dwordx2 s[10:11], s[4:5], s1 offset:0x0
	s_waitcnt lgkmcnt(0)
	s_ashr_i32 s1, s0, 31
	s_lshl_b64 s[12:13], s[0:1], 18
	s_lshl_b64 s[0:1], s[0:1], 16
	s_and_b32 s6, s10, 15
	s_sub_u32 s14, s2, s0
	s_subb_u32 s15, s3, s1
	s_and_b32 s0, s2, 3
	s_mov_b32 s1, s7
	s_or_b64 s[0:1], s[6:7], s[0:1]
	s_cmp_eq_u64 s[0:1], 0
	s_cbranch_scc1 .LBB252_21
; %bb.1:
	v_cmp_lt_i64_e64 s[0:1], s[14:15], 1
	s_and_b64 vcc, exec, s[0:1]
	s_cbranch_vccnz .LBB252_20
; %bb.2:
	v_mov_b32_e32 v1, 0x10000
	s_load_dword s2, s[4:5], 0xd3c
	v_mov_b32_e32 v2, 0
	v_cmp_lt_i64_e32 vcc, s[14:15], v[1:2]
	s_mov_b64 s[20:21], 0
	s_and_b64 s[0:1], vcc, exec
	v_cmp_lt_u64_e32 vcc, s[14:15], v[1:2]
	s_cselect_b32 s17, s15, 0
	s_cselect_b32 s16, s14, 0x10000
	s_waitcnt lgkmcnt(0)
	s_and_b32 s2, s2, 0xffff
	s_and_b64 s[0:1], vcc, exec
	s_cselect_b32 s19, s15, 0
	s_cselect_b32 s18, s14, 0x10000
	s_lshl_b32 s3, s2, 1
	s_lshl_b32 s25, s2, 2
	s_add_u32 s6, s10, s12
	v_lshlrev_b32_e32 v1, 2, v0
	s_addc_u32 s7, s11, s13
	v_mov_b32_e32 v2, s7
	v_add_co_u32_e32 v1, vcc, s6, v1
	s_mul_i32 s0, s2, 3
	v_addc_co_u32_e32 v2, vcc, 0, v2, vcc
	v_add_co_u32_e32 v5, vcc, s0, v0
	v_addc_co_u32_e64 v6, s[0:1], 0, 0, vcc
	v_add_co_u32_e32 v7, vcc, s3, v0
	v_addc_co_u32_e64 v8, s[0:1], 0, 0, vcc
	v_add_co_u32_e32 v9, vcc, s2, v0
	v_lshlrev_b32_e32 v3, 2, v9
	v_addc_co_u32_e64 v10, s[0:1], 0, 0, vcc
	v_mov_b32_e32 v4, s7
	v_add_co_u32_e32 v3, vcc, s6, v3
	s_lshl_b32 s26, s2, 4
	s_mul_i32 s27, s2, 12
	s_lshl_b32 s28, s2, 3
	v_addc_co_u32_e32 v4, vcc, 0, v4, vcc
	s_mov_b32 s29, 0xbfb8aa3b
	s_mov_b32 s30, 0x42ce8ed0
	;; [unrolled: 1-line block ×3, first 2 shown]
	v_mov_b32_e32 v11, 0x7f800000
	s_branch .LBB252_4
.LBB252_3:                              ;   in Loop: Header=BB252_4 Depth=1
	s_or_b64 exec, exec, s[2:3]
	s_add_u32 s20, s20, s25
	v_add_co_u32_e32 v1, vcc, s26, v1
	s_waitcnt vmcnt(0)
	v_mov_b32_e32 v12, s16
	s_addc_u32 s21, s21, 0
	v_addc_co_u32_e32 v2, vcc, 0, v2, vcc
	v_mov_b32_e32 v13, s17
	v_cmp_lt_i64_e32 vcc, s[20:21], v[12:13]
	v_add_co_u32_e64 v3, s[0:1], s26, v3
	v_addc_co_u32_e64 v4, s[0:1], 0, v4, s[0:1]
	s_cbranch_vccz .LBB252_20
.LBB252_4:                              ; =>This Inner Loop Header: Depth=1
	v_mov_b32_e32 v13, s21
	v_add_co_u32_e32 v12, vcc, s20, v0
	v_addc_co_u32_e32 v13, vcc, 0, v13, vcc
	v_cmp_gt_u64_e32 vcc, s[18:19], v[12:13]
	v_mov_b32_e32 v15, 0
	s_and_saveexec_b64 s[0:1], vcc
	s_cbranch_execz .LBB252_6
; %bb.5:                                ;   in Loop: Header=BB252_4 Depth=1
	global_load_dword v15, v[1:2], off
.LBB252_6:                              ;   in Loop: Header=BB252_4 Depth=1
	s_or_b64 exec, exec, s[0:1]
	v_mov_b32_e32 v13, s21
	v_add_co_u32_e64 v12, s[0:1], s20, v9
	v_addc_co_u32_e64 v13, s[0:1], v10, v13, s[0:1]
	v_cmp_gt_u64_e64 s[6:7], s[18:19], v[12:13]
	v_mov_b32_e32 v13, 0
	v_mov_b32_e32 v14, 0
	s_and_saveexec_b64 s[0:1], s[6:7]
	s_cbranch_execz .LBB252_8
; %bb.7:                                ;   in Loop: Header=BB252_4 Depth=1
	global_load_dword v14, v[3:4], off
.LBB252_8:                              ;   in Loop: Header=BB252_4 Depth=1
	s_or_b64 exec, exec, s[0:1]
	v_mov_b32_e32 v12, s21
	v_add_co_u32_e64 v16, s[0:1], s20, v7
	v_addc_co_u32_e64 v17, s[0:1], v8, v12, s[0:1]
	v_cmp_gt_u64_e64 s[2:3], s[18:19], v[16:17]
	s_and_saveexec_b64 s[8:9], s[2:3]
	s_cbranch_execz .LBB252_10
; %bb.9:                                ;   in Loop: Header=BB252_4 Depth=1
	v_add_co_u32_e64 v12, s[0:1], s28, v1
	v_addc_co_u32_e64 v13, s[0:1], 0, v2, s[0:1]
	global_load_dword v13, v[12:13], off
.LBB252_10:                             ;   in Loop: Header=BB252_4 Depth=1
	s_or_b64 exec, exec, s[8:9]
	v_mov_b32_e32 v12, s21
	v_add_co_u32_e64 v16, s[0:1], s20, v5
	v_addc_co_u32_e64 v17, s[0:1], v6, v12, s[0:1]
	v_cmp_gt_u64_e64 s[0:1], s[18:19], v[16:17]
	v_mov_b32_e32 v12, 0
	s_and_saveexec_b64 s[22:23], s[0:1]
	s_cbranch_execnz .LBB252_15
; %bb.11:                               ;   in Loop: Header=BB252_4 Depth=1
	s_or_b64 exec, exec, s[22:23]
	s_and_saveexec_b64 s[8:9], vcc
	s_cbranch_execnz .LBB252_16
.LBB252_12:                             ;   in Loop: Header=BB252_4 Depth=1
	s_or_b64 exec, exec, s[8:9]
	s_and_saveexec_b64 s[8:9], s[6:7]
	s_cbranch_execnz .LBB252_17
.LBB252_13:                             ;   in Loop: Header=BB252_4 Depth=1
	s_or_b64 exec, exec, s[8:9]
	s_and_saveexec_b64 s[6:7], s[2:3]
	s_cbranch_execnz .LBB252_18
.LBB252_14:                             ;   in Loop: Header=BB252_4 Depth=1
	s_or_b64 exec, exec, s[6:7]
	s_and_saveexec_b64 s[2:3], s[0:1]
	s_cbranch_execz .LBB252_3
	s_branch .LBB252_19
.LBB252_15:                             ;   in Loop: Header=BB252_4 Depth=1
	v_add_co_u32_e64 v16, s[8:9], s27, v1
	v_addc_co_u32_e64 v17, s[8:9], 0, v2, s[8:9]
	global_load_dword v12, v[16:17], off
	s_or_b64 exec, exec, s[22:23]
	s_and_saveexec_b64 s[8:9], vcc
	s_cbranch_execz .LBB252_12
.LBB252_16:                             ;   in Loop: Header=BB252_4 Depth=1
	s_waitcnt vmcnt(0)
	v_mul_f32_e32 v16, 0xbfb8aa3b, v15
	v_rndne_f32_e32 v17, v16
	v_sub_f32_e32 v18, v16, v17
	v_fma_f32 v16, v15, s29, -v16
	v_fmac_f32_e32 v16, 0xb2a5705f, v15
	v_add_f32_e32 v16, v18, v16
	v_cvt_i32_f32_e32 v17, v17
	v_exp_f32_e32 v16, v16
	v_cmp_nlt_f32_e32 vcc, s30, v15
	v_ldexp_f32 v16, v16, v17
	v_cndmask_b32_e32 v16, 0, v16, vcc
	v_cmp_ngt_f32_e32 vcc, s31, v15
	v_cndmask_b32_e32 v15, v11, v16, vcc
	v_add_f32_e32 v15, s24, v15
	v_div_scale_f32 v16, s[22:23], v15, v15, s24
	v_div_scale_f32 v17, vcc, s24, v15, s24
	v_rcp_f32_e32 v18, v16
	v_fma_f32 v19, -v16, v18, 1.0
	v_fmac_f32_e32 v18, v19, v18
	v_mul_f32_e32 v19, v17, v18
	v_fma_f32 v20, -v16, v19, v17
	v_fmac_f32_e32 v19, v20, v18
	v_fma_f32 v16, -v16, v19, v17
	v_div_fmas_f32 v16, v16, v18, v19
	v_div_fixup_f32 v15, v16, v15, s24
	global_store_dword v[1:2], v15, off
	s_or_b64 exec, exec, s[8:9]
	s_and_saveexec_b64 s[8:9], s[6:7]
	s_cbranch_execz .LBB252_13
.LBB252_17:                             ;   in Loop: Header=BB252_4 Depth=1
	s_waitcnt vmcnt(0)
	v_mul_f32_e32 v15, 0xbfb8aa3b, v14
	v_rndne_f32_e32 v16, v15
	v_sub_f32_e32 v17, v15, v16
	v_fma_f32 v15, v14, s29, -v15
	v_fmac_f32_e32 v15, 0xb2a5705f, v14
	v_add_f32_e32 v15, v17, v15
	v_cvt_i32_f32_e32 v16, v16
	v_exp_f32_e32 v15, v15
	v_cmp_nlt_f32_e32 vcc, s30, v14
	v_ldexp_f32 v15, v15, v16
	v_cndmask_b32_e32 v15, 0, v15, vcc
	v_cmp_ngt_f32_e32 vcc, s31, v14
	v_cndmask_b32_e32 v14, v11, v15, vcc
	v_add_f32_e32 v14, s24, v14
	v_div_scale_f32 v15, s[6:7], v14, v14, s24
	v_div_scale_f32 v16, vcc, s24, v14, s24
	v_rcp_f32_e32 v17, v15
	v_fma_f32 v18, -v15, v17, 1.0
	v_fmac_f32_e32 v17, v18, v17
	v_mul_f32_e32 v18, v16, v17
	v_fma_f32 v19, -v15, v18, v16
	v_fmac_f32_e32 v18, v19, v17
	v_fma_f32 v15, -v15, v18, v16
	v_div_fmas_f32 v15, v15, v17, v18
	v_div_fixup_f32 v14, v15, v14, s24
	global_store_dword v[3:4], v14, off
	s_or_b64 exec, exec, s[8:9]
	s_and_saveexec_b64 s[6:7], s[2:3]
	s_cbranch_execz .LBB252_14
.LBB252_18:                             ;   in Loop: Header=BB252_4 Depth=1
	s_waitcnt vmcnt(0)
	v_mul_f32_e32 v14, 0xbfb8aa3b, v13
	v_rndne_f32_e32 v15, v14
	v_sub_f32_e32 v16, v14, v15
	v_fma_f32 v14, v13, s29, -v14
	v_fmac_f32_e32 v14, 0xb2a5705f, v13
	v_add_f32_e32 v14, v16, v14
	v_cvt_i32_f32_e32 v15, v15
	v_exp_f32_e32 v14, v14
	v_cmp_nlt_f32_e32 vcc, s30, v13
	v_ldexp_f32 v14, v14, v15
	v_cndmask_b32_e32 v14, 0, v14, vcc
	v_cmp_ngt_f32_e32 vcc, s31, v13
	v_cndmask_b32_e32 v13, v11, v14, vcc
	v_add_f32_e32 v13, s24, v13
	v_div_scale_f32 v14, s[2:3], v13, v13, s24
	v_div_scale_f32 v15, vcc, s24, v13, s24
	v_rcp_f32_e32 v16, v14
	v_fma_f32 v17, -v14, v16, 1.0
	v_fmac_f32_e32 v16, v17, v16
	v_mul_f32_e32 v17, v15, v16
	v_fma_f32 v18, -v14, v17, v15
	v_fmac_f32_e32 v17, v18, v16
	v_fma_f32 v14, -v14, v17, v15
	v_div_fmas_f32 v14, v14, v16, v17
	v_div_fixup_f32 v15, v14, v13, s24
	v_add_co_u32_e32 v13, vcc, s28, v1
	v_addc_co_u32_e32 v14, vcc, 0, v2, vcc
	global_store_dword v[13:14], v15, off
	s_or_b64 exec, exec, s[6:7]
	s_and_saveexec_b64 s[2:3], s[0:1]
	s_cbranch_execz .LBB252_3
.LBB252_19:                             ;   in Loop: Header=BB252_4 Depth=1
	s_waitcnt vmcnt(0)
	v_mul_f32_e32 v13, 0xbfb8aa3b, v12
	v_rndne_f32_e32 v14, v13
	v_sub_f32_e32 v15, v13, v14
	v_fma_f32 v13, v12, s29, -v13
	v_fmac_f32_e32 v13, 0xb2a5705f, v12
	v_add_f32_e32 v13, v15, v13
	v_cvt_i32_f32_e32 v14, v14
	v_exp_f32_e32 v13, v13
	v_cmp_nlt_f32_e32 vcc, s30, v12
	v_ldexp_f32 v13, v13, v14
	v_cndmask_b32_e32 v13, 0, v13, vcc
	v_cmp_ngt_f32_e32 vcc, s31, v12
	v_cndmask_b32_e32 v12, v11, v13, vcc
	v_add_f32_e32 v12, s24, v12
	v_div_scale_f32 v13, s[0:1], v12, v12, s24
	v_div_scale_f32 v14, vcc, s24, v12, s24
	v_rcp_f32_e32 v15, v13
	v_fma_f32 v16, -v13, v15, 1.0
	v_fmac_f32_e32 v15, v16, v15
	v_mul_f32_e32 v16, v14, v15
	v_fma_f32 v17, -v13, v16, v14
	v_fmac_f32_e32 v16, v17, v15
	v_fma_f32 v13, -v13, v16, v14
	v_div_fmas_f32 v13, v13, v15, v16
	v_div_fixup_f32 v14, v13, v12, s24
	v_add_co_u32_e32 v12, vcc, s27, v1
	v_addc_co_u32_e32 v13, vcc, 0, v2, vcc
	global_store_dword v[12:13], v14, off
	s_branch .LBB252_3
.LBB252_20:
	s_cbranch_execz .LBB252_22
	s_branch .LBB252_25
.LBB252_21:
.LBB252_22:
	v_mov_b32_e32 v1, 0x10000
	v_mov_b32_e32 v2, 0
	v_cmp_lt_i64_e32 vcc, s[14:15], v[1:2]
	v_mov_b32_e32 v2, 0
	s_and_b64 s[0:1], vcc, exec
	s_cselect_b32 s7, s15, 0
	s_cselect_b32 s6, s14, 0x10000
	v_lshlrev_b32_e32 v1, 2, v0
	v_cmp_gt_i64_e32 vcc, s[6:7], v[1:2]
	s_and_saveexec_b64 s[0:1], vcc
	s_cbranch_execz .LBB252_25
; %bb.23:
	s_load_dword s0, s[4:5], 0xd3c
	v_mov_b32_e32 v1, v2
	v_lshlrev_b32_e32 v2, 4, v0
	s_mov_b64 s[8:9], 0
	v_mov_b32_e32 v4, 0x7f800000
	s_waitcnt lgkmcnt(0)
	s_and_b32 s14, s0, 0xffff
	s_add_u32 s0, s10, s12
	s_addc_u32 s1, s11, s13
	v_mov_b32_e32 v3, s1
	v_add_co_u32_e32 v2, vcc, s0, v2
	v_addc_co_u32_e32 v3, vcc, 0, v3, vcc
	v_add_co_u32_e32 v2, vcc, 8, v2
	v_addc_co_u32_e32 v3, vcc, 0, v3, vcc
	s_lshl_b32 s10, s14, 4
	s_mov_b32 s11, 0xbfb8aa3b
	s_mov_b32 s12, 0x42ce8ed0
	;; [unrolled: 1-line block ×3, first 2 shown]
.LBB252_24:                             ; =>This Inner Loop Header: Depth=1
	global_load_dwordx4 v[5:8], v[2:3], off offset:-8
	s_waitcnt vmcnt(0)
	v_mul_f32_e32 v9, 0xbfb8aa3b, v5
	v_mul_f32_e32 v10, 0xbfb8aa3b, v6
	v_rndne_f32_e32 v13, v9
	v_fma_f32 v14, v5, s11, -v9
	v_mul_f32_e32 v11, 0xbfb8aa3b, v7
	v_rndne_f32_e32 v15, v10
	v_fma_f32 v16, v6, s11, -v10
	v_sub_f32_e32 v9, v9, v13
	v_fmac_f32_e32 v14, 0xb2a5705f, v5
	v_mul_f32_e32 v12, 0xbfb8aa3b, v8
	v_rndne_f32_e32 v17, v11
	v_fma_f32 v18, v7, s11, -v11
	v_add_f32_e32 v9, v9, v14
	v_sub_f32_e32 v10, v10, v15
	v_fmac_f32_e32 v16, 0xb2a5705f, v6
	v_rndne_f32_e32 v19, v12
	v_fma_f32 v14, v8, s11, -v12
	v_cvt_i32_f32_e32 v13, v13
	v_sub_f32_e32 v11, v11, v17
	v_fmac_f32_e32 v18, 0xb2a5705f, v7
	v_add_f32_e32 v10, v10, v16
	v_exp_f32_e32 v9, v9
	v_cvt_i32_f32_e32 v15, v15
	v_sub_f32_e32 v12, v12, v19
	v_fmac_f32_e32 v14, 0xb2a5705f, v8
	v_add_f32_e32 v11, v11, v18
	v_exp_f32_e32 v10, v10
	v_cvt_i32_f32_e32 v17, v17
	v_add_f32_e32 v12, v12, v14
	v_exp_f32_e32 v11, v11
	v_cvt_i32_f32_e32 v19, v19
	v_exp_f32_e32 v12, v12
	v_ldexp_f32 v9, v9, v13
	v_cmp_nlt_f32_e32 vcc, s12, v5
	v_ldexp_f32 v10, v10, v15
	v_cndmask_b32_e32 v9, 0, v9, vcc
	v_cmp_nlt_f32_e32 vcc, s12, v6
	v_ldexp_f32 v11, v11, v17
	v_cndmask_b32_e32 v10, 0, v10, vcc
	;; [unrolled: 3-line block ×3, first 2 shown]
	v_cmp_nlt_f32_e32 vcc, s12, v8
	v_cndmask_b32_e32 v12, 0, v12, vcc
	v_cmp_ngt_f32_e32 vcc, s13, v5
	v_cndmask_b32_e32 v5, v4, v9, vcc
	v_cmp_ngt_f32_e32 vcc, s13, v6
	;; [unrolled: 2-line block ×4, first 2 shown]
	v_add_f32_e32 v9, s24, v5
	v_cndmask_b32_e32 v8, v4, v12, vcc
	v_add_f32_e32 v10, s24, v6
	v_add_f32_e32 v7, s24, v7
	v_div_scale_f32 v5, s[0:1], v9, v9, s24
	v_add_f32_e32 v8, s24, v8
	v_div_scale_f32 v6, s[0:1], v10, v10, s24
	v_div_scale_f32 v11, s[0:1], v7, v7, s24
	;; [unrolled: 1-line block ×3, first 2 shown]
	v_div_scale_f32 v13, vcc, s24, v9, s24
	v_rcp_f32_e32 v14, v5
	v_rcp_f32_e32 v15, v6
	v_fma_f32 v18, -v5, v14, 1.0
	v_rcp_f32_e32 v16, v11
	v_fmac_f32_e32 v14, v18, v14
	v_rcp_f32_e32 v17, v12
	v_fma_f32 v19, -v6, v15, 1.0
	v_fma_f32 v18, -v11, v16, 1.0
	v_fmac_f32_e32 v15, v19, v15
	v_fma_f32 v19, -v12, v17, 1.0
	v_fmac_f32_e32 v16, v18, v16
	v_mul_f32_e32 v18, v13, v14
	v_fmac_f32_e32 v17, v19, v17
	v_fma_f32 v19, -v5, v18, v13
	v_fmac_f32_e32 v18, v19, v14
	v_div_scale_f32 v19, s[0:1], s24, v10, s24
	v_fma_f32 v5, -v5, v18, v13
	v_div_scale_f32 v13, s[2:3], s24, v7, s24
	v_div_fmas_f32 v14, v5, v14, v18
	s_mov_b64 vcc, s[0:1]
	v_mul_f32_e32 v5, v19, v15
	v_fma_f32 v18, -v6, v5, v19
	v_fmac_f32_e32 v5, v18, v15
	v_mul_f32_e32 v18, v13, v16
	v_fma_f32 v20, -v11, v18, v13
	v_fmac_f32_e32 v18, v20, v16
	v_div_scale_f32 v20, s[4:5], s24, v8, s24
	v_fma_f32 v6, -v6, v5, v19
	v_fma_f32 v11, -v11, v18, v13
	v_div_fmas_f32 v13, v6, v15, v5
	s_mov_b64 vcc, s[2:3]
	v_div_fmas_f32 v11, v11, v16, v18
	s_mov_b64 vcc, s[4:5]
	v_mul_f32_e32 v21, v20, v17
	v_fma_f32 v22, -v12, v21, v20
	v_fmac_f32_e32 v21, v22, v17
	v_fma_f32 v12, -v12, v21, v20
	v_div_fmas_f32 v12, v12, v17, v21
	v_add_co_u32_e32 v0, vcc, s14, v0
	v_addc_co_u32_e32 v1, vcc, 0, v1, vcc
	v_lshlrev_b64 v[5:6], 2, v[0:1]
	v_div_fixup_f32 v7, v11, v7, s24
	v_cmp_le_i64_e32 vcc, s[6:7], v[5:6]
	v_div_fixup_f32 v5, v14, v9, s24
	v_div_fixup_f32 v6, v13, v10, s24
	s_or_b64 s[8:9], vcc, s[8:9]
	v_div_fixup_f32 v8, v12, v8, s24
	global_store_dwordx4 v[2:3], v[5:8], off offset:-8
	v_add_co_u32_e32 v2, vcc, s10, v2
	v_addc_co_u32_e32 v3, vcc, 0, v3, vcc
	s_andn2_b64 exec, exec, s[8:9]
	s_cbranch_execnz .LBB252_24
.LBB252_25:
	s_endpgm
	.section	.rodata,"a",@progbits
	.p2align	6, 0x0
	.amdhsa_kernel _ZN2at6native12_GLOBAL__N_125multi_tensor_apply_kernelINS1_18TensorListMetadataILi1EEENS1_14UnaryOpFunctorIfLi1ELi1ELi0EEEJNS0_7SigmoidIfEEEEEvT_T0_DpT1_
		.amdhsa_group_segment_fixed_size 0
		.amdhsa_private_segment_fixed_size 0
		.amdhsa_kernarg_size 3632
		.amdhsa_user_sgpr_count 6
		.amdhsa_user_sgpr_private_segment_buffer 1
		.amdhsa_user_sgpr_dispatch_ptr 0
		.amdhsa_user_sgpr_queue_ptr 0
		.amdhsa_user_sgpr_kernarg_segment_ptr 1
		.amdhsa_user_sgpr_dispatch_id 0
		.amdhsa_user_sgpr_flat_scratch_init 0
		.amdhsa_user_sgpr_private_segment_size 0
		.amdhsa_uses_dynamic_stack 0
		.amdhsa_system_sgpr_private_segment_wavefront_offset 0
		.amdhsa_system_sgpr_workgroup_id_x 1
		.amdhsa_system_sgpr_workgroup_id_y 0
		.amdhsa_system_sgpr_workgroup_id_z 0
		.amdhsa_system_sgpr_workgroup_info 0
		.amdhsa_system_vgpr_workitem_id 0
		.amdhsa_next_free_vgpr 23
		.amdhsa_next_free_sgpr 32
		.amdhsa_reserve_vcc 1
		.amdhsa_reserve_flat_scratch 0
		.amdhsa_float_round_mode_32 0
		.amdhsa_float_round_mode_16_64 0
		.amdhsa_float_denorm_mode_32 3
		.amdhsa_float_denorm_mode_16_64 3
		.amdhsa_dx10_clamp 1
		.amdhsa_ieee_mode 1
		.amdhsa_fp16_overflow 0
		.amdhsa_exception_fp_ieee_invalid_op 0
		.amdhsa_exception_fp_denorm_src 0
		.amdhsa_exception_fp_ieee_div_zero 0
		.amdhsa_exception_fp_ieee_overflow 0
		.amdhsa_exception_fp_ieee_underflow 0
		.amdhsa_exception_fp_ieee_inexact 0
		.amdhsa_exception_int_div_zero 0
	.end_amdhsa_kernel
	.section	.text._ZN2at6native12_GLOBAL__N_125multi_tensor_apply_kernelINS1_18TensorListMetadataILi1EEENS1_14UnaryOpFunctorIfLi1ELi1ELi0EEEJNS0_7SigmoidIfEEEEEvT_T0_DpT1_,"axG",@progbits,_ZN2at6native12_GLOBAL__N_125multi_tensor_apply_kernelINS1_18TensorListMetadataILi1EEENS1_14UnaryOpFunctorIfLi1ELi1ELi0EEEJNS0_7SigmoidIfEEEEEvT_T0_DpT1_,comdat
.Lfunc_end252:
	.size	_ZN2at6native12_GLOBAL__N_125multi_tensor_apply_kernelINS1_18TensorListMetadataILi1EEENS1_14UnaryOpFunctorIfLi1ELi1ELi0EEEJNS0_7SigmoidIfEEEEEvT_T0_DpT1_, .Lfunc_end252-_ZN2at6native12_GLOBAL__N_125multi_tensor_apply_kernelINS1_18TensorListMetadataILi1EEENS1_14UnaryOpFunctorIfLi1ELi1ELi0EEEJNS0_7SigmoidIfEEEEEvT_T0_DpT1_
                                        ; -- End function
	.set _ZN2at6native12_GLOBAL__N_125multi_tensor_apply_kernelINS1_18TensorListMetadataILi1EEENS1_14UnaryOpFunctorIfLi1ELi1ELi0EEEJNS0_7SigmoidIfEEEEEvT_T0_DpT1_.num_vgpr, 23
	.set _ZN2at6native12_GLOBAL__N_125multi_tensor_apply_kernelINS1_18TensorListMetadataILi1EEENS1_14UnaryOpFunctorIfLi1ELi1ELi0EEEJNS0_7SigmoidIfEEEEEvT_T0_DpT1_.num_agpr, 0
	.set _ZN2at6native12_GLOBAL__N_125multi_tensor_apply_kernelINS1_18TensorListMetadataILi1EEENS1_14UnaryOpFunctorIfLi1ELi1ELi0EEEJNS0_7SigmoidIfEEEEEvT_T0_DpT1_.numbered_sgpr, 32
	.set _ZN2at6native12_GLOBAL__N_125multi_tensor_apply_kernelINS1_18TensorListMetadataILi1EEENS1_14UnaryOpFunctorIfLi1ELi1ELi0EEEJNS0_7SigmoidIfEEEEEvT_T0_DpT1_.num_named_barrier, 0
	.set _ZN2at6native12_GLOBAL__N_125multi_tensor_apply_kernelINS1_18TensorListMetadataILi1EEENS1_14UnaryOpFunctorIfLi1ELi1ELi0EEEJNS0_7SigmoidIfEEEEEvT_T0_DpT1_.private_seg_size, 0
	.set _ZN2at6native12_GLOBAL__N_125multi_tensor_apply_kernelINS1_18TensorListMetadataILi1EEENS1_14UnaryOpFunctorIfLi1ELi1ELi0EEEJNS0_7SigmoidIfEEEEEvT_T0_DpT1_.uses_vcc, 1
	.set _ZN2at6native12_GLOBAL__N_125multi_tensor_apply_kernelINS1_18TensorListMetadataILi1EEENS1_14UnaryOpFunctorIfLi1ELi1ELi0EEEJNS0_7SigmoidIfEEEEEvT_T0_DpT1_.uses_flat_scratch, 0
	.set _ZN2at6native12_GLOBAL__N_125multi_tensor_apply_kernelINS1_18TensorListMetadataILi1EEENS1_14UnaryOpFunctorIfLi1ELi1ELi0EEEJNS0_7SigmoidIfEEEEEvT_T0_DpT1_.has_dyn_sized_stack, 0
	.set _ZN2at6native12_GLOBAL__N_125multi_tensor_apply_kernelINS1_18TensorListMetadataILi1EEENS1_14UnaryOpFunctorIfLi1ELi1ELi0EEEJNS0_7SigmoidIfEEEEEvT_T0_DpT1_.has_recursion, 0
	.set _ZN2at6native12_GLOBAL__N_125multi_tensor_apply_kernelINS1_18TensorListMetadataILi1EEENS1_14UnaryOpFunctorIfLi1ELi1ELi0EEEJNS0_7SigmoidIfEEEEEvT_T0_DpT1_.has_indirect_call, 0
	.section	.AMDGPU.csdata,"",@progbits
; Kernel info:
; codeLenInByte = 2192
; TotalNumSgprs: 36
; NumVgprs: 23
; ScratchSize: 0
; MemoryBound: 0
; FloatMode: 240
; IeeeMode: 1
; LDSByteSize: 0 bytes/workgroup (compile time only)
; SGPRBlocks: 4
; VGPRBlocks: 5
; NumSGPRsForWavesPerEU: 36
; NumVGPRsForWavesPerEU: 23
; Occupancy: 10
; WaveLimiterHint : 0
; COMPUTE_PGM_RSRC2:SCRATCH_EN: 0
; COMPUTE_PGM_RSRC2:USER_SGPR: 6
; COMPUTE_PGM_RSRC2:TRAP_HANDLER: 0
; COMPUTE_PGM_RSRC2:TGID_X_EN: 1
; COMPUTE_PGM_RSRC2:TGID_Y_EN: 0
; COMPUTE_PGM_RSRC2:TGID_Z_EN: 0
; COMPUTE_PGM_RSRC2:TIDIG_COMP_CNT: 0
	.section	.text._ZN2at6native12_GLOBAL__N_125multi_tensor_apply_kernelINS1_18TensorListMetadataILi1EEENS1_14UnaryOpFunctorIN3c107complexIdEELi1ELi1ELi0EEEJNS0_7SigmoidIS8_EEEEEvT_T0_DpT1_,"axG",@progbits,_ZN2at6native12_GLOBAL__N_125multi_tensor_apply_kernelINS1_18TensorListMetadataILi1EEENS1_14UnaryOpFunctorIN3c107complexIdEELi1ELi1ELi0EEEJNS0_7SigmoidIS8_EEEEEvT_T0_DpT1_,comdat
	.globl	_ZN2at6native12_GLOBAL__N_125multi_tensor_apply_kernelINS1_18TensorListMetadataILi1EEENS1_14UnaryOpFunctorIN3c107complexIdEELi1ELi1ELi0EEEJNS0_7SigmoidIS8_EEEEEvT_T0_DpT1_ ; -- Begin function _ZN2at6native12_GLOBAL__N_125multi_tensor_apply_kernelINS1_18TensorListMetadataILi1EEENS1_14UnaryOpFunctorIN3c107complexIdEELi1ELi1ELi0EEEJNS0_7SigmoidIS8_EEEEEvT_T0_DpT1_
	.p2align	8
	.type	_ZN2at6native12_GLOBAL__N_125multi_tensor_apply_kernelINS1_18TensorListMetadataILi1EEENS1_14UnaryOpFunctorIN3c107complexIdEELi1ELi1ELi0EEEJNS0_7SigmoidIS8_EEEEEvT_T0_DpT1_,@function
_ZN2at6native12_GLOBAL__N_125multi_tensor_apply_kernelINS1_18TensorListMetadataILi1EEENS1_14UnaryOpFunctorIN3c107complexIdEELi1ELi1ELi0EEEJNS0_7SigmoidIS8_EEEEEvT_T0_DpT1_: ; @_ZN2at6native12_GLOBAL__N_125multi_tensor_apply_kernelINS1_18TensorListMetadataILi1EEENS1_14UnaryOpFunctorIN3c107complexIdEELi1ELi1ELi0EEEJNS0_7SigmoidIS8_EEEEEvT_T0_DpT1_
; %bb.0:
	v_mov_b32_e32 v1, s6
	global_load_ubyte v1, v1, s[4:5] offset:1760
	s_add_u32 s0, s4, s6
	s_mul_hi_u32 s1, s6, 3
	s_mul_i32 s6, s6, 3
	s_addc_u32 s2, s5, 0
	s_add_u32 s0, s0, s6
	s_addc_u32 s1, s2, s1
	s_load_dwordx4 s[16:19], s[4:5], 0xd30
	s_load_dword s2, s[0:1], 0x820
                                        ; implicit-def: $vgpr79 : SGPR spill to VGPR lane
	s_waitcnt vmcnt(0)
	v_readfirstlane_b32 s0, v1
	s_lshl_b32 s3, s0, 3
	s_load_dwordx2 s[6:7], s[4:5], s3 offset:0x0
	v_writelane_b32 v79, s4, 0
	s_load_dwordx2 s[0:1], s[4:5], s3 offset:0x370
                                        ; kill: killed $sgpr3
	s_waitcnt lgkmcnt(0)
	s_ashr_i32 s3, s2, 31
	v_writelane_b32 v79, s5, 1
	s_lshl_b64 s[8:9], s[2:3], 20
	s_add_u32 s33, s6, s8
	v_writelane_b32 v79, s6, 2
	v_writelane_b32 v79, s7, 3
	;; [unrolled: 1-line block ×3, first 2 shown]
	s_addc_u32 s62, s7, s9
	s_lshl_b64 s[2:3], s[2:3], 16
	s_and_b32 s4, s33, 63
	s_mov_b32 s5, 0
	s_sub_u32 s2, s0, s2
	s_subb_u32 s3, s1, s3
	s_and_b32 s0, s0, 3
	s_mov_b32 s1, s5
	s_or_b64 s[0:1], s[4:5], s[0:1]
	s_cmp_eq_u64 s[0:1], 0
	v_writelane_b32 v79, s9, 5
	s_cbranch_scc1 .LBB253_229
; %bb.1:
	v_writelane_b32 v79, s2, 6
	v_cmp_lt_i64_e64 s[0:1], s[2:3], 1
	v_writelane_b32 v79, s3, 7
	s_and_b64 vcc, exec, s[0:1]
	s_cbranch_vccnz .LBB253_228
; %bb.2:
	v_readlane_b32 s0, v79, 0
	v_readlane_b32 s1, v79, 1
	v_mov_b32_e32 v1, 0x10000
	v_readlane_b32 s4, v79, 6
	s_load_dword s2, s[0:1], 0xd4c
	v_mov_b32_e32 v2, 0
	v_readlane_b32 s5, v79, 7
	v_cmp_lt_i64_e32 vcc, s[4:5], v[1:2]
	v_mov_b32_e32 v17, 0
	s_and_b64 s[0:1], vcc, exec
	v_cmp_lt_u64_e32 vcc, s[4:5], v[1:2]
	s_cselect_b32 s25, s5, 0
	s_cselect_b32 s24, s4, 0x10000
	s_waitcnt lgkmcnt(0)
	s_and_b32 s2, s2, 0xffff
	s_and_b64 s[0:1], vcc, exec
	s_cselect_b32 s26, s4, 0x10000
	s_mul_i32 s4, s2, 3
	v_add_co_u32_e32 v40, vcc, s2, v0
	v_lshlrev_b32_e32 v19, 4, v0
	v_mov_b32_e32 v20, v17
	v_addc_co_u32_e64 v41, s[0:1], 0, 0, vcc
	v_add_co_u32_e32 v42, vcc, s4, v0
	v_mad_u64_u32 v[20:21], s[0:1], s2, 48, v[19:20]
	v_addc_co_u32_e64 v43, s[0:1], 0, 0, vcc
	s_cselect_b32 s27, s5, 0
	s_lshl_b32 s0, s2, 5
	s_lshl_b32 s3, s2, 1
	v_add_co_u32_e32 v1, vcc, s0, v19
	v_addc_co_u32_e64 v45, s[0:1], 0, 0, vcc
	v_add_co_u32_e32 v47, vcc, s3, v0
	s_mov_b32 s28, 0x54442d18
	s_mov_b32 s34, 0x33145c00
	;; [unrolled: 1-line block ×23, first 2 shown]
	s_lshl_b32 s63, s2, 2
	s_lshl_b32 s72, s2, 6
	v_or_b32_e32 v20, 8, v20
	v_lshlrev_b32_e32 v44, 4, v40
	v_or_b32_e32 v46, 8, v1
	v_addc_co_u32_e64 v48, s[0:1], 0, 0, vcc
	s_mov_b32 s29, 0xbff921fb
	s_mov_b32 s35, 0xbc91a626
	s_mov_b32 s81, 0x3ff71547
	s_mov_b32 s41, 0xbfe62e42
	s_mov_b32 s43, 0xbc7abc9e
	s_mov_b32 s45, 0x3e5ade15
	s_mov_b32 s47, 0x3ec71dee
	s_mov_b32 s49, 0x3efa0199
	s_mov_b32 s51, 0x3f2a01a0
	s_mov_b32 s53, 0x3f56c16c
	s_mov_b32 s15, 0x3f811111
	s_mov_b32 s5, 0x3fa55555
	s_mov_b32 s59, 0x3fc55555
	s_mov_b32 s61, 0x3fe00000
	s_mov_b32 s65, 0xbda907db
	s_mov_b32 s67, 0xbe927e4f
	s_mov_b32 s69, 0x3efa01a0
	s_mov_b32 s71, 0xbf56c16c
	s_mov_b32 s75, 0x3de5e0b2
	s_mov_b32 s77, 0x3ec71de3
	v_mov_b32_e32 v49, 0x40100000
	v_mov_b32_e32 v50, 0x3ff00000
	;; [unrolled: 1-line block ×4, first 2 shown]
	s_mov_b32 s79, 0xbf2a01a0
	v_mov_b32_e32 v22, 0xfca7ab0c
	v_mov_b32_e32 v23, 0x3e928af3
	s_movk_i32 s73, 0x1f8
	s_mov_b64 s[82:83], 0
	s_mov_b32 s91, 0x3ff921fb
	s_mov_b32 s93, 0x3c91a626
	;; [unrolled: 1-line block ×9, first 2 shown]
	s_branch .LBB253_4
.LBB253_3:                              ;   in Loop: Header=BB253_4 Depth=1
	s_or_b64 exec, exec, s[0:1]
	s_add_u32 s82, s82, s63
	v_mov_b32_e32 v1, s24
	s_addc_u32 s83, s83, 0
	v_mov_b32_e32 v2, s25
	v_cmp_ge_i64_e32 vcc, s[82:83], v[1:2]
	s_add_u32 s33, s33, s72
	s_addc_u32 s62, s62, 0
	s_cbranch_vccnz .LBB253_228
.LBB253_4:                              ; =>This Inner Loop Header: Depth=1
	v_mov_b32_e32 v2, s83
	v_add_co_u32_e32 v1, vcc, s82, v0
	v_addc_co_u32_e32 v2, vcc, 0, v2, vcc
	v_cmp_gt_u64_e64 s[0:1], s[26:27], v[1:2]
	v_mov_b32_e32 v15, 0
	v_mov_b32_e32 v7, 0
	;; [unrolled: 1-line block ×6, first 2 shown]
	s_and_saveexec_b64 s[2:3], s[0:1]
	s_cbranch_execz .LBB253_6
; %bb.5:                                ;   in Loop: Header=BB253_4 Depth=1
	v_mov_b32_e32 v2, s62
	v_add_co_u32_e32 v1, vcc, s33, v19
	v_addc_co_u32_e32 v2, vcc, 0, v2, vcc
	global_load_dwordx4 v[5:8], v[1:2], off
.LBB253_6:                              ;   in Loop: Header=BB253_4 Depth=1
	s_or_b64 exec, exec, s[2:3]
	v_mov_b32_e32 v2, s83
	v_add_co_u32_e32 v1, vcc, s82, v40
	v_addc_co_u32_e32 v2, vcc, v41, v2, vcc
	v_cmp_gt_u64_e64 s[2:3], s[26:27], v[1:2]
	v_mov_b32_e32 v13, 0
	v_mov_b32_e32 v14, 0
	s_and_saveexec_b64 s[6:7], s[2:3]
	s_cbranch_execz .LBB253_8
; %bb.7:                                ;   in Loop: Header=BB253_4 Depth=1
	v_mov_b32_e32 v2, s62
	v_add_co_u32_e32 v1, vcc, s33, v44
	v_addc_co_u32_e32 v2, vcc, 0, v2, vcc
	global_load_dwordx4 v[13:16], v[1:2], off
.LBB253_8:                              ;   in Loop: Header=BB253_4 Depth=1
	s_or_b64 exec, exec, s[6:7]
	v_mov_b32_e32 v2, s83
	v_add_co_u32_e32 v1, vcc, s82, v47
	v_addc_co_u32_e32 v2, vcc, v48, v2, vcc
	v_cmp_gt_u64_e64 s[6:7], s[26:27], v[1:2]
	v_mov_b32_e32 v3, 0
	v_mov_b32_e32 v11, 0
	;; [unrolled: 1-line block ×6, first 2 shown]
	s_and_saveexec_b64 s[8:9], s[6:7]
	s_cbranch_execz .LBB253_10
; %bb.9:                                ;   in Loop: Header=BB253_4 Depth=1
	v_mov_b32_e32 v2, s62
	v_add_co_u32_e32 v1, vcc, s33, v46
	v_addc_co_u32_e32 v2, vcc, v2, v45, vcc
	global_load_dwordx4 v[9:12], v[1:2], off offset:-8
.LBB253_10:                             ;   in Loop: Header=BB253_4 Depth=1
	s_or_b64 exec, exec, s[8:9]
	v_mov_b32_e32 v2, s83
	v_add_co_u32_e32 v1, vcc, s82, v42
	v_addc_co_u32_e32 v2, vcc, v43, v2, vcc
	v_cmp_gt_u64_e64 s[8:9], s[26:27], v[1:2]
	v_mov_b32_e32 v1, 0
	v_mov_b32_e32 v2, 0
	s_and_saveexec_b64 s[10:11], s[8:9]
	s_cbranch_execz .LBB253_12
; %bb.11:                               ;   in Loop: Header=BB253_4 Depth=1
	v_mov_b32_e32 v2, s62
	v_add_co_u32_e32 v1, vcc, s33, v20
	v_addc_co_u32_e32 v2, vcc, v2, v21, vcc
	global_load_dwordx4 v[1:4], v[1:2], off offset:-8
.LBB253_12:                             ;   in Loop: Header=BB253_4 Depth=1
	s_or_b64 exec, exec, s[10:11]
	s_waitcnt vmcnt(0)
	v_xor_b32_e32 v25, 0x80000000, v8
	v_and_b32_e32 v30, 0x7fffffff, v25
	v_or_b32_e32 v18, v30, v7
	v_mov_b32_e32 v24, v7
	v_cmp_ne_u32_e32 vcc, 0, v18
                                        ; implicit-def: $vgpr26_vgpr27
	s_and_saveexec_b64 s[10:11], vcc
	s_xor_b64 s[36:37], exec, s[10:11]
	s_cbranch_execz .LBB253_54
; %bb.13:                               ;   in Loop: Header=BB253_4 Depth=1
	v_xor_b32_e32 v29, 0x80000000, v6
	v_and_b32_e32 v18, 0x7fffffff, v29
	v_or_b32_e32 v24, v18, v5
	v_mov_b32_e32 v28, v5
	v_cmp_ne_u32_e32 vcc, 0, v24
                                        ; implicit-def: $vgpr26_vgpr27
	s_and_saveexec_b64 s[10:11], vcc
	s_xor_b64 s[84:85], exec, s[10:11]
	s_cbranch_execz .LBB253_43
; %bb.14:                               ;   in Loop: Header=BB253_4 Depth=1
	s_mov_b32 s10, 0x7ff00000
	v_cmp_gt_u32_e32 vcc, s10, v30
                                        ; implicit-def: $vgpr26_vgpr27
	s_and_saveexec_b64 s[10:11], vcc
	s_xor_b64 s[86:87], exec, s[10:11]
	s_cbranch_execz .LBB253_36
; %bb.15:                               ;   in Loop: Header=BB253_4 Depth=1
	v_add_u32_e32 v18, 0xbf79d1be, v29
	s_mov_b32 s10, 0x108aa2
	v_cmp_lt_u32_e32 vcc, s10, v18
                                        ; implicit-def: $vgpr26_vgpr27
	s_and_saveexec_b64 s[10:11], vcc
	s_xor_b64 s[12:13], exec, s[10:11]
	s_cbranch_execz .LBB253_25
; %bb.16:                               ;   in Loop: Header=BB253_4 Depth=1
	s_mov_b32 s10, 0
	s_mov_b32 s11, 0x41d00000
	v_cmp_nlt_f64_e64 s[10:11], |v[7:8]|, s[10:11]
                                        ; implicit-def: $vgpr24
                                        ; implicit-def: $vgpr26_vgpr27
                                        ; implicit-def: $vgpr32_vgpr33
	s_and_saveexec_b64 s[88:89], s[10:11]
	s_xor_b64 s[88:89], exec, s[88:89]
	s_cbranch_execz .LBB253_18
; %bb.17:                               ;   in Loop: Header=BB253_4 Depth=1
	v_trig_preop_f64 v[26:27], |v[7:8]|, 0
	s_mov_b32 vcc_lo, 0
	s_movk_i32 s20, 0xff80
	s_mov_b32 vcc_hi, 0x7b000000
	v_ldexp_f64 v[28:29], |v[7:8]|, s20
	v_cmp_ge_f64_e64 vcc, |v[7:8]|, vcc
	v_trig_preop_f64 v[30:31], |v[7:8]|, 1
	v_and_b32_e32 v18, 0x7fffffff, v8
	v_trig_preop_f64 v[38:39], |v[7:8]|, 2
	s_mov_b32 s90, s28
	s_mov_b32 s95, s93
	v_cndmask_b32_e32 v29, v18, v29, vcc
	v_cndmask_b32_e32 v28, v7, v28, vcc
	s_mov_b32 vcc_lo, 0
	v_mul_f64 v[32:33], v[26:27], v[28:29]
	s_mov_b32 vcc_hi, 0x7ff00000
	v_mul_f64 v[34:35], v[30:31], v[28:29]
	v_mul_f64 v[57:58], v[38:39], v[28:29]
	v_fma_f64 v[26:27], v[26:27], v[28:29], -v[32:33]
	v_fma_f64 v[30:31], v[30:31], v[28:29], -v[34:35]
	v_fma_f64 v[28:29], v[38:39], v[28:29], -v[57:58]
	v_add_f64 v[36:37], v[34:35], v[26:27]
	v_add_f64 v[53:54], v[36:37], -v[34:35]
	v_add_f64 v[59:60], v[32:33], v[36:37]
	v_add_f64 v[55:56], v[36:37], -v[53:54]
	v_add_f64 v[26:27], v[26:27], -v[53:54]
	v_add_f64 v[53:54], v[57:58], v[30:31]
	v_add_f64 v[32:33], v[59:60], -v[32:33]
	v_add_f64 v[34:35], v[34:35], -v[55:56]
	v_ldexp_f64 v[55:56], v[59:60], -2
	v_add_f64 v[61:62], v[53:54], -v[57:58]
	v_add_f64 v[32:33], v[36:37], -v[32:33]
	v_add_f64 v[26:27], v[26:27], v[34:35]
	v_fract_f64_e32 v[34:35], v[55:56]
	v_cmp_neq_f64_e64 vcc, |v[55:56]|, vcc
	v_add_f64 v[30:31], v[30:31], -v[61:62]
	v_add_f64 v[36:37], v[53:54], v[26:27]
	v_ldexp_f64 v[34:35], v[34:35], 2
	v_add_f64 v[55:56], v[32:33], v[36:37]
	v_cndmask_b32_e32 v35, 0, v35, vcc
	v_cndmask_b32_e32 v34, 0, v34, vcc
	v_add_f64 v[63:64], v[36:37], -v[53:54]
	v_add_f64 v[59:60], v[55:56], v[34:35]
	v_add_f64 v[32:33], v[55:56], -v[32:33]
	v_add_f64 v[65:66], v[36:37], -v[63:64]
	;; [unrolled: 1-line block ×3, first 2 shown]
	v_cmp_gt_f64_e32 vcc, 0, v[59:60]
	v_add_f64 v[59:60], v[53:54], -v[61:62]
	v_add_f64 v[32:33], v[36:37], -v[32:33]
	;; [unrolled: 1-line block ×3, first 2 shown]
	v_cndmask_b32_e32 v18, 0, v49, vcc
	v_add_f64 v[34:35], v[34:35], v[17:18]
	v_add_f64 v[59:60], v[57:58], -v[59:60]
	v_add_f64 v[26:27], v[26:27], v[53:54]
	v_add_f64 v[67:68], v[55:56], v[34:35]
	;; [unrolled: 1-line block ×3, first 2 shown]
	v_cvt_i32_f64_e32 v24, v[67:68]
	v_add_f64 v[26:27], v[30:31], v[26:27]
	v_cvt_f64_i32_e32 v[61:62], v24
	v_add_f64 v[34:35], v[34:35], -v[61:62]
	v_add_f64 v[26:27], v[28:29], v[26:27]
	v_add_f64 v[30:31], v[55:56], v[34:35]
	;; [unrolled: 1-line block ×3, first 2 shown]
	v_add_f64 v[28:29], v[30:31], -v[34:35]
	v_cmp_le_f64_e32 vcc, 0.5, v[30:31]
	v_add_f64 v[28:29], v[55:56], -v[28:29]
	v_cndmask_b32_e32 v18, 0, v50, vcc
	v_addc_co_u32_e32 v24, vcc, 0, v24, vcc
	v_add_f64 v[26:27], v[26:27], v[28:29]
	v_add_f64 v[28:29], v[30:31], -v[17:18]
	v_add_f64 v[30:31], v[28:29], v[26:27]
	v_mul_f64 v[32:33], v[30:31], s[90:91]
	v_add_f64 v[28:29], v[30:31], -v[28:29]
	v_fma_f64 v[34:35], v[30:31], s[90:91], -v[32:33]
	v_add_f64 v[26:27], v[26:27], -v[28:29]
	v_fma_f64 v[28:29], v[30:31], s[94:95], v[34:35]
	v_fma_f64 v[28:29], v[26:27], s[90:91], v[28:29]
	v_add_f64 v[26:27], v[32:33], v[28:29]
	v_add_f64 v[30:31], v[26:27], -v[32:33]
	v_add_f64 v[32:33], v[28:29], -v[30:31]
	s_andn2_saveexec_b64 s[88:89], s[88:89]
	s_cbranch_execz .LBB253_20
	s_branch .LBB253_19
.LBB253_18:                             ;   in Loop: Header=BB253_4 Depth=1
	s_andn2_saveexec_b64 s[88:89], s[88:89]
	s_cbranch_execz .LBB253_20
.LBB253_19:                             ;   in Loop: Header=BB253_4 Depth=1
	s_mov_b32 vcc_lo, 0x6dc9c883
	s_mov_b32 vcc_hi, 0x3fe45f30
	v_mul_f64 v[26:27], |v[7:8]|, vcc
	s_mov_b32 s92, s34
	s_mov_b32 vcc_lo, 0x252049c0
	s_mov_b32 vcc_hi, 0xb97b839a
	v_rndne_f64_e32 v[28:29], v[26:27]
	v_fma_f64 v[26:27], v[28:29], s[28:29], |v[7:8]|
	v_mul_f64 v[30:31], v[28:29], s[34:35]
	v_cvt_i32_f64_e32 v24, v[28:29]
	v_fma_f64 v[36:37], v[28:29], s[34:35], v[26:27]
	v_add_f64 v[32:33], v[26:27], v[30:31]
	v_add_f64 v[34:35], v[26:27], -v[32:33]
	v_add_f64 v[32:33], v[32:33], -v[36:37]
	v_add_f64 v[26:27], v[34:35], v[30:31]
	v_fma_f64 v[30:31], v[28:29], s[92:93], v[30:31]
	v_add_f64 v[26:27], v[32:33], v[26:27]
	v_add_f64 v[26:27], v[26:27], -v[30:31]
	v_fma_f64 v[30:31], v[28:29], vcc, v[26:27]
	v_add_f64 v[26:27], v[36:37], v[30:31]
	v_add_f64 v[32:33], v[26:27], -v[36:37]
	v_add_f64 v[32:33], v[30:31], -v[32:33]
.LBB253_20:                             ;   in Loop: Header=BB253_4 Depth=1
	s_or_b64 exec, exec, s[88:89]
                                        ; implicit-def: $vgpr18
                                        ; implicit-def: $vgpr28_vgpr29
                                        ; implicit-def: $vgpr30_vgpr31
	s_and_saveexec_b64 s[88:89], s[10:11]
	s_xor_b64 s[10:11], exec, s[88:89]
	s_cbranch_execz .LBB253_22
; %bb.21:                               ;   in Loop: Header=BB253_4 Depth=1
	v_trig_preop_f64 v[28:29], |v[7:8]|, 0
	s_mov_b32 s88, 0
	s_movk_i32 s20, 0xff80
	s_mov_b32 s89, 0x7b000000
	v_ldexp_f64 v[30:31], |v[7:8]|, s20
	v_cmp_ge_f64_e64 vcc, |v[7:8]|, s[88:89]
	v_trig_preop_f64 v[34:35], |v[7:8]|, 1
	v_and_b32_e32 v18, 0x7fffffff, v8
	v_trig_preop_f64 v[55:56], |v[7:8]|, 2
	s_mov_b32 s88, 0
	s_mov_b32 s89, 0x7ff00000
	;; [unrolled: 1-line block ×4, first 2 shown]
	v_cndmask_b32_e32 v31, v18, v31, vcc
	v_cndmask_b32_e32 v30, v7, v30, vcc
	v_mul_f64 v[36:37], v[28:29], v[30:31]
	v_mul_f64 v[38:39], v[34:35], v[30:31]
	;; [unrolled: 1-line block ×3, first 2 shown]
	v_fma_f64 v[28:29], v[28:29], v[30:31], -v[36:37]
	v_fma_f64 v[34:35], v[34:35], v[30:31], -v[38:39]
	;; [unrolled: 1-line block ×3, first 2 shown]
	v_add_f64 v[53:54], v[38:39], v[28:29]
	v_add_f64 v[57:58], v[53:54], -v[38:39]
	v_add_f64 v[63:64], v[36:37], v[53:54]
	v_add_f64 v[59:60], v[53:54], -v[57:58]
	v_add_f64 v[28:29], v[28:29], -v[57:58]
	v_add_f64 v[57:58], v[61:62], v[34:35]
	v_add_f64 v[36:37], v[63:64], -v[36:37]
	v_add_f64 v[38:39], v[38:39], -v[59:60]
	v_ldexp_f64 v[59:60], v[63:64], -2
	v_add_f64 v[65:66], v[57:58], -v[61:62]
	v_add_f64 v[36:37], v[53:54], -v[36:37]
	v_add_f64 v[28:29], v[28:29], v[38:39]
	v_fract_f64_e32 v[38:39], v[59:60]
	v_cmp_neq_f64_e64 vcc, |v[59:60]|, s[88:89]
	v_add_f64 v[34:35], v[34:35], -v[65:66]
	v_add_f64 v[53:54], v[57:58], v[28:29]
	v_ldexp_f64 v[38:39], v[38:39], 2
	v_add_f64 v[59:60], v[36:37], v[53:54]
	v_cndmask_b32_e32 v39, 0, v39, vcc
	v_cndmask_b32_e32 v38, 0, v38, vcc
	v_add_f64 v[67:68], v[53:54], -v[57:58]
	v_add_f64 v[63:64], v[59:60], v[38:39]
	v_add_f64 v[36:37], v[59:60], -v[36:37]
	v_add_f64 v[69:70], v[53:54], -v[67:68]
	;; [unrolled: 1-line block ×3, first 2 shown]
	v_cmp_gt_f64_e32 vcc, 0, v[63:64]
	v_add_f64 v[63:64], v[57:58], -v[65:66]
	v_add_f64 v[36:37], v[53:54], -v[36:37]
	;; [unrolled: 1-line block ×3, first 2 shown]
	v_cndmask_b32_e32 v18, 0, v49, vcc
	v_add_f64 v[38:39], v[38:39], v[17:18]
	v_add_f64 v[63:64], v[61:62], -v[63:64]
	v_add_f64 v[28:29], v[28:29], v[57:58]
	v_add_f64 v[71:72], v[59:60], v[38:39]
	;; [unrolled: 1-line block ×3, first 2 shown]
	v_cvt_i32_f64_e32 v67, v[71:72]
	v_add_f64 v[28:29], v[34:35], v[28:29]
	v_cvt_f64_i32_e32 v[65:66], v67
	v_add_f64 v[38:39], v[38:39], -v[65:66]
	v_add_f64 v[28:29], v[30:31], v[28:29]
	v_add_f64 v[34:35], v[59:60], v[38:39]
	;; [unrolled: 1-line block ×3, first 2 shown]
	v_add_f64 v[30:31], v[34:35], -v[38:39]
	v_cmp_le_f64_e32 vcc, 0.5, v[34:35]
	v_add_f64 v[30:31], v[59:60], -v[30:31]
	v_cndmask_b32_e32 v18, 0, v50, vcc
	v_add_f64 v[28:29], v[28:29], v[30:31]
	v_add_f64 v[30:31], v[34:35], -v[17:18]
	v_addc_co_u32_e32 v18, vcc, 0, v67, vcc
	v_add_f64 v[34:35], v[30:31], v[28:29]
	v_mul_f64 v[36:37], v[34:35], s[90:91]
	v_add_f64 v[30:31], v[34:35], -v[30:31]
	v_fma_f64 v[38:39], v[34:35], s[90:91], -v[36:37]
	v_add_f64 v[28:29], v[28:29], -v[30:31]
	v_fma_f64 v[30:31], v[34:35], s[94:95], v[38:39]
	v_fma_f64 v[30:31], v[28:29], s[90:91], v[30:31]
	v_add_f64 v[28:29], v[36:37], v[30:31]
	v_add_f64 v[34:35], v[28:29], -v[36:37]
	v_add_f64 v[30:31], v[30:31], -v[34:35]
	s_andn2_saveexec_b64 s[10:11], s[10:11]
	s_cbranch_execnz .LBB253_23
	s_branch .LBB253_24
.LBB253_22:                             ;   in Loop: Header=BB253_4 Depth=1
	s_andn2_saveexec_b64 s[10:11], s[10:11]
	s_cbranch_execz .LBB253_24
.LBB253_23:                             ;   in Loop: Header=BB253_4 Depth=1
	s_mov_b32 s88, 0x6dc9c883
	s_mov_b32 s89, 0x3fe45f30
	v_mul_f64 v[28:29], |v[7:8]|, s[88:89]
	s_mov_b32 s92, s34
	s_mov_b32 s88, 0x252049c0
	;; [unrolled: 1-line block ×3, first 2 shown]
	v_rndne_f64_e32 v[34:35], v[28:29]
	v_fma_f64 v[28:29], v[34:35], s[28:29], |v[7:8]|
	v_mul_f64 v[30:31], v[34:35], s[34:35]
	v_cvt_i32_f64_e32 v18, v[34:35]
	v_fma_f64 v[53:54], v[34:35], s[34:35], v[28:29]
	v_add_f64 v[36:37], v[28:29], v[30:31]
	v_add_f64 v[38:39], v[28:29], -v[36:37]
	v_add_f64 v[36:37], v[36:37], -v[53:54]
	v_add_f64 v[28:29], v[38:39], v[30:31]
	v_fma_f64 v[30:31], v[34:35], s[92:93], v[30:31]
	v_add_f64 v[28:29], v[36:37], v[28:29]
	v_add_f64 v[28:29], v[28:29], -v[30:31]
	v_fma_f64 v[30:31], v[34:35], s[88:89], v[28:29]
	v_add_f64 v[28:29], v[53:54], v[30:31]
	v_add_f64 v[36:37], v[28:29], -v[53:54]
	v_add_f64 v[30:31], v[30:31], -v[36:37]
.LBB253_24:                             ;   in Loop: Header=BB253_4 Depth=1
	s_or_b64 exec, exec, s[10:11]
	s_mov_b32 s38, s80
	v_mul_f64 v[34:35], v[5:6], s[38:39]
	s_mov_b32 s55, s15
	s_mov_b32 s57, s5
	v_cmp_ngt_f64_e32 vcc, s[22:23], v[5:6]
	v_cmp_nlt_f64_e64 s[10:11], s[30:31], v[5:6]
	v_mul_f64 v[59:60], v[32:33], 0.5
	s_mov_b32 s20, s4
	v_rndne_f64_e32 v[34:35], v[34:35]
	v_fma_f64 v[36:37], v[34:35], s[40:41], -v[5:6]
	v_fma_f64 v[36:37], v[34:35], s[42:43], v[36:37]
	v_cvt_i32_f64_e32 v34, v[34:35]
	v_fma_f64 v[38:39], v[36:37], s[44:45], v[22:23]
	v_fma_f64 v[38:39], v[36:37], v[38:39], s[46:47]
	;; [unrolled: 1-line block ×9, first 2 shown]
	v_fma_f64 v[38:39], v[36:37], v[38:39], 1.0
	v_fma_f64 v[36:37], v[36:37], v[38:39], 1.0
	v_ldexp_f64 v[34:35], v[36:37], v34
	v_cndmask_b32_e32 v35, v51, v35, vcc
	s_and_b64 vcc, s[10:11], vcc
	v_cndmask_b32_e32 v5, 0, v34, vcc
	v_cndmask_b32_e64 v6, 0, v35, s[10:11]
	v_mul_f64 v[34:35], v[26:27], v[26:27]
	s_mov_b32 s10, 0x9037ab78
	s_mov_b32 s11, 0x3e21eeb6
	v_mov_b32_e32 v56, s11
	v_mov_b32_e32 v55, s10
	s_mov_b32 s10, 0xb42fdfa7
	s_mov_b32 s11, 0xbe5ae600
	v_mul_f64 v[36:37], v[34:35], 0.5
	v_fma_f64 v[57:58], v[34:35], s[64:65], v[55:56]
	v_add_f64 v[38:39], -v[36:37], 1.0
	v_fma_f64 v[57:58], v[34:35], v[57:58], s[66:67]
	v_add_f64 v[53:54], -v[38:39], 1.0
	v_fma_f64 v[57:58], v[34:35], v[57:58], s[68:69]
	v_add_f64 v[36:37], v[53:54], -v[36:37]
	v_fma_f64 v[57:58], v[34:35], v[57:58], s[70:71]
	v_mul_f64 v[53:54], v[34:35], v[34:35]
	v_fma_f64 v[36:37], v[26:27], -v[32:33], v[36:37]
	v_fma_f64 v[57:58], v[34:35], v[57:58], s[4:5]
	v_fma_f64 v[36:37], v[53:54], v[57:58], v[36:37]
	v_mul_f64 v[57:58], v[26:27], -v[34:35]
	v_add_f64 v[36:37], v[38:39], v[36:37]
	v_mov_b32_e32 v39, s11
	v_mov_b32_e32 v38, s10
	v_fma_f64 v[53:54], v[34:35], s[74:75], v[38:39]
	v_fma_f64 v[53:54], v[34:35], v[53:54], s[76:77]
	;; [unrolled: 1-line block ×5, first 2 shown]
	v_fma_f64 v[32:33], v[34:35], v[53:54], -v[32:33]
	v_fma_f64 v[32:33], v[57:58], s[20:21], v[32:33]
	v_add_f64 v[26:27], v[26:27], -v[32:33]
	v_and_b32_e32 v32, 1, v24
	v_cmp_eq_u32_e32 vcc, 0, v32
	v_lshlrev_b32_e32 v24, 30, v24
	v_and_b32_e32 v24, 0x80000000, v24
	v_xor_b32_e32 v27, 0x80000000, v27
	v_cndmask_b32_e32 v26, v26, v36, vcc
	v_cndmask_b32_e32 v27, v27, v37, vcc
	v_cmp_class_f64_e64 vcc, v[7:8], s73
	v_xor_b32_e32 v24, v27, v24
	v_cndmask_b32_e32 v7, 0, v26, vcc
	v_cndmask_b32_e32 v8, v52, v24, vcc
	v_mul_f64 v[26:27], v[5:6], v[7:8]
	v_mul_f64 v[7:8], v[28:29], v[28:29]
	v_and_b32_e32 v24, 1, v18
	v_lshlrev_b32_e32 v18, 30, v18
	v_cmp_eq_u32_e64 s[10:11], 0, v24
	v_xor_b32_e32 v18, v18, v25
	v_and_b32_e32 v18, 0x80000000, v18
	v_mul_f64 v[32:33], v[7:8], 0.5
	v_fma_f64 v[53:54], v[7:8], s[64:65], v[55:56]
	v_add_f64 v[34:35], -v[32:33], 1.0
	v_fma_f64 v[53:54], v[7:8], v[53:54], s[66:67]
	v_add_f64 v[36:37], -v[34:35], 1.0
	v_fma_f64 v[53:54], v[7:8], v[53:54], s[68:69]
	v_add_f64 v[32:33], v[36:37], -v[32:33]
	v_fma_f64 v[53:54], v[7:8], v[53:54], s[70:71]
	v_mul_f64 v[36:37], v[7:8], v[7:8]
	v_fma_f64 v[32:33], v[28:29], -v[30:31], v[32:33]
	v_fma_f64 v[53:54], v[7:8], v[53:54], s[4:5]
	v_fma_f64 v[32:33], v[36:37], v[53:54], v[32:33]
	v_mul_f64 v[36:37], v[28:29], -v[7:8]
	v_add_f64 v[32:33], v[34:35], v[32:33]
	v_fma_f64 v[34:35], v[7:8], s[74:75], v[38:39]
	v_mul_f64 v[38:39], v[30:31], 0.5
	v_fma_f64 v[34:35], v[7:8], v[34:35], s[76:77]
	v_fma_f64 v[34:35], v[7:8], v[34:35], s[78:79]
	;; [unrolled: 1-line block ×4, first 2 shown]
	v_fma_f64 v[7:8], v[7:8], v[34:35], -v[30:31]
	v_fma_f64 v[7:8], v[36:37], s[20:21], v[7:8]
	v_add_f64 v[7:8], v[28:29], -v[7:8]
	v_cndmask_b32_e64 v8, v33, v8, s[10:11]
	v_cndmask_b32_e64 v7, v32, v7, s[10:11]
	v_xor_b32_e32 v8, v8, v18
	v_cndmask_b32_e32 v7, 0, v7, vcc
	v_cndmask_b32_e32 v8, v52, v8, vcc
	v_mul_f64 v[24:25], v[5:6], v[7:8]
                                        ; implicit-def: $vgpr7_vgpr8
.LBB253_25:                             ;   in Loop: Header=BB253_4 Depth=1
	s_andn2_saveexec_b64 s[88:89], s[12:13]
	s_cbranch_execz .LBB253_28
; %bb.26:                               ;   in Loop: Header=BB253_4 Depth=1
	s_mov_b32 s10, 0
	s_mov_b32 s11, 0x41d00000
	v_cmp_nlt_f64_e64 s[10:11], |v[7:8]|, s[10:11]
                                        ; implicit-def: $vgpr38
                                        ; implicit-def: $vgpr26_vgpr27
                                        ; implicit-def: $vgpr36_vgpr37
	s_and_saveexec_b64 s[12:13], s[10:11]
	s_xor_b64 s[12:13], exec, s[12:13]
	s_cbranch_execz .LBB253_29
; %bb.27:                               ;   in Loop: Header=BB253_4 Depth=1
	v_trig_preop_f64 v[26:27], |v[7:8]|, 0
	s_mov_b32 vcc_lo, 0
	s_movk_i32 s20, 0xff80
	s_mov_b32 vcc_hi, 0x7b000000
	v_ldexp_f64 v[28:29], |v[7:8]|, s20
	v_cmp_ge_f64_e64 vcc, |v[7:8]|, vcc
	v_trig_preop_f64 v[30:31], |v[7:8]|, 1
	v_and_b32_e32 v18, 0x7fffffff, v8
	v_trig_preop_f64 v[38:39], |v[7:8]|, 2
	s_mov_b32 s90, s28
	s_mov_b32 s95, s93
	v_cndmask_b32_e32 v29, v18, v29, vcc
	v_cndmask_b32_e32 v28, v7, v28, vcc
	s_mov_b32 vcc_lo, 0
	v_mul_f64 v[32:33], v[26:27], v[28:29]
	s_mov_b32 vcc_hi, 0x7ff00000
	v_mul_f64 v[34:35], v[30:31], v[28:29]
	v_mul_f64 v[57:58], v[38:39], v[28:29]
	v_fma_f64 v[26:27], v[26:27], v[28:29], -v[32:33]
	v_fma_f64 v[30:31], v[30:31], v[28:29], -v[34:35]
	;; [unrolled: 1-line block ×3, first 2 shown]
	v_add_f64 v[36:37], v[34:35], v[26:27]
	v_add_f64 v[53:54], v[36:37], -v[34:35]
	v_add_f64 v[59:60], v[32:33], v[36:37]
	v_add_f64 v[55:56], v[36:37], -v[53:54]
	v_add_f64 v[26:27], v[26:27], -v[53:54]
	v_add_f64 v[53:54], v[57:58], v[30:31]
	v_add_f64 v[32:33], v[59:60], -v[32:33]
	v_add_f64 v[34:35], v[34:35], -v[55:56]
	v_ldexp_f64 v[55:56], v[59:60], -2
	v_add_f64 v[61:62], v[53:54], -v[57:58]
	v_add_f64 v[32:33], v[36:37], -v[32:33]
	v_add_f64 v[26:27], v[26:27], v[34:35]
	v_fract_f64_e32 v[34:35], v[55:56]
	v_cmp_neq_f64_e64 vcc, |v[55:56]|, vcc
	v_add_f64 v[30:31], v[30:31], -v[61:62]
	v_add_f64 v[36:37], v[53:54], v[26:27]
	v_ldexp_f64 v[34:35], v[34:35], 2
	v_add_f64 v[55:56], v[32:33], v[36:37]
	v_cndmask_b32_e32 v35, 0, v35, vcc
	v_cndmask_b32_e32 v34, 0, v34, vcc
	v_add_f64 v[63:64], v[36:37], -v[53:54]
	v_add_f64 v[59:60], v[55:56], v[34:35]
	v_add_f64 v[32:33], v[55:56], -v[32:33]
	v_add_f64 v[65:66], v[36:37], -v[63:64]
	;; [unrolled: 1-line block ×3, first 2 shown]
	v_cmp_gt_f64_e32 vcc, 0, v[59:60]
	v_add_f64 v[59:60], v[53:54], -v[61:62]
	v_add_f64 v[32:33], v[36:37], -v[32:33]
	;; [unrolled: 1-line block ×3, first 2 shown]
	v_cndmask_b32_e32 v18, 0, v49, vcc
	v_add_f64 v[34:35], v[34:35], v[17:18]
	v_add_f64 v[59:60], v[57:58], -v[59:60]
	v_add_f64 v[26:27], v[26:27], v[53:54]
	v_add_f64 v[67:68], v[55:56], v[34:35]
	;; [unrolled: 1-line block ×3, first 2 shown]
	v_cvt_i32_f64_e32 v24, v[67:68]
	v_add_f64 v[26:27], v[30:31], v[26:27]
	v_cvt_f64_i32_e32 v[61:62], v24
	v_add_f64 v[34:35], v[34:35], -v[61:62]
	v_add_f64 v[26:27], v[28:29], v[26:27]
	v_add_f64 v[30:31], v[55:56], v[34:35]
	v_add_f64 v[26:27], v[32:33], v[26:27]
	v_add_f64 v[28:29], v[30:31], -v[34:35]
	v_cmp_le_f64_e32 vcc, 0.5, v[30:31]
	v_add_f64 v[28:29], v[55:56], -v[28:29]
	v_cndmask_b32_e32 v18, 0, v50, vcc
	v_addc_co_u32_e32 v38, vcc, 0, v24, vcc
	v_add_f64 v[26:27], v[26:27], v[28:29]
	v_add_f64 v[28:29], v[30:31], -v[17:18]
	v_add_f64 v[30:31], v[28:29], v[26:27]
	v_mul_f64 v[32:33], v[30:31], s[90:91]
	v_add_f64 v[28:29], v[30:31], -v[28:29]
	v_fma_f64 v[34:35], v[30:31], s[90:91], -v[32:33]
	v_add_f64 v[26:27], v[26:27], -v[28:29]
	v_fma_f64 v[28:29], v[30:31], s[94:95], v[34:35]
	v_fma_f64 v[28:29], v[26:27], s[90:91], v[28:29]
	v_add_f64 v[26:27], v[32:33], v[28:29]
	v_add_f64 v[30:31], v[26:27], -v[32:33]
	v_add_f64 v[36:37], v[28:29], -v[30:31]
	s_andn2_saveexec_b64 s[12:13], s[12:13]
	s_cbranch_execz .LBB253_31
	s_branch .LBB253_30
.LBB253_28:                             ;   in Loop: Header=BB253_4 Depth=1
	s_or_b64 exec, exec, s[88:89]
                                        ; implicit-def: $vgpr28_vgpr29
                                        ; implicit-def: $vgpr5_vgpr6
                                        ; implicit-def: $vgpr18
	s_andn2_saveexec_b64 s[12:13], s[86:87]
	s_cbranch_execnz .LBB253_37
	s_branch .LBB253_42
.LBB253_29:                             ;   in Loop: Header=BB253_4 Depth=1
	s_andn2_saveexec_b64 s[12:13], s[12:13]
	s_cbranch_execz .LBB253_31
.LBB253_30:                             ;   in Loop: Header=BB253_4 Depth=1
	s_mov_b32 vcc_lo, 0x6dc9c883
	s_mov_b32 vcc_hi, 0x3fe45f30
	v_mul_f64 v[26:27], |v[7:8]|, vcc
	s_mov_b32 s92, s34
	s_mov_b32 vcc_lo, 0x252049c0
	s_mov_b32 vcc_hi, 0xb97b839a
	v_rndne_f64_e32 v[28:29], v[26:27]
	v_fma_f64 v[26:27], v[28:29], s[28:29], |v[7:8]|
	v_mul_f64 v[30:31], v[28:29], s[34:35]
	v_cvt_i32_f64_e32 v38, v[28:29]
	v_fma_f64 v[36:37], v[28:29], s[34:35], v[26:27]
	v_add_f64 v[32:33], v[26:27], v[30:31]
	v_add_f64 v[34:35], v[26:27], -v[32:33]
	v_add_f64 v[32:33], v[32:33], -v[36:37]
	v_add_f64 v[26:27], v[34:35], v[30:31]
	v_fma_f64 v[30:31], v[28:29], s[92:93], v[30:31]
	v_add_f64 v[26:27], v[32:33], v[26:27]
	v_add_f64 v[26:27], v[26:27], -v[30:31]
	v_fma_f64 v[30:31], v[28:29], vcc, v[26:27]
	v_add_f64 v[26:27], v[36:37], v[30:31]
	v_add_f64 v[32:33], v[26:27], -v[36:37]
	v_add_f64 v[36:37], v[30:31], -v[32:33]
.LBB253_31:                             ;   in Loop: Header=BB253_4 Depth=1
	s_or_b64 exec, exec, s[12:13]
                                        ; implicit-def: $vgpr24
                                        ; implicit-def: $vgpr28_vgpr29
                                        ; implicit-def: $vgpr30_vgpr31
	s_and_saveexec_b64 s[12:13], s[10:11]
	s_xor_b64 s[10:11], exec, s[12:13]
	s_cbranch_execz .LBB253_33
; %bb.32:                               ;   in Loop: Header=BB253_4 Depth=1
	v_trig_preop_f64 v[28:29], |v[7:8]|, 0
	s_movk_i32 s12, 0xff80
	v_ldexp_f64 v[30:31], |v[7:8]|, s12
	s_mov_b32 s12, 0
	s_mov_b32 s13, 0x7b000000
	v_cmp_ge_f64_e64 vcc, |v[7:8]|, s[12:13]
	v_trig_preop_f64 v[32:33], |v[7:8]|, 1
	v_and_b32_e32 v18, 0x7fffffff, v8
	v_trig_preop_f64 v[57:58], |v[7:8]|, 2
	s_mov_b32 s12, 0
	s_mov_b32 s13, 0x7ff00000
	;; [unrolled: 1-line block ×4, first 2 shown]
	v_cndmask_b32_e32 v31, v18, v31, vcc
	v_cndmask_b32_e32 v30, v7, v30, vcc
	v_mul_f64 v[34:35], v[28:29], v[30:31]
	v_mul_f64 v[53:54], v[32:33], v[30:31]
	;; [unrolled: 1-line block ×3, first 2 shown]
	v_fma_f64 v[28:29], v[28:29], v[30:31], -v[34:35]
	v_fma_f64 v[32:33], v[32:33], v[30:31], -v[53:54]
	;; [unrolled: 1-line block ×3, first 2 shown]
	v_add_f64 v[55:56], v[53:54], v[28:29]
	v_add_f64 v[59:60], v[55:56], -v[53:54]
	v_add_f64 v[65:66], v[34:35], v[55:56]
	v_add_f64 v[61:62], v[55:56], -v[59:60]
	v_add_f64 v[28:29], v[28:29], -v[59:60]
	v_add_f64 v[59:60], v[63:64], v[32:33]
	v_add_f64 v[34:35], v[65:66], -v[34:35]
	v_add_f64 v[53:54], v[53:54], -v[61:62]
	v_ldexp_f64 v[61:62], v[65:66], -2
	v_add_f64 v[67:68], v[59:60], -v[63:64]
	v_add_f64 v[34:35], v[55:56], -v[34:35]
	v_add_f64 v[28:29], v[28:29], v[53:54]
	v_fract_f64_e32 v[53:54], v[61:62]
	v_cmp_neq_f64_e64 vcc, |v[61:62]|, s[12:13]
	v_add_f64 v[32:33], v[32:33], -v[67:68]
	v_add_f64 v[55:56], v[59:60], v[28:29]
	v_ldexp_f64 v[53:54], v[53:54], 2
	v_add_f64 v[61:62], v[34:35], v[55:56]
	v_cndmask_b32_e32 v54, 0, v54, vcc
	v_cndmask_b32_e32 v53, 0, v53, vcc
	v_add_f64 v[69:70], v[55:56], -v[59:60]
	v_add_f64 v[65:66], v[61:62], v[53:54]
	v_add_f64 v[34:35], v[61:62], -v[34:35]
	v_add_f64 v[71:72], v[55:56], -v[69:70]
	;; [unrolled: 1-line block ×3, first 2 shown]
	v_cmp_gt_f64_e32 vcc, 0, v[65:66]
	v_add_f64 v[65:66], v[59:60], -v[67:68]
	v_add_f64 v[34:35], v[55:56], -v[34:35]
	;; [unrolled: 1-line block ×3, first 2 shown]
	v_cndmask_b32_e32 v18, 0, v49, vcc
	v_add_f64 v[53:54], v[53:54], v[17:18]
	v_add_f64 v[65:66], v[63:64], -v[65:66]
	v_add_f64 v[28:29], v[28:29], v[59:60]
	v_add_f64 v[73:74], v[61:62], v[53:54]
	;; [unrolled: 1-line block ×3, first 2 shown]
	v_cvt_i32_f64_e32 v24, v[73:74]
	v_add_f64 v[28:29], v[32:33], v[28:29]
	v_cvt_f64_i32_e32 v[67:68], v24
	v_add_f64 v[53:54], v[53:54], -v[67:68]
	v_add_f64 v[28:29], v[30:31], v[28:29]
	v_add_f64 v[32:33], v[61:62], v[53:54]
	;; [unrolled: 1-line block ×3, first 2 shown]
	v_add_f64 v[30:31], v[32:33], -v[53:54]
	v_cmp_le_f64_e32 vcc, 0.5, v[32:33]
	v_add_f64 v[30:31], v[61:62], -v[30:31]
	v_cndmask_b32_e32 v18, 0, v50, vcc
	v_addc_co_u32_e32 v24, vcc, 0, v24, vcc
	v_add_f64 v[28:29], v[28:29], v[30:31]
	v_add_f64 v[30:31], v[32:33], -v[17:18]
	v_add_f64 v[32:33], v[30:31], v[28:29]
	v_mul_f64 v[34:35], v[32:33], s[90:91]
	v_add_f64 v[30:31], v[32:33], -v[30:31]
	v_fma_f64 v[53:54], v[32:33], s[90:91], -v[34:35]
	v_add_f64 v[28:29], v[28:29], -v[30:31]
	v_fma_f64 v[30:31], v[32:33], s[94:95], v[53:54]
	v_fma_f64 v[30:31], v[28:29], s[90:91], v[30:31]
	v_add_f64 v[28:29], v[34:35], v[30:31]
	v_add_f64 v[32:33], v[28:29], -v[34:35]
	v_add_f64 v[30:31], v[30:31], -v[32:33]
	s_andn2_saveexec_b64 s[10:11], s[10:11]
	s_cbranch_execnz .LBB253_34
	s_branch .LBB253_35
.LBB253_33:                             ;   in Loop: Header=BB253_4 Depth=1
	s_andn2_saveexec_b64 s[10:11], s[10:11]
	s_cbranch_execz .LBB253_35
.LBB253_34:                             ;   in Loop: Header=BB253_4 Depth=1
	s_mov_b32 s12, 0x6dc9c883
	s_mov_b32 s13, 0x3fe45f30
	v_mul_f64 v[28:29], |v[7:8]|, s[12:13]
	s_mov_b32 s92, s34
	s_mov_b32 s12, 0x252049c0
	;; [unrolled: 1-line block ×3, first 2 shown]
	v_rndne_f64_e32 v[32:33], v[28:29]
	v_fma_f64 v[28:29], v[32:33], s[28:29], |v[7:8]|
	v_mul_f64 v[30:31], v[32:33], s[34:35]
	v_cvt_i32_f64_e32 v24, v[32:33]
	v_fma_f64 v[55:56], v[32:33], s[34:35], v[28:29]
	v_add_f64 v[34:35], v[28:29], v[30:31]
	v_add_f64 v[53:54], v[28:29], -v[34:35]
	v_add_f64 v[34:35], v[34:35], -v[55:56]
	v_add_f64 v[28:29], v[53:54], v[30:31]
	v_fma_f64 v[30:31], v[32:33], s[92:93], v[30:31]
	v_add_f64 v[28:29], v[34:35], v[28:29]
	v_add_f64 v[28:29], v[28:29], -v[30:31]
	v_fma_f64 v[30:31], v[32:33], s[12:13], v[28:29]
	v_add_f64 v[28:29], v[55:56], v[30:31]
	v_add_f64 v[34:35], v[28:29], -v[55:56]
	v_add_f64 v[30:31], v[30:31], -v[34:35]
.LBB253_35:                             ;   in Loop: Header=BB253_4 Depth=1
	s_or_b64 exec, exec, s[10:11]
	v_cmp_class_f64_e64 vcc, v[7:8], s73
	v_and_b32_e32 v7, 1, v38
	v_cmp_eq_u32_e64 s[10:11], 0, v7
	v_mul_f64 v[7:8], v[26:27], v[26:27]
	s_mov_b32 s12, 0x9037ab78
	s_mov_b32 s13, 0x3e21eeb6
	v_mov_b32_e32 v35, s13
	v_mov_b32_e32 v34, s12
	s_mov_b32 s12, 0xb42fdfa7
	s_mov_b32 s13, 0xbe5ae600
	;; [unrolled: 1-line block ×3, first 2 shown]
	v_mul_f64 v[32:33], v[7:8], 0.5
	v_fma_f64 v[57:58], v[7:8], s[64:65], v[34:35]
	v_mul_f64 v[55:56], v[7:8], v[7:8]
	v_lshlrev_b32_e32 v18, 30, v38
	v_and_b32_e32 v18, 0x80000000, v18
	s_mov_b32 s55, s15
	s_mov_b32 s57, s5
	v_add_f64 v[53:54], -v[32:33], 1.0
	v_fma_f64 v[57:58], v[7:8], v[57:58], s[66:67]
	v_add_f64 v[59:60], -v[53:54], 1.0
	v_fma_f64 v[57:58], v[7:8], v[57:58], s[68:69]
	v_add_f64 v[32:33], v[59:60], -v[32:33]
	v_fma_f64 v[57:58], v[7:8], v[57:58], s[70:71]
	v_mul_f64 v[59:60], v[36:37], 0.5
	v_fma_f64 v[32:33], v[26:27], -v[36:37], v[32:33]
	v_fma_f64 v[57:58], v[7:8], v[57:58], s[4:5]
	v_fma_f64 v[32:33], v[55:56], v[57:58], v[32:33]
	v_mul_f64 v[55:56], v[26:27], -v[7:8]
	v_add_f64 v[53:54], v[53:54], v[32:33]
	v_mov_b32_e32 v33, s13
	v_mov_b32_e32 v32, s12
	v_fma_f64 v[57:58], v[7:8], s[74:75], v[32:33]
	s_mov_b32 s12, 0
	s_mov_b32 s13, 0xc090cc00
	v_fma_f64 v[57:58], v[7:8], v[57:58], s[76:77]
	v_fma_f64 v[57:58], v[7:8], v[57:58], s[78:79]
	;; [unrolled: 1-line block ×4, first 2 shown]
	v_fma_f64 v[7:8], v[7:8], v[57:58], -v[36:37]
	v_fma_f64 v[7:8], v[55:56], s[20:21], v[7:8]
	v_add_f64 v[7:8], v[26:27], -v[7:8]
	v_xor_b32_e32 v8, 0x80000000, v8
	v_cndmask_b32_e64 v7, v7, v53, s[10:11]
	v_cndmask_b32_e64 v8, v8, v54, s[10:11]
	s_mov_b32 s10, 0x19ba0da4
	s_mov_b32 s11, 0xc0937be3
	v_add_f64 v[5:6], -v[5:6], s[10:11]
	v_xor_b32_e32 v8, v8, v18
	v_cndmask_b32_e32 v26, 0, v7, vcc
	v_cndmask_b32_e32 v27, v52, v8, vcc
	s_mov_b32 s10, 0
	s_mov_b32 s11, 0x40900000
	v_mul_f64 v[7:8], v[5:6], s[80:81]
	v_cmp_nlt_f64_e64 s[10:11], s[10:11], v[5:6]
	v_cmp_ngt_f64_e64 s[12:13], s[12:13], v[5:6]
	v_rndne_f64_e32 v[7:8], v[7:8]
	v_fma_f64 v[36:37], v[7:8], s[40:41], v[5:6]
	v_fma_f64 v[36:37], v[7:8], s[42:43], v[36:37]
	v_cvt_i32_f64_e32 v7, v[7:8]
	v_fma_f64 v[38:39], v[36:37], s[44:45], v[22:23]
	v_fma_f64 v[38:39], v[36:37], v[38:39], s[46:47]
	v_fma_f64 v[38:39], v[36:37], v[38:39], s[48:49]
	v_fma_f64 v[38:39], v[36:37], v[38:39], s[50:51]
	v_fma_f64 v[38:39], v[36:37], v[38:39], s[52:53]
	v_fma_f64 v[38:39], v[36:37], v[38:39], s[54:55]
	v_fma_f64 v[38:39], v[36:37], v[38:39], s[56:57]
	v_fma_f64 v[38:39], v[36:37], v[38:39], s[58:59]
	v_fma_f64 v[38:39], v[36:37], v[38:39], s[60:61]
	v_fma_f64 v[38:39], v[36:37], v[38:39], 1.0
	v_fma_f64 v[36:37], v[36:37], v[38:39], 1.0
	v_ldexp_f64 v[7:8], v[36:37], v7
	v_cndmask_b32_e64 v8, v51, v8, s[10:11]
	v_cndmask_b32_e64 v18, 0, v8, s[12:13]
	s_and_b64 s[10:11], s[12:13], s[10:11]
	v_and_b32_e32 v5, 0xfffff, v18
	v_cndmask_b32_e64 v7, 0, v7, s[10:11]
	v_or_b32_e32 v8, 0x7fe00000, v5
	v_mul_f64 v[5:6], v[7:8], v[26:27]
	v_lshrrev_b32_e32 v18, 20, v18
	v_add_u32_e32 v36, 0xffffff09, v18
	v_lshrrev_b16_e32 v18, 15, v36
	v_add_u16_e32 v18, v36, v18
	v_ashrrev_i16_e32 v18, 1, v18
	v_bfe_i32 v37, v18, 0, 16
	v_lshl_add_u32 v18, v37, 20, v50
	v_mul_f64 v[26:27], v[5:6], v[17:18]
	v_sub_u32_e32 v5, v36, v37
	v_mul_f64 v[36:37], v[28:29], v[28:29]
	v_lshl_add_u32 v6, v5, 20, v50
	v_mov_b32_e32 v5, v17
	v_mul_f64 v[26:27], v[26:27], v[5:6]
	v_mul_f64 v[38:39], v[36:37], 0.5
	v_fma_f64 v[34:35], v[36:37], s[64:65], v[34:35]
	v_fma_f64 v[32:33], v[36:37], s[74:75], v[32:33]
	v_add_f64 v[53:54], -v[38:39], 1.0
	v_fma_f64 v[34:35], v[36:37], v[34:35], s[66:67]
	v_fma_f64 v[32:33], v[36:37], v[32:33], s[76:77]
	v_add_f64 v[55:56], -v[53:54], 1.0
	v_fma_f64 v[34:35], v[36:37], v[34:35], s[68:69]
	v_fma_f64 v[32:33], v[36:37], v[32:33], s[78:79]
	v_add_f64 v[38:39], v[55:56], -v[38:39]
	v_fma_f64 v[34:35], v[36:37], v[34:35], s[70:71]
	v_mul_f64 v[55:56], v[36:37], v[36:37]
	v_fma_f64 v[32:33], v[36:37], v[32:33], s[14:15]
	v_fma_f64 v[38:39], v[28:29], -v[30:31], v[38:39]
	v_fma_f64 v[34:35], v[36:37], v[34:35], s[4:5]
	v_fma_f64 v[34:35], v[55:56], v[34:35], v[38:39]
	v_mul_f64 v[38:39], v[28:29], -v[36:37]
	v_add_f64 v[34:35], v[53:54], v[34:35]
	v_mul_f64 v[53:54], v[30:31], 0.5
	v_fma_f64 v[32:33], v[38:39], v[32:33], v[53:54]
	v_fma_f64 v[30:31], v[36:37], v[32:33], -v[30:31]
	v_fma_f64 v[30:31], v[38:39], s[20:21], v[30:31]
	v_add_f64 v[28:29], v[28:29], -v[30:31]
	v_and_b32_e32 v30, 1, v24
	v_lshlrev_b32_e32 v24, 30, v24
	v_cmp_eq_u32_e64 s[10:11], 0, v30
	v_xor_b32_e32 v24, v24, v25
	v_and_b32_e32 v24, 0x80000000, v24
	v_cndmask_b32_e64 v29, v35, v29, s[10:11]
	v_cndmask_b32_e64 v28, v34, v28, s[10:11]
	v_xor_b32_e32 v25, v29, v24
	v_cndmask_b32_e32 v24, 0, v28, vcc
	v_cndmask_b32_e32 v25, v52, v25, vcc
	v_mul_f64 v[7:8], v[7:8], v[24:25]
	v_mul_f64 v[7:8], v[7:8], v[17:18]
	;; [unrolled: 1-line block ×3, first 2 shown]
	s_or_b64 exec, exec, s[88:89]
                                        ; implicit-def: $vgpr28_vgpr29
                                        ; implicit-def: $vgpr5_vgpr6
                                        ; implicit-def: $vgpr18
.LBB253_36:                             ;   in Loop: Header=BB253_4 Depth=1
	s_andn2_saveexec_b64 s[12:13], s[86:87]
	s_cbranch_execz .LBB253_42
.LBB253_37:                             ;   in Loop: Header=BB253_4 Depth=1
	v_add_f64 v[24:25], v[7:8], -v[7:8]
	s_mov_b32 s10, 0x7ff00000
	v_cmp_ne_u32_e32 vcc, 0, v5
	v_cmp_ne_u32_e64 s[10:11], s10, v18
	s_or_b64 s[10:11], vcc, s[10:11]
	s_and_saveexec_b64 s[86:87], s[10:11]
	s_xor_b64 s[10:11], exec, s[86:87]
; %bb.38:                               ;   in Loop: Header=BB253_4 Depth=1
                                        ; implicit-def: $vgpr28_vgpr29
                                        ; implicit-def: $vgpr5_vgpr6
; %bb.39:                               ;   in Loop: Header=BB253_4 Depth=1
	s_or_saveexec_b64 s[10:11], s[10:11]
	v_mov_b32_e32 v27, v25
	v_mov_b32_e32 v26, v24
	s_xor_b64 exec, exec, s[10:11]
; %bb.40:                               ;   in Loop: Header=BB253_4 Depth=1
	v_cmp_lt_i64_e32 vcc, -1, v[28:29]
	v_cndmask_b32_e32 v27, 0, v29, vcc
	v_cndmask_b32_e32 v26, 0, v5, vcc
	v_cndmask_b32_e32 v25, 0, v25, vcc
	v_cndmask_b32_e32 v24, 0, v24, vcc
; %bb.41:                               ;   in Loop: Header=BB253_4 Depth=1
	s_or_b64 exec, exec, s[10:11]
.LBB253_42:                             ;   in Loop: Header=BB253_4 Depth=1
	s_or_b64 exec, exec, s[12:13]
                                        ; implicit-def: $vgpr7_vgpr8
.LBB253_43:                             ;   in Loop: Header=BB253_4 Depth=1
	s_andn2_saveexec_b64 s[84:85], s[84:85]
	s_cbranch_execz .LBB253_53
; %bb.44:                               ;   in Loop: Header=BB253_4 Depth=1
	v_trig_preop_f64 v[32:33], |v[7:8]|, 0
	v_trig_preop_f64 v[30:31], |v[7:8]|, 1
	;; [unrolled: 1-line block ×3, first 2 shown]
	s_mov_b32 s10, 0
	s_mov_b32 s11, 0x41d00000
	s_movk_i32 s12, 0xff80
	v_cmp_nlt_f64_e64 s[10:11], |v[7:8]|, s[10:11]
	v_ldexp_f64 v[36:37], |v[7:8]|, s12
	v_and_b32_e32 v53, 0x7fffffff, v8
                                        ; implicit-def: $vgpr24
                                        ; implicit-def: $vgpr5_vgpr6
                                        ; implicit-def: $vgpr26_vgpr27
	s_and_saveexec_b64 s[12:13], s[10:11]
	s_xor_b64 s[12:13], exec, s[12:13]
	s_cbranch_execz .LBB253_46
; %bb.45:                               ;   in Loop: Header=BB253_4 Depth=1
	s_mov_b32 s86, 0
	s_mov_b32 s87, 0x7b000000
	v_cmp_ge_f64_e64 vcc, |v[7:8]|, s[86:87]
	s_mov_b32 s86, 0
	s_mov_b32 s87, 0x7ff00000
	;; [unrolled: 1-line block ×4, first 2 shown]
	v_cndmask_b32_e32 v6, v53, v37, vcc
	v_cndmask_b32_e32 v5, v7, v36, vcc
	v_mul_f64 v[26:27], v[32:33], v[5:6]
	v_mul_f64 v[34:35], v[30:31], v[5:6]
	;; [unrolled: 1-line block ×3, first 2 shown]
	v_fma_f64 v[38:39], v[32:33], v[5:6], -v[26:27]
	v_fma_f64 v[62:63], v[30:31], v[5:6], -v[34:35]
	;; [unrolled: 1-line block ×3, first 2 shown]
	v_add_f64 v[54:55], v[34:35], v[38:39]
	v_add_f64 v[56:57], v[54:55], -v[34:35]
	v_add_f64 v[64:65], v[26:27], v[54:55]
	v_add_f64 v[58:59], v[54:55], -v[56:57]
	v_add_f64 v[38:39], v[38:39], -v[56:57]
	v_add_f64 v[56:57], v[60:61], v[62:63]
	v_add_f64 v[26:27], v[64:65], -v[26:27]
	v_add_f64 v[34:35], v[34:35], -v[58:59]
	v_ldexp_f64 v[58:59], v[64:65], -2
	v_add_f64 v[66:67], v[56:57], -v[60:61]
	v_add_f64 v[26:27], v[54:55], -v[26:27]
	v_add_f64 v[34:35], v[38:39], v[34:35]
	v_fract_f64_e32 v[38:39], v[58:59]
	v_cmp_neq_f64_e64 vcc, |v[58:59]|, s[86:87]
	v_add_f64 v[62:63], v[62:63], -v[66:67]
	v_add_f64 v[54:55], v[56:57], v[34:35]
	v_ldexp_f64 v[38:39], v[38:39], 2
	v_add_f64 v[58:59], v[26:27], v[54:55]
	v_cndmask_b32_e32 v39, 0, v39, vcc
	v_cndmask_b32_e32 v38, 0, v38, vcc
	v_add_f64 v[68:69], v[54:55], -v[56:57]
	v_add_f64 v[64:65], v[58:59], v[38:39]
	v_add_f64 v[26:27], v[58:59], -v[26:27]
	v_add_f64 v[70:71], v[54:55], -v[68:69]
	;; [unrolled: 1-line block ×3, first 2 shown]
	v_cmp_gt_f64_e32 vcc, 0, v[64:65]
	v_add_f64 v[64:65], v[56:57], -v[66:67]
	v_add_f64 v[26:27], v[54:55], -v[26:27]
	;; [unrolled: 1-line block ×3, first 2 shown]
	v_cndmask_b32_e32 v18, 0, v49, vcc
	v_add_f64 v[38:39], v[38:39], v[17:18]
	v_add_f64 v[64:65], v[60:61], -v[64:65]
	v_add_f64 v[34:35], v[34:35], v[56:57]
	v_add_f64 v[72:73], v[58:59], v[38:39]
	;; [unrolled: 1-line block ×3, first 2 shown]
	v_cvt_i32_f64_e32 v24, v[72:73]
	v_add_f64 v[34:35], v[62:63], v[34:35]
	v_cvt_f64_i32_e32 v[66:67], v24
	v_add_f64 v[38:39], v[38:39], -v[66:67]
	v_add_f64 v[5:6], v[5:6], v[34:35]
	v_add_f64 v[56:57], v[58:59], v[38:39]
	;; [unrolled: 1-line block ×3, first 2 shown]
	v_add_f64 v[34:35], v[56:57], -v[38:39]
	v_cmp_le_f64_e32 vcc, 0.5, v[56:57]
	v_add_f64 v[26:27], v[58:59], -v[34:35]
	v_cndmask_b32_e32 v18, 0, v50, vcc
	v_addc_co_u32_e32 v24, vcc, 0, v24, vcc
	v_add_f64 v[5:6], v[5:6], v[26:27]
	v_add_f64 v[26:27], v[56:57], -v[17:18]
	v_add_f64 v[34:35], v[26:27], v[5:6]
	v_mul_f64 v[38:39], v[34:35], s[90:91]
	v_add_f64 v[26:27], v[34:35], -v[26:27]
	v_fma_f64 v[54:55], v[34:35], s[90:91], -v[38:39]
	v_add_f64 v[5:6], v[5:6], -v[26:27]
	v_fma_f64 v[26:27], v[34:35], s[94:95], v[54:55]
	v_fma_f64 v[26:27], v[5:6], s[90:91], v[26:27]
	v_add_f64 v[5:6], v[38:39], v[26:27]
	v_add_f64 v[34:35], v[5:6], -v[38:39]
	v_add_f64 v[26:27], v[26:27], -v[34:35]
	s_andn2_saveexec_b64 s[12:13], s[12:13]
	s_cbranch_execz .LBB253_48
	s_branch .LBB253_47
.LBB253_46:                             ;   in Loop: Header=BB253_4 Depth=1
	s_andn2_saveexec_b64 s[12:13], s[12:13]
	s_cbranch_execz .LBB253_48
.LBB253_47:                             ;   in Loop: Header=BB253_4 Depth=1
	s_mov_b32 s86, 0x6dc9c883
	s_mov_b32 s87, 0x3fe45f30
	v_mul_f64 v[5:6], |v[7:8]|, s[86:87]
	s_mov_b32 s92, s34
	s_mov_b32 s86, 0x252049c0
	;; [unrolled: 1-line block ×3, first 2 shown]
	v_rndne_f64_e32 v[34:35], v[5:6]
	v_fma_f64 v[5:6], v[34:35], s[28:29], |v[7:8]|
	v_mul_f64 v[26:27], v[34:35], s[34:35]
	v_cvt_i32_f64_e32 v24, v[34:35]
	v_fma_f64 v[56:57], v[34:35], s[34:35], v[5:6]
	v_add_f64 v[38:39], v[5:6], v[26:27]
	v_add_f64 v[54:55], v[5:6], -v[38:39]
	v_add_f64 v[38:39], v[38:39], -v[56:57]
	v_add_f64 v[5:6], v[54:55], v[26:27]
	v_fma_f64 v[26:27], v[34:35], s[92:93], v[26:27]
	v_add_f64 v[5:6], v[38:39], v[5:6]
	v_add_f64 v[5:6], v[5:6], -v[26:27]
	v_fma_f64 v[26:27], v[34:35], s[86:87], v[5:6]
	v_add_f64 v[5:6], v[56:57], v[26:27]
	v_add_f64 v[38:39], v[5:6], -v[56:57]
	v_add_f64 v[26:27], v[26:27], -v[38:39]
.LBB253_48:                             ;   in Loop: Header=BB253_4 Depth=1
	s_or_b64 exec, exec, s[12:13]
                                        ; implicit-def: $vgpr18
                                        ; implicit-def: $vgpr34_vgpr35
                                        ; implicit-def: $vgpr38_vgpr39
	s_and_saveexec_b64 s[12:13], s[10:11]
	s_xor_b64 s[10:11], exec, s[12:13]
	s_cbranch_execz .LBB253_50
; %bb.49:                               ;   in Loop: Header=BB253_4 Depth=1
	s_mov_b32 s12, 0
	s_mov_b32 s13, 0x7b000000
	v_cmp_ge_f64_e64 vcc, |v[7:8]|, s[12:13]
	s_mov_b32 s12, 0
	s_mov_b32 s13, 0x7ff00000
	;; [unrolled: 1-line block ×4, first 2 shown]
	v_cndmask_b32_e32 v35, v53, v37, vcc
	v_cndmask_b32_e32 v34, v7, v36, vcc
	v_mul_f64 v[36:37], v[32:33], v[34:35]
	v_mul_f64 v[38:39], v[30:31], v[34:35]
	;; [unrolled: 1-line block ×3, first 2 shown]
	v_fma_f64 v[32:33], v[32:33], v[34:35], -v[36:37]
	v_fma_f64 v[30:31], v[30:31], v[34:35], -v[38:39]
	;; [unrolled: 1-line block ×3, first 2 shown]
	v_add_f64 v[53:54], v[38:39], v[32:33]
	v_add_f64 v[55:56], v[53:54], -v[38:39]
	v_add_f64 v[61:62], v[36:37], v[53:54]
	v_add_f64 v[57:58], v[53:54], -v[55:56]
	v_add_f64 v[32:33], v[32:33], -v[55:56]
	v_add_f64 v[55:56], v[59:60], v[30:31]
	v_add_f64 v[36:37], v[61:62], -v[36:37]
	v_add_f64 v[38:39], v[38:39], -v[57:58]
	v_ldexp_f64 v[57:58], v[61:62], -2
	v_add_f64 v[63:64], v[55:56], -v[59:60]
	v_add_f64 v[36:37], v[53:54], -v[36:37]
	v_add_f64 v[32:33], v[32:33], v[38:39]
	v_fract_f64_e32 v[38:39], v[57:58]
	v_cmp_neq_f64_e64 vcc, |v[57:58]|, s[12:13]
	v_add_f64 v[30:31], v[30:31], -v[63:64]
	v_add_f64 v[53:54], v[55:56], v[32:33]
	v_ldexp_f64 v[38:39], v[38:39], 2
	v_add_f64 v[57:58], v[36:37], v[53:54]
	v_cndmask_b32_e32 v39, 0, v39, vcc
	v_cndmask_b32_e32 v38, 0, v38, vcc
	v_add_f64 v[65:66], v[53:54], -v[55:56]
	v_add_f64 v[61:62], v[57:58], v[38:39]
	v_add_f64 v[34:35], v[57:58], -v[36:37]
	v_add_f64 v[67:68], v[53:54], -v[65:66]
	;; [unrolled: 1-line block ×3, first 2 shown]
	v_cmp_gt_f64_e32 vcc, 0, v[61:62]
	v_add_f64 v[61:62], v[55:56], -v[63:64]
	v_add_f64 v[34:35], v[53:54], -v[34:35]
	;; [unrolled: 1-line block ×3, first 2 shown]
	v_cndmask_b32_e32 v18, 0, v49, vcc
	v_add_f64 v[38:39], v[38:39], v[17:18]
	v_add_f64 v[61:62], v[59:60], -v[61:62]
	v_add_f64 v[32:33], v[32:33], v[55:56]
	v_add_f64 v[69:70], v[57:58], v[38:39]
	;; [unrolled: 1-line block ×3, first 2 shown]
	v_cvt_i32_f64_e32 v65, v[69:70]
	v_add_f64 v[30:31], v[30:31], v[32:33]
	v_cvt_f64_i32_e32 v[63:64], v65
	v_add_f64 v[38:39], v[38:39], -v[63:64]
	v_add_f64 v[28:29], v[28:29], v[30:31]
	v_add_f64 v[32:33], v[57:58], v[38:39]
	;; [unrolled: 1-line block ×3, first 2 shown]
	v_add_f64 v[30:31], v[32:33], -v[38:39]
	v_cmp_le_f64_e32 vcc, 0.5, v[32:33]
	v_add_f64 v[30:31], v[57:58], -v[30:31]
	v_cndmask_b32_e32 v18, 0, v50, vcc
	v_add_f64 v[28:29], v[28:29], v[30:31]
	v_add_f64 v[30:31], v[32:33], -v[17:18]
	v_addc_co_u32_e32 v18, vcc, 0, v65, vcc
	v_add_f64 v[32:33], v[30:31], v[28:29]
	v_mul_f64 v[36:37], v[32:33], s[90:91]
	v_add_f64 v[30:31], v[32:33], -v[30:31]
	v_fma_f64 v[34:35], v[32:33], s[90:91], -v[36:37]
	v_add_f64 v[28:29], v[28:29], -v[30:31]
	v_fma_f64 v[30:31], v[32:33], s[94:95], v[34:35]
	v_fma_f64 v[28:29], v[28:29], s[90:91], v[30:31]
	v_add_f64 v[34:35], v[36:37], v[28:29]
	v_add_f64 v[30:31], v[34:35], -v[36:37]
	v_add_f64 v[38:39], v[28:29], -v[30:31]
	s_andn2_saveexec_b64 s[10:11], s[10:11]
	s_cbranch_execnz .LBB253_51
	s_branch .LBB253_52
.LBB253_50:                             ;   in Loop: Header=BB253_4 Depth=1
	s_andn2_saveexec_b64 s[10:11], s[10:11]
	s_cbranch_execz .LBB253_52
.LBB253_51:                             ;   in Loop: Header=BB253_4 Depth=1
	s_mov_b32 s12, 0x6dc9c883
	s_mov_b32 s13, 0x3fe45f30
	v_mul_f64 v[28:29], |v[7:8]|, s[12:13]
	s_mov_b32 s92, s34
	s_mov_b32 s12, 0x252049c0
	s_mov_b32 s13, 0xb97b839a
	v_rndne_f64_e32 v[28:29], v[28:29]
	v_fma_f64 v[30:31], v[28:29], s[28:29], |v[7:8]|
	v_mul_f64 v[32:33], v[28:29], s[34:35]
	v_cvt_i32_f64_e32 v18, v[28:29]
	v_add_f64 v[34:35], v[30:31], v[32:33]
	v_add_f64 v[36:37], v[30:31], -v[34:35]
	v_fma_f64 v[30:31], v[28:29], s[34:35], v[30:31]
	v_add_f64 v[36:37], v[36:37], v[32:33]
	v_add_f64 v[34:35], v[34:35], -v[30:31]
	v_fma_f64 v[32:33], v[28:29], s[92:93], v[32:33]
	;; [unrolled: 3-line block ×3, first 2 shown]
	v_add_f64 v[34:35], v[30:31], v[32:33]
	v_add_f64 v[30:31], v[34:35], -v[30:31]
	v_add_f64 v[38:39], v[32:33], -v[30:31]
.LBB253_52:                             ;   in Loop: Header=BB253_4 Depth=1
	s_or_b64 exec, exec, s[10:11]
	v_mul_f64 v[28:29], v[5:6], v[5:6]
	v_mul_f64 v[30:31], v[34:35], v[34:35]
	s_mov_b32 s10, 0xb42fdfa7
	s_mov_b32 s11, 0xbe5ae600
	v_mov_b32_e32 v33, s11
	v_mov_b32_e32 v32, s10
	s_mov_b32 s10, 0x9037ab78
	s_mov_b32 s11, 0x3e21eeb6
	v_fma_f64 v[36:37], v[28:29], s[74:75], v[32:33]
	v_fma_f64 v[32:33], v[30:31], s[74:75], v[32:33]
	v_mov_b32_e32 v54, s11
	v_mov_b32_e32 v53, s10
	v_mul_f64 v[57:58], v[28:29], 0.5
	v_fma_f64 v[55:56], v[28:29], s[64:65], v[53:54]
	v_fma_f64 v[53:54], v[30:31], s[64:65], v[53:54]
	v_mul_f64 v[59:60], v[30:31], 0.5
	v_fma_f64 v[36:37], v[28:29], v[36:37], s[76:77]
	v_fma_f64 v[32:33], v[30:31], v[32:33], s[76:77]
	v_mul_f64 v[61:62], v[26:27], 0.5
	v_mul_f64 v[69:70], v[5:6], -v[28:29]
	v_add_f64 v[63:64], -v[57:58], 1.0
	v_fma_f64 v[55:56], v[28:29], v[55:56], s[66:67]
	v_fma_f64 v[53:54], v[30:31], v[53:54], s[66:67]
	v_add_f64 v[67:68], -v[59:60], 1.0
	v_fma_f64 v[36:37], v[28:29], v[36:37], s[78:79]
	v_fma_f64 v[32:33], v[30:31], v[32:33], s[78:79]
	v_mul_f64 v[65:66], v[38:39], 0.5
	v_mul_f64 v[73:74], v[34:35], -v[30:31]
	v_add_f64 v[71:72], -v[63:64], 1.0
	v_fma_f64 v[55:56], v[28:29], v[55:56], s[68:69]
	v_fma_f64 v[53:54], v[30:31], v[53:54], s[68:69]
	v_add_f64 v[75:76], -v[67:68], 1.0
	v_fma_f64 v[36:37], v[28:29], v[36:37], s[14:15]
	v_fma_f64 v[32:33], v[30:31], v[32:33], s[14:15]
	s_mov_b32 s20, s4
	v_cmp_class_f64_e64 s[10:11], v[7:8], s73
	v_add_f64 v[57:58], v[71:72], -v[57:58]
	v_fma_f64 v[55:56], v[28:29], v[55:56], s[70:71]
	v_fma_f64 v[53:54], v[30:31], v[53:54], s[70:71]
	v_add_f64 v[59:60], v[75:76], -v[59:60]
	v_fma_f64 v[36:37], v[69:70], v[36:37], v[61:62]
	v_fma_f64 v[32:33], v[73:74], v[32:33], v[65:66]
	v_mul_f64 v[61:62], v[28:29], v[28:29]
	v_fma_f64 v[57:58], v[5:6], -v[26:27], v[57:58]
	v_fma_f64 v[55:56], v[28:29], v[55:56], s[4:5]
	v_fma_f64 v[26:27], v[28:29], v[36:37], -v[26:27]
	v_mul_f64 v[28:29], v[30:31], v[30:31]
	v_fma_f64 v[36:37], v[30:31], v[53:54], s[4:5]
	v_fma_f64 v[53:54], v[34:35], -v[38:39], v[59:60]
	v_fma_f64 v[30:31], v[30:31], v[32:33], -v[38:39]
	v_fma_f64 v[32:33], v[61:62], v[55:56], v[57:58]
	v_and_b32_e32 v38, 1, v24
	v_lshlrev_b32_e32 v24, 30, v24
	v_fma_f64 v[26:27], v[69:70], s[20:21], v[26:27]
	v_cmp_eq_u32_e32 vcc, 0, v38
	v_and_b32_e32 v24, 0x80000000, v24
	v_fma_f64 v[28:29], v[28:29], v[36:37], v[53:54]
	v_fma_f64 v[30:31], v[73:74], s[20:21], v[30:31]
	v_add_f64 v[32:33], v[63:64], v[32:33]
	v_and_b32_e32 v36, 1, v18
	v_lshlrev_b32_e32 v18, 30, v18
	v_add_f64 v[5:6], v[5:6], -v[26:27]
	v_xor_b32_e32 v18, v18, v25
	v_cmp_eq_u32_e64 s[12:13], 0, v36
	v_add_f64 v[26:27], v[67:68], v[28:29]
	v_add_f64 v[28:29], v[34:35], -v[30:31]
	v_and_b32_e32 v18, 0x80000000, v18
	v_xor_b32_e32 v6, 0x80000000, v6
	v_cndmask_b32_e32 v5, v5, v32, vcc
	v_cndmask_b32_e32 v6, v6, v33, vcc
	v_xor_b32_e32 v6, v6, v24
	v_cndmask_b32_e64 v8, v27, v29, s[12:13]
	v_cndmask_b32_e64 v7, v26, v28, s[12:13]
	;; [unrolled: 1-line block ×3, first 2 shown]
	v_xor_b32_e32 v5, v8, v18
	v_cndmask_b32_e64 v24, 0, v7, s[10:11]
	v_cndmask_b32_e64 v27, v52, v6, s[10:11]
	;; [unrolled: 1-line block ×3, first 2 shown]
.LBB253_53:                             ;   in Loop: Header=BB253_4 Depth=1
	s_or_b64 exec, exec, s[84:85]
                                        ; implicit-def: $vgpr5_vgpr6
.LBB253_54:                             ;   in Loop: Header=BB253_4 Depth=1
	s_andn2_saveexec_b64 s[12:13], s[36:37]
	s_cbranch_execz .LBB253_56
; %bb.55:                               ;   in Loop: Header=BB253_4 Depth=1
	s_mov_b32 s38, s80
	v_mul_f64 v[7:8], v[5:6], s[38:39]
	s_mov_b32 s55, s15
	s_mov_b32 s57, s5
	v_cmp_ngt_f64_e32 vcc, s[22:23], v[5:6]
	v_cmp_nlt_f64_e64 s[10:11], s[30:31], v[5:6]
	v_rndne_f64_e32 v[7:8], v[7:8]
	v_fma_f64 v[26:27], v[7:8], s[40:41], -v[5:6]
	v_fma_f64 v[26:27], v[7:8], s[42:43], v[26:27]
	v_cvt_i32_f64_e32 v7, v[7:8]
	v_fma_f64 v[28:29], v[26:27], s[44:45], v[22:23]
	v_fma_f64 v[28:29], v[26:27], v[28:29], s[46:47]
	;; [unrolled: 1-line block ×9, first 2 shown]
	v_fma_f64 v[28:29], v[26:27], v[28:29], 1.0
	v_fma_f64 v[26:27], v[26:27], v[28:29], 1.0
	v_ldexp_f64 v[7:8], v[26:27], v7
	v_cndmask_b32_e32 v8, v51, v8, vcc
	s_and_b64 vcc, s[10:11], vcc
	v_cndmask_b32_e64 v27, 0, v8, s[10:11]
	v_cndmask_b32_e32 v26, 0, v7, vcc
.LBB253_56:                             ;   in Loop: Header=BB253_4 Depth=1
	s_or_b64 exec, exec, s[12:13]
	v_add_f64 v[26:27], s[16:17], v[26:27]
	v_add_f64 v[24:25], s[18:19], v[24:25]
	v_cmp_gt_f64_e32 vcc, 0, v[26:27]
	v_xor_b32_e32 v5, 0x80000000, v27
	v_xor_b32_e32 v6, 0x80000000, v25
	v_mov_b32_e32 v28, v26
	v_mov_b32_e32 v30, v24
	v_cndmask_b32_e32 v29, v27, v5, vcc
	v_cmp_gt_f64_e32 vcc, 0, v[24:25]
	v_cndmask_b32_e32 v31, v25, v6, vcc
	v_cmp_ge_f64_e32 vcc, v[28:29], v[30:31]
                                        ; implicit-def: $vgpr7_vgpr8
	s_and_saveexec_b64 s[10:11], vcc
	s_xor_b64 s[12:13], exec, s[10:11]
	s_cbranch_execz .LBB253_62
; %bb.57:                               ;   in Loop: Header=BB253_4 Depth=1
	v_cmp_neq_f64_e32 vcc, 0, v[26:27]
	v_cmp_neq_f64_e64 s[10:11], 0, v[24:25]
                                        ; implicit-def: $vgpr7_vgpr8
	s_or_b64 s[10:11], vcc, s[10:11]
	s_and_saveexec_b64 s[36:37], s[10:11]
	s_xor_b64 s[10:11], exec, s[36:37]
	s_cbranch_execz .LBB253_59
; %bb.58:                               ;   in Loop: Header=BB253_4 Depth=1
	v_div_scale_f64 v[5:6], s[36:37], v[26:27], v[26:27], v[24:25]
	v_rcp_f64_e32 v[7:8], v[5:6]
	v_fma_f64 v[28:29], -v[5:6], v[7:8], 1.0
	v_fma_f64 v[7:8], v[7:8], v[28:29], v[7:8]
	v_div_scale_f64 v[28:29], vcc, v[24:25], v[26:27], v[24:25]
	v_fma_f64 v[30:31], -v[5:6], v[7:8], 1.0
	v_fma_f64 v[7:8], v[7:8], v[30:31], v[7:8]
	v_mul_f64 v[30:31], v[28:29], v[7:8]
	v_fma_f64 v[5:6], -v[5:6], v[30:31], v[28:29]
	v_div_fmas_f64 v[5:6], v[5:6], v[7:8], v[30:31]
	v_div_fixup_f64 v[5:6], v[5:6], v[26:27], v[24:25]
	v_fma_f64 v[7:8], v[24:25], v[5:6], v[26:27]
	v_div_scale_f64 v[24:25], s[36:37], v[7:8], v[7:8], 1.0
	v_rcp_f64_e32 v[26:27], v[24:25]
	v_fma_f64 v[28:29], -v[24:25], v[26:27], 1.0
	v_fma_f64 v[26:27], v[26:27], v[28:29], v[26:27]
	v_div_scale_f64 v[28:29], vcc, 1.0, v[7:8], 1.0
	v_fma_f64 v[30:31], -v[24:25], v[26:27], 1.0
	v_fma_f64 v[26:27], v[26:27], v[30:31], v[26:27]
	v_mul_f64 v[30:31], v[28:29], v[26:27]
	v_fma_f64 v[24:25], -v[24:25], v[30:31], v[28:29]
	v_mov_b32_e32 v29, s19
	v_mov_b32_e32 v28, s18
	v_div_fmas_f64 v[24:25], v[24:25], v[26:27], v[30:31]
	v_mov_b32_e32 v27, s17
	v_mov_b32_e32 v26, s16
	v_fma_f64 v[26:27], s[18:19], v[5:6], v[26:27]
                                        ; implicit-def: $vgpr30_vgpr31
	v_div_fixup_f64 v[7:8], v[24:25], v[7:8], 1.0
	v_fma_f64 v[24:25], -s[16:17], v[5:6], v[28:29]
                                        ; implicit-def: $vgpr28_vgpr29
	v_mul_f64 v[5:6], v[26:27], v[7:8]
	v_mul_f64 v[7:8], v[24:25], v[7:8]
.LBB253_59:                             ;   in Loop: Header=BB253_4 Depth=1
	s_andn2_saveexec_b64 s[36:37], s[10:11]
	s_cbranch_execz .LBB253_61
; %bb.60:                               ;   in Loop: Header=BB253_4 Depth=1
	v_div_scale_f64 v[5:6], s[10:11], v[28:29], v[28:29], s[16:17]
	v_div_scale_f64 v[7:8], s[10:11], v[30:31], v[30:31], s[18:19]
	v_div_scale_f64 v[36:37], s[10:11], s[18:19], v[30:31], s[18:19]
	v_rcp_f64_e32 v[24:25], v[5:6]
	v_rcp_f64_e32 v[26:27], v[7:8]
	v_fma_f64 v[32:33], -v[5:6], v[24:25], 1.0
	v_fma_f64 v[34:35], -v[7:8], v[26:27], 1.0
	v_fma_f64 v[24:25], v[24:25], v[32:33], v[24:25]
	v_div_scale_f64 v[32:33], vcc, s[16:17], v[28:29], s[16:17]
	v_fma_f64 v[26:27], v[26:27], v[34:35], v[26:27]
	v_fma_f64 v[34:35], -v[5:6], v[24:25], 1.0
	v_fma_f64 v[38:39], -v[7:8], v[26:27], 1.0
	v_fma_f64 v[24:25], v[24:25], v[34:35], v[24:25]
	v_fma_f64 v[26:27], v[26:27], v[38:39], v[26:27]
	v_mul_f64 v[34:35], v[32:33], v[24:25]
	v_mul_f64 v[38:39], v[36:37], v[26:27]
	v_fma_f64 v[5:6], -v[5:6], v[34:35], v[32:33]
	v_fma_f64 v[7:8], -v[7:8], v[38:39], v[36:37]
	v_div_fmas_f64 v[5:6], v[5:6], v[24:25], v[34:35]
	s_mov_b64 vcc, s[10:11]
	v_div_fmas_f64 v[7:8], v[7:8], v[26:27], v[38:39]
	v_div_fixup_f64 v[5:6], v[5:6], v[28:29], s[16:17]
	v_div_fixup_f64 v[7:8], v[7:8], v[30:31], s[18:19]
.LBB253_61:                             ;   in Loop: Header=BB253_4 Depth=1
	s_or_b64 exec, exec, s[36:37]
                                        ; implicit-def: $vgpr24_vgpr25
                                        ; implicit-def: $vgpr26_vgpr27
.LBB253_62:                             ;   in Loop: Header=BB253_4 Depth=1
	s_andn2_saveexec_b64 s[10:11], s[12:13]
	s_cbranch_execz .LBB253_64
; %bb.63:                               ;   in Loop: Header=BB253_4 Depth=1
	v_div_scale_f64 v[5:6], s[12:13], v[24:25], v[24:25], v[26:27]
	v_rcp_f64_e32 v[7:8], v[5:6]
	v_fma_f64 v[28:29], -v[5:6], v[7:8], 1.0
	v_fma_f64 v[7:8], v[7:8], v[28:29], v[7:8]
	v_div_scale_f64 v[28:29], vcc, v[26:27], v[24:25], v[26:27]
	v_fma_f64 v[30:31], -v[5:6], v[7:8], 1.0
	v_fma_f64 v[7:8], v[7:8], v[30:31], v[7:8]
	v_mul_f64 v[30:31], v[28:29], v[7:8]
	v_fma_f64 v[5:6], -v[5:6], v[30:31], v[28:29]
	v_div_fmas_f64 v[5:6], v[5:6], v[7:8], v[30:31]
	v_div_fixup_f64 v[5:6], v[5:6], v[24:25], v[26:27]
	v_fma_f64 v[7:8], v[26:27], v[5:6], v[24:25]
	v_div_scale_f64 v[24:25], s[12:13], v[7:8], v[7:8], 1.0
	v_rcp_f64_e32 v[26:27], v[24:25]
	v_fma_f64 v[28:29], -v[24:25], v[26:27], 1.0
	v_fma_f64 v[26:27], v[26:27], v[28:29], v[26:27]
	v_div_scale_f64 v[28:29], vcc, 1.0, v[7:8], 1.0
	v_fma_f64 v[30:31], -v[24:25], v[26:27], 1.0
	v_fma_f64 v[26:27], v[26:27], v[30:31], v[26:27]
	v_mul_f64 v[30:31], v[28:29], v[26:27]
	v_fma_f64 v[24:25], -v[24:25], v[30:31], v[28:29]
	v_mov_b32_e32 v29, s17
	v_mov_b32_e32 v28, s16
	v_div_fmas_f64 v[24:25], v[24:25], v[26:27], v[30:31]
	v_mov_b32_e32 v27, s19
	v_mov_b32_e32 v26, s18
	v_fma_f64 v[26:27], s[16:17], v[5:6], v[26:27]
	v_div_fixup_f64 v[7:8], v[24:25], v[7:8], 1.0
	v_fma_f64 v[24:25], s[18:19], v[5:6], -v[28:29]
	v_mul_f64 v[5:6], v[26:27], v[7:8]
	v_mul_f64 v[7:8], v[24:25], v[7:8]
.LBB253_64:                             ;   in Loop: Header=BB253_4 Depth=1
	s_or_b64 exec, exec, s[10:11]
	v_xor_b32_e32 v25, 0x80000000, v16
	v_and_b32_e32 v30, 0x7fffffff, v25
	v_or_b32_e32 v18, v30, v15
	v_mov_b32_e32 v24, v15
	v_cmp_ne_u32_e32 vcc, 0, v18
                                        ; implicit-def: $vgpr26_vgpr27
	s_and_saveexec_b64 s[10:11], vcc
	s_xor_b64 s[36:37], exec, s[10:11]
	s_cbranch_execz .LBB253_106
; %bb.65:                               ;   in Loop: Header=BB253_4 Depth=1
	v_xor_b32_e32 v29, 0x80000000, v14
	v_and_b32_e32 v18, 0x7fffffff, v29
	v_or_b32_e32 v24, v18, v13
	v_mov_b32_e32 v28, v13
	v_cmp_ne_u32_e32 vcc, 0, v24
                                        ; implicit-def: $vgpr26_vgpr27
	s_and_saveexec_b64 s[10:11], vcc
	s_xor_b64 s[84:85], exec, s[10:11]
	s_cbranch_execz .LBB253_95
; %bb.66:                               ;   in Loop: Header=BB253_4 Depth=1
	s_mov_b32 s10, 0x7ff00000
	v_cmp_gt_u32_e32 vcc, s10, v30
                                        ; implicit-def: $vgpr26_vgpr27
	s_and_saveexec_b64 s[10:11], vcc
	s_xor_b64 s[86:87], exec, s[10:11]
	s_cbranch_execz .LBB253_88
; %bb.67:                               ;   in Loop: Header=BB253_4 Depth=1
	v_add_u32_e32 v18, 0xbf79d1be, v29
	s_mov_b32 s10, 0x108aa2
	v_cmp_lt_u32_e32 vcc, s10, v18
                                        ; implicit-def: $vgpr26_vgpr27
	s_and_saveexec_b64 s[10:11], vcc
	s_xor_b64 s[12:13], exec, s[10:11]
	s_cbranch_execz .LBB253_77
; %bb.68:                               ;   in Loop: Header=BB253_4 Depth=1
	s_mov_b32 s10, 0
	s_mov_b32 s11, 0x41d00000
	v_cmp_nlt_f64_e64 s[10:11], |v[15:16]|, s[10:11]
                                        ; implicit-def: $vgpr24
                                        ; implicit-def: $vgpr26_vgpr27
                                        ; implicit-def: $vgpr32_vgpr33
	s_and_saveexec_b64 s[88:89], s[10:11]
	s_xor_b64 s[88:89], exec, s[88:89]
	s_cbranch_execz .LBB253_70
; %bb.69:                               ;   in Loop: Header=BB253_4 Depth=1
	v_trig_preop_f64 v[26:27], |v[15:16]|, 0
	s_mov_b32 vcc_lo, 0
	s_movk_i32 s20, 0xff80
	s_mov_b32 vcc_hi, 0x7b000000
	v_ldexp_f64 v[28:29], |v[15:16]|, s20
	v_cmp_ge_f64_e64 vcc, |v[15:16]|, vcc
	v_trig_preop_f64 v[30:31], |v[15:16]|, 1
	v_and_b32_e32 v18, 0x7fffffff, v16
	v_trig_preop_f64 v[38:39], |v[15:16]|, 2
	s_mov_b32 s90, s28
	s_mov_b32 s95, s93
	v_cndmask_b32_e32 v29, v18, v29, vcc
	v_cndmask_b32_e32 v28, v15, v28, vcc
	s_mov_b32 vcc_lo, 0
	v_mul_f64 v[32:33], v[26:27], v[28:29]
	s_mov_b32 vcc_hi, 0x7ff00000
	v_mul_f64 v[34:35], v[30:31], v[28:29]
	v_mul_f64 v[57:58], v[38:39], v[28:29]
	v_fma_f64 v[26:27], v[26:27], v[28:29], -v[32:33]
	v_fma_f64 v[30:31], v[30:31], v[28:29], -v[34:35]
	;; [unrolled: 1-line block ×3, first 2 shown]
	v_add_f64 v[36:37], v[34:35], v[26:27]
	v_add_f64 v[53:54], v[36:37], -v[34:35]
	v_add_f64 v[59:60], v[32:33], v[36:37]
	v_add_f64 v[55:56], v[36:37], -v[53:54]
	v_add_f64 v[26:27], v[26:27], -v[53:54]
	v_add_f64 v[53:54], v[57:58], v[30:31]
	v_add_f64 v[32:33], v[59:60], -v[32:33]
	v_add_f64 v[34:35], v[34:35], -v[55:56]
	v_ldexp_f64 v[55:56], v[59:60], -2
	v_add_f64 v[61:62], v[53:54], -v[57:58]
	v_add_f64 v[32:33], v[36:37], -v[32:33]
	v_add_f64 v[26:27], v[26:27], v[34:35]
	v_fract_f64_e32 v[34:35], v[55:56]
	v_cmp_neq_f64_e64 vcc, |v[55:56]|, vcc
	v_add_f64 v[30:31], v[30:31], -v[61:62]
	v_add_f64 v[36:37], v[53:54], v[26:27]
	v_ldexp_f64 v[34:35], v[34:35], 2
	v_add_f64 v[55:56], v[32:33], v[36:37]
	v_cndmask_b32_e32 v35, 0, v35, vcc
	v_cndmask_b32_e32 v34, 0, v34, vcc
	v_add_f64 v[63:64], v[36:37], -v[53:54]
	v_add_f64 v[59:60], v[55:56], v[34:35]
	v_add_f64 v[32:33], v[55:56], -v[32:33]
	v_add_f64 v[65:66], v[36:37], -v[63:64]
	;; [unrolled: 1-line block ×3, first 2 shown]
	v_cmp_gt_f64_e32 vcc, 0, v[59:60]
	v_add_f64 v[59:60], v[53:54], -v[61:62]
	v_add_f64 v[32:33], v[36:37], -v[32:33]
	;; [unrolled: 1-line block ×3, first 2 shown]
	v_cndmask_b32_e32 v18, 0, v49, vcc
	v_add_f64 v[34:35], v[34:35], v[17:18]
	v_add_f64 v[59:60], v[57:58], -v[59:60]
	v_add_f64 v[26:27], v[26:27], v[53:54]
	v_add_f64 v[67:68], v[55:56], v[34:35]
	;; [unrolled: 1-line block ×3, first 2 shown]
	v_cvt_i32_f64_e32 v24, v[67:68]
	v_add_f64 v[26:27], v[30:31], v[26:27]
	v_cvt_f64_i32_e32 v[61:62], v24
	v_add_f64 v[34:35], v[34:35], -v[61:62]
	v_add_f64 v[26:27], v[28:29], v[26:27]
	v_add_f64 v[30:31], v[55:56], v[34:35]
	;; [unrolled: 1-line block ×3, first 2 shown]
	v_add_f64 v[28:29], v[30:31], -v[34:35]
	v_cmp_le_f64_e32 vcc, 0.5, v[30:31]
	v_add_f64 v[28:29], v[55:56], -v[28:29]
	v_cndmask_b32_e32 v18, 0, v50, vcc
	v_addc_co_u32_e32 v24, vcc, 0, v24, vcc
	v_add_f64 v[26:27], v[26:27], v[28:29]
	v_add_f64 v[28:29], v[30:31], -v[17:18]
	v_add_f64 v[30:31], v[28:29], v[26:27]
	v_mul_f64 v[32:33], v[30:31], s[90:91]
	v_add_f64 v[28:29], v[30:31], -v[28:29]
	v_fma_f64 v[34:35], v[30:31], s[90:91], -v[32:33]
	v_add_f64 v[26:27], v[26:27], -v[28:29]
	v_fma_f64 v[28:29], v[30:31], s[94:95], v[34:35]
	v_fma_f64 v[28:29], v[26:27], s[90:91], v[28:29]
	v_add_f64 v[26:27], v[32:33], v[28:29]
	v_add_f64 v[30:31], v[26:27], -v[32:33]
	v_add_f64 v[32:33], v[28:29], -v[30:31]
	s_andn2_saveexec_b64 s[88:89], s[88:89]
	s_cbranch_execz .LBB253_72
	s_branch .LBB253_71
.LBB253_70:                             ;   in Loop: Header=BB253_4 Depth=1
	s_andn2_saveexec_b64 s[88:89], s[88:89]
	s_cbranch_execz .LBB253_72
.LBB253_71:                             ;   in Loop: Header=BB253_4 Depth=1
	s_mov_b32 vcc_lo, 0x6dc9c883
	s_mov_b32 vcc_hi, 0x3fe45f30
	v_mul_f64 v[26:27], |v[15:16]|, vcc
	s_mov_b32 s92, s34
	s_mov_b32 vcc_lo, 0x252049c0
	s_mov_b32 vcc_hi, 0xb97b839a
	v_rndne_f64_e32 v[28:29], v[26:27]
	v_fma_f64 v[26:27], v[28:29], s[28:29], |v[15:16]|
	v_mul_f64 v[30:31], v[28:29], s[34:35]
	v_cvt_i32_f64_e32 v24, v[28:29]
	v_fma_f64 v[36:37], v[28:29], s[34:35], v[26:27]
	v_add_f64 v[32:33], v[26:27], v[30:31]
	v_add_f64 v[34:35], v[26:27], -v[32:33]
	v_add_f64 v[32:33], v[32:33], -v[36:37]
	v_add_f64 v[26:27], v[34:35], v[30:31]
	v_fma_f64 v[30:31], v[28:29], s[92:93], v[30:31]
	v_add_f64 v[26:27], v[32:33], v[26:27]
	v_add_f64 v[26:27], v[26:27], -v[30:31]
	v_fma_f64 v[30:31], v[28:29], vcc, v[26:27]
	v_add_f64 v[26:27], v[36:37], v[30:31]
	v_add_f64 v[32:33], v[26:27], -v[36:37]
	v_add_f64 v[32:33], v[30:31], -v[32:33]
.LBB253_72:                             ;   in Loop: Header=BB253_4 Depth=1
	s_or_b64 exec, exec, s[88:89]
                                        ; implicit-def: $vgpr18
                                        ; implicit-def: $vgpr28_vgpr29
                                        ; implicit-def: $vgpr30_vgpr31
	s_and_saveexec_b64 s[88:89], s[10:11]
	s_xor_b64 s[10:11], exec, s[88:89]
	s_cbranch_execz .LBB253_74
; %bb.73:                               ;   in Loop: Header=BB253_4 Depth=1
	v_trig_preop_f64 v[28:29], |v[15:16]|, 0
	s_mov_b32 s88, 0
	s_movk_i32 s20, 0xff80
	s_mov_b32 s89, 0x7b000000
	v_ldexp_f64 v[30:31], |v[15:16]|, s20
	v_cmp_ge_f64_e64 vcc, |v[15:16]|, s[88:89]
	v_trig_preop_f64 v[34:35], |v[15:16]|, 1
	v_and_b32_e32 v18, 0x7fffffff, v16
	v_trig_preop_f64 v[55:56], |v[15:16]|, 2
	s_mov_b32 s88, 0
	s_mov_b32 s89, 0x7ff00000
	s_mov_b32 s90, s28
	s_mov_b32 s95, s93
	v_cndmask_b32_e32 v31, v18, v31, vcc
	v_cndmask_b32_e32 v30, v15, v30, vcc
	v_mul_f64 v[36:37], v[28:29], v[30:31]
	v_mul_f64 v[38:39], v[34:35], v[30:31]
	;; [unrolled: 1-line block ×3, first 2 shown]
	v_fma_f64 v[28:29], v[28:29], v[30:31], -v[36:37]
	v_fma_f64 v[34:35], v[34:35], v[30:31], -v[38:39]
	;; [unrolled: 1-line block ×3, first 2 shown]
	v_add_f64 v[53:54], v[38:39], v[28:29]
	v_add_f64 v[57:58], v[53:54], -v[38:39]
	v_add_f64 v[63:64], v[36:37], v[53:54]
	v_add_f64 v[59:60], v[53:54], -v[57:58]
	v_add_f64 v[28:29], v[28:29], -v[57:58]
	v_add_f64 v[57:58], v[61:62], v[34:35]
	v_add_f64 v[36:37], v[63:64], -v[36:37]
	v_add_f64 v[38:39], v[38:39], -v[59:60]
	v_ldexp_f64 v[59:60], v[63:64], -2
	v_add_f64 v[65:66], v[57:58], -v[61:62]
	v_add_f64 v[36:37], v[53:54], -v[36:37]
	v_add_f64 v[28:29], v[28:29], v[38:39]
	v_fract_f64_e32 v[38:39], v[59:60]
	v_cmp_neq_f64_e64 vcc, |v[59:60]|, s[88:89]
	v_add_f64 v[34:35], v[34:35], -v[65:66]
	v_add_f64 v[53:54], v[57:58], v[28:29]
	v_ldexp_f64 v[38:39], v[38:39], 2
	v_add_f64 v[59:60], v[36:37], v[53:54]
	v_cndmask_b32_e32 v39, 0, v39, vcc
	v_cndmask_b32_e32 v38, 0, v38, vcc
	v_add_f64 v[67:68], v[53:54], -v[57:58]
	v_add_f64 v[63:64], v[59:60], v[38:39]
	v_add_f64 v[36:37], v[59:60], -v[36:37]
	v_add_f64 v[69:70], v[53:54], -v[67:68]
	;; [unrolled: 1-line block ×3, first 2 shown]
	v_cmp_gt_f64_e32 vcc, 0, v[63:64]
	v_add_f64 v[63:64], v[57:58], -v[65:66]
	v_add_f64 v[36:37], v[53:54], -v[36:37]
	;; [unrolled: 1-line block ×3, first 2 shown]
	v_cndmask_b32_e32 v18, 0, v49, vcc
	v_add_f64 v[38:39], v[38:39], v[17:18]
	v_add_f64 v[63:64], v[61:62], -v[63:64]
	v_add_f64 v[28:29], v[28:29], v[57:58]
	v_add_f64 v[71:72], v[59:60], v[38:39]
	;; [unrolled: 1-line block ×3, first 2 shown]
	v_cvt_i32_f64_e32 v67, v[71:72]
	v_add_f64 v[28:29], v[34:35], v[28:29]
	v_cvt_f64_i32_e32 v[65:66], v67
	v_add_f64 v[38:39], v[38:39], -v[65:66]
	v_add_f64 v[28:29], v[30:31], v[28:29]
	v_add_f64 v[34:35], v[59:60], v[38:39]
	v_add_f64 v[28:29], v[36:37], v[28:29]
	v_add_f64 v[30:31], v[34:35], -v[38:39]
	v_cmp_le_f64_e32 vcc, 0.5, v[34:35]
	v_add_f64 v[30:31], v[59:60], -v[30:31]
	v_cndmask_b32_e32 v18, 0, v50, vcc
	v_add_f64 v[28:29], v[28:29], v[30:31]
	v_add_f64 v[30:31], v[34:35], -v[17:18]
	v_addc_co_u32_e32 v18, vcc, 0, v67, vcc
	v_add_f64 v[34:35], v[30:31], v[28:29]
	v_mul_f64 v[36:37], v[34:35], s[90:91]
	v_add_f64 v[30:31], v[34:35], -v[30:31]
	v_fma_f64 v[38:39], v[34:35], s[90:91], -v[36:37]
	v_add_f64 v[28:29], v[28:29], -v[30:31]
	v_fma_f64 v[30:31], v[34:35], s[94:95], v[38:39]
	v_fma_f64 v[30:31], v[28:29], s[90:91], v[30:31]
	v_add_f64 v[28:29], v[36:37], v[30:31]
	v_add_f64 v[34:35], v[28:29], -v[36:37]
	v_add_f64 v[30:31], v[30:31], -v[34:35]
	s_andn2_saveexec_b64 s[10:11], s[10:11]
	s_cbranch_execnz .LBB253_75
	s_branch .LBB253_76
.LBB253_74:                             ;   in Loop: Header=BB253_4 Depth=1
	s_andn2_saveexec_b64 s[10:11], s[10:11]
	s_cbranch_execz .LBB253_76
.LBB253_75:                             ;   in Loop: Header=BB253_4 Depth=1
	s_mov_b32 s88, 0x6dc9c883
	s_mov_b32 s89, 0x3fe45f30
	v_mul_f64 v[28:29], |v[15:16]|, s[88:89]
	s_mov_b32 s92, s34
	s_mov_b32 s88, 0x252049c0
	;; [unrolled: 1-line block ×3, first 2 shown]
	v_rndne_f64_e32 v[34:35], v[28:29]
	v_fma_f64 v[28:29], v[34:35], s[28:29], |v[15:16]|
	v_mul_f64 v[30:31], v[34:35], s[34:35]
	v_cvt_i32_f64_e32 v18, v[34:35]
	v_fma_f64 v[53:54], v[34:35], s[34:35], v[28:29]
	v_add_f64 v[36:37], v[28:29], v[30:31]
	v_add_f64 v[38:39], v[28:29], -v[36:37]
	v_add_f64 v[36:37], v[36:37], -v[53:54]
	v_add_f64 v[28:29], v[38:39], v[30:31]
	v_fma_f64 v[30:31], v[34:35], s[92:93], v[30:31]
	v_add_f64 v[28:29], v[36:37], v[28:29]
	v_add_f64 v[28:29], v[28:29], -v[30:31]
	v_fma_f64 v[30:31], v[34:35], s[88:89], v[28:29]
	v_add_f64 v[28:29], v[53:54], v[30:31]
	v_add_f64 v[36:37], v[28:29], -v[53:54]
	v_add_f64 v[30:31], v[30:31], -v[36:37]
.LBB253_76:                             ;   in Loop: Header=BB253_4 Depth=1
	s_or_b64 exec, exec, s[10:11]
	s_mov_b32 s38, s80
	v_mul_f64 v[34:35], v[13:14], s[38:39]
	s_mov_b32 s55, s15
	s_mov_b32 s57, s5
	v_cmp_ngt_f64_e32 vcc, s[22:23], v[13:14]
	v_cmp_nlt_f64_e64 s[10:11], s[30:31], v[13:14]
	v_mul_f64 v[59:60], v[32:33], 0.5
	s_mov_b32 s20, s4
	v_rndne_f64_e32 v[34:35], v[34:35]
	v_fma_f64 v[36:37], v[34:35], s[40:41], -v[13:14]
	v_fma_f64 v[36:37], v[34:35], s[42:43], v[36:37]
	v_cvt_i32_f64_e32 v34, v[34:35]
	v_fma_f64 v[38:39], v[36:37], s[44:45], v[22:23]
	v_fma_f64 v[38:39], v[36:37], v[38:39], s[46:47]
	;; [unrolled: 1-line block ×9, first 2 shown]
	v_fma_f64 v[38:39], v[36:37], v[38:39], 1.0
	v_fma_f64 v[36:37], v[36:37], v[38:39], 1.0
	v_ldexp_f64 v[34:35], v[36:37], v34
	v_cndmask_b32_e32 v35, v51, v35, vcc
	s_and_b64 vcc, s[10:11], vcc
	v_cndmask_b32_e32 v13, 0, v34, vcc
	v_cndmask_b32_e64 v14, 0, v35, s[10:11]
	v_mul_f64 v[34:35], v[26:27], v[26:27]
	s_mov_b32 s10, 0x9037ab78
	s_mov_b32 s11, 0x3e21eeb6
	v_mov_b32_e32 v56, s11
	v_mov_b32_e32 v55, s10
	s_mov_b32 s10, 0xb42fdfa7
	s_mov_b32 s11, 0xbe5ae600
	v_mul_f64 v[36:37], v[34:35], 0.5
	v_fma_f64 v[57:58], v[34:35], s[64:65], v[55:56]
	v_add_f64 v[38:39], -v[36:37], 1.0
	v_fma_f64 v[57:58], v[34:35], v[57:58], s[66:67]
	v_add_f64 v[53:54], -v[38:39], 1.0
	v_fma_f64 v[57:58], v[34:35], v[57:58], s[68:69]
	v_add_f64 v[36:37], v[53:54], -v[36:37]
	v_fma_f64 v[57:58], v[34:35], v[57:58], s[70:71]
	v_mul_f64 v[53:54], v[34:35], v[34:35]
	v_fma_f64 v[36:37], v[26:27], -v[32:33], v[36:37]
	v_fma_f64 v[57:58], v[34:35], v[57:58], s[4:5]
	v_fma_f64 v[36:37], v[53:54], v[57:58], v[36:37]
	v_mul_f64 v[57:58], v[26:27], -v[34:35]
	v_add_f64 v[36:37], v[38:39], v[36:37]
	v_mov_b32_e32 v39, s11
	v_mov_b32_e32 v38, s10
	v_fma_f64 v[53:54], v[34:35], s[74:75], v[38:39]
	v_fma_f64 v[53:54], v[34:35], v[53:54], s[76:77]
	v_fma_f64 v[53:54], v[34:35], v[53:54], s[78:79]
	v_fma_f64 v[53:54], v[34:35], v[53:54], s[14:15]
	v_fma_f64 v[53:54], v[57:58], v[53:54], v[59:60]
	v_fma_f64 v[32:33], v[34:35], v[53:54], -v[32:33]
	v_fma_f64 v[32:33], v[57:58], s[20:21], v[32:33]
	v_add_f64 v[26:27], v[26:27], -v[32:33]
	v_and_b32_e32 v32, 1, v24
	v_cmp_eq_u32_e32 vcc, 0, v32
	v_lshlrev_b32_e32 v24, 30, v24
	v_and_b32_e32 v24, 0x80000000, v24
	v_xor_b32_e32 v27, 0x80000000, v27
	v_cndmask_b32_e32 v26, v26, v36, vcc
	v_cndmask_b32_e32 v27, v27, v37, vcc
	v_cmp_class_f64_e64 vcc, v[15:16], s73
	v_xor_b32_e32 v24, v27, v24
	v_cndmask_b32_e32 v15, 0, v26, vcc
	v_cndmask_b32_e32 v16, v52, v24, vcc
	v_mul_f64 v[26:27], v[13:14], v[15:16]
	v_mul_f64 v[15:16], v[28:29], v[28:29]
	v_and_b32_e32 v24, 1, v18
	v_lshlrev_b32_e32 v18, 30, v18
	v_cmp_eq_u32_e64 s[10:11], 0, v24
	v_xor_b32_e32 v18, v18, v25
	v_and_b32_e32 v18, 0x80000000, v18
	v_mul_f64 v[32:33], v[15:16], 0.5
	v_fma_f64 v[53:54], v[15:16], s[64:65], v[55:56]
	v_add_f64 v[34:35], -v[32:33], 1.0
	v_fma_f64 v[53:54], v[15:16], v[53:54], s[66:67]
	v_add_f64 v[36:37], -v[34:35], 1.0
	v_fma_f64 v[53:54], v[15:16], v[53:54], s[68:69]
	v_add_f64 v[32:33], v[36:37], -v[32:33]
	v_fma_f64 v[53:54], v[15:16], v[53:54], s[70:71]
	v_mul_f64 v[36:37], v[15:16], v[15:16]
	v_fma_f64 v[32:33], v[28:29], -v[30:31], v[32:33]
	v_fma_f64 v[53:54], v[15:16], v[53:54], s[4:5]
	v_fma_f64 v[32:33], v[36:37], v[53:54], v[32:33]
	v_mul_f64 v[36:37], v[28:29], -v[15:16]
	v_add_f64 v[32:33], v[34:35], v[32:33]
	v_fma_f64 v[34:35], v[15:16], s[74:75], v[38:39]
	v_mul_f64 v[38:39], v[30:31], 0.5
	v_fma_f64 v[34:35], v[15:16], v[34:35], s[76:77]
	v_fma_f64 v[34:35], v[15:16], v[34:35], s[78:79]
	;; [unrolled: 1-line block ×4, first 2 shown]
	v_fma_f64 v[15:16], v[15:16], v[34:35], -v[30:31]
	v_fma_f64 v[15:16], v[36:37], s[20:21], v[15:16]
	v_add_f64 v[15:16], v[28:29], -v[15:16]
	v_cndmask_b32_e64 v16, v33, v16, s[10:11]
	v_cndmask_b32_e64 v15, v32, v15, s[10:11]
	v_xor_b32_e32 v16, v16, v18
	v_cndmask_b32_e32 v15, 0, v15, vcc
	v_cndmask_b32_e32 v16, v52, v16, vcc
	v_mul_f64 v[24:25], v[13:14], v[15:16]
                                        ; implicit-def: $vgpr15_vgpr16
.LBB253_77:                             ;   in Loop: Header=BB253_4 Depth=1
	s_andn2_saveexec_b64 s[88:89], s[12:13]
	s_cbranch_execz .LBB253_87
; %bb.78:                               ;   in Loop: Header=BB253_4 Depth=1
	s_mov_b32 s10, 0
	s_mov_b32 s11, 0x41d00000
	v_cmp_nlt_f64_e64 s[10:11], |v[15:16]|, s[10:11]
                                        ; implicit-def: $vgpr38
                                        ; implicit-def: $vgpr26_vgpr27
                                        ; implicit-def: $vgpr36_vgpr37
	s_and_saveexec_b64 s[12:13], s[10:11]
	s_xor_b64 s[12:13], exec, s[12:13]
	s_cbranch_execz .LBB253_80
; %bb.79:                               ;   in Loop: Header=BB253_4 Depth=1
	v_trig_preop_f64 v[26:27], |v[15:16]|, 0
	s_mov_b32 vcc_lo, 0
	s_movk_i32 s20, 0xff80
	s_mov_b32 vcc_hi, 0x7b000000
	v_ldexp_f64 v[28:29], |v[15:16]|, s20
	v_cmp_ge_f64_e64 vcc, |v[15:16]|, vcc
	v_trig_preop_f64 v[30:31], |v[15:16]|, 1
	v_and_b32_e32 v18, 0x7fffffff, v16
	v_trig_preop_f64 v[38:39], |v[15:16]|, 2
	s_mov_b32 s90, s28
	s_mov_b32 s95, s93
	v_cndmask_b32_e32 v29, v18, v29, vcc
	v_cndmask_b32_e32 v28, v15, v28, vcc
	s_mov_b32 vcc_lo, 0
	v_mul_f64 v[32:33], v[26:27], v[28:29]
	s_mov_b32 vcc_hi, 0x7ff00000
	v_mul_f64 v[34:35], v[30:31], v[28:29]
	v_mul_f64 v[57:58], v[38:39], v[28:29]
	v_fma_f64 v[26:27], v[26:27], v[28:29], -v[32:33]
	v_fma_f64 v[30:31], v[30:31], v[28:29], -v[34:35]
	;; [unrolled: 1-line block ×3, first 2 shown]
	v_add_f64 v[36:37], v[34:35], v[26:27]
	v_add_f64 v[53:54], v[36:37], -v[34:35]
	v_add_f64 v[59:60], v[32:33], v[36:37]
	v_add_f64 v[55:56], v[36:37], -v[53:54]
	v_add_f64 v[26:27], v[26:27], -v[53:54]
	v_add_f64 v[53:54], v[57:58], v[30:31]
	v_add_f64 v[32:33], v[59:60], -v[32:33]
	v_add_f64 v[34:35], v[34:35], -v[55:56]
	v_ldexp_f64 v[55:56], v[59:60], -2
	v_add_f64 v[61:62], v[53:54], -v[57:58]
	v_add_f64 v[32:33], v[36:37], -v[32:33]
	v_add_f64 v[26:27], v[26:27], v[34:35]
	v_fract_f64_e32 v[34:35], v[55:56]
	v_cmp_neq_f64_e64 vcc, |v[55:56]|, vcc
	v_add_f64 v[30:31], v[30:31], -v[61:62]
	v_add_f64 v[36:37], v[53:54], v[26:27]
	v_ldexp_f64 v[34:35], v[34:35], 2
	v_add_f64 v[55:56], v[32:33], v[36:37]
	v_cndmask_b32_e32 v35, 0, v35, vcc
	v_cndmask_b32_e32 v34, 0, v34, vcc
	v_add_f64 v[63:64], v[36:37], -v[53:54]
	v_add_f64 v[59:60], v[55:56], v[34:35]
	v_add_f64 v[32:33], v[55:56], -v[32:33]
	v_add_f64 v[65:66], v[36:37], -v[63:64]
	;; [unrolled: 1-line block ×3, first 2 shown]
	v_cmp_gt_f64_e32 vcc, 0, v[59:60]
	v_add_f64 v[59:60], v[53:54], -v[61:62]
	v_add_f64 v[32:33], v[36:37], -v[32:33]
	;; [unrolled: 1-line block ×3, first 2 shown]
	v_cndmask_b32_e32 v18, 0, v49, vcc
	v_add_f64 v[34:35], v[34:35], v[17:18]
	v_add_f64 v[59:60], v[57:58], -v[59:60]
	v_add_f64 v[26:27], v[26:27], v[53:54]
	v_add_f64 v[67:68], v[55:56], v[34:35]
	;; [unrolled: 1-line block ×3, first 2 shown]
	v_cvt_i32_f64_e32 v24, v[67:68]
	v_add_f64 v[26:27], v[30:31], v[26:27]
	v_cvt_f64_i32_e32 v[61:62], v24
	v_add_f64 v[34:35], v[34:35], -v[61:62]
	v_add_f64 v[26:27], v[28:29], v[26:27]
	v_add_f64 v[30:31], v[55:56], v[34:35]
	;; [unrolled: 1-line block ×3, first 2 shown]
	v_add_f64 v[28:29], v[30:31], -v[34:35]
	v_cmp_le_f64_e32 vcc, 0.5, v[30:31]
	v_add_f64 v[28:29], v[55:56], -v[28:29]
	v_cndmask_b32_e32 v18, 0, v50, vcc
	v_addc_co_u32_e32 v38, vcc, 0, v24, vcc
	v_add_f64 v[26:27], v[26:27], v[28:29]
	v_add_f64 v[28:29], v[30:31], -v[17:18]
	v_add_f64 v[30:31], v[28:29], v[26:27]
	v_mul_f64 v[32:33], v[30:31], s[90:91]
	v_add_f64 v[28:29], v[30:31], -v[28:29]
	v_fma_f64 v[34:35], v[30:31], s[90:91], -v[32:33]
	v_add_f64 v[26:27], v[26:27], -v[28:29]
	v_fma_f64 v[28:29], v[30:31], s[94:95], v[34:35]
	v_fma_f64 v[28:29], v[26:27], s[90:91], v[28:29]
	v_add_f64 v[26:27], v[32:33], v[28:29]
	v_add_f64 v[30:31], v[26:27], -v[32:33]
	v_add_f64 v[36:37], v[28:29], -v[30:31]
	s_andn2_saveexec_b64 s[12:13], s[12:13]
	s_cbranch_execz .LBB253_82
	s_branch .LBB253_81
.LBB253_80:                             ;   in Loop: Header=BB253_4 Depth=1
	s_andn2_saveexec_b64 s[12:13], s[12:13]
	s_cbranch_execz .LBB253_82
.LBB253_81:                             ;   in Loop: Header=BB253_4 Depth=1
	s_mov_b32 vcc_lo, 0x6dc9c883
	s_mov_b32 vcc_hi, 0x3fe45f30
	v_mul_f64 v[26:27], |v[15:16]|, vcc
	s_mov_b32 s92, s34
	s_mov_b32 vcc_lo, 0x252049c0
	s_mov_b32 vcc_hi, 0xb97b839a
	v_rndne_f64_e32 v[28:29], v[26:27]
	v_fma_f64 v[26:27], v[28:29], s[28:29], |v[15:16]|
	v_mul_f64 v[30:31], v[28:29], s[34:35]
	v_cvt_i32_f64_e32 v38, v[28:29]
	v_fma_f64 v[36:37], v[28:29], s[34:35], v[26:27]
	v_add_f64 v[32:33], v[26:27], v[30:31]
	v_add_f64 v[34:35], v[26:27], -v[32:33]
	v_add_f64 v[32:33], v[32:33], -v[36:37]
	v_add_f64 v[26:27], v[34:35], v[30:31]
	v_fma_f64 v[30:31], v[28:29], s[92:93], v[30:31]
	v_add_f64 v[26:27], v[32:33], v[26:27]
	v_add_f64 v[26:27], v[26:27], -v[30:31]
	v_fma_f64 v[30:31], v[28:29], vcc, v[26:27]
	v_add_f64 v[26:27], v[36:37], v[30:31]
	v_add_f64 v[32:33], v[26:27], -v[36:37]
	v_add_f64 v[36:37], v[30:31], -v[32:33]
.LBB253_82:                             ;   in Loop: Header=BB253_4 Depth=1
	s_or_b64 exec, exec, s[12:13]
                                        ; implicit-def: $vgpr24
                                        ; implicit-def: $vgpr28_vgpr29
                                        ; implicit-def: $vgpr30_vgpr31
	s_and_saveexec_b64 s[12:13], s[10:11]
	s_xor_b64 s[10:11], exec, s[12:13]
	s_cbranch_execz .LBB253_84
; %bb.83:                               ;   in Loop: Header=BB253_4 Depth=1
	v_trig_preop_f64 v[28:29], |v[15:16]|, 0
	s_movk_i32 s12, 0xff80
	v_ldexp_f64 v[30:31], |v[15:16]|, s12
	s_mov_b32 s12, 0
	s_mov_b32 s13, 0x7b000000
	v_cmp_ge_f64_e64 vcc, |v[15:16]|, s[12:13]
	v_trig_preop_f64 v[32:33], |v[15:16]|, 1
	v_and_b32_e32 v18, 0x7fffffff, v16
	v_trig_preop_f64 v[57:58], |v[15:16]|, 2
	s_mov_b32 s12, 0
	s_mov_b32 s13, 0x7ff00000
	;; [unrolled: 1-line block ×4, first 2 shown]
	v_cndmask_b32_e32 v31, v18, v31, vcc
	v_cndmask_b32_e32 v30, v15, v30, vcc
	v_mul_f64 v[34:35], v[28:29], v[30:31]
	v_mul_f64 v[53:54], v[32:33], v[30:31]
	;; [unrolled: 1-line block ×3, first 2 shown]
	v_fma_f64 v[28:29], v[28:29], v[30:31], -v[34:35]
	v_fma_f64 v[32:33], v[32:33], v[30:31], -v[53:54]
	;; [unrolled: 1-line block ×3, first 2 shown]
	v_add_f64 v[55:56], v[53:54], v[28:29]
	v_add_f64 v[59:60], v[55:56], -v[53:54]
	v_add_f64 v[65:66], v[34:35], v[55:56]
	v_add_f64 v[61:62], v[55:56], -v[59:60]
	v_add_f64 v[28:29], v[28:29], -v[59:60]
	v_add_f64 v[59:60], v[63:64], v[32:33]
	v_add_f64 v[34:35], v[65:66], -v[34:35]
	v_add_f64 v[53:54], v[53:54], -v[61:62]
	v_ldexp_f64 v[61:62], v[65:66], -2
	v_add_f64 v[67:68], v[59:60], -v[63:64]
	v_add_f64 v[34:35], v[55:56], -v[34:35]
	v_add_f64 v[28:29], v[28:29], v[53:54]
	v_fract_f64_e32 v[53:54], v[61:62]
	v_cmp_neq_f64_e64 vcc, |v[61:62]|, s[12:13]
	v_add_f64 v[32:33], v[32:33], -v[67:68]
	v_add_f64 v[55:56], v[59:60], v[28:29]
	v_ldexp_f64 v[53:54], v[53:54], 2
	v_add_f64 v[61:62], v[34:35], v[55:56]
	v_cndmask_b32_e32 v54, 0, v54, vcc
	v_cndmask_b32_e32 v53, 0, v53, vcc
	v_add_f64 v[69:70], v[55:56], -v[59:60]
	v_add_f64 v[65:66], v[61:62], v[53:54]
	v_add_f64 v[34:35], v[61:62], -v[34:35]
	v_add_f64 v[71:72], v[55:56], -v[69:70]
	;; [unrolled: 1-line block ×3, first 2 shown]
	v_cmp_gt_f64_e32 vcc, 0, v[65:66]
	v_add_f64 v[65:66], v[59:60], -v[67:68]
	v_add_f64 v[34:35], v[55:56], -v[34:35]
	;; [unrolled: 1-line block ×3, first 2 shown]
	v_cndmask_b32_e32 v18, 0, v49, vcc
	v_add_f64 v[53:54], v[53:54], v[17:18]
	v_add_f64 v[65:66], v[63:64], -v[65:66]
	v_add_f64 v[28:29], v[28:29], v[59:60]
	v_add_f64 v[73:74], v[61:62], v[53:54]
	;; [unrolled: 1-line block ×3, first 2 shown]
	v_cvt_i32_f64_e32 v24, v[73:74]
	v_add_f64 v[28:29], v[32:33], v[28:29]
	v_cvt_f64_i32_e32 v[67:68], v24
	v_add_f64 v[53:54], v[53:54], -v[67:68]
	v_add_f64 v[28:29], v[30:31], v[28:29]
	v_add_f64 v[32:33], v[61:62], v[53:54]
	;; [unrolled: 1-line block ×3, first 2 shown]
	v_add_f64 v[30:31], v[32:33], -v[53:54]
	v_cmp_le_f64_e32 vcc, 0.5, v[32:33]
	v_add_f64 v[30:31], v[61:62], -v[30:31]
	v_cndmask_b32_e32 v18, 0, v50, vcc
	v_addc_co_u32_e32 v24, vcc, 0, v24, vcc
	v_add_f64 v[28:29], v[28:29], v[30:31]
	v_add_f64 v[30:31], v[32:33], -v[17:18]
	v_add_f64 v[32:33], v[30:31], v[28:29]
	v_mul_f64 v[34:35], v[32:33], s[90:91]
	v_add_f64 v[30:31], v[32:33], -v[30:31]
	v_fma_f64 v[53:54], v[32:33], s[90:91], -v[34:35]
	v_add_f64 v[28:29], v[28:29], -v[30:31]
	v_fma_f64 v[30:31], v[32:33], s[94:95], v[53:54]
	v_fma_f64 v[30:31], v[28:29], s[90:91], v[30:31]
	v_add_f64 v[28:29], v[34:35], v[30:31]
	v_add_f64 v[32:33], v[28:29], -v[34:35]
	v_add_f64 v[30:31], v[30:31], -v[32:33]
	s_andn2_saveexec_b64 s[10:11], s[10:11]
	s_cbranch_execnz .LBB253_85
	s_branch .LBB253_86
.LBB253_84:                             ;   in Loop: Header=BB253_4 Depth=1
	s_andn2_saveexec_b64 s[10:11], s[10:11]
	s_cbranch_execz .LBB253_86
.LBB253_85:                             ;   in Loop: Header=BB253_4 Depth=1
	s_mov_b32 s12, 0x6dc9c883
	s_mov_b32 s13, 0x3fe45f30
	v_mul_f64 v[28:29], |v[15:16]|, s[12:13]
	s_mov_b32 s92, s34
	s_mov_b32 s12, 0x252049c0
	;; [unrolled: 1-line block ×3, first 2 shown]
	v_rndne_f64_e32 v[32:33], v[28:29]
	v_fma_f64 v[28:29], v[32:33], s[28:29], |v[15:16]|
	v_mul_f64 v[30:31], v[32:33], s[34:35]
	v_cvt_i32_f64_e32 v24, v[32:33]
	v_fma_f64 v[55:56], v[32:33], s[34:35], v[28:29]
	v_add_f64 v[34:35], v[28:29], v[30:31]
	v_add_f64 v[53:54], v[28:29], -v[34:35]
	v_add_f64 v[34:35], v[34:35], -v[55:56]
	v_add_f64 v[28:29], v[53:54], v[30:31]
	v_fma_f64 v[30:31], v[32:33], s[92:93], v[30:31]
	v_add_f64 v[28:29], v[34:35], v[28:29]
	v_add_f64 v[28:29], v[28:29], -v[30:31]
	v_fma_f64 v[30:31], v[32:33], s[12:13], v[28:29]
	v_add_f64 v[28:29], v[55:56], v[30:31]
	v_add_f64 v[34:35], v[28:29], -v[55:56]
	v_add_f64 v[30:31], v[30:31], -v[34:35]
.LBB253_86:                             ;   in Loop: Header=BB253_4 Depth=1
	s_or_b64 exec, exec, s[10:11]
	v_cmp_class_f64_e64 vcc, v[15:16], s73
	v_and_b32_e32 v15, 1, v38
	v_cmp_eq_u32_e64 s[10:11], 0, v15
	v_mul_f64 v[15:16], v[26:27], v[26:27]
	s_mov_b32 s12, 0x9037ab78
	s_mov_b32 s13, 0x3e21eeb6
	v_mov_b32_e32 v35, s13
	v_mov_b32_e32 v34, s12
	s_mov_b32 s12, 0xb42fdfa7
	s_mov_b32 s13, 0xbe5ae600
	s_mov_b32 s20, s4
	v_mul_f64 v[32:33], v[15:16], 0.5
	v_fma_f64 v[57:58], v[15:16], s[64:65], v[34:35]
	v_mul_f64 v[55:56], v[15:16], v[15:16]
	v_lshlrev_b32_e32 v18, 30, v38
	v_and_b32_e32 v18, 0x80000000, v18
	s_mov_b32 s55, s15
	s_mov_b32 s57, s5
	v_add_f64 v[53:54], -v[32:33], 1.0
	v_fma_f64 v[57:58], v[15:16], v[57:58], s[66:67]
	v_add_f64 v[59:60], -v[53:54], 1.0
	v_fma_f64 v[57:58], v[15:16], v[57:58], s[68:69]
	v_add_f64 v[32:33], v[59:60], -v[32:33]
	v_fma_f64 v[57:58], v[15:16], v[57:58], s[70:71]
	v_mul_f64 v[59:60], v[36:37], 0.5
	v_fma_f64 v[32:33], v[26:27], -v[36:37], v[32:33]
	v_fma_f64 v[57:58], v[15:16], v[57:58], s[4:5]
	v_fma_f64 v[32:33], v[55:56], v[57:58], v[32:33]
	v_mul_f64 v[55:56], v[26:27], -v[15:16]
	v_add_f64 v[53:54], v[53:54], v[32:33]
	v_mov_b32_e32 v33, s13
	v_mov_b32_e32 v32, s12
	v_fma_f64 v[57:58], v[15:16], s[74:75], v[32:33]
	s_mov_b32 s12, 0
	s_mov_b32 s13, 0xc090cc00
	v_fma_f64 v[57:58], v[15:16], v[57:58], s[76:77]
	v_fma_f64 v[57:58], v[15:16], v[57:58], s[78:79]
	;; [unrolled: 1-line block ×4, first 2 shown]
	v_fma_f64 v[15:16], v[15:16], v[57:58], -v[36:37]
	v_fma_f64 v[15:16], v[55:56], s[20:21], v[15:16]
	v_add_f64 v[15:16], v[26:27], -v[15:16]
	v_xor_b32_e32 v16, 0x80000000, v16
	v_cndmask_b32_e64 v15, v15, v53, s[10:11]
	v_cndmask_b32_e64 v16, v16, v54, s[10:11]
	s_mov_b32 s10, 0x19ba0da4
	s_mov_b32 s11, 0xc0937be3
	v_add_f64 v[13:14], -v[13:14], s[10:11]
	v_xor_b32_e32 v16, v16, v18
	v_cndmask_b32_e32 v26, 0, v15, vcc
	v_cndmask_b32_e32 v27, v52, v16, vcc
	s_mov_b32 s10, 0
	s_mov_b32 s11, 0x40900000
	v_mul_f64 v[15:16], v[13:14], s[80:81]
	v_cmp_nlt_f64_e64 s[10:11], s[10:11], v[13:14]
	v_cmp_ngt_f64_e64 s[12:13], s[12:13], v[13:14]
	v_rndne_f64_e32 v[15:16], v[15:16]
	v_fma_f64 v[36:37], v[15:16], s[40:41], v[13:14]
	v_fma_f64 v[36:37], v[15:16], s[42:43], v[36:37]
	v_cvt_i32_f64_e32 v15, v[15:16]
	v_fma_f64 v[38:39], v[36:37], s[44:45], v[22:23]
	v_fma_f64 v[38:39], v[36:37], v[38:39], s[46:47]
	;; [unrolled: 1-line block ×9, first 2 shown]
	v_fma_f64 v[38:39], v[36:37], v[38:39], 1.0
	v_fma_f64 v[36:37], v[36:37], v[38:39], 1.0
	v_ldexp_f64 v[15:16], v[36:37], v15
	v_cndmask_b32_e64 v16, v51, v16, s[10:11]
	v_cndmask_b32_e64 v18, 0, v16, s[12:13]
	s_and_b64 s[10:11], s[12:13], s[10:11]
	v_and_b32_e32 v13, 0xfffff, v18
	v_cndmask_b32_e64 v15, 0, v15, s[10:11]
	v_or_b32_e32 v16, 0x7fe00000, v13
	v_mul_f64 v[13:14], v[15:16], v[26:27]
	v_lshrrev_b32_e32 v18, 20, v18
	v_add_u32_e32 v36, 0xffffff09, v18
	v_lshrrev_b16_e32 v18, 15, v36
	v_add_u16_e32 v18, v36, v18
	v_ashrrev_i16_e32 v18, 1, v18
	v_bfe_i32 v37, v18, 0, 16
	v_lshl_add_u32 v18, v37, 20, v50
	v_mul_f64 v[26:27], v[13:14], v[17:18]
	v_sub_u32_e32 v13, v36, v37
	v_mul_f64 v[36:37], v[28:29], v[28:29]
	v_lshl_add_u32 v14, v13, 20, v50
	v_mov_b32_e32 v13, v17
	v_mul_f64 v[26:27], v[26:27], v[13:14]
	v_mul_f64 v[38:39], v[36:37], 0.5
	v_fma_f64 v[34:35], v[36:37], s[64:65], v[34:35]
	v_fma_f64 v[32:33], v[36:37], s[74:75], v[32:33]
	v_add_f64 v[53:54], -v[38:39], 1.0
	v_fma_f64 v[34:35], v[36:37], v[34:35], s[66:67]
	v_fma_f64 v[32:33], v[36:37], v[32:33], s[76:77]
	v_add_f64 v[55:56], -v[53:54], 1.0
	v_fma_f64 v[34:35], v[36:37], v[34:35], s[68:69]
	v_fma_f64 v[32:33], v[36:37], v[32:33], s[78:79]
	v_add_f64 v[38:39], v[55:56], -v[38:39]
	v_fma_f64 v[34:35], v[36:37], v[34:35], s[70:71]
	v_mul_f64 v[55:56], v[36:37], v[36:37]
	v_fma_f64 v[32:33], v[36:37], v[32:33], s[14:15]
	v_fma_f64 v[38:39], v[28:29], -v[30:31], v[38:39]
	v_fma_f64 v[34:35], v[36:37], v[34:35], s[4:5]
	v_fma_f64 v[34:35], v[55:56], v[34:35], v[38:39]
	v_mul_f64 v[38:39], v[28:29], -v[36:37]
	v_add_f64 v[34:35], v[53:54], v[34:35]
	v_mul_f64 v[53:54], v[30:31], 0.5
	v_fma_f64 v[32:33], v[38:39], v[32:33], v[53:54]
	v_fma_f64 v[30:31], v[36:37], v[32:33], -v[30:31]
	v_fma_f64 v[30:31], v[38:39], s[20:21], v[30:31]
	v_add_f64 v[28:29], v[28:29], -v[30:31]
	v_and_b32_e32 v30, 1, v24
	v_lshlrev_b32_e32 v24, 30, v24
	v_cmp_eq_u32_e64 s[10:11], 0, v30
	v_xor_b32_e32 v24, v24, v25
	v_and_b32_e32 v24, 0x80000000, v24
	v_cndmask_b32_e64 v29, v35, v29, s[10:11]
	v_cndmask_b32_e64 v28, v34, v28, s[10:11]
	v_xor_b32_e32 v25, v29, v24
	v_cndmask_b32_e32 v24, 0, v28, vcc
	v_cndmask_b32_e32 v25, v52, v25, vcc
	v_mul_f64 v[15:16], v[15:16], v[24:25]
	v_mul_f64 v[15:16], v[15:16], v[17:18]
	v_mul_f64 v[24:25], v[15:16], v[13:14]
.LBB253_87:                             ;   in Loop: Header=BB253_4 Depth=1
	s_or_b64 exec, exec, s[88:89]
                                        ; implicit-def: $vgpr28_vgpr29
                                        ; implicit-def: $vgpr13_vgpr14
                                        ; implicit-def: $vgpr18
.LBB253_88:                             ;   in Loop: Header=BB253_4 Depth=1
	s_andn2_saveexec_b64 s[12:13], s[86:87]
	s_cbranch_execz .LBB253_94
; %bb.89:                               ;   in Loop: Header=BB253_4 Depth=1
	v_add_f64 v[24:25], v[15:16], -v[15:16]
	s_mov_b32 s10, 0x7ff00000
	v_cmp_ne_u32_e32 vcc, 0, v13
	v_cmp_ne_u32_e64 s[10:11], s10, v18
	s_or_b64 s[10:11], vcc, s[10:11]
	s_and_saveexec_b64 s[86:87], s[10:11]
	s_xor_b64 s[10:11], exec, s[86:87]
; %bb.90:                               ;   in Loop: Header=BB253_4 Depth=1
                                        ; implicit-def: $vgpr28_vgpr29
                                        ; implicit-def: $vgpr13_vgpr14
; %bb.91:                               ;   in Loop: Header=BB253_4 Depth=1
	s_or_saveexec_b64 s[10:11], s[10:11]
	v_mov_b32_e32 v27, v25
	v_mov_b32_e32 v26, v24
	s_xor_b64 exec, exec, s[10:11]
; %bb.92:                               ;   in Loop: Header=BB253_4 Depth=1
	v_cmp_lt_i64_e32 vcc, -1, v[28:29]
	v_cndmask_b32_e32 v27, 0, v29, vcc
	v_cndmask_b32_e32 v26, 0, v13, vcc
	;; [unrolled: 1-line block ×4, first 2 shown]
; %bb.93:                               ;   in Loop: Header=BB253_4 Depth=1
	s_or_b64 exec, exec, s[10:11]
.LBB253_94:                             ;   in Loop: Header=BB253_4 Depth=1
	s_or_b64 exec, exec, s[12:13]
                                        ; implicit-def: $vgpr15_vgpr16
.LBB253_95:                             ;   in Loop: Header=BB253_4 Depth=1
	s_andn2_saveexec_b64 s[84:85], s[84:85]
	s_cbranch_execz .LBB253_105
; %bb.96:                               ;   in Loop: Header=BB253_4 Depth=1
	v_trig_preop_f64 v[32:33], |v[15:16]|, 0
	v_trig_preop_f64 v[30:31], |v[15:16]|, 1
	;; [unrolled: 1-line block ×3, first 2 shown]
	s_mov_b32 s10, 0
	s_mov_b32 s11, 0x41d00000
	s_movk_i32 s12, 0xff80
	v_cmp_nlt_f64_e64 s[10:11], |v[15:16]|, s[10:11]
	v_ldexp_f64 v[36:37], |v[15:16]|, s12
	v_and_b32_e32 v53, 0x7fffffff, v16
                                        ; implicit-def: $vgpr24
                                        ; implicit-def: $vgpr13_vgpr14
                                        ; implicit-def: $vgpr26_vgpr27
	s_and_saveexec_b64 s[12:13], s[10:11]
	s_xor_b64 s[12:13], exec, s[12:13]
	s_cbranch_execz .LBB253_98
; %bb.97:                               ;   in Loop: Header=BB253_4 Depth=1
	s_mov_b32 s86, 0
	s_mov_b32 s87, 0x7b000000
	v_cmp_ge_f64_e64 vcc, |v[15:16]|, s[86:87]
	s_mov_b32 s86, 0
	s_mov_b32 s87, 0x7ff00000
	;; [unrolled: 1-line block ×4, first 2 shown]
	v_cndmask_b32_e32 v14, v53, v37, vcc
	v_cndmask_b32_e32 v13, v15, v36, vcc
	v_mul_f64 v[26:27], v[32:33], v[13:14]
	v_mul_f64 v[34:35], v[30:31], v[13:14]
	;; [unrolled: 1-line block ×3, first 2 shown]
	v_fma_f64 v[38:39], v[32:33], v[13:14], -v[26:27]
	v_fma_f64 v[62:63], v[30:31], v[13:14], -v[34:35]
	;; [unrolled: 1-line block ×3, first 2 shown]
	v_add_f64 v[54:55], v[34:35], v[38:39]
	v_add_f64 v[56:57], v[54:55], -v[34:35]
	v_add_f64 v[64:65], v[26:27], v[54:55]
	v_add_f64 v[58:59], v[54:55], -v[56:57]
	v_add_f64 v[38:39], v[38:39], -v[56:57]
	v_add_f64 v[56:57], v[60:61], v[62:63]
	v_add_f64 v[26:27], v[64:65], -v[26:27]
	v_add_f64 v[34:35], v[34:35], -v[58:59]
	v_ldexp_f64 v[58:59], v[64:65], -2
	v_add_f64 v[66:67], v[56:57], -v[60:61]
	v_add_f64 v[26:27], v[54:55], -v[26:27]
	v_add_f64 v[34:35], v[38:39], v[34:35]
	v_fract_f64_e32 v[38:39], v[58:59]
	v_cmp_neq_f64_e64 vcc, |v[58:59]|, s[86:87]
	v_add_f64 v[62:63], v[62:63], -v[66:67]
	v_add_f64 v[54:55], v[56:57], v[34:35]
	v_ldexp_f64 v[38:39], v[38:39], 2
	v_add_f64 v[58:59], v[26:27], v[54:55]
	v_cndmask_b32_e32 v39, 0, v39, vcc
	v_cndmask_b32_e32 v38, 0, v38, vcc
	v_add_f64 v[68:69], v[54:55], -v[56:57]
	v_add_f64 v[64:65], v[58:59], v[38:39]
	v_add_f64 v[26:27], v[58:59], -v[26:27]
	v_add_f64 v[70:71], v[54:55], -v[68:69]
	v_add_f64 v[34:35], v[34:35], -v[68:69]
	v_cmp_gt_f64_e32 vcc, 0, v[64:65]
	v_add_f64 v[64:65], v[56:57], -v[66:67]
	v_add_f64 v[26:27], v[54:55], -v[26:27]
	;; [unrolled: 1-line block ×3, first 2 shown]
	v_cndmask_b32_e32 v18, 0, v49, vcc
	v_add_f64 v[38:39], v[38:39], v[17:18]
	v_add_f64 v[64:65], v[60:61], -v[64:65]
	v_add_f64 v[34:35], v[34:35], v[56:57]
	v_add_f64 v[72:73], v[58:59], v[38:39]
	;; [unrolled: 1-line block ×3, first 2 shown]
	v_cvt_i32_f64_e32 v24, v[72:73]
	v_add_f64 v[34:35], v[62:63], v[34:35]
	v_cvt_f64_i32_e32 v[66:67], v24
	v_add_f64 v[38:39], v[38:39], -v[66:67]
	v_add_f64 v[13:14], v[13:14], v[34:35]
	v_add_f64 v[56:57], v[58:59], v[38:39]
	;; [unrolled: 1-line block ×3, first 2 shown]
	v_add_f64 v[34:35], v[56:57], -v[38:39]
	v_cmp_le_f64_e32 vcc, 0.5, v[56:57]
	v_add_f64 v[26:27], v[58:59], -v[34:35]
	v_cndmask_b32_e32 v18, 0, v50, vcc
	v_addc_co_u32_e32 v24, vcc, 0, v24, vcc
	v_add_f64 v[13:14], v[13:14], v[26:27]
	v_add_f64 v[26:27], v[56:57], -v[17:18]
	v_add_f64 v[34:35], v[26:27], v[13:14]
	v_mul_f64 v[38:39], v[34:35], s[90:91]
	v_add_f64 v[26:27], v[34:35], -v[26:27]
	v_fma_f64 v[54:55], v[34:35], s[90:91], -v[38:39]
	v_add_f64 v[13:14], v[13:14], -v[26:27]
	v_fma_f64 v[26:27], v[34:35], s[94:95], v[54:55]
	v_fma_f64 v[26:27], v[13:14], s[90:91], v[26:27]
	v_add_f64 v[13:14], v[38:39], v[26:27]
	v_add_f64 v[34:35], v[13:14], -v[38:39]
	v_add_f64 v[26:27], v[26:27], -v[34:35]
	s_andn2_saveexec_b64 s[12:13], s[12:13]
	s_cbranch_execz .LBB253_100
	s_branch .LBB253_99
.LBB253_98:                             ;   in Loop: Header=BB253_4 Depth=1
	s_andn2_saveexec_b64 s[12:13], s[12:13]
	s_cbranch_execz .LBB253_100
.LBB253_99:                             ;   in Loop: Header=BB253_4 Depth=1
	s_mov_b32 s86, 0x6dc9c883
	s_mov_b32 s87, 0x3fe45f30
	v_mul_f64 v[13:14], |v[15:16]|, s[86:87]
	s_mov_b32 s92, s34
	s_mov_b32 s86, 0x252049c0
	;; [unrolled: 1-line block ×3, first 2 shown]
	v_rndne_f64_e32 v[34:35], v[13:14]
	v_fma_f64 v[13:14], v[34:35], s[28:29], |v[15:16]|
	v_mul_f64 v[26:27], v[34:35], s[34:35]
	v_cvt_i32_f64_e32 v24, v[34:35]
	v_fma_f64 v[56:57], v[34:35], s[34:35], v[13:14]
	v_add_f64 v[38:39], v[13:14], v[26:27]
	v_add_f64 v[54:55], v[13:14], -v[38:39]
	v_add_f64 v[38:39], v[38:39], -v[56:57]
	v_add_f64 v[13:14], v[54:55], v[26:27]
	v_fma_f64 v[26:27], v[34:35], s[92:93], v[26:27]
	v_add_f64 v[13:14], v[38:39], v[13:14]
	v_add_f64 v[13:14], v[13:14], -v[26:27]
	v_fma_f64 v[26:27], v[34:35], s[86:87], v[13:14]
	v_add_f64 v[13:14], v[56:57], v[26:27]
	v_add_f64 v[38:39], v[13:14], -v[56:57]
	v_add_f64 v[26:27], v[26:27], -v[38:39]
.LBB253_100:                            ;   in Loop: Header=BB253_4 Depth=1
	s_or_b64 exec, exec, s[12:13]
                                        ; implicit-def: $vgpr18
                                        ; implicit-def: $vgpr34_vgpr35
                                        ; implicit-def: $vgpr38_vgpr39
	s_and_saveexec_b64 s[12:13], s[10:11]
	s_xor_b64 s[10:11], exec, s[12:13]
	s_cbranch_execz .LBB253_102
; %bb.101:                              ;   in Loop: Header=BB253_4 Depth=1
	s_mov_b32 s12, 0
	s_mov_b32 s13, 0x7b000000
	v_cmp_ge_f64_e64 vcc, |v[15:16]|, s[12:13]
	s_mov_b32 s12, 0
	s_mov_b32 s13, 0x7ff00000
	;; [unrolled: 1-line block ×4, first 2 shown]
	v_cndmask_b32_e32 v35, v53, v37, vcc
	v_cndmask_b32_e32 v34, v15, v36, vcc
	v_mul_f64 v[36:37], v[32:33], v[34:35]
	v_mul_f64 v[38:39], v[30:31], v[34:35]
	;; [unrolled: 1-line block ×3, first 2 shown]
	v_fma_f64 v[32:33], v[32:33], v[34:35], -v[36:37]
	v_fma_f64 v[30:31], v[30:31], v[34:35], -v[38:39]
	;; [unrolled: 1-line block ×3, first 2 shown]
	v_add_f64 v[53:54], v[38:39], v[32:33]
	v_add_f64 v[55:56], v[53:54], -v[38:39]
	v_add_f64 v[61:62], v[36:37], v[53:54]
	v_add_f64 v[57:58], v[53:54], -v[55:56]
	v_add_f64 v[32:33], v[32:33], -v[55:56]
	v_add_f64 v[55:56], v[59:60], v[30:31]
	v_add_f64 v[36:37], v[61:62], -v[36:37]
	v_add_f64 v[38:39], v[38:39], -v[57:58]
	v_ldexp_f64 v[57:58], v[61:62], -2
	v_add_f64 v[63:64], v[55:56], -v[59:60]
	v_add_f64 v[36:37], v[53:54], -v[36:37]
	v_add_f64 v[32:33], v[32:33], v[38:39]
	v_fract_f64_e32 v[38:39], v[57:58]
	v_cmp_neq_f64_e64 vcc, |v[57:58]|, s[12:13]
	v_add_f64 v[30:31], v[30:31], -v[63:64]
	v_add_f64 v[53:54], v[55:56], v[32:33]
	v_ldexp_f64 v[38:39], v[38:39], 2
	v_add_f64 v[57:58], v[36:37], v[53:54]
	v_cndmask_b32_e32 v39, 0, v39, vcc
	v_cndmask_b32_e32 v38, 0, v38, vcc
	v_add_f64 v[65:66], v[53:54], -v[55:56]
	v_add_f64 v[61:62], v[57:58], v[38:39]
	v_add_f64 v[34:35], v[57:58], -v[36:37]
	v_add_f64 v[67:68], v[53:54], -v[65:66]
	;; [unrolled: 1-line block ×3, first 2 shown]
	v_cmp_gt_f64_e32 vcc, 0, v[61:62]
	v_add_f64 v[61:62], v[55:56], -v[63:64]
	v_add_f64 v[34:35], v[53:54], -v[34:35]
	;; [unrolled: 1-line block ×3, first 2 shown]
	v_cndmask_b32_e32 v18, 0, v49, vcc
	v_add_f64 v[38:39], v[38:39], v[17:18]
	v_add_f64 v[61:62], v[59:60], -v[61:62]
	v_add_f64 v[32:33], v[32:33], v[55:56]
	v_add_f64 v[69:70], v[57:58], v[38:39]
	;; [unrolled: 1-line block ×3, first 2 shown]
	v_cvt_i32_f64_e32 v65, v[69:70]
	v_add_f64 v[30:31], v[30:31], v[32:33]
	v_cvt_f64_i32_e32 v[63:64], v65
	v_add_f64 v[38:39], v[38:39], -v[63:64]
	v_add_f64 v[28:29], v[28:29], v[30:31]
	v_add_f64 v[32:33], v[57:58], v[38:39]
	;; [unrolled: 1-line block ×3, first 2 shown]
	v_add_f64 v[30:31], v[32:33], -v[38:39]
	v_cmp_le_f64_e32 vcc, 0.5, v[32:33]
	v_add_f64 v[30:31], v[57:58], -v[30:31]
	v_cndmask_b32_e32 v18, 0, v50, vcc
	v_add_f64 v[28:29], v[28:29], v[30:31]
	v_add_f64 v[30:31], v[32:33], -v[17:18]
	v_addc_co_u32_e32 v18, vcc, 0, v65, vcc
	v_add_f64 v[32:33], v[30:31], v[28:29]
	v_mul_f64 v[36:37], v[32:33], s[90:91]
	v_add_f64 v[30:31], v[32:33], -v[30:31]
	v_fma_f64 v[34:35], v[32:33], s[90:91], -v[36:37]
	v_add_f64 v[28:29], v[28:29], -v[30:31]
	v_fma_f64 v[30:31], v[32:33], s[94:95], v[34:35]
	v_fma_f64 v[28:29], v[28:29], s[90:91], v[30:31]
	v_add_f64 v[34:35], v[36:37], v[28:29]
	v_add_f64 v[30:31], v[34:35], -v[36:37]
	v_add_f64 v[38:39], v[28:29], -v[30:31]
	s_andn2_saveexec_b64 s[10:11], s[10:11]
	s_cbranch_execnz .LBB253_103
	s_branch .LBB253_104
.LBB253_102:                            ;   in Loop: Header=BB253_4 Depth=1
	s_andn2_saveexec_b64 s[10:11], s[10:11]
	s_cbranch_execz .LBB253_104
.LBB253_103:                            ;   in Loop: Header=BB253_4 Depth=1
	s_mov_b32 s12, 0x6dc9c883
	s_mov_b32 s13, 0x3fe45f30
	v_mul_f64 v[28:29], |v[15:16]|, s[12:13]
	s_mov_b32 s92, s34
	s_mov_b32 s12, 0x252049c0
	;; [unrolled: 1-line block ×3, first 2 shown]
	v_rndne_f64_e32 v[28:29], v[28:29]
	v_fma_f64 v[30:31], v[28:29], s[28:29], |v[15:16]|
	v_mul_f64 v[32:33], v[28:29], s[34:35]
	v_cvt_i32_f64_e32 v18, v[28:29]
	v_add_f64 v[34:35], v[30:31], v[32:33]
	v_add_f64 v[36:37], v[30:31], -v[34:35]
	v_fma_f64 v[30:31], v[28:29], s[34:35], v[30:31]
	v_add_f64 v[36:37], v[36:37], v[32:33]
	v_add_f64 v[34:35], v[34:35], -v[30:31]
	v_fma_f64 v[32:33], v[28:29], s[92:93], v[32:33]
	;; [unrolled: 3-line block ×3, first 2 shown]
	v_add_f64 v[34:35], v[30:31], v[32:33]
	v_add_f64 v[30:31], v[34:35], -v[30:31]
	v_add_f64 v[38:39], v[32:33], -v[30:31]
.LBB253_104:                            ;   in Loop: Header=BB253_4 Depth=1
	s_or_b64 exec, exec, s[10:11]
	v_mul_f64 v[28:29], v[13:14], v[13:14]
	v_mul_f64 v[30:31], v[34:35], v[34:35]
	s_mov_b32 s10, 0xb42fdfa7
	s_mov_b32 s11, 0xbe5ae600
	v_mov_b32_e32 v33, s11
	v_mov_b32_e32 v32, s10
	s_mov_b32 s10, 0x9037ab78
	s_mov_b32 s11, 0x3e21eeb6
	v_fma_f64 v[36:37], v[28:29], s[74:75], v[32:33]
	v_fma_f64 v[32:33], v[30:31], s[74:75], v[32:33]
	v_mov_b32_e32 v54, s11
	v_mov_b32_e32 v53, s10
	v_mul_f64 v[57:58], v[28:29], 0.5
	v_fma_f64 v[55:56], v[28:29], s[64:65], v[53:54]
	v_fma_f64 v[53:54], v[30:31], s[64:65], v[53:54]
	v_mul_f64 v[59:60], v[30:31], 0.5
	v_fma_f64 v[36:37], v[28:29], v[36:37], s[76:77]
	v_fma_f64 v[32:33], v[30:31], v[32:33], s[76:77]
	v_mul_f64 v[61:62], v[26:27], 0.5
	v_mul_f64 v[69:70], v[13:14], -v[28:29]
	v_add_f64 v[63:64], -v[57:58], 1.0
	v_fma_f64 v[55:56], v[28:29], v[55:56], s[66:67]
	v_fma_f64 v[53:54], v[30:31], v[53:54], s[66:67]
	v_add_f64 v[67:68], -v[59:60], 1.0
	v_fma_f64 v[36:37], v[28:29], v[36:37], s[78:79]
	v_fma_f64 v[32:33], v[30:31], v[32:33], s[78:79]
	v_mul_f64 v[65:66], v[38:39], 0.5
	v_mul_f64 v[73:74], v[34:35], -v[30:31]
	v_add_f64 v[71:72], -v[63:64], 1.0
	v_fma_f64 v[55:56], v[28:29], v[55:56], s[68:69]
	v_fma_f64 v[53:54], v[30:31], v[53:54], s[68:69]
	v_add_f64 v[75:76], -v[67:68], 1.0
	v_fma_f64 v[36:37], v[28:29], v[36:37], s[14:15]
	v_fma_f64 v[32:33], v[30:31], v[32:33], s[14:15]
	s_mov_b32 s20, s4
	v_cmp_class_f64_e64 s[10:11], v[15:16], s73
	v_add_f64 v[57:58], v[71:72], -v[57:58]
	v_fma_f64 v[55:56], v[28:29], v[55:56], s[70:71]
	v_fma_f64 v[53:54], v[30:31], v[53:54], s[70:71]
	v_add_f64 v[59:60], v[75:76], -v[59:60]
	v_fma_f64 v[36:37], v[69:70], v[36:37], v[61:62]
	v_fma_f64 v[32:33], v[73:74], v[32:33], v[65:66]
	v_mul_f64 v[61:62], v[28:29], v[28:29]
	v_fma_f64 v[57:58], v[13:14], -v[26:27], v[57:58]
	v_fma_f64 v[55:56], v[28:29], v[55:56], s[4:5]
	v_fma_f64 v[26:27], v[28:29], v[36:37], -v[26:27]
	v_mul_f64 v[28:29], v[30:31], v[30:31]
	v_fma_f64 v[36:37], v[30:31], v[53:54], s[4:5]
	v_fma_f64 v[53:54], v[34:35], -v[38:39], v[59:60]
	v_fma_f64 v[30:31], v[30:31], v[32:33], -v[38:39]
	v_fma_f64 v[32:33], v[61:62], v[55:56], v[57:58]
	v_and_b32_e32 v38, 1, v24
	v_lshlrev_b32_e32 v24, 30, v24
	v_fma_f64 v[26:27], v[69:70], s[20:21], v[26:27]
	v_cmp_eq_u32_e32 vcc, 0, v38
	v_and_b32_e32 v24, 0x80000000, v24
	v_fma_f64 v[28:29], v[28:29], v[36:37], v[53:54]
	v_fma_f64 v[30:31], v[73:74], s[20:21], v[30:31]
	v_add_f64 v[32:33], v[63:64], v[32:33]
	v_and_b32_e32 v36, 1, v18
	v_lshlrev_b32_e32 v18, 30, v18
	v_add_f64 v[13:14], v[13:14], -v[26:27]
	v_xor_b32_e32 v18, v18, v25
	v_cmp_eq_u32_e64 s[12:13], 0, v36
	v_add_f64 v[26:27], v[67:68], v[28:29]
	v_add_f64 v[28:29], v[34:35], -v[30:31]
	v_and_b32_e32 v18, 0x80000000, v18
	v_xor_b32_e32 v14, 0x80000000, v14
	v_cndmask_b32_e32 v13, v13, v32, vcc
	v_cndmask_b32_e32 v14, v14, v33, vcc
	v_xor_b32_e32 v14, v14, v24
	v_cndmask_b32_e64 v16, v27, v29, s[12:13]
	v_cndmask_b32_e64 v15, v26, v28, s[12:13]
	v_cndmask_b32_e64 v26, 0, v13, s[10:11]
	v_xor_b32_e32 v13, v16, v18
	v_cndmask_b32_e64 v24, 0, v15, s[10:11]
	v_cndmask_b32_e64 v27, v52, v14, s[10:11]
	;; [unrolled: 1-line block ×3, first 2 shown]
.LBB253_105:                            ;   in Loop: Header=BB253_4 Depth=1
	s_or_b64 exec, exec, s[84:85]
                                        ; implicit-def: $vgpr13_vgpr14
.LBB253_106:                            ;   in Loop: Header=BB253_4 Depth=1
	s_andn2_saveexec_b64 s[12:13], s[36:37]
	s_cbranch_execz .LBB253_108
; %bb.107:                              ;   in Loop: Header=BB253_4 Depth=1
	s_mov_b32 s38, s80
	v_mul_f64 v[15:16], v[13:14], s[38:39]
	s_mov_b32 s55, s15
	s_mov_b32 s57, s5
	v_cmp_ngt_f64_e32 vcc, s[22:23], v[13:14]
	v_cmp_nlt_f64_e64 s[10:11], s[30:31], v[13:14]
	v_rndne_f64_e32 v[15:16], v[15:16]
	v_fma_f64 v[26:27], v[15:16], s[40:41], -v[13:14]
	v_fma_f64 v[26:27], v[15:16], s[42:43], v[26:27]
	v_cvt_i32_f64_e32 v15, v[15:16]
	v_fma_f64 v[28:29], v[26:27], s[44:45], v[22:23]
	v_fma_f64 v[28:29], v[26:27], v[28:29], s[46:47]
	;; [unrolled: 1-line block ×9, first 2 shown]
	v_fma_f64 v[28:29], v[26:27], v[28:29], 1.0
	v_fma_f64 v[26:27], v[26:27], v[28:29], 1.0
	v_ldexp_f64 v[15:16], v[26:27], v15
	v_cndmask_b32_e32 v16, v51, v16, vcc
	s_and_b64 vcc, s[10:11], vcc
	v_cndmask_b32_e64 v27, 0, v16, s[10:11]
	v_cndmask_b32_e32 v26, 0, v15, vcc
.LBB253_108:                            ;   in Loop: Header=BB253_4 Depth=1
	s_or_b64 exec, exec, s[12:13]
	v_add_f64 v[26:27], s[16:17], v[26:27]
	v_add_f64 v[24:25], s[18:19], v[24:25]
	v_cmp_gt_f64_e32 vcc, 0, v[26:27]
	v_xor_b32_e32 v13, 0x80000000, v27
	v_xor_b32_e32 v14, 0x80000000, v25
	v_mov_b32_e32 v28, v26
	v_mov_b32_e32 v30, v24
	v_cndmask_b32_e32 v29, v27, v13, vcc
	v_cmp_gt_f64_e32 vcc, 0, v[24:25]
	v_cndmask_b32_e32 v31, v25, v14, vcc
	v_cmp_ge_f64_e32 vcc, v[28:29], v[30:31]
                                        ; implicit-def: $vgpr15_vgpr16
	s_and_saveexec_b64 s[10:11], vcc
	s_xor_b64 s[12:13], exec, s[10:11]
	s_cbranch_execz .LBB253_114
; %bb.109:                              ;   in Loop: Header=BB253_4 Depth=1
	v_cmp_neq_f64_e32 vcc, 0, v[26:27]
	v_cmp_neq_f64_e64 s[10:11], 0, v[24:25]
                                        ; implicit-def: $vgpr15_vgpr16
	s_or_b64 s[10:11], vcc, s[10:11]
	s_and_saveexec_b64 s[36:37], s[10:11]
	s_xor_b64 s[10:11], exec, s[36:37]
	s_cbranch_execz .LBB253_111
; %bb.110:                              ;   in Loop: Header=BB253_4 Depth=1
	v_div_scale_f64 v[13:14], s[36:37], v[26:27], v[26:27], v[24:25]
	v_rcp_f64_e32 v[15:16], v[13:14]
	v_fma_f64 v[28:29], -v[13:14], v[15:16], 1.0
	v_fma_f64 v[15:16], v[15:16], v[28:29], v[15:16]
	v_div_scale_f64 v[28:29], vcc, v[24:25], v[26:27], v[24:25]
	v_fma_f64 v[30:31], -v[13:14], v[15:16], 1.0
	v_fma_f64 v[15:16], v[15:16], v[30:31], v[15:16]
	v_mul_f64 v[30:31], v[28:29], v[15:16]
	v_fma_f64 v[13:14], -v[13:14], v[30:31], v[28:29]
	v_div_fmas_f64 v[13:14], v[13:14], v[15:16], v[30:31]
	v_div_fixup_f64 v[13:14], v[13:14], v[26:27], v[24:25]
	v_fma_f64 v[15:16], v[24:25], v[13:14], v[26:27]
	v_div_scale_f64 v[24:25], s[36:37], v[15:16], v[15:16], 1.0
	v_rcp_f64_e32 v[26:27], v[24:25]
	v_fma_f64 v[28:29], -v[24:25], v[26:27], 1.0
	v_fma_f64 v[26:27], v[26:27], v[28:29], v[26:27]
	v_div_scale_f64 v[28:29], vcc, 1.0, v[15:16], 1.0
	v_fma_f64 v[30:31], -v[24:25], v[26:27], 1.0
	v_fma_f64 v[26:27], v[26:27], v[30:31], v[26:27]
	v_mul_f64 v[30:31], v[28:29], v[26:27]
	v_fma_f64 v[24:25], -v[24:25], v[30:31], v[28:29]
	v_mov_b32_e32 v29, s19
	v_mov_b32_e32 v28, s18
	v_div_fmas_f64 v[24:25], v[24:25], v[26:27], v[30:31]
	v_mov_b32_e32 v27, s17
	v_mov_b32_e32 v26, s16
	v_fma_f64 v[26:27], s[18:19], v[13:14], v[26:27]
                                        ; implicit-def: $vgpr30_vgpr31
	v_div_fixup_f64 v[15:16], v[24:25], v[15:16], 1.0
	v_fma_f64 v[24:25], -s[16:17], v[13:14], v[28:29]
                                        ; implicit-def: $vgpr28_vgpr29
	v_mul_f64 v[13:14], v[26:27], v[15:16]
	v_mul_f64 v[15:16], v[24:25], v[15:16]
.LBB253_111:                            ;   in Loop: Header=BB253_4 Depth=1
	s_andn2_saveexec_b64 s[36:37], s[10:11]
	s_cbranch_execz .LBB253_113
; %bb.112:                              ;   in Loop: Header=BB253_4 Depth=1
	v_div_scale_f64 v[13:14], s[10:11], v[28:29], v[28:29], s[16:17]
	v_div_scale_f64 v[15:16], s[10:11], v[30:31], v[30:31], s[18:19]
	;; [unrolled: 1-line block ×3, first 2 shown]
	v_rcp_f64_e32 v[24:25], v[13:14]
	v_rcp_f64_e32 v[26:27], v[15:16]
	v_fma_f64 v[32:33], -v[13:14], v[24:25], 1.0
	v_fma_f64 v[34:35], -v[15:16], v[26:27], 1.0
	v_fma_f64 v[24:25], v[24:25], v[32:33], v[24:25]
	v_div_scale_f64 v[32:33], vcc, s[16:17], v[28:29], s[16:17]
	v_fma_f64 v[26:27], v[26:27], v[34:35], v[26:27]
	v_fma_f64 v[34:35], -v[13:14], v[24:25], 1.0
	v_fma_f64 v[38:39], -v[15:16], v[26:27], 1.0
	v_fma_f64 v[24:25], v[24:25], v[34:35], v[24:25]
	v_fma_f64 v[26:27], v[26:27], v[38:39], v[26:27]
	v_mul_f64 v[34:35], v[32:33], v[24:25]
	v_mul_f64 v[38:39], v[36:37], v[26:27]
	v_fma_f64 v[13:14], -v[13:14], v[34:35], v[32:33]
	v_fma_f64 v[15:16], -v[15:16], v[38:39], v[36:37]
	v_div_fmas_f64 v[13:14], v[13:14], v[24:25], v[34:35]
	s_mov_b64 vcc, s[10:11]
	v_div_fmas_f64 v[15:16], v[15:16], v[26:27], v[38:39]
	v_div_fixup_f64 v[13:14], v[13:14], v[28:29], s[16:17]
	v_div_fixup_f64 v[15:16], v[15:16], v[30:31], s[18:19]
.LBB253_113:                            ;   in Loop: Header=BB253_4 Depth=1
	s_or_b64 exec, exec, s[36:37]
                                        ; implicit-def: $vgpr24_vgpr25
                                        ; implicit-def: $vgpr26_vgpr27
.LBB253_114:                            ;   in Loop: Header=BB253_4 Depth=1
	s_andn2_saveexec_b64 s[10:11], s[12:13]
	s_cbranch_execz .LBB253_116
; %bb.115:                              ;   in Loop: Header=BB253_4 Depth=1
	v_div_scale_f64 v[13:14], s[12:13], v[24:25], v[24:25], v[26:27]
	v_rcp_f64_e32 v[15:16], v[13:14]
	v_fma_f64 v[28:29], -v[13:14], v[15:16], 1.0
	v_fma_f64 v[15:16], v[15:16], v[28:29], v[15:16]
	v_div_scale_f64 v[28:29], vcc, v[26:27], v[24:25], v[26:27]
	v_fma_f64 v[30:31], -v[13:14], v[15:16], 1.0
	v_fma_f64 v[15:16], v[15:16], v[30:31], v[15:16]
	v_mul_f64 v[30:31], v[28:29], v[15:16]
	v_fma_f64 v[13:14], -v[13:14], v[30:31], v[28:29]
	v_div_fmas_f64 v[13:14], v[13:14], v[15:16], v[30:31]
	v_div_fixup_f64 v[13:14], v[13:14], v[24:25], v[26:27]
	v_fma_f64 v[15:16], v[26:27], v[13:14], v[24:25]
	v_div_scale_f64 v[24:25], s[12:13], v[15:16], v[15:16], 1.0
	v_rcp_f64_e32 v[26:27], v[24:25]
	v_fma_f64 v[28:29], -v[24:25], v[26:27], 1.0
	v_fma_f64 v[26:27], v[26:27], v[28:29], v[26:27]
	v_div_scale_f64 v[28:29], vcc, 1.0, v[15:16], 1.0
	v_fma_f64 v[30:31], -v[24:25], v[26:27], 1.0
	v_fma_f64 v[26:27], v[26:27], v[30:31], v[26:27]
	v_mul_f64 v[30:31], v[28:29], v[26:27]
	v_fma_f64 v[24:25], -v[24:25], v[30:31], v[28:29]
	v_mov_b32_e32 v29, s17
	v_mov_b32_e32 v28, s16
	v_div_fmas_f64 v[24:25], v[24:25], v[26:27], v[30:31]
	v_mov_b32_e32 v27, s19
	v_mov_b32_e32 v26, s18
	v_fma_f64 v[26:27], s[16:17], v[13:14], v[26:27]
	v_div_fixup_f64 v[15:16], v[24:25], v[15:16], 1.0
	v_fma_f64 v[24:25], s[18:19], v[13:14], -v[28:29]
	v_mul_f64 v[13:14], v[26:27], v[15:16]
	v_mul_f64 v[15:16], v[24:25], v[15:16]
.LBB253_116:                            ;   in Loop: Header=BB253_4 Depth=1
	s_or_b64 exec, exec, s[10:11]
	v_xor_b32_e32 v25, 0x80000000, v12
	v_and_b32_e32 v30, 0x7fffffff, v25
	v_or_b32_e32 v18, v30, v11
	v_mov_b32_e32 v24, v11
	v_cmp_ne_u32_e32 vcc, 0, v18
                                        ; implicit-def: $vgpr26_vgpr27
	s_and_saveexec_b64 s[10:11], vcc
	s_xor_b64 s[36:37], exec, s[10:11]
	s_cbranch_execz .LBB253_158
; %bb.117:                              ;   in Loop: Header=BB253_4 Depth=1
	v_xor_b32_e32 v29, 0x80000000, v10
	v_and_b32_e32 v18, 0x7fffffff, v29
	v_or_b32_e32 v24, v18, v9
	v_mov_b32_e32 v28, v9
	v_cmp_ne_u32_e32 vcc, 0, v24
                                        ; implicit-def: $vgpr26_vgpr27
	s_and_saveexec_b64 s[10:11], vcc
	s_xor_b64 s[84:85], exec, s[10:11]
	s_cbranch_execz .LBB253_147
; %bb.118:                              ;   in Loop: Header=BB253_4 Depth=1
	s_mov_b32 s10, 0x7ff00000
	v_cmp_gt_u32_e32 vcc, s10, v30
                                        ; implicit-def: $vgpr26_vgpr27
	s_and_saveexec_b64 s[10:11], vcc
	s_xor_b64 s[86:87], exec, s[10:11]
	s_cbranch_execz .LBB253_140
; %bb.119:                              ;   in Loop: Header=BB253_4 Depth=1
	v_add_u32_e32 v18, 0xbf79d1be, v29
	s_mov_b32 s10, 0x108aa2
	v_cmp_lt_u32_e32 vcc, s10, v18
                                        ; implicit-def: $vgpr26_vgpr27
	s_and_saveexec_b64 s[10:11], vcc
	s_xor_b64 s[12:13], exec, s[10:11]
	s_cbranch_execz .LBB253_129
; %bb.120:                              ;   in Loop: Header=BB253_4 Depth=1
	s_mov_b32 s10, 0
	s_mov_b32 s11, 0x41d00000
	v_cmp_nlt_f64_e64 s[10:11], |v[11:12]|, s[10:11]
                                        ; implicit-def: $vgpr24
                                        ; implicit-def: $vgpr26_vgpr27
                                        ; implicit-def: $vgpr32_vgpr33
	s_and_saveexec_b64 s[88:89], s[10:11]
	s_xor_b64 s[88:89], exec, s[88:89]
	s_cbranch_execz .LBB253_122
; %bb.121:                              ;   in Loop: Header=BB253_4 Depth=1
	v_trig_preop_f64 v[26:27], |v[11:12]|, 0
	s_mov_b32 vcc_lo, 0
	s_movk_i32 s20, 0xff80
	s_mov_b32 vcc_hi, 0x7b000000
	v_ldexp_f64 v[28:29], |v[11:12]|, s20
	v_cmp_ge_f64_e64 vcc, |v[11:12]|, vcc
	v_trig_preop_f64 v[30:31], |v[11:12]|, 1
	v_and_b32_e32 v18, 0x7fffffff, v12
	v_trig_preop_f64 v[38:39], |v[11:12]|, 2
	s_mov_b32 s90, s28
	s_mov_b32 s95, s93
	v_cndmask_b32_e32 v29, v18, v29, vcc
	v_cndmask_b32_e32 v28, v11, v28, vcc
	s_mov_b32 vcc_lo, 0
	v_mul_f64 v[32:33], v[26:27], v[28:29]
	s_mov_b32 vcc_hi, 0x7ff00000
	v_mul_f64 v[34:35], v[30:31], v[28:29]
	v_mul_f64 v[57:58], v[38:39], v[28:29]
	v_fma_f64 v[26:27], v[26:27], v[28:29], -v[32:33]
	v_fma_f64 v[30:31], v[30:31], v[28:29], -v[34:35]
	;; [unrolled: 1-line block ×3, first 2 shown]
	v_add_f64 v[36:37], v[34:35], v[26:27]
	v_add_f64 v[53:54], v[36:37], -v[34:35]
	v_add_f64 v[59:60], v[32:33], v[36:37]
	v_add_f64 v[55:56], v[36:37], -v[53:54]
	v_add_f64 v[26:27], v[26:27], -v[53:54]
	v_add_f64 v[53:54], v[57:58], v[30:31]
	v_add_f64 v[32:33], v[59:60], -v[32:33]
	v_add_f64 v[34:35], v[34:35], -v[55:56]
	v_ldexp_f64 v[55:56], v[59:60], -2
	v_add_f64 v[61:62], v[53:54], -v[57:58]
	v_add_f64 v[32:33], v[36:37], -v[32:33]
	v_add_f64 v[26:27], v[26:27], v[34:35]
	v_fract_f64_e32 v[34:35], v[55:56]
	v_cmp_neq_f64_e64 vcc, |v[55:56]|, vcc
	v_add_f64 v[30:31], v[30:31], -v[61:62]
	v_add_f64 v[36:37], v[53:54], v[26:27]
	v_ldexp_f64 v[34:35], v[34:35], 2
	v_add_f64 v[55:56], v[32:33], v[36:37]
	v_cndmask_b32_e32 v35, 0, v35, vcc
	v_cndmask_b32_e32 v34, 0, v34, vcc
	v_add_f64 v[63:64], v[36:37], -v[53:54]
	v_add_f64 v[59:60], v[55:56], v[34:35]
	v_add_f64 v[32:33], v[55:56], -v[32:33]
	v_add_f64 v[65:66], v[36:37], -v[63:64]
	;; [unrolled: 1-line block ×3, first 2 shown]
	v_cmp_gt_f64_e32 vcc, 0, v[59:60]
	v_add_f64 v[59:60], v[53:54], -v[61:62]
	v_add_f64 v[32:33], v[36:37], -v[32:33]
	;; [unrolled: 1-line block ×3, first 2 shown]
	v_cndmask_b32_e32 v18, 0, v49, vcc
	v_add_f64 v[34:35], v[34:35], v[17:18]
	v_add_f64 v[59:60], v[57:58], -v[59:60]
	v_add_f64 v[26:27], v[26:27], v[53:54]
	v_add_f64 v[67:68], v[55:56], v[34:35]
	;; [unrolled: 1-line block ×3, first 2 shown]
	v_cvt_i32_f64_e32 v24, v[67:68]
	v_add_f64 v[26:27], v[30:31], v[26:27]
	v_cvt_f64_i32_e32 v[61:62], v24
	v_add_f64 v[34:35], v[34:35], -v[61:62]
	v_add_f64 v[26:27], v[28:29], v[26:27]
	v_add_f64 v[30:31], v[55:56], v[34:35]
	;; [unrolled: 1-line block ×3, first 2 shown]
	v_add_f64 v[28:29], v[30:31], -v[34:35]
	v_cmp_le_f64_e32 vcc, 0.5, v[30:31]
	v_add_f64 v[28:29], v[55:56], -v[28:29]
	v_cndmask_b32_e32 v18, 0, v50, vcc
	v_addc_co_u32_e32 v24, vcc, 0, v24, vcc
	v_add_f64 v[26:27], v[26:27], v[28:29]
	v_add_f64 v[28:29], v[30:31], -v[17:18]
	v_add_f64 v[30:31], v[28:29], v[26:27]
	v_mul_f64 v[32:33], v[30:31], s[90:91]
	v_add_f64 v[28:29], v[30:31], -v[28:29]
	v_fma_f64 v[34:35], v[30:31], s[90:91], -v[32:33]
	v_add_f64 v[26:27], v[26:27], -v[28:29]
	v_fma_f64 v[28:29], v[30:31], s[94:95], v[34:35]
	v_fma_f64 v[28:29], v[26:27], s[90:91], v[28:29]
	v_add_f64 v[26:27], v[32:33], v[28:29]
	v_add_f64 v[30:31], v[26:27], -v[32:33]
	v_add_f64 v[32:33], v[28:29], -v[30:31]
	s_andn2_saveexec_b64 s[88:89], s[88:89]
	s_cbranch_execz .LBB253_124
	s_branch .LBB253_123
.LBB253_122:                            ;   in Loop: Header=BB253_4 Depth=1
	s_andn2_saveexec_b64 s[88:89], s[88:89]
	s_cbranch_execz .LBB253_124
.LBB253_123:                            ;   in Loop: Header=BB253_4 Depth=1
	s_mov_b32 vcc_lo, 0x6dc9c883
	s_mov_b32 vcc_hi, 0x3fe45f30
	v_mul_f64 v[26:27], |v[11:12]|, vcc
	s_mov_b32 s92, s34
	s_mov_b32 vcc_lo, 0x252049c0
	s_mov_b32 vcc_hi, 0xb97b839a
	v_rndne_f64_e32 v[28:29], v[26:27]
	v_fma_f64 v[26:27], v[28:29], s[28:29], |v[11:12]|
	v_mul_f64 v[30:31], v[28:29], s[34:35]
	v_cvt_i32_f64_e32 v24, v[28:29]
	v_fma_f64 v[36:37], v[28:29], s[34:35], v[26:27]
	v_add_f64 v[32:33], v[26:27], v[30:31]
	v_add_f64 v[34:35], v[26:27], -v[32:33]
	v_add_f64 v[32:33], v[32:33], -v[36:37]
	v_add_f64 v[26:27], v[34:35], v[30:31]
	v_fma_f64 v[30:31], v[28:29], s[92:93], v[30:31]
	v_add_f64 v[26:27], v[32:33], v[26:27]
	v_add_f64 v[26:27], v[26:27], -v[30:31]
	v_fma_f64 v[30:31], v[28:29], vcc, v[26:27]
	v_add_f64 v[26:27], v[36:37], v[30:31]
	v_add_f64 v[32:33], v[26:27], -v[36:37]
	v_add_f64 v[32:33], v[30:31], -v[32:33]
.LBB253_124:                            ;   in Loop: Header=BB253_4 Depth=1
	s_or_b64 exec, exec, s[88:89]
                                        ; implicit-def: $vgpr18
                                        ; implicit-def: $vgpr28_vgpr29
                                        ; implicit-def: $vgpr30_vgpr31
	s_and_saveexec_b64 s[88:89], s[10:11]
	s_xor_b64 s[10:11], exec, s[88:89]
	s_cbranch_execz .LBB253_126
; %bb.125:                              ;   in Loop: Header=BB253_4 Depth=1
	v_trig_preop_f64 v[28:29], |v[11:12]|, 0
	s_mov_b32 s88, 0
	s_movk_i32 s20, 0xff80
	s_mov_b32 s89, 0x7b000000
	v_ldexp_f64 v[30:31], |v[11:12]|, s20
	v_cmp_ge_f64_e64 vcc, |v[11:12]|, s[88:89]
	v_trig_preop_f64 v[34:35], |v[11:12]|, 1
	v_and_b32_e32 v18, 0x7fffffff, v12
	v_trig_preop_f64 v[55:56], |v[11:12]|, 2
	s_mov_b32 s88, 0
	s_mov_b32 s89, 0x7ff00000
	;; [unrolled: 1-line block ×4, first 2 shown]
	v_cndmask_b32_e32 v31, v18, v31, vcc
	v_cndmask_b32_e32 v30, v11, v30, vcc
	v_mul_f64 v[36:37], v[28:29], v[30:31]
	v_mul_f64 v[38:39], v[34:35], v[30:31]
	;; [unrolled: 1-line block ×3, first 2 shown]
	v_fma_f64 v[28:29], v[28:29], v[30:31], -v[36:37]
	v_fma_f64 v[34:35], v[34:35], v[30:31], -v[38:39]
	v_fma_f64 v[30:31], v[55:56], v[30:31], -v[61:62]
	v_add_f64 v[53:54], v[38:39], v[28:29]
	v_add_f64 v[57:58], v[53:54], -v[38:39]
	v_add_f64 v[63:64], v[36:37], v[53:54]
	v_add_f64 v[59:60], v[53:54], -v[57:58]
	v_add_f64 v[28:29], v[28:29], -v[57:58]
	v_add_f64 v[57:58], v[61:62], v[34:35]
	v_add_f64 v[36:37], v[63:64], -v[36:37]
	v_add_f64 v[38:39], v[38:39], -v[59:60]
	v_ldexp_f64 v[59:60], v[63:64], -2
	v_add_f64 v[65:66], v[57:58], -v[61:62]
	v_add_f64 v[36:37], v[53:54], -v[36:37]
	v_add_f64 v[28:29], v[28:29], v[38:39]
	v_fract_f64_e32 v[38:39], v[59:60]
	v_cmp_neq_f64_e64 vcc, |v[59:60]|, s[88:89]
	v_add_f64 v[34:35], v[34:35], -v[65:66]
	v_add_f64 v[53:54], v[57:58], v[28:29]
	v_ldexp_f64 v[38:39], v[38:39], 2
	v_add_f64 v[59:60], v[36:37], v[53:54]
	v_cndmask_b32_e32 v39, 0, v39, vcc
	v_cndmask_b32_e32 v38, 0, v38, vcc
	v_add_f64 v[67:68], v[53:54], -v[57:58]
	v_add_f64 v[63:64], v[59:60], v[38:39]
	v_add_f64 v[36:37], v[59:60], -v[36:37]
	v_add_f64 v[69:70], v[53:54], -v[67:68]
	;; [unrolled: 1-line block ×3, first 2 shown]
	v_cmp_gt_f64_e32 vcc, 0, v[63:64]
	v_add_f64 v[63:64], v[57:58], -v[65:66]
	v_add_f64 v[36:37], v[53:54], -v[36:37]
	;; [unrolled: 1-line block ×3, first 2 shown]
	v_cndmask_b32_e32 v18, 0, v49, vcc
	v_add_f64 v[38:39], v[38:39], v[17:18]
	v_add_f64 v[63:64], v[61:62], -v[63:64]
	v_add_f64 v[28:29], v[28:29], v[57:58]
	v_add_f64 v[71:72], v[59:60], v[38:39]
	;; [unrolled: 1-line block ×3, first 2 shown]
	v_cvt_i32_f64_e32 v67, v[71:72]
	v_add_f64 v[28:29], v[34:35], v[28:29]
	v_cvt_f64_i32_e32 v[65:66], v67
	v_add_f64 v[38:39], v[38:39], -v[65:66]
	v_add_f64 v[28:29], v[30:31], v[28:29]
	v_add_f64 v[34:35], v[59:60], v[38:39]
	;; [unrolled: 1-line block ×3, first 2 shown]
	v_add_f64 v[30:31], v[34:35], -v[38:39]
	v_cmp_le_f64_e32 vcc, 0.5, v[34:35]
	v_add_f64 v[30:31], v[59:60], -v[30:31]
	v_cndmask_b32_e32 v18, 0, v50, vcc
	v_add_f64 v[28:29], v[28:29], v[30:31]
	v_add_f64 v[30:31], v[34:35], -v[17:18]
	v_addc_co_u32_e32 v18, vcc, 0, v67, vcc
	v_add_f64 v[34:35], v[30:31], v[28:29]
	v_mul_f64 v[36:37], v[34:35], s[90:91]
	v_add_f64 v[30:31], v[34:35], -v[30:31]
	v_fma_f64 v[38:39], v[34:35], s[90:91], -v[36:37]
	v_add_f64 v[28:29], v[28:29], -v[30:31]
	v_fma_f64 v[30:31], v[34:35], s[94:95], v[38:39]
	v_fma_f64 v[30:31], v[28:29], s[90:91], v[30:31]
	v_add_f64 v[28:29], v[36:37], v[30:31]
	v_add_f64 v[34:35], v[28:29], -v[36:37]
	v_add_f64 v[30:31], v[30:31], -v[34:35]
	s_andn2_saveexec_b64 s[10:11], s[10:11]
	s_cbranch_execnz .LBB253_127
	s_branch .LBB253_128
.LBB253_126:                            ;   in Loop: Header=BB253_4 Depth=1
	s_andn2_saveexec_b64 s[10:11], s[10:11]
	s_cbranch_execz .LBB253_128
.LBB253_127:                            ;   in Loop: Header=BB253_4 Depth=1
	s_mov_b32 s88, 0x6dc9c883
	s_mov_b32 s89, 0x3fe45f30
	v_mul_f64 v[28:29], |v[11:12]|, s[88:89]
	s_mov_b32 s92, s34
	s_mov_b32 s88, 0x252049c0
	;; [unrolled: 1-line block ×3, first 2 shown]
	v_rndne_f64_e32 v[34:35], v[28:29]
	v_fma_f64 v[28:29], v[34:35], s[28:29], |v[11:12]|
	v_mul_f64 v[30:31], v[34:35], s[34:35]
	v_cvt_i32_f64_e32 v18, v[34:35]
	v_fma_f64 v[53:54], v[34:35], s[34:35], v[28:29]
	v_add_f64 v[36:37], v[28:29], v[30:31]
	v_add_f64 v[38:39], v[28:29], -v[36:37]
	v_add_f64 v[36:37], v[36:37], -v[53:54]
	v_add_f64 v[28:29], v[38:39], v[30:31]
	v_fma_f64 v[30:31], v[34:35], s[92:93], v[30:31]
	v_add_f64 v[28:29], v[36:37], v[28:29]
	v_add_f64 v[28:29], v[28:29], -v[30:31]
	v_fma_f64 v[30:31], v[34:35], s[88:89], v[28:29]
	v_add_f64 v[28:29], v[53:54], v[30:31]
	v_add_f64 v[36:37], v[28:29], -v[53:54]
	v_add_f64 v[30:31], v[30:31], -v[36:37]
.LBB253_128:                            ;   in Loop: Header=BB253_4 Depth=1
	s_or_b64 exec, exec, s[10:11]
	s_mov_b32 s38, s80
	v_mul_f64 v[34:35], v[9:10], s[38:39]
	s_mov_b32 s55, s15
	s_mov_b32 s57, s5
	v_cmp_ngt_f64_e32 vcc, s[22:23], v[9:10]
	v_cmp_nlt_f64_e64 s[10:11], s[30:31], v[9:10]
	v_mul_f64 v[59:60], v[32:33], 0.5
	s_mov_b32 s20, s4
	v_rndne_f64_e32 v[34:35], v[34:35]
	v_fma_f64 v[36:37], v[34:35], s[40:41], -v[9:10]
	v_fma_f64 v[36:37], v[34:35], s[42:43], v[36:37]
	v_cvt_i32_f64_e32 v34, v[34:35]
	v_fma_f64 v[38:39], v[36:37], s[44:45], v[22:23]
	v_fma_f64 v[38:39], v[36:37], v[38:39], s[46:47]
	;; [unrolled: 1-line block ×9, first 2 shown]
	v_fma_f64 v[38:39], v[36:37], v[38:39], 1.0
	v_fma_f64 v[36:37], v[36:37], v[38:39], 1.0
	v_ldexp_f64 v[34:35], v[36:37], v34
	v_cndmask_b32_e32 v35, v51, v35, vcc
	s_and_b64 vcc, s[10:11], vcc
	v_cndmask_b32_e32 v9, 0, v34, vcc
	v_cndmask_b32_e64 v10, 0, v35, s[10:11]
	v_mul_f64 v[34:35], v[26:27], v[26:27]
	s_mov_b32 s10, 0x9037ab78
	s_mov_b32 s11, 0x3e21eeb6
	v_mov_b32_e32 v56, s11
	v_mov_b32_e32 v55, s10
	s_mov_b32 s10, 0xb42fdfa7
	s_mov_b32 s11, 0xbe5ae600
	v_mul_f64 v[36:37], v[34:35], 0.5
	v_fma_f64 v[57:58], v[34:35], s[64:65], v[55:56]
	v_add_f64 v[38:39], -v[36:37], 1.0
	v_fma_f64 v[57:58], v[34:35], v[57:58], s[66:67]
	v_add_f64 v[53:54], -v[38:39], 1.0
	v_fma_f64 v[57:58], v[34:35], v[57:58], s[68:69]
	v_add_f64 v[36:37], v[53:54], -v[36:37]
	v_fma_f64 v[57:58], v[34:35], v[57:58], s[70:71]
	v_mul_f64 v[53:54], v[34:35], v[34:35]
	v_fma_f64 v[36:37], v[26:27], -v[32:33], v[36:37]
	v_fma_f64 v[57:58], v[34:35], v[57:58], s[4:5]
	v_fma_f64 v[36:37], v[53:54], v[57:58], v[36:37]
	v_mul_f64 v[57:58], v[26:27], -v[34:35]
	v_add_f64 v[36:37], v[38:39], v[36:37]
	v_mov_b32_e32 v39, s11
	v_mov_b32_e32 v38, s10
	v_fma_f64 v[53:54], v[34:35], s[74:75], v[38:39]
	v_fma_f64 v[53:54], v[34:35], v[53:54], s[76:77]
	;; [unrolled: 1-line block ×5, first 2 shown]
	v_fma_f64 v[32:33], v[34:35], v[53:54], -v[32:33]
	v_fma_f64 v[32:33], v[57:58], s[20:21], v[32:33]
	v_add_f64 v[26:27], v[26:27], -v[32:33]
	v_and_b32_e32 v32, 1, v24
	v_cmp_eq_u32_e32 vcc, 0, v32
	v_lshlrev_b32_e32 v24, 30, v24
	v_and_b32_e32 v24, 0x80000000, v24
	v_xor_b32_e32 v27, 0x80000000, v27
	v_cndmask_b32_e32 v26, v26, v36, vcc
	v_cndmask_b32_e32 v27, v27, v37, vcc
	v_cmp_class_f64_e64 vcc, v[11:12], s73
	v_xor_b32_e32 v24, v27, v24
	v_cndmask_b32_e32 v11, 0, v26, vcc
	v_cndmask_b32_e32 v12, v52, v24, vcc
	v_mul_f64 v[26:27], v[9:10], v[11:12]
	v_mul_f64 v[11:12], v[28:29], v[28:29]
	v_and_b32_e32 v24, 1, v18
	v_lshlrev_b32_e32 v18, 30, v18
	v_cmp_eq_u32_e64 s[10:11], 0, v24
	v_xor_b32_e32 v18, v18, v25
	v_and_b32_e32 v18, 0x80000000, v18
	v_mul_f64 v[32:33], v[11:12], 0.5
	v_fma_f64 v[53:54], v[11:12], s[64:65], v[55:56]
	v_add_f64 v[34:35], -v[32:33], 1.0
	v_fma_f64 v[53:54], v[11:12], v[53:54], s[66:67]
	v_add_f64 v[36:37], -v[34:35], 1.0
	v_fma_f64 v[53:54], v[11:12], v[53:54], s[68:69]
	v_add_f64 v[32:33], v[36:37], -v[32:33]
	v_fma_f64 v[53:54], v[11:12], v[53:54], s[70:71]
	v_mul_f64 v[36:37], v[11:12], v[11:12]
	v_fma_f64 v[32:33], v[28:29], -v[30:31], v[32:33]
	v_fma_f64 v[53:54], v[11:12], v[53:54], s[4:5]
	v_fma_f64 v[32:33], v[36:37], v[53:54], v[32:33]
	v_mul_f64 v[36:37], v[28:29], -v[11:12]
	v_add_f64 v[32:33], v[34:35], v[32:33]
	v_fma_f64 v[34:35], v[11:12], s[74:75], v[38:39]
	v_mul_f64 v[38:39], v[30:31], 0.5
	v_fma_f64 v[34:35], v[11:12], v[34:35], s[76:77]
	v_fma_f64 v[34:35], v[11:12], v[34:35], s[78:79]
	;; [unrolled: 1-line block ×4, first 2 shown]
	v_fma_f64 v[11:12], v[11:12], v[34:35], -v[30:31]
	v_fma_f64 v[11:12], v[36:37], s[20:21], v[11:12]
	v_add_f64 v[11:12], v[28:29], -v[11:12]
	v_cndmask_b32_e64 v12, v33, v12, s[10:11]
	v_cndmask_b32_e64 v11, v32, v11, s[10:11]
	v_xor_b32_e32 v12, v12, v18
	v_cndmask_b32_e32 v11, 0, v11, vcc
	v_cndmask_b32_e32 v12, v52, v12, vcc
	v_mul_f64 v[24:25], v[9:10], v[11:12]
                                        ; implicit-def: $vgpr11_vgpr12
.LBB253_129:                            ;   in Loop: Header=BB253_4 Depth=1
	s_andn2_saveexec_b64 s[88:89], s[12:13]
	s_cbranch_execz .LBB253_139
; %bb.130:                              ;   in Loop: Header=BB253_4 Depth=1
	s_mov_b32 s10, 0
	s_mov_b32 s11, 0x41d00000
	v_cmp_nlt_f64_e64 s[10:11], |v[11:12]|, s[10:11]
                                        ; implicit-def: $vgpr38
                                        ; implicit-def: $vgpr26_vgpr27
                                        ; implicit-def: $vgpr36_vgpr37
	s_and_saveexec_b64 s[12:13], s[10:11]
	s_xor_b64 s[12:13], exec, s[12:13]
	s_cbranch_execz .LBB253_132
; %bb.131:                              ;   in Loop: Header=BB253_4 Depth=1
	v_trig_preop_f64 v[26:27], |v[11:12]|, 0
	s_mov_b32 vcc_lo, 0
	s_movk_i32 s20, 0xff80
	s_mov_b32 vcc_hi, 0x7b000000
	v_ldexp_f64 v[28:29], |v[11:12]|, s20
	v_cmp_ge_f64_e64 vcc, |v[11:12]|, vcc
	v_trig_preop_f64 v[30:31], |v[11:12]|, 1
	v_and_b32_e32 v18, 0x7fffffff, v12
	v_trig_preop_f64 v[38:39], |v[11:12]|, 2
	s_mov_b32 s90, s28
	s_mov_b32 s95, s93
	v_cndmask_b32_e32 v29, v18, v29, vcc
	v_cndmask_b32_e32 v28, v11, v28, vcc
	s_mov_b32 vcc_lo, 0
	v_mul_f64 v[32:33], v[26:27], v[28:29]
	s_mov_b32 vcc_hi, 0x7ff00000
	v_mul_f64 v[34:35], v[30:31], v[28:29]
	v_mul_f64 v[57:58], v[38:39], v[28:29]
	v_fma_f64 v[26:27], v[26:27], v[28:29], -v[32:33]
	v_fma_f64 v[30:31], v[30:31], v[28:29], -v[34:35]
	;; [unrolled: 1-line block ×3, first 2 shown]
	v_add_f64 v[36:37], v[34:35], v[26:27]
	v_add_f64 v[53:54], v[36:37], -v[34:35]
	v_add_f64 v[59:60], v[32:33], v[36:37]
	v_add_f64 v[55:56], v[36:37], -v[53:54]
	v_add_f64 v[26:27], v[26:27], -v[53:54]
	v_add_f64 v[53:54], v[57:58], v[30:31]
	v_add_f64 v[32:33], v[59:60], -v[32:33]
	v_add_f64 v[34:35], v[34:35], -v[55:56]
	v_ldexp_f64 v[55:56], v[59:60], -2
	v_add_f64 v[61:62], v[53:54], -v[57:58]
	v_add_f64 v[32:33], v[36:37], -v[32:33]
	v_add_f64 v[26:27], v[26:27], v[34:35]
	v_fract_f64_e32 v[34:35], v[55:56]
	v_cmp_neq_f64_e64 vcc, |v[55:56]|, vcc
	v_add_f64 v[30:31], v[30:31], -v[61:62]
	v_add_f64 v[36:37], v[53:54], v[26:27]
	v_ldexp_f64 v[34:35], v[34:35], 2
	v_add_f64 v[55:56], v[32:33], v[36:37]
	v_cndmask_b32_e32 v35, 0, v35, vcc
	v_cndmask_b32_e32 v34, 0, v34, vcc
	v_add_f64 v[63:64], v[36:37], -v[53:54]
	v_add_f64 v[59:60], v[55:56], v[34:35]
	v_add_f64 v[32:33], v[55:56], -v[32:33]
	v_add_f64 v[65:66], v[36:37], -v[63:64]
	;; [unrolled: 1-line block ×3, first 2 shown]
	v_cmp_gt_f64_e32 vcc, 0, v[59:60]
	v_add_f64 v[59:60], v[53:54], -v[61:62]
	v_add_f64 v[32:33], v[36:37], -v[32:33]
	;; [unrolled: 1-line block ×3, first 2 shown]
	v_cndmask_b32_e32 v18, 0, v49, vcc
	v_add_f64 v[34:35], v[34:35], v[17:18]
	v_add_f64 v[59:60], v[57:58], -v[59:60]
	v_add_f64 v[26:27], v[26:27], v[53:54]
	v_add_f64 v[67:68], v[55:56], v[34:35]
	v_add_f64 v[30:31], v[30:31], v[59:60]
	v_cvt_i32_f64_e32 v24, v[67:68]
	v_add_f64 v[26:27], v[30:31], v[26:27]
	v_cvt_f64_i32_e32 v[61:62], v24
	v_add_f64 v[34:35], v[34:35], -v[61:62]
	v_add_f64 v[26:27], v[28:29], v[26:27]
	v_add_f64 v[30:31], v[55:56], v[34:35]
	;; [unrolled: 1-line block ×3, first 2 shown]
	v_add_f64 v[28:29], v[30:31], -v[34:35]
	v_cmp_le_f64_e32 vcc, 0.5, v[30:31]
	v_add_f64 v[28:29], v[55:56], -v[28:29]
	v_cndmask_b32_e32 v18, 0, v50, vcc
	v_addc_co_u32_e32 v38, vcc, 0, v24, vcc
	v_add_f64 v[26:27], v[26:27], v[28:29]
	v_add_f64 v[28:29], v[30:31], -v[17:18]
	v_add_f64 v[30:31], v[28:29], v[26:27]
	v_mul_f64 v[32:33], v[30:31], s[90:91]
	v_add_f64 v[28:29], v[30:31], -v[28:29]
	v_fma_f64 v[34:35], v[30:31], s[90:91], -v[32:33]
	v_add_f64 v[26:27], v[26:27], -v[28:29]
	v_fma_f64 v[28:29], v[30:31], s[94:95], v[34:35]
	v_fma_f64 v[28:29], v[26:27], s[90:91], v[28:29]
	v_add_f64 v[26:27], v[32:33], v[28:29]
	v_add_f64 v[30:31], v[26:27], -v[32:33]
	v_add_f64 v[36:37], v[28:29], -v[30:31]
	s_andn2_saveexec_b64 s[12:13], s[12:13]
	s_cbranch_execz .LBB253_134
	s_branch .LBB253_133
.LBB253_132:                            ;   in Loop: Header=BB253_4 Depth=1
	s_andn2_saveexec_b64 s[12:13], s[12:13]
	s_cbranch_execz .LBB253_134
.LBB253_133:                            ;   in Loop: Header=BB253_4 Depth=1
	s_mov_b32 vcc_lo, 0x6dc9c883
	s_mov_b32 vcc_hi, 0x3fe45f30
	v_mul_f64 v[26:27], |v[11:12]|, vcc
	s_mov_b32 s92, s34
	s_mov_b32 vcc_lo, 0x252049c0
	s_mov_b32 vcc_hi, 0xb97b839a
	v_rndne_f64_e32 v[28:29], v[26:27]
	v_fma_f64 v[26:27], v[28:29], s[28:29], |v[11:12]|
	v_mul_f64 v[30:31], v[28:29], s[34:35]
	v_cvt_i32_f64_e32 v38, v[28:29]
	v_fma_f64 v[36:37], v[28:29], s[34:35], v[26:27]
	v_add_f64 v[32:33], v[26:27], v[30:31]
	v_add_f64 v[34:35], v[26:27], -v[32:33]
	v_add_f64 v[32:33], v[32:33], -v[36:37]
	v_add_f64 v[26:27], v[34:35], v[30:31]
	v_fma_f64 v[30:31], v[28:29], s[92:93], v[30:31]
	v_add_f64 v[26:27], v[32:33], v[26:27]
	v_add_f64 v[26:27], v[26:27], -v[30:31]
	v_fma_f64 v[30:31], v[28:29], vcc, v[26:27]
	v_add_f64 v[26:27], v[36:37], v[30:31]
	v_add_f64 v[32:33], v[26:27], -v[36:37]
	v_add_f64 v[36:37], v[30:31], -v[32:33]
.LBB253_134:                            ;   in Loop: Header=BB253_4 Depth=1
	s_or_b64 exec, exec, s[12:13]
                                        ; implicit-def: $vgpr24
                                        ; implicit-def: $vgpr28_vgpr29
                                        ; implicit-def: $vgpr30_vgpr31
	s_and_saveexec_b64 s[12:13], s[10:11]
	s_xor_b64 s[10:11], exec, s[12:13]
	s_cbranch_execz .LBB253_136
; %bb.135:                              ;   in Loop: Header=BB253_4 Depth=1
	v_trig_preop_f64 v[28:29], |v[11:12]|, 0
	s_movk_i32 s12, 0xff80
	v_ldexp_f64 v[30:31], |v[11:12]|, s12
	s_mov_b32 s12, 0
	s_mov_b32 s13, 0x7b000000
	v_cmp_ge_f64_e64 vcc, |v[11:12]|, s[12:13]
	v_trig_preop_f64 v[32:33], |v[11:12]|, 1
	v_and_b32_e32 v18, 0x7fffffff, v12
	v_trig_preop_f64 v[57:58], |v[11:12]|, 2
	s_mov_b32 s12, 0
	s_mov_b32 s13, 0x7ff00000
	;; [unrolled: 1-line block ×4, first 2 shown]
	v_cndmask_b32_e32 v31, v18, v31, vcc
	v_cndmask_b32_e32 v30, v11, v30, vcc
	v_mul_f64 v[34:35], v[28:29], v[30:31]
	v_mul_f64 v[53:54], v[32:33], v[30:31]
	;; [unrolled: 1-line block ×3, first 2 shown]
	v_fma_f64 v[28:29], v[28:29], v[30:31], -v[34:35]
	v_fma_f64 v[32:33], v[32:33], v[30:31], -v[53:54]
	;; [unrolled: 1-line block ×3, first 2 shown]
	v_add_f64 v[55:56], v[53:54], v[28:29]
	v_add_f64 v[59:60], v[55:56], -v[53:54]
	v_add_f64 v[65:66], v[34:35], v[55:56]
	v_add_f64 v[61:62], v[55:56], -v[59:60]
	v_add_f64 v[28:29], v[28:29], -v[59:60]
	v_add_f64 v[59:60], v[63:64], v[32:33]
	v_add_f64 v[34:35], v[65:66], -v[34:35]
	v_add_f64 v[53:54], v[53:54], -v[61:62]
	v_ldexp_f64 v[61:62], v[65:66], -2
	v_add_f64 v[67:68], v[59:60], -v[63:64]
	v_add_f64 v[34:35], v[55:56], -v[34:35]
	v_add_f64 v[28:29], v[28:29], v[53:54]
	v_fract_f64_e32 v[53:54], v[61:62]
	v_cmp_neq_f64_e64 vcc, |v[61:62]|, s[12:13]
	v_add_f64 v[32:33], v[32:33], -v[67:68]
	v_add_f64 v[55:56], v[59:60], v[28:29]
	v_ldexp_f64 v[53:54], v[53:54], 2
	v_add_f64 v[61:62], v[34:35], v[55:56]
	v_cndmask_b32_e32 v54, 0, v54, vcc
	v_cndmask_b32_e32 v53, 0, v53, vcc
	v_add_f64 v[69:70], v[55:56], -v[59:60]
	v_add_f64 v[65:66], v[61:62], v[53:54]
	v_add_f64 v[34:35], v[61:62], -v[34:35]
	v_add_f64 v[71:72], v[55:56], -v[69:70]
	;; [unrolled: 1-line block ×3, first 2 shown]
	v_cmp_gt_f64_e32 vcc, 0, v[65:66]
	v_add_f64 v[65:66], v[59:60], -v[67:68]
	v_add_f64 v[34:35], v[55:56], -v[34:35]
	;; [unrolled: 1-line block ×3, first 2 shown]
	v_cndmask_b32_e32 v18, 0, v49, vcc
	v_add_f64 v[53:54], v[53:54], v[17:18]
	v_add_f64 v[65:66], v[63:64], -v[65:66]
	v_add_f64 v[28:29], v[28:29], v[59:60]
	v_add_f64 v[73:74], v[61:62], v[53:54]
	;; [unrolled: 1-line block ×3, first 2 shown]
	v_cvt_i32_f64_e32 v24, v[73:74]
	v_add_f64 v[28:29], v[32:33], v[28:29]
	v_cvt_f64_i32_e32 v[67:68], v24
	v_add_f64 v[53:54], v[53:54], -v[67:68]
	v_add_f64 v[28:29], v[30:31], v[28:29]
	v_add_f64 v[32:33], v[61:62], v[53:54]
	;; [unrolled: 1-line block ×3, first 2 shown]
	v_add_f64 v[30:31], v[32:33], -v[53:54]
	v_cmp_le_f64_e32 vcc, 0.5, v[32:33]
	v_add_f64 v[30:31], v[61:62], -v[30:31]
	v_cndmask_b32_e32 v18, 0, v50, vcc
	v_addc_co_u32_e32 v24, vcc, 0, v24, vcc
	v_add_f64 v[28:29], v[28:29], v[30:31]
	v_add_f64 v[30:31], v[32:33], -v[17:18]
	v_add_f64 v[32:33], v[30:31], v[28:29]
	v_mul_f64 v[34:35], v[32:33], s[90:91]
	v_add_f64 v[30:31], v[32:33], -v[30:31]
	v_fma_f64 v[53:54], v[32:33], s[90:91], -v[34:35]
	v_add_f64 v[28:29], v[28:29], -v[30:31]
	v_fma_f64 v[30:31], v[32:33], s[94:95], v[53:54]
	v_fma_f64 v[30:31], v[28:29], s[90:91], v[30:31]
	v_add_f64 v[28:29], v[34:35], v[30:31]
	v_add_f64 v[32:33], v[28:29], -v[34:35]
	v_add_f64 v[30:31], v[30:31], -v[32:33]
	s_andn2_saveexec_b64 s[10:11], s[10:11]
	s_cbranch_execnz .LBB253_137
	s_branch .LBB253_138
.LBB253_136:                            ;   in Loop: Header=BB253_4 Depth=1
	s_andn2_saveexec_b64 s[10:11], s[10:11]
	s_cbranch_execz .LBB253_138
.LBB253_137:                            ;   in Loop: Header=BB253_4 Depth=1
	s_mov_b32 s12, 0x6dc9c883
	s_mov_b32 s13, 0x3fe45f30
	v_mul_f64 v[28:29], |v[11:12]|, s[12:13]
	s_mov_b32 s92, s34
	s_mov_b32 s12, 0x252049c0
	;; [unrolled: 1-line block ×3, first 2 shown]
	v_rndne_f64_e32 v[32:33], v[28:29]
	v_fma_f64 v[28:29], v[32:33], s[28:29], |v[11:12]|
	v_mul_f64 v[30:31], v[32:33], s[34:35]
	v_cvt_i32_f64_e32 v24, v[32:33]
	v_fma_f64 v[55:56], v[32:33], s[34:35], v[28:29]
	v_add_f64 v[34:35], v[28:29], v[30:31]
	v_add_f64 v[53:54], v[28:29], -v[34:35]
	v_add_f64 v[34:35], v[34:35], -v[55:56]
	v_add_f64 v[28:29], v[53:54], v[30:31]
	v_fma_f64 v[30:31], v[32:33], s[92:93], v[30:31]
	v_add_f64 v[28:29], v[34:35], v[28:29]
	v_add_f64 v[28:29], v[28:29], -v[30:31]
	v_fma_f64 v[30:31], v[32:33], s[12:13], v[28:29]
	v_add_f64 v[28:29], v[55:56], v[30:31]
	v_add_f64 v[34:35], v[28:29], -v[55:56]
	v_add_f64 v[30:31], v[30:31], -v[34:35]
.LBB253_138:                            ;   in Loop: Header=BB253_4 Depth=1
	s_or_b64 exec, exec, s[10:11]
	v_cmp_class_f64_e64 vcc, v[11:12], s73
	v_and_b32_e32 v11, 1, v38
	v_cmp_eq_u32_e64 s[10:11], 0, v11
	v_mul_f64 v[11:12], v[26:27], v[26:27]
	s_mov_b32 s12, 0x9037ab78
	s_mov_b32 s13, 0x3e21eeb6
	v_mov_b32_e32 v35, s13
	v_mov_b32_e32 v34, s12
	s_mov_b32 s12, 0xb42fdfa7
	s_mov_b32 s13, 0xbe5ae600
	;; [unrolled: 1-line block ×3, first 2 shown]
	v_mul_f64 v[32:33], v[11:12], 0.5
	v_fma_f64 v[57:58], v[11:12], s[64:65], v[34:35]
	v_mul_f64 v[55:56], v[11:12], v[11:12]
	v_lshlrev_b32_e32 v18, 30, v38
	v_and_b32_e32 v18, 0x80000000, v18
	s_mov_b32 s55, s15
	s_mov_b32 s57, s5
	v_add_f64 v[53:54], -v[32:33], 1.0
	v_fma_f64 v[57:58], v[11:12], v[57:58], s[66:67]
	v_add_f64 v[59:60], -v[53:54], 1.0
	v_fma_f64 v[57:58], v[11:12], v[57:58], s[68:69]
	v_add_f64 v[32:33], v[59:60], -v[32:33]
	v_fma_f64 v[57:58], v[11:12], v[57:58], s[70:71]
	v_mul_f64 v[59:60], v[36:37], 0.5
	v_fma_f64 v[32:33], v[26:27], -v[36:37], v[32:33]
	v_fma_f64 v[57:58], v[11:12], v[57:58], s[4:5]
	v_fma_f64 v[32:33], v[55:56], v[57:58], v[32:33]
	v_mul_f64 v[55:56], v[26:27], -v[11:12]
	v_add_f64 v[53:54], v[53:54], v[32:33]
	v_mov_b32_e32 v33, s13
	v_mov_b32_e32 v32, s12
	v_fma_f64 v[57:58], v[11:12], s[74:75], v[32:33]
	s_mov_b32 s12, 0
	s_mov_b32 s13, 0xc090cc00
	v_fma_f64 v[57:58], v[11:12], v[57:58], s[76:77]
	v_fma_f64 v[57:58], v[11:12], v[57:58], s[78:79]
	;; [unrolled: 1-line block ×4, first 2 shown]
	v_fma_f64 v[11:12], v[11:12], v[57:58], -v[36:37]
	v_fma_f64 v[11:12], v[55:56], s[20:21], v[11:12]
	v_add_f64 v[11:12], v[26:27], -v[11:12]
	v_xor_b32_e32 v12, 0x80000000, v12
	v_cndmask_b32_e64 v11, v11, v53, s[10:11]
	v_cndmask_b32_e64 v12, v12, v54, s[10:11]
	s_mov_b32 s10, 0x19ba0da4
	s_mov_b32 s11, 0xc0937be3
	v_add_f64 v[9:10], -v[9:10], s[10:11]
	v_xor_b32_e32 v12, v12, v18
	v_cndmask_b32_e32 v26, 0, v11, vcc
	v_cndmask_b32_e32 v27, v52, v12, vcc
	s_mov_b32 s10, 0
	s_mov_b32 s11, 0x40900000
	v_mul_f64 v[11:12], v[9:10], s[80:81]
	v_cmp_nlt_f64_e64 s[10:11], s[10:11], v[9:10]
	v_cmp_ngt_f64_e64 s[12:13], s[12:13], v[9:10]
	v_rndne_f64_e32 v[11:12], v[11:12]
	v_fma_f64 v[36:37], v[11:12], s[40:41], v[9:10]
	v_fma_f64 v[36:37], v[11:12], s[42:43], v[36:37]
	v_cvt_i32_f64_e32 v11, v[11:12]
	v_fma_f64 v[38:39], v[36:37], s[44:45], v[22:23]
	v_fma_f64 v[38:39], v[36:37], v[38:39], s[46:47]
	;; [unrolled: 1-line block ×9, first 2 shown]
	v_fma_f64 v[38:39], v[36:37], v[38:39], 1.0
	v_fma_f64 v[36:37], v[36:37], v[38:39], 1.0
	v_ldexp_f64 v[11:12], v[36:37], v11
	v_cndmask_b32_e64 v12, v51, v12, s[10:11]
	v_cndmask_b32_e64 v18, 0, v12, s[12:13]
	s_and_b64 s[10:11], s[12:13], s[10:11]
	v_and_b32_e32 v9, 0xfffff, v18
	v_cndmask_b32_e64 v11, 0, v11, s[10:11]
	v_or_b32_e32 v12, 0x7fe00000, v9
	v_mul_f64 v[9:10], v[11:12], v[26:27]
	v_lshrrev_b32_e32 v18, 20, v18
	v_add_u32_e32 v36, 0xffffff09, v18
	v_lshrrev_b16_e32 v18, 15, v36
	v_add_u16_e32 v18, v36, v18
	v_ashrrev_i16_e32 v18, 1, v18
	v_bfe_i32 v37, v18, 0, 16
	v_lshl_add_u32 v18, v37, 20, v50
	v_mul_f64 v[26:27], v[9:10], v[17:18]
	v_sub_u32_e32 v9, v36, v37
	v_mul_f64 v[36:37], v[28:29], v[28:29]
	v_lshl_add_u32 v10, v9, 20, v50
	v_mov_b32_e32 v9, v17
	v_mul_f64 v[26:27], v[26:27], v[9:10]
	v_mul_f64 v[38:39], v[36:37], 0.5
	v_fma_f64 v[34:35], v[36:37], s[64:65], v[34:35]
	v_fma_f64 v[32:33], v[36:37], s[74:75], v[32:33]
	v_add_f64 v[53:54], -v[38:39], 1.0
	v_fma_f64 v[34:35], v[36:37], v[34:35], s[66:67]
	v_fma_f64 v[32:33], v[36:37], v[32:33], s[76:77]
	v_add_f64 v[55:56], -v[53:54], 1.0
	v_fma_f64 v[34:35], v[36:37], v[34:35], s[68:69]
	v_fma_f64 v[32:33], v[36:37], v[32:33], s[78:79]
	v_add_f64 v[38:39], v[55:56], -v[38:39]
	v_fma_f64 v[34:35], v[36:37], v[34:35], s[70:71]
	v_mul_f64 v[55:56], v[36:37], v[36:37]
	v_fma_f64 v[32:33], v[36:37], v[32:33], s[14:15]
	v_fma_f64 v[38:39], v[28:29], -v[30:31], v[38:39]
	v_fma_f64 v[34:35], v[36:37], v[34:35], s[4:5]
	v_fma_f64 v[34:35], v[55:56], v[34:35], v[38:39]
	v_mul_f64 v[38:39], v[28:29], -v[36:37]
	v_add_f64 v[34:35], v[53:54], v[34:35]
	v_mul_f64 v[53:54], v[30:31], 0.5
	v_fma_f64 v[32:33], v[38:39], v[32:33], v[53:54]
	v_fma_f64 v[30:31], v[36:37], v[32:33], -v[30:31]
	v_fma_f64 v[30:31], v[38:39], s[20:21], v[30:31]
	v_add_f64 v[28:29], v[28:29], -v[30:31]
	v_and_b32_e32 v30, 1, v24
	v_lshlrev_b32_e32 v24, 30, v24
	v_cmp_eq_u32_e64 s[10:11], 0, v30
	v_xor_b32_e32 v24, v24, v25
	v_and_b32_e32 v24, 0x80000000, v24
	v_cndmask_b32_e64 v29, v35, v29, s[10:11]
	v_cndmask_b32_e64 v28, v34, v28, s[10:11]
	v_xor_b32_e32 v25, v29, v24
	v_cndmask_b32_e32 v24, 0, v28, vcc
	v_cndmask_b32_e32 v25, v52, v25, vcc
	v_mul_f64 v[11:12], v[11:12], v[24:25]
	v_mul_f64 v[11:12], v[11:12], v[17:18]
	;; [unrolled: 1-line block ×3, first 2 shown]
.LBB253_139:                            ;   in Loop: Header=BB253_4 Depth=1
	s_or_b64 exec, exec, s[88:89]
                                        ; implicit-def: $vgpr28_vgpr29
                                        ; implicit-def: $vgpr9_vgpr10
                                        ; implicit-def: $vgpr18
.LBB253_140:                            ;   in Loop: Header=BB253_4 Depth=1
	s_andn2_saveexec_b64 s[12:13], s[86:87]
	s_cbranch_execz .LBB253_146
; %bb.141:                              ;   in Loop: Header=BB253_4 Depth=1
	v_add_f64 v[24:25], v[11:12], -v[11:12]
	s_mov_b32 s10, 0x7ff00000
	v_cmp_ne_u32_e32 vcc, 0, v9
	v_cmp_ne_u32_e64 s[10:11], s10, v18
	s_or_b64 s[10:11], vcc, s[10:11]
	s_and_saveexec_b64 s[86:87], s[10:11]
	s_xor_b64 s[10:11], exec, s[86:87]
; %bb.142:                              ;   in Loop: Header=BB253_4 Depth=1
                                        ; implicit-def: $vgpr28_vgpr29
                                        ; implicit-def: $vgpr9_vgpr10
; %bb.143:                              ;   in Loop: Header=BB253_4 Depth=1
	s_or_saveexec_b64 s[10:11], s[10:11]
	v_mov_b32_e32 v27, v25
	v_mov_b32_e32 v26, v24
	s_xor_b64 exec, exec, s[10:11]
; %bb.144:                              ;   in Loop: Header=BB253_4 Depth=1
	v_cmp_lt_i64_e32 vcc, -1, v[28:29]
	v_cndmask_b32_e32 v27, 0, v29, vcc
	v_cndmask_b32_e32 v26, 0, v9, vcc
	;; [unrolled: 1-line block ×4, first 2 shown]
; %bb.145:                              ;   in Loop: Header=BB253_4 Depth=1
	s_or_b64 exec, exec, s[10:11]
.LBB253_146:                            ;   in Loop: Header=BB253_4 Depth=1
	s_or_b64 exec, exec, s[12:13]
                                        ; implicit-def: $vgpr11_vgpr12
.LBB253_147:                            ;   in Loop: Header=BB253_4 Depth=1
	s_andn2_saveexec_b64 s[84:85], s[84:85]
	s_cbranch_execz .LBB253_157
; %bb.148:                              ;   in Loop: Header=BB253_4 Depth=1
	v_trig_preop_f64 v[32:33], |v[11:12]|, 0
	v_trig_preop_f64 v[30:31], |v[11:12]|, 1
	v_trig_preop_f64 v[28:29], |v[11:12]|, 2
	s_mov_b32 s10, 0
	s_mov_b32 s11, 0x41d00000
	s_movk_i32 s12, 0xff80
	v_cmp_nlt_f64_e64 s[10:11], |v[11:12]|, s[10:11]
	v_ldexp_f64 v[36:37], |v[11:12]|, s12
	v_and_b32_e32 v53, 0x7fffffff, v12
                                        ; implicit-def: $vgpr24
                                        ; implicit-def: $vgpr9_vgpr10
                                        ; implicit-def: $vgpr26_vgpr27
	s_and_saveexec_b64 s[12:13], s[10:11]
	s_xor_b64 s[12:13], exec, s[12:13]
	s_cbranch_execz .LBB253_150
; %bb.149:                              ;   in Loop: Header=BB253_4 Depth=1
	s_mov_b32 s86, 0
	s_mov_b32 s87, 0x7b000000
	v_cmp_ge_f64_e64 vcc, |v[11:12]|, s[86:87]
	s_mov_b32 s86, 0
	s_mov_b32 s87, 0x7ff00000
	;; [unrolled: 1-line block ×4, first 2 shown]
	v_cndmask_b32_e32 v10, v53, v37, vcc
	v_cndmask_b32_e32 v9, v11, v36, vcc
	v_mul_f64 v[26:27], v[32:33], v[9:10]
	v_mul_f64 v[34:35], v[30:31], v[9:10]
	;; [unrolled: 1-line block ×3, first 2 shown]
	v_fma_f64 v[38:39], v[32:33], v[9:10], -v[26:27]
	v_fma_f64 v[62:63], v[30:31], v[9:10], -v[34:35]
	;; [unrolled: 1-line block ×3, first 2 shown]
	v_add_f64 v[54:55], v[34:35], v[38:39]
	v_add_f64 v[56:57], v[54:55], -v[34:35]
	v_add_f64 v[64:65], v[26:27], v[54:55]
	v_add_f64 v[58:59], v[54:55], -v[56:57]
	v_add_f64 v[38:39], v[38:39], -v[56:57]
	v_add_f64 v[56:57], v[60:61], v[62:63]
	v_add_f64 v[26:27], v[64:65], -v[26:27]
	v_add_f64 v[34:35], v[34:35], -v[58:59]
	v_ldexp_f64 v[58:59], v[64:65], -2
	v_add_f64 v[66:67], v[56:57], -v[60:61]
	v_add_f64 v[26:27], v[54:55], -v[26:27]
	v_add_f64 v[34:35], v[38:39], v[34:35]
	v_fract_f64_e32 v[38:39], v[58:59]
	v_cmp_neq_f64_e64 vcc, |v[58:59]|, s[86:87]
	v_add_f64 v[62:63], v[62:63], -v[66:67]
	v_add_f64 v[54:55], v[56:57], v[34:35]
	v_ldexp_f64 v[38:39], v[38:39], 2
	v_add_f64 v[58:59], v[26:27], v[54:55]
	v_cndmask_b32_e32 v39, 0, v39, vcc
	v_cndmask_b32_e32 v38, 0, v38, vcc
	v_add_f64 v[68:69], v[54:55], -v[56:57]
	v_add_f64 v[64:65], v[58:59], v[38:39]
	v_add_f64 v[26:27], v[58:59], -v[26:27]
	v_add_f64 v[70:71], v[54:55], -v[68:69]
	;; [unrolled: 1-line block ×3, first 2 shown]
	v_cmp_gt_f64_e32 vcc, 0, v[64:65]
	v_add_f64 v[64:65], v[56:57], -v[66:67]
	v_add_f64 v[26:27], v[54:55], -v[26:27]
	;; [unrolled: 1-line block ×3, first 2 shown]
	v_cndmask_b32_e32 v18, 0, v49, vcc
	v_add_f64 v[38:39], v[38:39], v[17:18]
	v_add_f64 v[64:65], v[60:61], -v[64:65]
	v_add_f64 v[34:35], v[34:35], v[56:57]
	v_add_f64 v[72:73], v[58:59], v[38:39]
	;; [unrolled: 1-line block ×3, first 2 shown]
	v_cvt_i32_f64_e32 v24, v[72:73]
	v_add_f64 v[34:35], v[62:63], v[34:35]
	v_cvt_f64_i32_e32 v[66:67], v24
	v_add_f64 v[38:39], v[38:39], -v[66:67]
	v_add_f64 v[9:10], v[9:10], v[34:35]
	v_add_f64 v[56:57], v[58:59], v[38:39]
	;; [unrolled: 1-line block ×3, first 2 shown]
	v_add_f64 v[34:35], v[56:57], -v[38:39]
	v_cmp_le_f64_e32 vcc, 0.5, v[56:57]
	v_add_f64 v[26:27], v[58:59], -v[34:35]
	v_cndmask_b32_e32 v18, 0, v50, vcc
	v_addc_co_u32_e32 v24, vcc, 0, v24, vcc
	v_add_f64 v[9:10], v[9:10], v[26:27]
	v_add_f64 v[26:27], v[56:57], -v[17:18]
	v_add_f64 v[34:35], v[26:27], v[9:10]
	v_mul_f64 v[38:39], v[34:35], s[90:91]
	v_add_f64 v[26:27], v[34:35], -v[26:27]
	v_fma_f64 v[54:55], v[34:35], s[90:91], -v[38:39]
	v_add_f64 v[9:10], v[9:10], -v[26:27]
	v_fma_f64 v[26:27], v[34:35], s[94:95], v[54:55]
	v_fma_f64 v[26:27], v[9:10], s[90:91], v[26:27]
	v_add_f64 v[9:10], v[38:39], v[26:27]
	v_add_f64 v[34:35], v[9:10], -v[38:39]
	v_add_f64 v[26:27], v[26:27], -v[34:35]
	s_andn2_saveexec_b64 s[12:13], s[12:13]
	s_cbranch_execz .LBB253_152
	s_branch .LBB253_151
.LBB253_150:                            ;   in Loop: Header=BB253_4 Depth=1
	s_andn2_saveexec_b64 s[12:13], s[12:13]
	s_cbranch_execz .LBB253_152
.LBB253_151:                            ;   in Loop: Header=BB253_4 Depth=1
	s_mov_b32 s86, 0x6dc9c883
	s_mov_b32 s87, 0x3fe45f30
	v_mul_f64 v[9:10], |v[11:12]|, s[86:87]
	s_mov_b32 s92, s34
	s_mov_b32 s86, 0x252049c0
	;; [unrolled: 1-line block ×3, first 2 shown]
	v_rndne_f64_e32 v[34:35], v[9:10]
	v_fma_f64 v[9:10], v[34:35], s[28:29], |v[11:12]|
	v_mul_f64 v[26:27], v[34:35], s[34:35]
	v_cvt_i32_f64_e32 v24, v[34:35]
	v_fma_f64 v[56:57], v[34:35], s[34:35], v[9:10]
	v_add_f64 v[38:39], v[9:10], v[26:27]
	v_add_f64 v[54:55], v[9:10], -v[38:39]
	v_add_f64 v[38:39], v[38:39], -v[56:57]
	v_add_f64 v[9:10], v[54:55], v[26:27]
	v_fma_f64 v[26:27], v[34:35], s[92:93], v[26:27]
	v_add_f64 v[9:10], v[38:39], v[9:10]
	v_add_f64 v[9:10], v[9:10], -v[26:27]
	v_fma_f64 v[26:27], v[34:35], s[86:87], v[9:10]
	v_add_f64 v[9:10], v[56:57], v[26:27]
	v_add_f64 v[38:39], v[9:10], -v[56:57]
	v_add_f64 v[26:27], v[26:27], -v[38:39]
.LBB253_152:                            ;   in Loop: Header=BB253_4 Depth=1
	s_or_b64 exec, exec, s[12:13]
                                        ; implicit-def: $vgpr18
                                        ; implicit-def: $vgpr34_vgpr35
                                        ; implicit-def: $vgpr38_vgpr39
	s_and_saveexec_b64 s[12:13], s[10:11]
	s_xor_b64 s[10:11], exec, s[12:13]
	s_cbranch_execz .LBB253_154
; %bb.153:                              ;   in Loop: Header=BB253_4 Depth=1
	s_mov_b32 s12, 0
	s_mov_b32 s13, 0x7b000000
	v_cmp_ge_f64_e64 vcc, |v[11:12]|, s[12:13]
	s_mov_b32 s12, 0
	s_mov_b32 s13, 0x7ff00000
	;; [unrolled: 1-line block ×4, first 2 shown]
	v_cndmask_b32_e32 v35, v53, v37, vcc
	v_cndmask_b32_e32 v34, v11, v36, vcc
	v_mul_f64 v[36:37], v[32:33], v[34:35]
	v_mul_f64 v[38:39], v[30:31], v[34:35]
	;; [unrolled: 1-line block ×3, first 2 shown]
	v_fma_f64 v[32:33], v[32:33], v[34:35], -v[36:37]
	v_fma_f64 v[30:31], v[30:31], v[34:35], -v[38:39]
	;; [unrolled: 1-line block ×3, first 2 shown]
	v_add_f64 v[53:54], v[38:39], v[32:33]
	v_add_f64 v[55:56], v[53:54], -v[38:39]
	v_add_f64 v[61:62], v[36:37], v[53:54]
	v_add_f64 v[57:58], v[53:54], -v[55:56]
	v_add_f64 v[32:33], v[32:33], -v[55:56]
	v_add_f64 v[55:56], v[59:60], v[30:31]
	v_add_f64 v[36:37], v[61:62], -v[36:37]
	v_add_f64 v[38:39], v[38:39], -v[57:58]
	v_ldexp_f64 v[57:58], v[61:62], -2
	v_add_f64 v[63:64], v[55:56], -v[59:60]
	v_add_f64 v[36:37], v[53:54], -v[36:37]
	v_add_f64 v[32:33], v[32:33], v[38:39]
	v_fract_f64_e32 v[38:39], v[57:58]
	v_cmp_neq_f64_e64 vcc, |v[57:58]|, s[12:13]
	v_add_f64 v[30:31], v[30:31], -v[63:64]
	v_add_f64 v[53:54], v[55:56], v[32:33]
	v_ldexp_f64 v[38:39], v[38:39], 2
	v_add_f64 v[57:58], v[36:37], v[53:54]
	v_cndmask_b32_e32 v39, 0, v39, vcc
	v_cndmask_b32_e32 v38, 0, v38, vcc
	v_add_f64 v[65:66], v[53:54], -v[55:56]
	v_add_f64 v[61:62], v[57:58], v[38:39]
	v_add_f64 v[34:35], v[57:58], -v[36:37]
	v_add_f64 v[67:68], v[53:54], -v[65:66]
	;; [unrolled: 1-line block ×3, first 2 shown]
	v_cmp_gt_f64_e32 vcc, 0, v[61:62]
	v_add_f64 v[61:62], v[55:56], -v[63:64]
	v_add_f64 v[34:35], v[53:54], -v[34:35]
	;; [unrolled: 1-line block ×3, first 2 shown]
	v_cndmask_b32_e32 v18, 0, v49, vcc
	v_add_f64 v[38:39], v[38:39], v[17:18]
	v_add_f64 v[61:62], v[59:60], -v[61:62]
	v_add_f64 v[32:33], v[32:33], v[55:56]
	v_add_f64 v[69:70], v[57:58], v[38:39]
	;; [unrolled: 1-line block ×3, first 2 shown]
	v_cvt_i32_f64_e32 v65, v[69:70]
	v_add_f64 v[30:31], v[30:31], v[32:33]
	v_cvt_f64_i32_e32 v[63:64], v65
	v_add_f64 v[38:39], v[38:39], -v[63:64]
	v_add_f64 v[28:29], v[28:29], v[30:31]
	v_add_f64 v[32:33], v[57:58], v[38:39]
	;; [unrolled: 1-line block ×3, first 2 shown]
	v_add_f64 v[30:31], v[32:33], -v[38:39]
	v_cmp_le_f64_e32 vcc, 0.5, v[32:33]
	v_add_f64 v[30:31], v[57:58], -v[30:31]
	v_cndmask_b32_e32 v18, 0, v50, vcc
	v_add_f64 v[28:29], v[28:29], v[30:31]
	v_add_f64 v[30:31], v[32:33], -v[17:18]
	v_addc_co_u32_e32 v18, vcc, 0, v65, vcc
	v_add_f64 v[32:33], v[30:31], v[28:29]
	v_mul_f64 v[36:37], v[32:33], s[90:91]
	v_add_f64 v[30:31], v[32:33], -v[30:31]
	v_fma_f64 v[34:35], v[32:33], s[90:91], -v[36:37]
	v_add_f64 v[28:29], v[28:29], -v[30:31]
	v_fma_f64 v[30:31], v[32:33], s[94:95], v[34:35]
	v_fma_f64 v[28:29], v[28:29], s[90:91], v[30:31]
	v_add_f64 v[34:35], v[36:37], v[28:29]
	v_add_f64 v[30:31], v[34:35], -v[36:37]
	v_add_f64 v[38:39], v[28:29], -v[30:31]
	s_andn2_saveexec_b64 s[10:11], s[10:11]
	s_cbranch_execnz .LBB253_155
	s_branch .LBB253_156
.LBB253_154:                            ;   in Loop: Header=BB253_4 Depth=1
	s_andn2_saveexec_b64 s[10:11], s[10:11]
	s_cbranch_execz .LBB253_156
.LBB253_155:                            ;   in Loop: Header=BB253_4 Depth=1
	s_mov_b32 s12, 0x6dc9c883
	s_mov_b32 s13, 0x3fe45f30
	v_mul_f64 v[28:29], |v[11:12]|, s[12:13]
	s_mov_b32 s92, s34
	s_mov_b32 s12, 0x252049c0
	;; [unrolled: 1-line block ×3, first 2 shown]
	v_rndne_f64_e32 v[28:29], v[28:29]
	v_fma_f64 v[30:31], v[28:29], s[28:29], |v[11:12]|
	v_mul_f64 v[32:33], v[28:29], s[34:35]
	v_cvt_i32_f64_e32 v18, v[28:29]
	v_add_f64 v[34:35], v[30:31], v[32:33]
	v_add_f64 v[36:37], v[30:31], -v[34:35]
	v_fma_f64 v[30:31], v[28:29], s[34:35], v[30:31]
	v_add_f64 v[36:37], v[36:37], v[32:33]
	v_add_f64 v[34:35], v[34:35], -v[30:31]
	v_fma_f64 v[32:33], v[28:29], s[92:93], v[32:33]
	;; [unrolled: 3-line block ×3, first 2 shown]
	v_add_f64 v[34:35], v[30:31], v[32:33]
	v_add_f64 v[30:31], v[34:35], -v[30:31]
	v_add_f64 v[38:39], v[32:33], -v[30:31]
.LBB253_156:                            ;   in Loop: Header=BB253_4 Depth=1
	s_or_b64 exec, exec, s[10:11]
	v_mul_f64 v[28:29], v[9:10], v[9:10]
	v_mul_f64 v[30:31], v[34:35], v[34:35]
	s_mov_b32 s10, 0xb42fdfa7
	s_mov_b32 s11, 0xbe5ae600
	v_mov_b32_e32 v33, s11
	v_mov_b32_e32 v32, s10
	s_mov_b32 s10, 0x9037ab78
	s_mov_b32 s11, 0x3e21eeb6
	v_fma_f64 v[36:37], v[28:29], s[74:75], v[32:33]
	v_fma_f64 v[32:33], v[30:31], s[74:75], v[32:33]
	v_mov_b32_e32 v54, s11
	v_mov_b32_e32 v53, s10
	v_mul_f64 v[57:58], v[28:29], 0.5
	v_fma_f64 v[55:56], v[28:29], s[64:65], v[53:54]
	v_fma_f64 v[53:54], v[30:31], s[64:65], v[53:54]
	v_mul_f64 v[59:60], v[30:31], 0.5
	v_fma_f64 v[36:37], v[28:29], v[36:37], s[76:77]
	v_fma_f64 v[32:33], v[30:31], v[32:33], s[76:77]
	v_mul_f64 v[61:62], v[26:27], 0.5
	v_mul_f64 v[69:70], v[9:10], -v[28:29]
	v_add_f64 v[63:64], -v[57:58], 1.0
	v_fma_f64 v[55:56], v[28:29], v[55:56], s[66:67]
	v_fma_f64 v[53:54], v[30:31], v[53:54], s[66:67]
	v_add_f64 v[67:68], -v[59:60], 1.0
	v_fma_f64 v[36:37], v[28:29], v[36:37], s[78:79]
	v_fma_f64 v[32:33], v[30:31], v[32:33], s[78:79]
	v_mul_f64 v[65:66], v[38:39], 0.5
	v_mul_f64 v[73:74], v[34:35], -v[30:31]
	v_add_f64 v[71:72], -v[63:64], 1.0
	v_fma_f64 v[55:56], v[28:29], v[55:56], s[68:69]
	v_fma_f64 v[53:54], v[30:31], v[53:54], s[68:69]
	v_add_f64 v[75:76], -v[67:68], 1.0
	v_fma_f64 v[36:37], v[28:29], v[36:37], s[14:15]
	v_fma_f64 v[32:33], v[30:31], v[32:33], s[14:15]
	s_mov_b32 s20, s4
	v_cmp_class_f64_e64 s[10:11], v[11:12], s73
	v_add_f64 v[57:58], v[71:72], -v[57:58]
	v_fma_f64 v[55:56], v[28:29], v[55:56], s[70:71]
	v_fma_f64 v[53:54], v[30:31], v[53:54], s[70:71]
	v_add_f64 v[59:60], v[75:76], -v[59:60]
	v_fma_f64 v[36:37], v[69:70], v[36:37], v[61:62]
	v_fma_f64 v[32:33], v[73:74], v[32:33], v[65:66]
	v_mul_f64 v[61:62], v[28:29], v[28:29]
	v_fma_f64 v[57:58], v[9:10], -v[26:27], v[57:58]
	v_fma_f64 v[55:56], v[28:29], v[55:56], s[4:5]
	v_fma_f64 v[26:27], v[28:29], v[36:37], -v[26:27]
	v_mul_f64 v[28:29], v[30:31], v[30:31]
	v_fma_f64 v[36:37], v[30:31], v[53:54], s[4:5]
	v_fma_f64 v[53:54], v[34:35], -v[38:39], v[59:60]
	v_fma_f64 v[30:31], v[30:31], v[32:33], -v[38:39]
	v_fma_f64 v[32:33], v[61:62], v[55:56], v[57:58]
	v_and_b32_e32 v38, 1, v24
	v_lshlrev_b32_e32 v24, 30, v24
	v_fma_f64 v[26:27], v[69:70], s[20:21], v[26:27]
	v_cmp_eq_u32_e32 vcc, 0, v38
	v_and_b32_e32 v24, 0x80000000, v24
	v_fma_f64 v[28:29], v[28:29], v[36:37], v[53:54]
	v_fma_f64 v[30:31], v[73:74], s[20:21], v[30:31]
	v_add_f64 v[32:33], v[63:64], v[32:33]
	v_and_b32_e32 v36, 1, v18
	v_lshlrev_b32_e32 v18, 30, v18
	v_add_f64 v[9:10], v[9:10], -v[26:27]
	v_xor_b32_e32 v18, v18, v25
	v_cmp_eq_u32_e64 s[12:13], 0, v36
	v_add_f64 v[26:27], v[67:68], v[28:29]
	v_add_f64 v[28:29], v[34:35], -v[30:31]
	v_and_b32_e32 v18, 0x80000000, v18
	v_xor_b32_e32 v10, 0x80000000, v10
	v_cndmask_b32_e32 v9, v9, v32, vcc
	v_cndmask_b32_e32 v10, v10, v33, vcc
	v_xor_b32_e32 v10, v10, v24
	v_cndmask_b32_e64 v12, v27, v29, s[12:13]
	v_cndmask_b32_e64 v11, v26, v28, s[12:13]
	;; [unrolled: 1-line block ×3, first 2 shown]
	v_xor_b32_e32 v9, v12, v18
	v_cndmask_b32_e64 v24, 0, v11, s[10:11]
	v_cndmask_b32_e64 v27, v52, v10, s[10:11]
	;; [unrolled: 1-line block ×3, first 2 shown]
.LBB253_157:                            ;   in Loop: Header=BB253_4 Depth=1
	s_or_b64 exec, exec, s[84:85]
                                        ; implicit-def: $vgpr9_vgpr10
.LBB253_158:                            ;   in Loop: Header=BB253_4 Depth=1
	s_andn2_saveexec_b64 s[12:13], s[36:37]
	s_cbranch_execz .LBB253_160
; %bb.159:                              ;   in Loop: Header=BB253_4 Depth=1
	s_mov_b32 s38, s80
	v_mul_f64 v[11:12], v[9:10], s[38:39]
	s_mov_b32 s55, s15
	s_mov_b32 s57, s5
	v_cmp_ngt_f64_e32 vcc, s[22:23], v[9:10]
	v_cmp_nlt_f64_e64 s[10:11], s[30:31], v[9:10]
	v_rndne_f64_e32 v[11:12], v[11:12]
	v_fma_f64 v[26:27], v[11:12], s[40:41], -v[9:10]
	v_fma_f64 v[26:27], v[11:12], s[42:43], v[26:27]
	v_cvt_i32_f64_e32 v11, v[11:12]
	v_fma_f64 v[28:29], v[26:27], s[44:45], v[22:23]
	v_fma_f64 v[28:29], v[26:27], v[28:29], s[46:47]
	;; [unrolled: 1-line block ×9, first 2 shown]
	v_fma_f64 v[28:29], v[26:27], v[28:29], 1.0
	v_fma_f64 v[26:27], v[26:27], v[28:29], 1.0
	v_ldexp_f64 v[11:12], v[26:27], v11
	v_cndmask_b32_e32 v12, v51, v12, vcc
	s_and_b64 vcc, s[10:11], vcc
	v_cndmask_b32_e64 v27, 0, v12, s[10:11]
	v_cndmask_b32_e32 v26, 0, v11, vcc
.LBB253_160:                            ;   in Loop: Header=BB253_4 Depth=1
	s_or_b64 exec, exec, s[12:13]
	v_add_f64 v[26:27], s[16:17], v[26:27]
	v_add_f64 v[24:25], s[18:19], v[24:25]
	v_cmp_gt_f64_e32 vcc, 0, v[26:27]
	v_xor_b32_e32 v9, 0x80000000, v27
	v_xor_b32_e32 v10, 0x80000000, v25
	v_mov_b32_e32 v28, v26
	v_mov_b32_e32 v30, v24
	v_cndmask_b32_e32 v29, v27, v9, vcc
	v_cmp_gt_f64_e32 vcc, 0, v[24:25]
	v_cndmask_b32_e32 v31, v25, v10, vcc
	v_cmp_ge_f64_e32 vcc, v[28:29], v[30:31]
                                        ; implicit-def: $vgpr11_vgpr12
	s_and_saveexec_b64 s[10:11], vcc
	s_xor_b64 s[12:13], exec, s[10:11]
	s_cbranch_execz .LBB253_166
; %bb.161:                              ;   in Loop: Header=BB253_4 Depth=1
	v_cmp_neq_f64_e32 vcc, 0, v[26:27]
	v_cmp_neq_f64_e64 s[10:11], 0, v[24:25]
                                        ; implicit-def: $vgpr11_vgpr12
	s_or_b64 s[10:11], vcc, s[10:11]
	s_and_saveexec_b64 s[36:37], s[10:11]
	s_xor_b64 s[10:11], exec, s[36:37]
	s_cbranch_execz .LBB253_163
; %bb.162:                              ;   in Loop: Header=BB253_4 Depth=1
	v_div_scale_f64 v[9:10], s[36:37], v[26:27], v[26:27], v[24:25]
	v_rcp_f64_e32 v[11:12], v[9:10]
	v_fma_f64 v[28:29], -v[9:10], v[11:12], 1.0
	v_fma_f64 v[11:12], v[11:12], v[28:29], v[11:12]
	v_div_scale_f64 v[28:29], vcc, v[24:25], v[26:27], v[24:25]
	v_fma_f64 v[30:31], -v[9:10], v[11:12], 1.0
	v_fma_f64 v[11:12], v[11:12], v[30:31], v[11:12]
	v_mul_f64 v[30:31], v[28:29], v[11:12]
	v_fma_f64 v[9:10], -v[9:10], v[30:31], v[28:29]
	v_div_fmas_f64 v[9:10], v[9:10], v[11:12], v[30:31]
	v_div_fixup_f64 v[9:10], v[9:10], v[26:27], v[24:25]
	v_fma_f64 v[11:12], v[24:25], v[9:10], v[26:27]
	v_div_scale_f64 v[24:25], s[36:37], v[11:12], v[11:12], 1.0
	v_rcp_f64_e32 v[26:27], v[24:25]
	v_fma_f64 v[28:29], -v[24:25], v[26:27], 1.0
	v_fma_f64 v[26:27], v[26:27], v[28:29], v[26:27]
	v_div_scale_f64 v[28:29], vcc, 1.0, v[11:12], 1.0
	v_fma_f64 v[30:31], -v[24:25], v[26:27], 1.0
	v_fma_f64 v[26:27], v[26:27], v[30:31], v[26:27]
	v_mul_f64 v[30:31], v[28:29], v[26:27]
	v_fma_f64 v[24:25], -v[24:25], v[30:31], v[28:29]
	v_mov_b32_e32 v29, s19
	v_mov_b32_e32 v28, s18
	v_div_fmas_f64 v[24:25], v[24:25], v[26:27], v[30:31]
	v_mov_b32_e32 v27, s17
	v_mov_b32_e32 v26, s16
	v_fma_f64 v[26:27], s[18:19], v[9:10], v[26:27]
                                        ; implicit-def: $vgpr30_vgpr31
	v_div_fixup_f64 v[11:12], v[24:25], v[11:12], 1.0
	v_fma_f64 v[24:25], -s[16:17], v[9:10], v[28:29]
                                        ; implicit-def: $vgpr28_vgpr29
	v_mul_f64 v[9:10], v[26:27], v[11:12]
	v_mul_f64 v[11:12], v[24:25], v[11:12]
.LBB253_163:                            ;   in Loop: Header=BB253_4 Depth=1
	s_andn2_saveexec_b64 s[36:37], s[10:11]
	s_cbranch_execz .LBB253_165
; %bb.164:                              ;   in Loop: Header=BB253_4 Depth=1
	v_div_scale_f64 v[9:10], s[10:11], v[28:29], v[28:29], s[16:17]
	v_div_scale_f64 v[11:12], s[10:11], v[30:31], v[30:31], s[18:19]
	;; [unrolled: 1-line block ×3, first 2 shown]
	v_rcp_f64_e32 v[24:25], v[9:10]
	v_rcp_f64_e32 v[26:27], v[11:12]
	v_fma_f64 v[32:33], -v[9:10], v[24:25], 1.0
	v_fma_f64 v[34:35], -v[11:12], v[26:27], 1.0
	v_fma_f64 v[24:25], v[24:25], v[32:33], v[24:25]
	v_div_scale_f64 v[32:33], vcc, s[16:17], v[28:29], s[16:17]
	v_fma_f64 v[26:27], v[26:27], v[34:35], v[26:27]
	v_fma_f64 v[34:35], -v[9:10], v[24:25], 1.0
	v_fma_f64 v[38:39], -v[11:12], v[26:27], 1.0
	v_fma_f64 v[24:25], v[24:25], v[34:35], v[24:25]
	v_fma_f64 v[26:27], v[26:27], v[38:39], v[26:27]
	v_mul_f64 v[34:35], v[32:33], v[24:25]
	v_mul_f64 v[38:39], v[36:37], v[26:27]
	v_fma_f64 v[9:10], -v[9:10], v[34:35], v[32:33]
	v_fma_f64 v[11:12], -v[11:12], v[38:39], v[36:37]
	v_div_fmas_f64 v[9:10], v[9:10], v[24:25], v[34:35]
	s_mov_b64 vcc, s[10:11]
	v_div_fmas_f64 v[11:12], v[11:12], v[26:27], v[38:39]
	v_div_fixup_f64 v[9:10], v[9:10], v[28:29], s[16:17]
	v_div_fixup_f64 v[11:12], v[11:12], v[30:31], s[18:19]
.LBB253_165:                            ;   in Loop: Header=BB253_4 Depth=1
	s_or_b64 exec, exec, s[36:37]
                                        ; implicit-def: $vgpr24_vgpr25
                                        ; implicit-def: $vgpr26_vgpr27
.LBB253_166:                            ;   in Loop: Header=BB253_4 Depth=1
	s_andn2_saveexec_b64 s[10:11], s[12:13]
	s_cbranch_execz .LBB253_168
; %bb.167:                              ;   in Loop: Header=BB253_4 Depth=1
	v_div_scale_f64 v[9:10], s[12:13], v[24:25], v[24:25], v[26:27]
	v_rcp_f64_e32 v[11:12], v[9:10]
	v_fma_f64 v[28:29], -v[9:10], v[11:12], 1.0
	v_fma_f64 v[11:12], v[11:12], v[28:29], v[11:12]
	v_div_scale_f64 v[28:29], vcc, v[26:27], v[24:25], v[26:27]
	v_fma_f64 v[30:31], -v[9:10], v[11:12], 1.0
	v_fma_f64 v[11:12], v[11:12], v[30:31], v[11:12]
	v_mul_f64 v[30:31], v[28:29], v[11:12]
	v_fma_f64 v[9:10], -v[9:10], v[30:31], v[28:29]
	v_div_fmas_f64 v[9:10], v[9:10], v[11:12], v[30:31]
	v_div_fixup_f64 v[9:10], v[9:10], v[24:25], v[26:27]
	v_fma_f64 v[11:12], v[26:27], v[9:10], v[24:25]
	v_div_scale_f64 v[24:25], s[12:13], v[11:12], v[11:12], 1.0
	v_rcp_f64_e32 v[26:27], v[24:25]
	v_fma_f64 v[28:29], -v[24:25], v[26:27], 1.0
	v_fma_f64 v[26:27], v[26:27], v[28:29], v[26:27]
	v_div_scale_f64 v[28:29], vcc, 1.0, v[11:12], 1.0
	v_fma_f64 v[30:31], -v[24:25], v[26:27], 1.0
	v_fma_f64 v[26:27], v[26:27], v[30:31], v[26:27]
	v_mul_f64 v[30:31], v[28:29], v[26:27]
	v_fma_f64 v[24:25], -v[24:25], v[30:31], v[28:29]
	v_mov_b32_e32 v29, s17
	v_mov_b32_e32 v28, s16
	v_div_fmas_f64 v[24:25], v[24:25], v[26:27], v[30:31]
	v_mov_b32_e32 v27, s19
	v_mov_b32_e32 v26, s18
	v_fma_f64 v[26:27], s[16:17], v[9:10], v[26:27]
	v_div_fixup_f64 v[11:12], v[24:25], v[11:12], 1.0
	v_fma_f64 v[24:25], s[18:19], v[9:10], -v[28:29]
	v_mul_f64 v[9:10], v[26:27], v[11:12]
	v_mul_f64 v[11:12], v[24:25], v[11:12]
.LBB253_168:                            ;   in Loop: Header=BB253_4 Depth=1
	s_or_b64 exec, exec, s[10:11]
	v_xor_b32_e32 v25, 0x80000000, v4
	v_and_b32_e32 v30, 0x7fffffff, v25
	v_or_b32_e32 v18, v30, v3
	v_mov_b32_e32 v24, v3
	v_cmp_ne_u32_e32 vcc, 0, v18
                                        ; implicit-def: $vgpr26_vgpr27
	s_and_saveexec_b64 s[10:11], vcc
	s_xor_b64 s[36:37], exec, s[10:11]
	s_cbranch_execz .LBB253_210
; %bb.169:                              ;   in Loop: Header=BB253_4 Depth=1
	v_xor_b32_e32 v29, 0x80000000, v2
	v_and_b32_e32 v18, 0x7fffffff, v29
	v_or_b32_e32 v24, v18, v1
	v_mov_b32_e32 v28, v1
	v_cmp_ne_u32_e32 vcc, 0, v24
                                        ; implicit-def: $vgpr26_vgpr27
	s_and_saveexec_b64 s[10:11], vcc
	s_xor_b64 s[84:85], exec, s[10:11]
	s_cbranch_execz .LBB253_199
; %bb.170:                              ;   in Loop: Header=BB253_4 Depth=1
	s_mov_b32 s10, 0x7ff00000
	v_cmp_gt_u32_e32 vcc, s10, v30
                                        ; implicit-def: $vgpr26_vgpr27
	s_and_saveexec_b64 s[10:11], vcc
	s_xor_b64 s[86:87], exec, s[10:11]
	s_cbranch_execz .LBB253_192
; %bb.171:                              ;   in Loop: Header=BB253_4 Depth=1
	v_add_u32_e32 v18, 0xbf79d1be, v29
	s_mov_b32 s10, 0x108aa2
	v_cmp_lt_u32_e32 vcc, s10, v18
                                        ; implicit-def: $vgpr26_vgpr27
	s_and_saveexec_b64 s[10:11], vcc
	s_xor_b64 s[12:13], exec, s[10:11]
	s_cbranch_execz .LBB253_181
; %bb.172:                              ;   in Loop: Header=BB253_4 Depth=1
	s_mov_b32 s10, 0
	s_mov_b32 s11, 0x41d00000
	v_cmp_nlt_f64_e64 s[10:11], |v[3:4]|, s[10:11]
                                        ; implicit-def: $vgpr24
                                        ; implicit-def: $vgpr26_vgpr27
                                        ; implicit-def: $vgpr32_vgpr33
	s_and_saveexec_b64 s[88:89], s[10:11]
	s_xor_b64 s[88:89], exec, s[88:89]
	s_cbranch_execz .LBB253_174
; %bb.173:                              ;   in Loop: Header=BB253_4 Depth=1
	v_trig_preop_f64 v[26:27], |v[3:4]|, 0
	s_mov_b32 vcc_lo, 0
	s_movk_i32 s20, 0xff80
	s_mov_b32 vcc_hi, 0x7b000000
	v_ldexp_f64 v[28:29], |v[3:4]|, s20
	v_cmp_ge_f64_e64 vcc, |v[3:4]|, vcc
	v_trig_preop_f64 v[30:31], |v[3:4]|, 1
	v_and_b32_e32 v18, 0x7fffffff, v4
	v_trig_preop_f64 v[38:39], |v[3:4]|, 2
	s_mov_b32 s90, s28
	s_mov_b32 s95, s93
	v_cndmask_b32_e32 v29, v18, v29, vcc
	v_cndmask_b32_e32 v28, v3, v28, vcc
	s_mov_b32 vcc_lo, 0
	v_mul_f64 v[32:33], v[26:27], v[28:29]
	s_mov_b32 vcc_hi, 0x7ff00000
	v_mul_f64 v[34:35], v[30:31], v[28:29]
	v_mul_f64 v[57:58], v[38:39], v[28:29]
	v_fma_f64 v[26:27], v[26:27], v[28:29], -v[32:33]
	v_fma_f64 v[30:31], v[30:31], v[28:29], -v[34:35]
	;; [unrolled: 1-line block ×3, first 2 shown]
	v_add_f64 v[36:37], v[34:35], v[26:27]
	v_add_f64 v[53:54], v[36:37], -v[34:35]
	v_add_f64 v[59:60], v[32:33], v[36:37]
	v_add_f64 v[55:56], v[36:37], -v[53:54]
	v_add_f64 v[26:27], v[26:27], -v[53:54]
	v_add_f64 v[53:54], v[57:58], v[30:31]
	v_add_f64 v[32:33], v[59:60], -v[32:33]
	v_add_f64 v[34:35], v[34:35], -v[55:56]
	v_ldexp_f64 v[55:56], v[59:60], -2
	v_add_f64 v[61:62], v[53:54], -v[57:58]
	v_add_f64 v[32:33], v[36:37], -v[32:33]
	v_add_f64 v[26:27], v[26:27], v[34:35]
	v_fract_f64_e32 v[34:35], v[55:56]
	v_cmp_neq_f64_e64 vcc, |v[55:56]|, vcc
	v_add_f64 v[30:31], v[30:31], -v[61:62]
	v_add_f64 v[36:37], v[53:54], v[26:27]
	v_ldexp_f64 v[34:35], v[34:35], 2
	v_add_f64 v[55:56], v[32:33], v[36:37]
	v_cndmask_b32_e32 v35, 0, v35, vcc
	v_cndmask_b32_e32 v34, 0, v34, vcc
	v_add_f64 v[63:64], v[36:37], -v[53:54]
	v_add_f64 v[59:60], v[55:56], v[34:35]
	v_add_f64 v[32:33], v[55:56], -v[32:33]
	v_add_f64 v[65:66], v[36:37], -v[63:64]
	;; [unrolled: 1-line block ×3, first 2 shown]
	v_cmp_gt_f64_e32 vcc, 0, v[59:60]
	v_add_f64 v[59:60], v[53:54], -v[61:62]
	v_add_f64 v[32:33], v[36:37], -v[32:33]
	;; [unrolled: 1-line block ×3, first 2 shown]
	v_cndmask_b32_e32 v18, 0, v49, vcc
	v_add_f64 v[34:35], v[34:35], v[17:18]
	v_add_f64 v[59:60], v[57:58], -v[59:60]
	v_add_f64 v[26:27], v[26:27], v[53:54]
	v_add_f64 v[67:68], v[55:56], v[34:35]
	;; [unrolled: 1-line block ×3, first 2 shown]
	v_cvt_i32_f64_e32 v24, v[67:68]
	v_add_f64 v[26:27], v[30:31], v[26:27]
	v_cvt_f64_i32_e32 v[61:62], v24
	v_add_f64 v[34:35], v[34:35], -v[61:62]
	v_add_f64 v[26:27], v[28:29], v[26:27]
	v_add_f64 v[30:31], v[55:56], v[34:35]
	;; [unrolled: 1-line block ×3, first 2 shown]
	v_add_f64 v[28:29], v[30:31], -v[34:35]
	v_cmp_le_f64_e32 vcc, 0.5, v[30:31]
	v_add_f64 v[28:29], v[55:56], -v[28:29]
	v_cndmask_b32_e32 v18, 0, v50, vcc
	v_addc_co_u32_e32 v24, vcc, 0, v24, vcc
	v_add_f64 v[26:27], v[26:27], v[28:29]
	v_add_f64 v[28:29], v[30:31], -v[17:18]
	v_add_f64 v[30:31], v[28:29], v[26:27]
	v_mul_f64 v[32:33], v[30:31], s[90:91]
	v_add_f64 v[28:29], v[30:31], -v[28:29]
	v_fma_f64 v[34:35], v[30:31], s[90:91], -v[32:33]
	v_add_f64 v[26:27], v[26:27], -v[28:29]
	v_fma_f64 v[28:29], v[30:31], s[94:95], v[34:35]
	v_fma_f64 v[28:29], v[26:27], s[90:91], v[28:29]
	v_add_f64 v[26:27], v[32:33], v[28:29]
	v_add_f64 v[30:31], v[26:27], -v[32:33]
	v_add_f64 v[32:33], v[28:29], -v[30:31]
	s_andn2_saveexec_b64 s[88:89], s[88:89]
	s_cbranch_execz .LBB253_176
	s_branch .LBB253_175
.LBB253_174:                            ;   in Loop: Header=BB253_4 Depth=1
	s_andn2_saveexec_b64 s[88:89], s[88:89]
	s_cbranch_execz .LBB253_176
.LBB253_175:                            ;   in Loop: Header=BB253_4 Depth=1
	s_mov_b32 vcc_lo, 0x6dc9c883
	s_mov_b32 vcc_hi, 0x3fe45f30
	v_mul_f64 v[26:27], |v[3:4]|, vcc
	s_mov_b32 s92, s34
	s_mov_b32 vcc_lo, 0x252049c0
	s_mov_b32 vcc_hi, 0xb97b839a
	v_rndne_f64_e32 v[28:29], v[26:27]
	v_fma_f64 v[26:27], v[28:29], s[28:29], |v[3:4]|
	v_mul_f64 v[30:31], v[28:29], s[34:35]
	v_cvt_i32_f64_e32 v24, v[28:29]
	v_fma_f64 v[36:37], v[28:29], s[34:35], v[26:27]
	v_add_f64 v[32:33], v[26:27], v[30:31]
	v_add_f64 v[34:35], v[26:27], -v[32:33]
	v_add_f64 v[32:33], v[32:33], -v[36:37]
	v_add_f64 v[26:27], v[34:35], v[30:31]
	v_fma_f64 v[30:31], v[28:29], s[92:93], v[30:31]
	v_add_f64 v[26:27], v[32:33], v[26:27]
	v_add_f64 v[26:27], v[26:27], -v[30:31]
	v_fma_f64 v[30:31], v[28:29], vcc, v[26:27]
	v_add_f64 v[26:27], v[36:37], v[30:31]
	v_add_f64 v[32:33], v[26:27], -v[36:37]
	v_add_f64 v[32:33], v[30:31], -v[32:33]
.LBB253_176:                            ;   in Loop: Header=BB253_4 Depth=1
	s_or_b64 exec, exec, s[88:89]
                                        ; implicit-def: $vgpr18
                                        ; implicit-def: $vgpr28_vgpr29
                                        ; implicit-def: $vgpr30_vgpr31
	s_and_saveexec_b64 s[88:89], s[10:11]
	s_xor_b64 s[10:11], exec, s[88:89]
	s_cbranch_execz .LBB253_178
; %bb.177:                              ;   in Loop: Header=BB253_4 Depth=1
	v_trig_preop_f64 v[28:29], |v[3:4]|, 0
	s_mov_b32 s88, 0
	s_movk_i32 s20, 0xff80
	s_mov_b32 s89, 0x7b000000
	v_ldexp_f64 v[30:31], |v[3:4]|, s20
	v_cmp_ge_f64_e64 vcc, |v[3:4]|, s[88:89]
	v_trig_preop_f64 v[34:35], |v[3:4]|, 1
	v_and_b32_e32 v18, 0x7fffffff, v4
	v_trig_preop_f64 v[55:56], |v[3:4]|, 2
	s_mov_b32 s88, 0
	s_mov_b32 s89, 0x7ff00000
	s_mov_b32 s90, s28
	s_mov_b32 s95, s93
	v_cndmask_b32_e32 v31, v18, v31, vcc
	v_cndmask_b32_e32 v30, v3, v30, vcc
	v_mul_f64 v[36:37], v[28:29], v[30:31]
	v_mul_f64 v[38:39], v[34:35], v[30:31]
	;; [unrolled: 1-line block ×3, first 2 shown]
	v_fma_f64 v[28:29], v[28:29], v[30:31], -v[36:37]
	v_fma_f64 v[34:35], v[34:35], v[30:31], -v[38:39]
	;; [unrolled: 1-line block ×3, first 2 shown]
	v_add_f64 v[53:54], v[38:39], v[28:29]
	v_add_f64 v[57:58], v[53:54], -v[38:39]
	v_add_f64 v[63:64], v[36:37], v[53:54]
	v_add_f64 v[59:60], v[53:54], -v[57:58]
	v_add_f64 v[28:29], v[28:29], -v[57:58]
	v_add_f64 v[57:58], v[61:62], v[34:35]
	v_add_f64 v[36:37], v[63:64], -v[36:37]
	v_add_f64 v[38:39], v[38:39], -v[59:60]
	v_ldexp_f64 v[59:60], v[63:64], -2
	v_add_f64 v[65:66], v[57:58], -v[61:62]
	v_add_f64 v[36:37], v[53:54], -v[36:37]
	v_add_f64 v[28:29], v[28:29], v[38:39]
	v_fract_f64_e32 v[38:39], v[59:60]
	v_cmp_neq_f64_e64 vcc, |v[59:60]|, s[88:89]
	v_add_f64 v[34:35], v[34:35], -v[65:66]
	v_add_f64 v[53:54], v[57:58], v[28:29]
	v_ldexp_f64 v[38:39], v[38:39], 2
	v_add_f64 v[59:60], v[36:37], v[53:54]
	v_cndmask_b32_e32 v39, 0, v39, vcc
	v_cndmask_b32_e32 v38, 0, v38, vcc
	v_add_f64 v[67:68], v[53:54], -v[57:58]
	v_add_f64 v[63:64], v[59:60], v[38:39]
	v_add_f64 v[36:37], v[59:60], -v[36:37]
	v_add_f64 v[69:70], v[53:54], -v[67:68]
	v_add_f64 v[28:29], v[28:29], -v[67:68]
	v_cmp_gt_f64_e32 vcc, 0, v[63:64]
	v_add_f64 v[63:64], v[57:58], -v[65:66]
	v_add_f64 v[36:37], v[53:54], -v[36:37]
	;; [unrolled: 1-line block ×3, first 2 shown]
	v_cndmask_b32_e32 v18, 0, v49, vcc
	v_add_f64 v[38:39], v[38:39], v[17:18]
	v_add_f64 v[63:64], v[61:62], -v[63:64]
	v_add_f64 v[28:29], v[28:29], v[57:58]
	v_add_f64 v[71:72], v[59:60], v[38:39]
	;; [unrolled: 1-line block ×3, first 2 shown]
	v_cvt_i32_f64_e32 v67, v[71:72]
	v_add_f64 v[28:29], v[34:35], v[28:29]
	v_cvt_f64_i32_e32 v[65:66], v67
	v_add_f64 v[38:39], v[38:39], -v[65:66]
	v_add_f64 v[28:29], v[30:31], v[28:29]
	v_add_f64 v[34:35], v[59:60], v[38:39]
	;; [unrolled: 1-line block ×3, first 2 shown]
	v_add_f64 v[30:31], v[34:35], -v[38:39]
	v_cmp_le_f64_e32 vcc, 0.5, v[34:35]
	v_add_f64 v[30:31], v[59:60], -v[30:31]
	v_cndmask_b32_e32 v18, 0, v50, vcc
	v_add_f64 v[28:29], v[28:29], v[30:31]
	v_add_f64 v[30:31], v[34:35], -v[17:18]
	v_addc_co_u32_e32 v18, vcc, 0, v67, vcc
	v_add_f64 v[34:35], v[30:31], v[28:29]
	v_mul_f64 v[36:37], v[34:35], s[90:91]
	v_add_f64 v[30:31], v[34:35], -v[30:31]
	v_fma_f64 v[38:39], v[34:35], s[90:91], -v[36:37]
	v_add_f64 v[28:29], v[28:29], -v[30:31]
	v_fma_f64 v[30:31], v[34:35], s[94:95], v[38:39]
	v_fma_f64 v[30:31], v[28:29], s[90:91], v[30:31]
	v_add_f64 v[28:29], v[36:37], v[30:31]
	v_add_f64 v[34:35], v[28:29], -v[36:37]
	v_add_f64 v[30:31], v[30:31], -v[34:35]
	s_andn2_saveexec_b64 s[10:11], s[10:11]
	s_cbranch_execnz .LBB253_179
	s_branch .LBB253_180
.LBB253_178:                            ;   in Loop: Header=BB253_4 Depth=1
	s_andn2_saveexec_b64 s[10:11], s[10:11]
	s_cbranch_execz .LBB253_180
.LBB253_179:                            ;   in Loop: Header=BB253_4 Depth=1
	s_mov_b32 s88, 0x6dc9c883
	s_mov_b32 s89, 0x3fe45f30
	v_mul_f64 v[28:29], |v[3:4]|, s[88:89]
	s_mov_b32 s92, s34
	s_mov_b32 s88, 0x252049c0
	;; [unrolled: 1-line block ×3, first 2 shown]
	v_rndne_f64_e32 v[34:35], v[28:29]
	v_fma_f64 v[28:29], v[34:35], s[28:29], |v[3:4]|
	v_mul_f64 v[30:31], v[34:35], s[34:35]
	v_cvt_i32_f64_e32 v18, v[34:35]
	v_fma_f64 v[53:54], v[34:35], s[34:35], v[28:29]
	v_add_f64 v[36:37], v[28:29], v[30:31]
	v_add_f64 v[38:39], v[28:29], -v[36:37]
	v_add_f64 v[36:37], v[36:37], -v[53:54]
	v_add_f64 v[28:29], v[38:39], v[30:31]
	v_fma_f64 v[30:31], v[34:35], s[92:93], v[30:31]
	v_add_f64 v[28:29], v[36:37], v[28:29]
	v_add_f64 v[28:29], v[28:29], -v[30:31]
	v_fma_f64 v[30:31], v[34:35], s[88:89], v[28:29]
	v_add_f64 v[28:29], v[53:54], v[30:31]
	v_add_f64 v[36:37], v[28:29], -v[53:54]
	v_add_f64 v[30:31], v[30:31], -v[36:37]
.LBB253_180:                            ;   in Loop: Header=BB253_4 Depth=1
	s_or_b64 exec, exec, s[10:11]
	s_mov_b32 s38, s80
	v_mul_f64 v[34:35], v[1:2], s[38:39]
	s_mov_b32 s55, s15
	s_mov_b32 s57, s5
	v_cmp_ngt_f64_e32 vcc, s[22:23], v[1:2]
	v_cmp_nlt_f64_e64 s[10:11], s[30:31], v[1:2]
	v_mul_f64 v[59:60], v[32:33], 0.5
	s_mov_b32 s20, s4
	v_rndne_f64_e32 v[34:35], v[34:35]
	v_fma_f64 v[36:37], v[34:35], s[40:41], -v[1:2]
	v_fma_f64 v[36:37], v[34:35], s[42:43], v[36:37]
	v_cvt_i32_f64_e32 v34, v[34:35]
	v_fma_f64 v[38:39], v[36:37], s[44:45], v[22:23]
	v_fma_f64 v[38:39], v[36:37], v[38:39], s[46:47]
	v_fma_f64 v[38:39], v[36:37], v[38:39], s[48:49]
	v_fma_f64 v[38:39], v[36:37], v[38:39], s[50:51]
	v_fma_f64 v[38:39], v[36:37], v[38:39], s[52:53]
	v_fma_f64 v[38:39], v[36:37], v[38:39], s[54:55]
	v_fma_f64 v[38:39], v[36:37], v[38:39], s[56:57]
	v_fma_f64 v[38:39], v[36:37], v[38:39], s[58:59]
	v_fma_f64 v[38:39], v[36:37], v[38:39], s[60:61]
	v_fma_f64 v[38:39], v[36:37], v[38:39], 1.0
	v_fma_f64 v[36:37], v[36:37], v[38:39], 1.0
	v_ldexp_f64 v[34:35], v[36:37], v34
	v_cndmask_b32_e32 v35, v51, v35, vcc
	s_and_b64 vcc, s[10:11], vcc
	v_cndmask_b32_e32 v1, 0, v34, vcc
	v_cndmask_b32_e64 v2, 0, v35, s[10:11]
	v_mul_f64 v[34:35], v[26:27], v[26:27]
	s_mov_b32 s10, 0x9037ab78
	s_mov_b32 s11, 0x3e21eeb6
	v_mov_b32_e32 v56, s11
	v_mov_b32_e32 v55, s10
	s_mov_b32 s10, 0xb42fdfa7
	s_mov_b32 s11, 0xbe5ae600
	v_mul_f64 v[36:37], v[34:35], 0.5
	v_fma_f64 v[57:58], v[34:35], s[64:65], v[55:56]
	v_add_f64 v[38:39], -v[36:37], 1.0
	v_fma_f64 v[57:58], v[34:35], v[57:58], s[66:67]
	v_add_f64 v[53:54], -v[38:39], 1.0
	v_fma_f64 v[57:58], v[34:35], v[57:58], s[68:69]
	v_add_f64 v[36:37], v[53:54], -v[36:37]
	v_fma_f64 v[57:58], v[34:35], v[57:58], s[70:71]
	v_mul_f64 v[53:54], v[34:35], v[34:35]
	v_fma_f64 v[36:37], v[26:27], -v[32:33], v[36:37]
	v_fma_f64 v[57:58], v[34:35], v[57:58], s[4:5]
	v_fma_f64 v[36:37], v[53:54], v[57:58], v[36:37]
	v_mul_f64 v[57:58], v[26:27], -v[34:35]
	v_add_f64 v[36:37], v[38:39], v[36:37]
	v_mov_b32_e32 v39, s11
	v_mov_b32_e32 v38, s10
	v_fma_f64 v[53:54], v[34:35], s[74:75], v[38:39]
	v_fma_f64 v[53:54], v[34:35], v[53:54], s[76:77]
	;; [unrolled: 1-line block ×5, first 2 shown]
	v_fma_f64 v[32:33], v[34:35], v[53:54], -v[32:33]
	v_fma_f64 v[32:33], v[57:58], s[20:21], v[32:33]
	v_add_f64 v[26:27], v[26:27], -v[32:33]
	v_and_b32_e32 v32, 1, v24
	v_cmp_eq_u32_e32 vcc, 0, v32
	v_lshlrev_b32_e32 v24, 30, v24
	v_and_b32_e32 v24, 0x80000000, v24
	v_xor_b32_e32 v27, 0x80000000, v27
	v_cndmask_b32_e32 v26, v26, v36, vcc
	v_cndmask_b32_e32 v27, v27, v37, vcc
	v_cmp_class_f64_e64 vcc, v[3:4], s73
	v_xor_b32_e32 v24, v27, v24
	v_cndmask_b32_e32 v3, 0, v26, vcc
	v_cndmask_b32_e32 v4, v52, v24, vcc
	v_mul_f64 v[26:27], v[1:2], v[3:4]
	v_mul_f64 v[3:4], v[28:29], v[28:29]
	v_and_b32_e32 v24, 1, v18
	v_lshlrev_b32_e32 v18, 30, v18
	v_cmp_eq_u32_e64 s[10:11], 0, v24
	v_xor_b32_e32 v18, v18, v25
	v_and_b32_e32 v18, 0x80000000, v18
	v_mul_f64 v[32:33], v[3:4], 0.5
	v_fma_f64 v[53:54], v[3:4], s[64:65], v[55:56]
	v_add_f64 v[34:35], -v[32:33], 1.0
	v_fma_f64 v[53:54], v[3:4], v[53:54], s[66:67]
	v_add_f64 v[36:37], -v[34:35], 1.0
	v_fma_f64 v[53:54], v[3:4], v[53:54], s[68:69]
	v_add_f64 v[32:33], v[36:37], -v[32:33]
	v_fma_f64 v[53:54], v[3:4], v[53:54], s[70:71]
	v_mul_f64 v[36:37], v[3:4], v[3:4]
	v_fma_f64 v[32:33], v[28:29], -v[30:31], v[32:33]
	v_fma_f64 v[53:54], v[3:4], v[53:54], s[4:5]
	v_fma_f64 v[32:33], v[36:37], v[53:54], v[32:33]
	v_mul_f64 v[36:37], v[28:29], -v[3:4]
	v_add_f64 v[32:33], v[34:35], v[32:33]
	v_fma_f64 v[34:35], v[3:4], s[74:75], v[38:39]
	v_mul_f64 v[38:39], v[30:31], 0.5
	v_fma_f64 v[34:35], v[3:4], v[34:35], s[76:77]
	v_fma_f64 v[34:35], v[3:4], v[34:35], s[78:79]
	;; [unrolled: 1-line block ×4, first 2 shown]
	v_fma_f64 v[3:4], v[3:4], v[34:35], -v[30:31]
	v_fma_f64 v[3:4], v[36:37], s[20:21], v[3:4]
	v_add_f64 v[3:4], v[28:29], -v[3:4]
	v_cndmask_b32_e64 v4, v33, v4, s[10:11]
	v_cndmask_b32_e64 v3, v32, v3, s[10:11]
	v_xor_b32_e32 v4, v4, v18
	v_cndmask_b32_e32 v3, 0, v3, vcc
	v_cndmask_b32_e32 v4, v52, v4, vcc
	v_mul_f64 v[24:25], v[1:2], v[3:4]
                                        ; implicit-def: $vgpr3_vgpr4
.LBB253_181:                            ;   in Loop: Header=BB253_4 Depth=1
	s_andn2_saveexec_b64 s[88:89], s[12:13]
	s_cbranch_execz .LBB253_191
; %bb.182:                              ;   in Loop: Header=BB253_4 Depth=1
	s_mov_b32 s10, 0
	s_mov_b32 s11, 0x41d00000
	v_cmp_nlt_f64_e64 s[10:11], |v[3:4]|, s[10:11]
                                        ; implicit-def: $vgpr38
                                        ; implicit-def: $vgpr26_vgpr27
                                        ; implicit-def: $vgpr36_vgpr37
	s_and_saveexec_b64 s[12:13], s[10:11]
	s_xor_b64 s[12:13], exec, s[12:13]
	s_cbranch_execz .LBB253_184
; %bb.183:                              ;   in Loop: Header=BB253_4 Depth=1
	v_trig_preop_f64 v[26:27], |v[3:4]|, 0
	s_mov_b32 vcc_lo, 0
	s_movk_i32 s20, 0xff80
	s_mov_b32 vcc_hi, 0x7b000000
	v_ldexp_f64 v[28:29], |v[3:4]|, s20
	v_cmp_ge_f64_e64 vcc, |v[3:4]|, vcc
	v_trig_preop_f64 v[30:31], |v[3:4]|, 1
	v_and_b32_e32 v18, 0x7fffffff, v4
	v_trig_preop_f64 v[38:39], |v[3:4]|, 2
	s_mov_b32 s90, s28
	s_mov_b32 s95, s93
	v_cndmask_b32_e32 v29, v18, v29, vcc
	v_cndmask_b32_e32 v28, v3, v28, vcc
	s_mov_b32 vcc_lo, 0
	v_mul_f64 v[32:33], v[26:27], v[28:29]
	s_mov_b32 vcc_hi, 0x7ff00000
	v_mul_f64 v[34:35], v[30:31], v[28:29]
	v_mul_f64 v[57:58], v[38:39], v[28:29]
	v_fma_f64 v[26:27], v[26:27], v[28:29], -v[32:33]
	v_fma_f64 v[30:31], v[30:31], v[28:29], -v[34:35]
	;; [unrolled: 1-line block ×3, first 2 shown]
	v_add_f64 v[36:37], v[34:35], v[26:27]
	v_add_f64 v[53:54], v[36:37], -v[34:35]
	v_add_f64 v[59:60], v[32:33], v[36:37]
	v_add_f64 v[55:56], v[36:37], -v[53:54]
	v_add_f64 v[26:27], v[26:27], -v[53:54]
	v_add_f64 v[53:54], v[57:58], v[30:31]
	v_add_f64 v[32:33], v[59:60], -v[32:33]
	v_add_f64 v[34:35], v[34:35], -v[55:56]
	v_ldexp_f64 v[55:56], v[59:60], -2
	v_add_f64 v[61:62], v[53:54], -v[57:58]
	v_add_f64 v[32:33], v[36:37], -v[32:33]
	v_add_f64 v[26:27], v[26:27], v[34:35]
	v_fract_f64_e32 v[34:35], v[55:56]
	v_cmp_neq_f64_e64 vcc, |v[55:56]|, vcc
	v_add_f64 v[30:31], v[30:31], -v[61:62]
	v_add_f64 v[36:37], v[53:54], v[26:27]
	v_ldexp_f64 v[34:35], v[34:35], 2
	v_add_f64 v[55:56], v[32:33], v[36:37]
	v_cndmask_b32_e32 v35, 0, v35, vcc
	v_cndmask_b32_e32 v34, 0, v34, vcc
	v_add_f64 v[63:64], v[36:37], -v[53:54]
	v_add_f64 v[59:60], v[55:56], v[34:35]
	v_add_f64 v[32:33], v[55:56], -v[32:33]
	v_add_f64 v[65:66], v[36:37], -v[63:64]
	;; [unrolled: 1-line block ×3, first 2 shown]
	v_cmp_gt_f64_e32 vcc, 0, v[59:60]
	v_add_f64 v[59:60], v[53:54], -v[61:62]
	v_add_f64 v[32:33], v[36:37], -v[32:33]
	;; [unrolled: 1-line block ×3, first 2 shown]
	v_cndmask_b32_e32 v18, 0, v49, vcc
	v_add_f64 v[34:35], v[34:35], v[17:18]
	v_add_f64 v[59:60], v[57:58], -v[59:60]
	v_add_f64 v[26:27], v[26:27], v[53:54]
	v_add_f64 v[67:68], v[55:56], v[34:35]
	;; [unrolled: 1-line block ×3, first 2 shown]
	v_cvt_i32_f64_e32 v24, v[67:68]
	v_add_f64 v[26:27], v[30:31], v[26:27]
	v_cvt_f64_i32_e32 v[61:62], v24
	v_add_f64 v[34:35], v[34:35], -v[61:62]
	v_add_f64 v[26:27], v[28:29], v[26:27]
	v_add_f64 v[30:31], v[55:56], v[34:35]
	;; [unrolled: 1-line block ×3, first 2 shown]
	v_add_f64 v[28:29], v[30:31], -v[34:35]
	v_cmp_le_f64_e32 vcc, 0.5, v[30:31]
	v_add_f64 v[28:29], v[55:56], -v[28:29]
	v_cndmask_b32_e32 v18, 0, v50, vcc
	v_addc_co_u32_e32 v38, vcc, 0, v24, vcc
	v_add_f64 v[26:27], v[26:27], v[28:29]
	v_add_f64 v[28:29], v[30:31], -v[17:18]
	v_add_f64 v[30:31], v[28:29], v[26:27]
	v_mul_f64 v[32:33], v[30:31], s[90:91]
	v_add_f64 v[28:29], v[30:31], -v[28:29]
	v_fma_f64 v[34:35], v[30:31], s[90:91], -v[32:33]
	v_add_f64 v[26:27], v[26:27], -v[28:29]
	v_fma_f64 v[28:29], v[30:31], s[94:95], v[34:35]
	v_fma_f64 v[28:29], v[26:27], s[90:91], v[28:29]
	v_add_f64 v[26:27], v[32:33], v[28:29]
	v_add_f64 v[30:31], v[26:27], -v[32:33]
	v_add_f64 v[36:37], v[28:29], -v[30:31]
	s_andn2_saveexec_b64 s[12:13], s[12:13]
	s_cbranch_execz .LBB253_186
	s_branch .LBB253_185
.LBB253_184:                            ;   in Loop: Header=BB253_4 Depth=1
	s_andn2_saveexec_b64 s[12:13], s[12:13]
	s_cbranch_execz .LBB253_186
.LBB253_185:                            ;   in Loop: Header=BB253_4 Depth=1
	s_mov_b32 vcc_lo, 0x6dc9c883
	s_mov_b32 vcc_hi, 0x3fe45f30
	v_mul_f64 v[26:27], |v[3:4]|, vcc
	s_mov_b32 s92, s34
	s_mov_b32 vcc_lo, 0x252049c0
	s_mov_b32 vcc_hi, 0xb97b839a
	v_rndne_f64_e32 v[28:29], v[26:27]
	v_fma_f64 v[26:27], v[28:29], s[28:29], |v[3:4]|
	v_mul_f64 v[30:31], v[28:29], s[34:35]
	v_cvt_i32_f64_e32 v38, v[28:29]
	v_fma_f64 v[36:37], v[28:29], s[34:35], v[26:27]
	v_add_f64 v[32:33], v[26:27], v[30:31]
	v_add_f64 v[34:35], v[26:27], -v[32:33]
	v_add_f64 v[32:33], v[32:33], -v[36:37]
	v_add_f64 v[26:27], v[34:35], v[30:31]
	v_fma_f64 v[30:31], v[28:29], s[92:93], v[30:31]
	v_add_f64 v[26:27], v[32:33], v[26:27]
	v_add_f64 v[26:27], v[26:27], -v[30:31]
	v_fma_f64 v[30:31], v[28:29], vcc, v[26:27]
	v_add_f64 v[26:27], v[36:37], v[30:31]
	v_add_f64 v[32:33], v[26:27], -v[36:37]
	v_add_f64 v[36:37], v[30:31], -v[32:33]
.LBB253_186:                            ;   in Loop: Header=BB253_4 Depth=1
	s_or_b64 exec, exec, s[12:13]
                                        ; implicit-def: $vgpr24
                                        ; implicit-def: $vgpr28_vgpr29
                                        ; implicit-def: $vgpr30_vgpr31
	s_and_saveexec_b64 s[12:13], s[10:11]
	s_xor_b64 s[10:11], exec, s[12:13]
	s_cbranch_execz .LBB253_188
; %bb.187:                              ;   in Loop: Header=BB253_4 Depth=1
	v_trig_preop_f64 v[28:29], |v[3:4]|, 0
	s_movk_i32 s12, 0xff80
	v_ldexp_f64 v[30:31], |v[3:4]|, s12
	s_mov_b32 s12, 0
	s_mov_b32 s13, 0x7b000000
	v_cmp_ge_f64_e64 vcc, |v[3:4]|, s[12:13]
	v_trig_preop_f64 v[32:33], |v[3:4]|, 1
	v_and_b32_e32 v18, 0x7fffffff, v4
	v_trig_preop_f64 v[57:58], |v[3:4]|, 2
	s_mov_b32 s12, 0
	s_mov_b32 s13, 0x7ff00000
	;; [unrolled: 1-line block ×4, first 2 shown]
	v_cndmask_b32_e32 v31, v18, v31, vcc
	v_cndmask_b32_e32 v30, v3, v30, vcc
	v_mul_f64 v[34:35], v[28:29], v[30:31]
	v_mul_f64 v[53:54], v[32:33], v[30:31]
	;; [unrolled: 1-line block ×3, first 2 shown]
	v_fma_f64 v[28:29], v[28:29], v[30:31], -v[34:35]
	v_fma_f64 v[32:33], v[32:33], v[30:31], -v[53:54]
	v_fma_f64 v[30:31], v[57:58], v[30:31], -v[63:64]
	v_add_f64 v[55:56], v[53:54], v[28:29]
	v_add_f64 v[59:60], v[55:56], -v[53:54]
	v_add_f64 v[65:66], v[34:35], v[55:56]
	v_add_f64 v[61:62], v[55:56], -v[59:60]
	v_add_f64 v[28:29], v[28:29], -v[59:60]
	v_add_f64 v[59:60], v[63:64], v[32:33]
	v_add_f64 v[34:35], v[65:66], -v[34:35]
	v_add_f64 v[53:54], v[53:54], -v[61:62]
	v_ldexp_f64 v[61:62], v[65:66], -2
	v_add_f64 v[67:68], v[59:60], -v[63:64]
	v_add_f64 v[34:35], v[55:56], -v[34:35]
	v_add_f64 v[28:29], v[28:29], v[53:54]
	v_fract_f64_e32 v[53:54], v[61:62]
	v_cmp_neq_f64_e64 vcc, |v[61:62]|, s[12:13]
	v_add_f64 v[32:33], v[32:33], -v[67:68]
	v_add_f64 v[55:56], v[59:60], v[28:29]
	v_ldexp_f64 v[53:54], v[53:54], 2
	v_add_f64 v[61:62], v[34:35], v[55:56]
	v_cndmask_b32_e32 v54, 0, v54, vcc
	v_cndmask_b32_e32 v53, 0, v53, vcc
	v_add_f64 v[69:70], v[55:56], -v[59:60]
	v_add_f64 v[65:66], v[61:62], v[53:54]
	v_add_f64 v[34:35], v[61:62], -v[34:35]
	v_add_f64 v[71:72], v[55:56], -v[69:70]
	;; [unrolled: 1-line block ×3, first 2 shown]
	v_cmp_gt_f64_e32 vcc, 0, v[65:66]
	v_add_f64 v[65:66], v[59:60], -v[67:68]
	v_add_f64 v[34:35], v[55:56], -v[34:35]
	v_add_f64 v[59:60], v[59:60], -v[71:72]
	v_cndmask_b32_e32 v18, 0, v49, vcc
	v_add_f64 v[53:54], v[53:54], v[17:18]
	v_add_f64 v[65:66], v[63:64], -v[65:66]
	v_add_f64 v[28:29], v[28:29], v[59:60]
	v_add_f64 v[73:74], v[61:62], v[53:54]
	;; [unrolled: 1-line block ×3, first 2 shown]
	v_cvt_i32_f64_e32 v24, v[73:74]
	v_add_f64 v[28:29], v[32:33], v[28:29]
	v_cvt_f64_i32_e32 v[67:68], v24
	v_add_f64 v[53:54], v[53:54], -v[67:68]
	v_add_f64 v[28:29], v[30:31], v[28:29]
	v_add_f64 v[32:33], v[61:62], v[53:54]
	;; [unrolled: 1-line block ×3, first 2 shown]
	v_add_f64 v[30:31], v[32:33], -v[53:54]
	v_cmp_le_f64_e32 vcc, 0.5, v[32:33]
	v_add_f64 v[30:31], v[61:62], -v[30:31]
	v_cndmask_b32_e32 v18, 0, v50, vcc
	v_addc_co_u32_e32 v24, vcc, 0, v24, vcc
	v_add_f64 v[28:29], v[28:29], v[30:31]
	v_add_f64 v[30:31], v[32:33], -v[17:18]
	v_add_f64 v[32:33], v[30:31], v[28:29]
	v_mul_f64 v[34:35], v[32:33], s[90:91]
	v_add_f64 v[30:31], v[32:33], -v[30:31]
	v_fma_f64 v[53:54], v[32:33], s[90:91], -v[34:35]
	v_add_f64 v[28:29], v[28:29], -v[30:31]
	v_fma_f64 v[30:31], v[32:33], s[94:95], v[53:54]
	v_fma_f64 v[30:31], v[28:29], s[90:91], v[30:31]
	v_add_f64 v[28:29], v[34:35], v[30:31]
	v_add_f64 v[32:33], v[28:29], -v[34:35]
	v_add_f64 v[30:31], v[30:31], -v[32:33]
	s_andn2_saveexec_b64 s[10:11], s[10:11]
	s_cbranch_execnz .LBB253_189
	s_branch .LBB253_190
.LBB253_188:                            ;   in Loop: Header=BB253_4 Depth=1
	s_andn2_saveexec_b64 s[10:11], s[10:11]
	s_cbranch_execz .LBB253_190
.LBB253_189:                            ;   in Loop: Header=BB253_4 Depth=1
	s_mov_b32 s12, 0x6dc9c883
	s_mov_b32 s13, 0x3fe45f30
	v_mul_f64 v[28:29], |v[3:4]|, s[12:13]
	s_mov_b32 s92, s34
	s_mov_b32 s12, 0x252049c0
	;; [unrolled: 1-line block ×3, first 2 shown]
	v_rndne_f64_e32 v[32:33], v[28:29]
	v_fma_f64 v[28:29], v[32:33], s[28:29], |v[3:4]|
	v_mul_f64 v[30:31], v[32:33], s[34:35]
	v_cvt_i32_f64_e32 v24, v[32:33]
	v_fma_f64 v[55:56], v[32:33], s[34:35], v[28:29]
	v_add_f64 v[34:35], v[28:29], v[30:31]
	v_add_f64 v[53:54], v[28:29], -v[34:35]
	v_add_f64 v[34:35], v[34:35], -v[55:56]
	v_add_f64 v[28:29], v[53:54], v[30:31]
	v_fma_f64 v[30:31], v[32:33], s[92:93], v[30:31]
	v_add_f64 v[28:29], v[34:35], v[28:29]
	v_add_f64 v[28:29], v[28:29], -v[30:31]
	v_fma_f64 v[30:31], v[32:33], s[12:13], v[28:29]
	v_add_f64 v[28:29], v[55:56], v[30:31]
	v_add_f64 v[34:35], v[28:29], -v[55:56]
	v_add_f64 v[30:31], v[30:31], -v[34:35]
.LBB253_190:                            ;   in Loop: Header=BB253_4 Depth=1
	s_or_b64 exec, exec, s[10:11]
	v_cmp_class_f64_e64 vcc, v[3:4], s73
	v_and_b32_e32 v3, 1, v38
	v_cmp_eq_u32_e64 s[10:11], 0, v3
	v_mul_f64 v[3:4], v[26:27], v[26:27]
	s_mov_b32 s12, 0x9037ab78
	s_mov_b32 s13, 0x3e21eeb6
	v_mov_b32_e32 v35, s13
	v_mov_b32_e32 v34, s12
	s_mov_b32 s12, 0xb42fdfa7
	s_mov_b32 s13, 0xbe5ae600
	;; [unrolled: 1-line block ×3, first 2 shown]
	v_mul_f64 v[32:33], v[3:4], 0.5
	v_fma_f64 v[57:58], v[3:4], s[64:65], v[34:35]
	v_mul_f64 v[55:56], v[3:4], v[3:4]
	v_lshlrev_b32_e32 v18, 30, v38
	v_and_b32_e32 v18, 0x80000000, v18
	s_mov_b32 s55, s15
	s_mov_b32 s57, s5
	v_add_f64 v[53:54], -v[32:33], 1.0
	v_fma_f64 v[57:58], v[3:4], v[57:58], s[66:67]
	v_add_f64 v[59:60], -v[53:54], 1.0
	v_fma_f64 v[57:58], v[3:4], v[57:58], s[68:69]
	v_add_f64 v[32:33], v[59:60], -v[32:33]
	v_fma_f64 v[57:58], v[3:4], v[57:58], s[70:71]
	v_mul_f64 v[59:60], v[36:37], 0.5
	v_fma_f64 v[32:33], v[26:27], -v[36:37], v[32:33]
	v_fma_f64 v[57:58], v[3:4], v[57:58], s[4:5]
	v_fma_f64 v[32:33], v[55:56], v[57:58], v[32:33]
	v_mul_f64 v[55:56], v[26:27], -v[3:4]
	v_add_f64 v[53:54], v[53:54], v[32:33]
	v_mov_b32_e32 v33, s13
	v_mov_b32_e32 v32, s12
	v_fma_f64 v[57:58], v[3:4], s[74:75], v[32:33]
	s_mov_b32 s12, 0
	s_mov_b32 s13, 0xc090cc00
	v_fma_f64 v[57:58], v[3:4], v[57:58], s[76:77]
	v_fma_f64 v[57:58], v[3:4], v[57:58], s[78:79]
	;; [unrolled: 1-line block ×4, first 2 shown]
	v_fma_f64 v[3:4], v[3:4], v[57:58], -v[36:37]
	v_fma_f64 v[3:4], v[55:56], s[20:21], v[3:4]
	v_add_f64 v[3:4], v[26:27], -v[3:4]
	v_xor_b32_e32 v4, 0x80000000, v4
	v_cndmask_b32_e64 v3, v3, v53, s[10:11]
	v_cndmask_b32_e64 v4, v4, v54, s[10:11]
	s_mov_b32 s10, 0x19ba0da4
	s_mov_b32 s11, 0xc0937be3
	v_add_f64 v[1:2], -v[1:2], s[10:11]
	v_xor_b32_e32 v4, v4, v18
	v_cndmask_b32_e32 v26, 0, v3, vcc
	v_cndmask_b32_e32 v27, v52, v4, vcc
	s_mov_b32 s10, 0
	s_mov_b32 s11, 0x40900000
	v_mul_f64 v[3:4], v[1:2], s[80:81]
	v_cmp_nlt_f64_e64 s[10:11], s[10:11], v[1:2]
	v_cmp_ngt_f64_e64 s[12:13], s[12:13], v[1:2]
	v_rndne_f64_e32 v[3:4], v[3:4]
	v_fma_f64 v[36:37], v[3:4], s[40:41], v[1:2]
	v_fma_f64 v[36:37], v[3:4], s[42:43], v[36:37]
	v_cvt_i32_f64_e32 v3, v[3:4]
	v_fma_f64 v[38:39], v[36:37], s[44:45], v[22:23]
	v_fma_f64 v[38:39], v[36:37], v[38:39], s[46:47]
	;; [unrolled: 1-line block ×9, first 2 shown]
	v_fma_f64 v[38:39], v[36:37], v[38:39], 1.0
	v_fma_f64 v[36:37], v[36:37], v[38:39], 1.0
	v_ldexp_f64 v[3:4], v[36:37], v3
	v_cndmask_b32_e64 v4, v51, v4, s[10:11]
	v_cndmask_b32_e64 v18, 0, v4, s[12:13]
	s_and_b64 s[10:11], s[12:13], s[10:11]
	v_and_b32_e32 v1, 0xfffff, v18
	v_cndmask_b32_e64 v3, 0, v3, s[10:11]
	v_or_b32_e32 v4, 0x7fe00000, v1
	v_mul_f64 v[1:2], v[3:4], v[26:27]
	v_lshrrev_b32_e32 v18, 20, v18
	v_add_u32_e32 v36, 0xffffff09, v18
	v_lshrrev_b16_e32 v18, 15, v36
	v_add_u16_e32 v18, v36, v18
	v_ashrrev_i16_e32 v18, 1, v18
	v_bfe_i32 v37, v18, 0, 16
	v_lshl_add_u32 v18, v37, 20, v50
	v_mul_f64 v[26:27], v[1:2], v[17:18]
	v_sub_u32_e32 v1, v36, v37
	v_mul_f64 v[36:37], v[28:29], v[28:29]
	v_lshl_add_u32 v2, v1, 20, v50
	v_mov_b32_e32 v1, v17
	v_mul_f64 v[26:27], v[26:27], v[1:2]
	v_mul_f64 v[38:39], v[36:37], 0.5
	v_fma_f64 v[34:35], v[36:37], s[64:65], v[34:35]
	v_fma_f64 v[32:33], v[36:37], s[74:75], v[32:33]
	v_add_f64 v[53:54], -v[38:39], 1.0
	v_fma_f64 v[34:35], v[36:37], v[34:35], s[66:67]
	v_fma_f64 v[32:33], v[36:37], v[32:33], s[76:77]
	v_add_f64 v[55:56], -v[53:54], 1.0
	v_fma_f64 v[34:35], v[36:37], v[34:35], s[68:69]
	v_fma_f64 v[32:33], v[36:37], v[32:33], s[78:79]
	v_add_f64 v[38:39], v[55:56], -v[38:39]
	v_fma_f64 v[34:35], v[36:37], v[34:35], s[70:71]
	v_mul_f64 v[55:56], v[36:37], v[36:37]
	v_fma_f64 v[32:33], v[36:37], v[32:33], s[14:15]
	v_fma_f64 v[38:39], v[28:29], -v[30:31], v[38:39]
	v_fma_f64 v[34:35], v[36:37], v[34:35], s[4:5]
	v_fma_f64 v[34:35], v[55:56], v[34:35], v[38:39]
	v_mul_f64 v[38:39], v[28:29], -v[36:37]
	v_add_f64 v[34:35], v[53:54], v[34:35]
	v_mul_f64 v[53:54], v[30:31], 0.5
	v_fma_f64 v[32:33], v[38:39], v[32:33], v[53:54]
	v_fma_f64 v[30:31], v[36:37], v[32:33], -v[30:31]
	v_fma_f64 v[30:31], v[38:39], s[20:21], v[30:31]
	v_add_f64 v[28:29], v[28:29], -v[30:31]
	v_and_b32_e32 v30, 1, v24
	v_lshlrev_b32_e32 v24, 30, v24
	v_cmp_eq_u32_e64 s[10:11], 0, v30
	v_xor_b32_e32 v24, v24, v25
	v_and_b32_e32 v24, 0x80000000, v24
	v_cndmask_b32_e64 v29, v35, v29, s[10:11]
	v_cndmask_b32_e64 v28, v34, v28, s[10:11]
	v_xor_b32_e32 v25, v29, v24
	v_cndmask_b32_e32 v24, 0, v28, vcc
	v_cndmask_b32_e32 v25, v52, v25, vcc
	v_mul_f64 v[3:4], v[3:4], v[24:25]
	v_mul_f64 v[3:4], v[3:4], v[17:18]
	v_mul_f64 v[24:25], v[3:4], v[1:2]
.LBB253_191:                            ;   in Loop: Header=BB253_4 Depth=1
	s_or_b64 exec, exec, s[88:89]
                                        ; implicit-def: $vgpr28_vgpr29
                                        ; implicit-def: $vgpr1_vgpr2
                                        ; implicit-def: $vgpr18
.LBB253_192:                            ;   in Loop: Header=BB253_4 Depth=1
	s_andn2_saveexec_b64 s[12:13], s[86:87]
	s_cbranch_execz .LBB253_198
; %bb.193:                              ;   in Loop: Header=BB253_4 Depth=1
	v_add_f64 v[24:25], v[3:4], -v[3:4]
	s_mov_b32 s10, 0x7ff00000
	v_cmp_ne_u32_e32 vcc, 0, v1
	v_cmp_ne_u32_e64 s[10:11], s10, v18
	s_or_b64 s[10:11], vcc, s[10:11]
	s_and_saveexec_b64 s[86:87], s[10:11]
	s_xor_b64 s[10:11], exec, s[86:87]
; %bb.194:                              ;   in Loop: Header=BB253_4 Depth=1
                                        ; implicit-def: $vgpr28_vgpr29
                                        ; implicit-def: $vgpr1_vgpr2
; %bb.195:                              ;   in Loop: Header=BB253_4 Depth=1
	s_or_saveexec_b64 s[10:11], s[10:11]
	v_mov_b32_e32 v27, v25
	v_mov_b32_e32 v26, v24
	s_xor_b64 exec, exec, s[10:11]
; %bb.196:                              ;   in Loop: Header=BB253_4 Depth=1
	v_cmp_lt_i64_e32 vcc, -1, v[28:29]
	v_cndmask_b32_e32 v27, 0, v29, vcc
	v_cndmask_b32_e32 v26, 0, v1, vcc
	;; [unrolled: 1-line block ×4, first 2 shown]
; %bb.197:                              ;   in Loop: Header=BB253_4 Depth=1
	s_or_b64 exec, exec, s[10:11]
.LBB253_198:                            ;   in Loop: Header=BB253_4 Depth=1
	s_or_b64 exec, exec, s[12:13]
                                        ; implicit-def: $vgpr3_vgpr4
.LBB253_199:                            ;   in Loop: Header=BB253_4 Depth=1
	s_andn2_saveexec_b64 s[84:85], s[84:85]
	s_cbranch_execz .LBB253_209
; %bb.200:                              ;   in Loop: Header=BB253_4 Depth=1
	v_trig_preop_f64 v[32:33], |v[3:4]|, 0
	v_trig_preop_f64 v[30:31], |v[3:4]|, 1
	v_trig_preop_f64 v[28:29], |v[3:4]|, 2
	s_mov_b32 s10, 0
	s_mov_b32 s11, 0x41d00000
	s_movk_i32 s12, 0xff80
	v_cmp_nlt_f64_e64 s[10:11], |v[3:4]|, s[10:11]
	v_ldexp_f64 v[36:37], |v[3:4]|, s12
	v_and_b32_e32 v53, 0x7fffffff, v4
                                        ; implicit-def: $vgpr24
                                        ; implicit-def: $vgpr1_vgpr2
                                        ; implicit-def: $vgpr26_vgpr27
	s_and_saveexec_b64 s[12:13], s[10:11]
	s_xor_b64 s[12:13], exec, s[12:13]
	s_cbranch_execz .LBB253_202
; %bb.201:                              ;   in Loop: Header=BB253_4 Depth=1
	s_mov_b32 s86, 0
	s_mov_b32 s87, 0x7b000000
	v_cmp_ge_f64_e64 vcc, |v[3:4]|, s[86:87]
	s_mov_b32 s86, 0
	s_mov_b32 s87, 0x7ff00000
	s_mov_b32 s90, s28
	s_mov_b32 s95, s93
	v_cndmask_b32_e32 v2, v53, v37, vcc
	v_cndmask_b32_e32 v1, v3, v36, vcc
	v_mul_f64 v[26:27], v[32:33], v[1:2]
	v_mul_f64 v[34:35], v[30:31], v[1:2]
	;; [unrolled: 1-line block ×3, first 2 shown]
	v_fma_f64 v[38:39], v[32:33], v[1:2], -v[26:27]
	v_fma_f64 v[62:63], v[30:31], v[1:2], -v[34:35]
	;; [unrolled: 1-line block ×3, first 2 shown]
	v_add_f64 v[54:55], v[34:35], v[38:39]
	v_add_f64 v[56:57], v[54:55], -v[34:35]
	v_add_f64 v[64:65], v[26:27], v[54:55]
	v_add_f64 v[58:59], v[54:55], -v[56:57]
	v_add_f64 v[38:39], v[38:39], -v[56:57]
	v_add_f64 v[56:57], v[60:61], v[62:63]
	v_add_f64 v[26:27], v[64:65], -v[26:27]
	v_add_f64 v[34:35], v[34:35], -v[58:59]
	v_ldexp_f64 v[58:59], v[64:65], -2
	v_add_f64 v[66:67], v[56:57], -v[60:61]
	v_add_f64 v[26:27], v[54:55], -v[26:27]
	v_add_f64 v[34:35], v[38:39], v[34:35]
	v_fract_f64_e32 v[38:39], v[58:59]
	v_cmp_neq_f64_e64 vcc, |v[58:59]|, s[86:87]
	v_add_f64 v[62:63], v[62:63], -v[66:67]
	v_add_f64 v[54:55], v[56:57], v[34:35]
	v_ldexp_f64 v[38:39], v[38:39], 2
	v_add_f64 v[58:59], v[26:27], v[54:55]
	v_cndmask_b32_e32 v39, 0, v39, vcc
	v_cndmask_b32_e32 v38, 0, v38, vcc
	v_add_f64 v[68:69], v[54:55], -v[56:57]
	v_add_f64 v[64:65], v[58:59], v[38:39]
	v_add_f64 v[26:27], v[58:59], -v[26:27]
	v_add_f64 v[70:71], v[54:55], -v[68:69]
	v_add_f64 v[34:35], v[34:35], -v[68:69]
	v_cmp_gt_f64_e32 vcc, 0, v[64:65]
	v_add_f64 v[64:65], v[56:57], -v[66:67]
	v_add_f64 v[26:27], v[54:55], -v[26:27]
	;; [unrolled: 1-line block ×3, first 2 shown]
	v_cndmask_b32_e32 v18, 0, v49, vcc
	v_add_f64 v[38:39], v[38:39], v[17:18]
	v_add_f64 v[64:65], v[60:61], -v[64:65]
	v_add_f64 v[34:35], v[34:35], v[56:57]
	v_add_f64 v[72:73], v[58:59], v[38:39]
	;; [unrolled: 1-line block ×3, first 2 shown]
	v_cvt_i32_f64_e32 v24, v[72:73]
	v_add_f64 v[34:35], v[62:63], v[34:35]
	v_cvt_f64_i32_e32 v[66:67], v24
	v_add_f64 v[38:39], v[38:39], -v[66:67]
	v_add_f64 v[1:2], v[1:2], v[34:35]
	v_add_f64 v[56:57], v[58:59], v[38:39]
	;; [unrolled: 1-line block ×3, first 2 shown]
	v_add_f64 v[34:35], v[56:57], -v[38:39]
	v_cmp_le_f64_e32 vcc, 0.5, v[56:57]
	v_add_f64 v[26:27], v[58:59], -v[34:35]
	v_cndmask_b32_e32 v18, 0, v50, vcc
	v_addc_co_u32_e32 v24, vcc, 0, v24, vcc
	v_add_f64 v[1:2], v[1:2], v[26:27]
	v_add_f64 v[26:27], v[56:57], -v[17:18]
	v_add_f64 v[34:35], v[26:27], v[1:2]
	v_mul_f64 v[38:39], v[34:35], s[90:91]
	v_add_f64 v[26:27], v[34:35], -v[26:27]
	v_fma_f64 v[54:55], v[34:35], s[90:91], -v[38:39]
	v_add_f64 v[1:2], v[1:2], -v[26:27]
	v_fma_f64 v[26:27], v[34:35], s[94:95], v[54:55]
	v_fma_f64 v[26:27], v[1:2], s[90:91], v[26:27]
	v_add_f64 v[1:2], v[38:39], v[26:27]
	v_add_f64 v[34:35], v[1:2], -v[38:39]
	v_add_f64 v[26:27], v[26:27], -v[34:35]
	s_andn2_saveexec_b64 s[12:13], s[12:13]
	s_cbranch_execz .LBB253_204
	s_branch .LBB253_203
.LBB253_202:                            ;   in Loop: Header=BB253_4 Depth=1
	s_andn2_saveexec_b64 s[12:13], s[12:13]
	s_cbranch_execz .LBB253_204
.LBB253_203:                            ;   in Loop: Header=BB253_4 Depth=1
	s_mov_b32 s86, 0x6dc9c883
	s_mov_b32 s87, 0x3fe45f30
	v_mul_f64 v[1:2], |v[3:4]|, s[86:87]
	s_mov_b32 s92, s34
	s_mov_b32 s86, 0x252049c0
	;; [unrolled: 1-line block ×3, first 2 shown]
	v_rndne_f64_e32 v[34:35], v[1:2]
	v_fma_f64 v[1:2], v[34:35], s[28:29], |v[3:4]|
	v_mul_f64 v[26:27], v[34:35], s[34:35]
	v_cvt_i32_f64_e32 v24, v[34:35]
	v_fma_f64 v[56:57], v[34:35], s[34:35], v[1:2]
	v_add_f64 v[38:39], v[1:2], v[26:27]
	v_add_f64 v[54:55], v[1:2], -v[38:39]
	v_add_f64 v[38:39], v[38:39], -v[56:57]
	v_add_f64 v[1:2], v[54:55], v[26:27]
	v_fma_f64 v[26:27], v[34:35], s[92:93], v[26:27]
	v_add_f64 v[1:2], v[38:39], v[1:2]
	v_add_f64 v[1:2], v[1:2], -v[26:27]
	v_fma_f64 v[26:27], v[34:35], s[86:87], v[1:2]
	v_add_f64 v[1:2], v[56:57], v[26:27]
	v_add_f64 v[38:39], v[1:2], -v[56:57]
	v_add_f64 v[26:27], v[26:27], -v[38:39]
.LBB253_204:                            ;   in Loop: Header=BB253_4 Depth=1
	s_or_b64 exec, exec, s[12:13]
                                        ; implicit-def: $vgpr18
                                        ; implicit-def: $vgpr34_vgpr35
                                        ; implicit-def: $vgpr38_vgpr39
	s_and_saveexec_b64 s[12:13], s[10:11]
	s_xor_b64 s[10:11], exec, s[12:13]
	s_cbranch_execz .LBB253_206
; %bb.205:                              ;   in Loop: Header=BB253_4 Depth=1
	s_mov_b32 s12, 0
	s_mov_b32 s13, 0x7b000000
	v_cmp_ge_f64_e64 vcc, |v[3:4]|, s[12:13]
	s_mov_b32 s12, 0
	s_mov_b32 s13, 0x7ff00000
	;; [unrolled: 1-line block ×4, first 2 shown]
	v_cndmask_b32_e32 v35, v53, v37, vcc
	v_cndmask_b32_e32 v34, v3, v36, vcc
	v_mul_f64 v[36:37], v[32:33], v[34:35]
	v_mul_f64 v[38:39], v[30:31], v[34:35]
	;; [unrolled: 1-line block ×3, first 2 shown]
	v_fma_f64 v[32:33], v[32:33], v[34:35], -v[36:37]
	v_fma_f64 v[30:31], v[30:31], v[34:35], -v[38:39]
	;; [unrolled: 1-line block ×3, first 2 shown]
	v_add_f64 v[53:54], v[38:39], v[32:33]
	v_add_f64 v[55:56], v[53:54], -v[38:39]
	v_add_f64 v[61:62], v[36:37], v[53:54]
	v_add_f64 v[57:58], v[53:54], -v[55:56]
	v_add_f64 v[32:33], v[32:33], -v[55:56]
	v_add_f64 v[55:56], v[59:60], v[30:31]
	v_add_f64 v[36:37], v[61:62], -v[36:37]
	v_add_f64 v[38:39], v[38:39], -v[57:58]
	v_ldexp_f64 v[57:58], v[61:62], -2
	v_add_f64 v[63:64], v[55:56], -v[59:60]
	v_add_f64 v[36:37], v[53:54], -v[36:37]
	v_add_f64 v[32:33], v[32:33], v[38:39]
	v_fract_f64_e32 v[38:39], v[57:58]
	v_cmp_neq_f64_e64 vcc, |v[57:58]|, s[12:13]
	v_add_f64 v[30:31], v[30:31], -v[63:64]
	v_add_f64 v[53:54], v[55:56], v[32:33]
	v_ldexp_f64 v[38:39], v[38:39], 2
	v_add_f64 v[57:58], v[36:37], v[53:54]
	v_cndmask_b32_e32 v39, 0, v39, vcc
	v_cndmask_b32_e32 v38, 0, v38, vcc
	v_add_f64 v[65:66], v[53:54], -v[55:56]
	v_add_f64 v[61:62], v[57:58], v[38:39]
	v_add_f64 v[34:35], v[57:58], -v[36:37]
	v_add_f64 v[67:68], v[53:54], -v[65:66]
	;; [unrolled: 1-line block ×3, first 2 shown]
	v_cmp_gt_f64_e32 vcc, 0, v[61:62]
	v_add_f64 v[61:62], v[55:56], -v[63:64]
	v_add_f64 v[34:35], v[53:54], -v[34:35]
	;; [unrolled: 1-line block ×3, first 2 shown]
	v_cndmask_b32_e32 v18, 0, v49, vcc
	v_add_f64 v[38:39], v[38:39], v[17:18]
	v_add_f64 v[61:62], v[59:60], -v[61:62]
	v_add_f64 v[32:33], v[32:33], v[55:56]
	v_add_f64 v[69:70], v[57:58], v[38:39]
	v_add_f64 v[30:31], v[30:31], v[61:62]
	v_cvt_i32_f64_e32 v65, v[69:70]
	v_add_f64 v[30:31], v[30:31], v[32:33]
	v_cvt_f64_i32_e32 v[63:64], v65
	v_add_f64 v[38:39], v[38:39], -v[63:64]
	v_add_f64 v[28:29], v[28:29], v[30:31]
	v_add_f64 v[32:33], v[57:58], v[38:39]
	;; [unrolled: 1-line block ×3, first 2 shown]
	v_add_f64 v[30:31], v[32:33], -v[38:39]
	v_cmp_le_f64_e32 vcc, 0.5, v[32:33]
	v_add_f64 v[30:31], v[57:58], -v[30:31]
	v_cndmask_b32_e32 v18, 0, v50, vcc
	v_add_f64 v[28:29], v[28:29], v[30:31]
	v_add_f64 v[30:31], v[32:33], -v[17:18]
	v_addc_co_u32_e32 v18, vcc, 0, v65, vcc
	v_add_f64 v[32:33], v[30:31], v[28:29]
	v_mul_f64 v[36:37], v[32:33], s[90:91]
	v_add_f64 v[30:31], v[32:33], -v[30:31]
	v_fma_f64 v[34:35], v[32:33], s[90:91], -v[36:37]
	v_add_f64 v[28:29], v[28:29], -v[30:31]
	v_fma_f64 v[30:31], v[32:33], s[94:95], v[34:35]
	v_fma_f64 v[28:29], v[28:29], s[90:91], v[30:31]
	v_add_f64 v[34:35], v[36:37], v[28:29]
	v_add_f64 v[30:31], v[34:35], -v[36:37]
	v_add_f64 v[38:39], v[28:29], -v[30:31]
	s_andn2_saveexec_b64 s[10:11], s[10:11]
	s_cbranch_execnz .LBB253_207
	s_branch .LBB253_208
.LBB253_206:                            ;   in Loop: Header=BB253_4 Depth=1
	s_andn2_saveexec_b64 s[10:11], s[10:11]
	s_cbranch_execz .LBB253_208
.LBB253_207:                            ;   in Loop: Header=BB253_4 Depth=1
	s_mov_b32 s12, 0x6dc9c883
	s_mov_b32 s13, 0x3fe45f30
	v_mul_f64 v[28:29], |v[3:4]|, s[12:13]
	s_mov_b32 s92, s34
	s_mov_b32 s12, 0x252049c0
	;; [unrolled: 1-line block ×3, first 2 shown]
	v_rndne_f64_e32 v[28:29], v[28:29]
	v_fma_f64 v[30:31], v[28:29], s[28:29], |v[3:4]|
	v_mul_f64 v[32:33], v[28:29], s[34:35]
	v_cvt_i32_f64_e32 v18, v[28:29]
	v_add_f64 v[34:35], v[30:31], v[32:33]
	v_add_f64 v[36:37], v[30:31], -v[34:35]
	v_fma_f64 v[30:31], v[28:29], s[34:35], v[30:31]
	v_add_f64 v[36:37], v[36:37], v[32:33]
	v_add_f64 v[34:35], v[34:35], -v[30:31]
	v_fma_f64 v[32:33], v[28:29], s[92:93], v[32:33]
	;; [unrolled: 3-line block ×3, first 2 shown]
	v_add_f64 v[34:35], v[30:31], v[32:33]
	v_add_f64 v[30:31], v[34:35], -v[30:31]
	v_add_f64 v[38:39], v[32:33], -v[30:31]
.LBB253_208:                            ;   in Loop: Header=BB253_4 Depth=1
	s_or_b64 exec, exec, s[10:11]
	v_mul_f64 v[28:29], v[1:2], v[1:2]
	v_mul_f64 v[30:31], v[34:35], v[34:35]
	s_mov_b32 s10, 0xb42fdfa7
	s_mov_b32 s11, 0xbe5ae600
	v_mov_b32_e32 v33, s11
	v_mov_b32_e32 v32, s10
	s_mov_b32 s10, 0x9037ab78
	s_mov_b32 s11, 0x3e21eeb6
	v_fma_f64 v[36:37], v[28:29], s[74:75], v[32:33]
	v_fma_f64 v[32:33], v[30:31], s[74:75], v[32:33]
	v_mov_b32_e32 v54, s11
	v_mov_b32_e32 v53, s10
	v_mul_f64 v[57:58], v[28:29], 0.5
	v_fma_f64 v[55:56], v[28:29], s[64:65], v[53:54]
	v_fma_f64 v[53:54], v[30:31], s[64:65], v[53:54]
	v_mul_f64 v[59:60], v[30:31], 0.5
	v_fma_f64 v[36:37], v[28:29], v[36:37], s[76:77]
	v_fma_f64 v[32:33], v[30:31], v[32:33], s[76:77]
	v_mul_f64 v[61:62], v[26:27], 0.5
	v_mul_f64 v[69:70], v[1:2], -v[28:29]
	v_add_f64 v[63:64], -v[57:58], 1.0
	v_fma_f64 v[55:56], v[28:29], v[55:56], s[66:67]
	v_fma_f64 v[53:54], v[30:31], v[53:54], s[66:67]
	v_add_f64 v[67:68], -v[59:60], 1.0
	v_fma_f64 v[36:37], v[28:29], v[36:37], s[78:79]
	v_fma_f64 v[32:33], v[30:31], v[32:33], s[78:79]
	v_mul_f64 v[65:66], v[38:39], 0.5
	v_mul_f64 v[73:74], v[34:35], -v[30:31]
	v_add_f64 v[71:72], -v[63:64], 1.0
	v_fma_f64 v[55:56], v[28:29], v[55:56], s[68:69]
	v_fma_f64 v[53:54], v[30:31], v[53:54], s[68:69]
	v_add_f64 v[75:76], -v[67:68], 1.0
	v_fma_f64 v[36:37], v[28:29], v[36:37], s[14:15]
	v_fma_f64 v[32:33], v[30:31], v[32:33], s[14:15]
	s_mov_b32 s20, s4
	v_cmp_class_f64_e64 s[10:11], v[3:4], s73
	v_add_f64 v[57:58], v[71:72], -v[57:58]
	v_fma_f64 v[55:56], v[28:29], v[55:56], s[70:71]
	v_fma_f64 v[53:54], v[30:31], v[53:54], s[70:71]
	v_add_f64 v[59:60], v[75:76], -v[59:60]
	v_fma_f64 v[36:37], v[69:70], v[36:37], v[61:62]
	v_fma_f64 v[32:33], v[73:74], v[32:33], v[65:66]
	v_mul_f64 v[61:62], v[28:29], v[28:29]
	v_fma_f64 v[57:58], v[1:2], -v[26:27], v[57:58]
	v_fma_f64 v[55:56], v[28:29], v[55:56], s[4:5]
	v_fma_f64 v[26:27], v[28:29], v[36:37], -v[26:27]
	v_mul_f64 v[28:29], v[30:31], v[30:31]
	v_fma_f64 v[36:37], v[30:31], v[53:54], s[4:5]
	v_fma_f64 v[53:54], v[34:35], -v[38:39], v[59:60]
	v_fma_f64 v[30:31], v[30:31], v[32:33], -v[38:39]
	v_fma_f64 v[32:33], v[61:62], v[55:56], v[57:58]
	v_and_b32_e32 v38, 1, v24
	v_lshlrev_b32_e32 v24, 30, v24
	v_fma_f64 v[26:27], v[69:70], s[20:21], v[26:27]
	v_cmp_eq_u32_e32 vcc, 0, v38
	v_and_b32_e32 v24, 0x80000000, v24
	v_fma_f64 v[28:29], v[28:29], v[36:37], v[53:54]
	v_fma_f64 v[30:31], v[73:74], s[20:21], v[30:31]
	v_add_f64 v[32:33], v[63:64], v[32:33]
	v_and_b32_e32 v36, 1, v18
	v_lshlrev_b32_e32 v18, 30, v18
	v_add_f64 v[1:2], v[1:2], -v[26:27]
	v_xor_b32_e32 v18, v18, v25
	v_cmp_eq_u32_e64 s[12:13], 0, v36
	v_add_f64 v[26:27], v[67:68], v[28:29]
	v_add_f64 v[28:29], v[34:35], -v[30:31]
	v_and_b32_e32 v18, 0x80000000, v18
	v_xor_b32_e32 v2, 0x80000000, v2
	v_cndmask_b32_e32 v1, v1, v32, vcc
	v_cndmask_b32_e32 v2, v2, v33, vcc
	v_xor_b32_e32 v2, v2, v24
	v_cndmask_b32_e64 v4, v27, v29, s[12:13]
	v_cndmask_b32_e64 v3, v26, v28, s[12:13]
	;; [unrolled: 1-line block ×3, first 2 shown]
	v_xor_b32_e32 v1, v4, v18
	v_cndmask_b32_e64 v24, 0, v3, s[10:11]
	v_cndmask_b32_e64 v27, v52, v2, s[10:11]
	;; [unrolled: 1-line block ×3, first 2 shown]
.LBB253_209:                            ;   in Loop: Header=BB253_4 Depth=1
	s_or_b64 exec, exec, s[84:85]
                                        ; implicit-def: $vgpr1_vgpr2
.LBB253_210:                            ;   in Loop: Header=BB253_4 Depth=1
	s_andn2_saveexec_b64 s[12:13], s[36:37]
	s_cbranch_execz .LBB253_212
; %bb.211:                              ;   in Loop: Header=BB253_4 Depth=1
	s_mov_b32 s38, s80
	v_mul_f64 v[3:4], v[1:2], s[38:39]
	s_mov_b32 s55, s15
	s_mov_b32 s57, s5
	v_cmp_ngt_f64_e32 vcc, s[22:23], v[1:2]
	v_cmp_nlt_f64_e64 s[10:11], s[30:31], v[1:2]
	v_rndne_f64_e32 v[3:4], v[3:4]
	v_fma_f64 v[26:27], v[3:4], s[40:41], -v[1:2]
	v_fma_f64 v[26:27], v[3:4], s[42:43], v[26:27]
	v_cvt_i32_f64_e32 v3, v[3:4]
	v_fma_f64 v[28:29], v[26:27], s[44:45], v[22:23]
	v_fma_f64 v[28:29], v[26:27], v[28:29], s[46:47]
	;; [unrolled: 1-line block ×9, first 2 shown]
	v_fma_f64 v[28:29], v[26:27], v[28:29], 1.0
	v_fma_f64 v[26:27], v[26:27], v[28:29], 1.0
	v_ldexp_f64 v[3:4], v[26:27], v3
	v_cndmask_b32_e32 v4, v51, v4, vcc
	s_and_b64 vcc, s[10:11], vcc
	v_cndmask_b32_e64 v27, 0, v4, s[10:11]
	v_cndmask_b32_e32 v26, 0, v3, vcc
.LBB253_212:                            ;   in Loop: Header=BB253_4 Depth=1
	s_or_b64 exec, exec, s[12:13]
	v_add_f64 v[26:27], s[16:17], v[26:27]
	v_add_f64 v[24:25], s[18:19], v[24:25]
	v_cmp_gt_f64_e32 vcc, 0, v[26:27]
	v_xor_b32_e32 v1, 0x80000000, v27
	v_xor_b32_e32 v2, 0x80000000, v25
	v_mov_b32_e32 v28, v26
	v_mov_b32_e32 v30, v24
	v_cndmask_b32_e32 v29, v27, v1, vcc
	v_cmp_gt_f64_e32 vcc, 0, v[24:25]
	v_cndmask_b32_e32 v31, v25, v2, vcc
	v_cmp_ge_f64_e32 vcc, v[28:29], v[30:31]
                                        ; implicit-def: $vgpr3_vgpr4
	s_and_saveexec_b64 s[10:11], vcc
	s_xor_b64 s[12:13], exec, s[10:11]
	s_cbranch_execz .LBB253_222
; %bb.213:                              ;   in Loop: Header=BB253_4 Depth=1
	v_cmp_neq_f64_e32 vcc, 0, v[26:27]
	v_cmp_neq_f64_e64 s[10:11], 0, v[24:25]
                                        ; implicit-def: $vgpr3_vgpr4
	s_or_b64 s[10:11], vcc, s[10:11]
	s_and_saveexec_b64 s[36:37], s[10:11]
	s_xor_b64 s[10:11], exec, s[36:37]
	s_cbranch_execz .LBB253_215
; %bb.214:                              ;   in Loop: Header=BB253_4 Depth=1
	v_div_scale_f64 v[1:2], s[36:37], v[26:27], v[26:27], v[24:25]
	v_rcp_f64_e32 v[3:4], v[1:2]
	v_fma_f64 v[28:29], -v[1:2], v[3:4], 1.0
	v_fma_f64 v[3:4], v[3:4], v[28:29], v[3:4]
	v_div_scale_f64 v[28:29], vcc, v[24:25], v[26:27], v[24:25]
	v_fma_f64 v[30:31], -v[1:2], v[3:4], 1.0
	v_fma_f64 v[3:4], v[3:4], v[30:31], v[3:4]
	v_mul_f64 v[30:31], v[28:29], v[3:4]
	v_fma_f64 v[1:2], -v[1:2], v[30:31], v[28:29]
	v_div_fmas_f64 v[1:2], v[1:2], v[3:4], v[30:31]
	v_div_fixup_f64 v[1:2], v[1:2], v[26:27], v[24:25]
	v_fma_f64 v[3:4], v[24:25], v[1:2], v[26:27]
	v_div_scale_f64 v[24:25], s[36:37], v[3:4], v[3:4], 1.0
	v_rcp_f64_e32 v[26:27], v[24:25]
	v_fma_f64 v[28:29], -v[24:25], v[26:27], 1.0
	v_fma_f64 v[26:27], v[26:27], v[28:29], v[26:27]
	v_div_scale_f64 v[28:29], vcc, 1.0, v[3:4], 1.0
	v_fma_f64 v[30:31], -v[24:25], v[26:27], 1.0
	v_fma_f64 v[26:27], v[26:27], v[30:31], v[26:27]
	v_mul_f64 v[30:31], v[28:29], v[26:27]
	v_fma_f64 v[24:25], -v[24:25], v[30:31], v[28:29]
	v_mov_b32_e32 v29, s19
	v_mov_b32_e32 v28, s18
	v_div_fmas_f64 v[24:25], v[24:25], v[26:27], v[30:31]
	v_mov_b32_e32 v27, s17
	v_mov_b32_e32 v26, s16
	v_fma_f64 v[26:27], s[18:19], v[1:2], v[26:27]
                                        ; implicit-def: $vgpr30_vgpr31
	v_div_fixup_f64 v[3:4], v[24:25], v[3:4], 1.0
	v_fma_f64 v[24:25], -s[16:17], v[1:2], v[28:29]
                                        ; implicit-def: $vgpr28_vgpr29
	v_mul_f64 v[1:2], v[26:27], v[3:4]
	v_mul_f64 v[3:4], v[24:25], v[3:4]
.LBB253_215:                            ;   in Loop: Header=BB253_4 Depth=1
	s_andn2_saveexec_b64 s[36:37], s[10:11]
	s_cbranch_execz .LBB253_217
; %bb.216:                              ;   in Loop: Header=BB253_4 Depth=1
	v_div_scale_f64 v[1:2], s[10:11], v[28:29], v[28:29], s[16:17]
	v_div_scale_f64 v[3:4], s[10:11], v[30:31], v[30:31], s[18:19]
	;; [unrolled: 1-line block ×3, first 2 shown]
	v_rcp_f64_e32 v[24:25], v[1:2]
	v_rcp_f64_e32 v[26:27], v[3:4]
	v_fma_f64 v[32:33], -v[1:2], v[24:25], 1.0
	v_fma_f64 v[34:35], -v[3:4], v[26:27], 1.0
	v_fma_f64 v[24:25], v[24:25], v[32:33], v[24:25]
	v_div_scale_f64 v[32:33], vcc, s[16:17], v[28:29], s[16:17]
	v_fma_f64 v[26:27], v[26:27], v[34:35], v[26:27]
	v_fma_f64 v[34:35], -v[1:2], v[24:25], 1.0
	v_fma_f64 v[38:39], -v[3:4], v[26:27], 1.0
	v_fma_f64 v[24:25], v[24:25], v[34:35], v[24:25]
	v_fma_f64 v[26:27], v[26:27], v[38:39], v[26:27]
	v_mul_f64 v[34:35], v[32:33], v[24:25]
	v_mul_f64 v[38:39], v[36:37], v[26:27]
	v_fma_f64 v[1:2], -v[1:2], v[34:35], v[32:33]
	v_fma_f64 v[3:4], -v[3:4], v[38:39], v[36:37]
	v_div_fmas_f64 v[1:2], v[1:2], v[24:25], v[34:35]
	s_mov_b64 vcc, s[10:11]
	v_div_fmas_f64 v[3:4], v[3:4], v[26:27], v[38:39]
	v_div_fixup_f64 v[1:2], v[1:2], v[28:29], s[16:17]
	v_div_fixup_f64 v[3:4], v[3:4], v[30:31], s[18:19]
.LBB253_217:                            ;   in Loop: Header=BB253_4 Depth=1
	s_or_b64 exec, exec, s[36:37]
                                        ; implicit-def: $vgpr24_vgpr25
                                        ; implicit-def: $vgpr26_vgpr27
	s_andn2_saveexec_b64 s[10:11], s[12:13]
	s_cbranch_execnz .LBB253_223
.LBB253_218:                            ;   in Loop: Header=BB253_4 Depth=1
	s_or_b64 exec, exec, s[10:11]
	s_and_saveexec_b64 s[10:11], s[0:1]
	s_xor_b64 s[0:1], exec, s[10:11]
	s_cbranch_execz .LBB253_224
.LBB253_219:                            ;   in Loop: Header=BB253_4 Depth=1
	v_mov_b32_e32 v18, s62
	v_add_co_u32_e32 v24, vcc, s33, v19
	v_addc_co_u32_e32 v25, vcc, 0, v18, vcc
	global_store_dwordx4 v[24:25], v[5:8], off
	s_or_b64 exec, exec, s[0:1]
	s_and_saveexec_b64 s[0:1], s[2:3]
	s_cbranch_execnz .LBB253_225
.LBB253_220:                            ;   in Loop: Header=BB253_4 Depth=1
	s_or_b64 exec, exec, s[0:1]
	s_and_saveexec_b64 s[0:1], s[6:7]
	s_cbranch_execz .LBB253_226
.LBB253_221:                            ;   in Loop: Header=BB253_4 Depth=1
	v_mov_b32_e32 v6, s62
	v_add_co_u32_e32 v5, vcc, s33, v46
	v_addc_co_u32_e32 v6, vcc, v6, v45, vcc
	global_store_dwordx4 v[5:6], v[9:12], off offset:-8
	s_or_b64 exec, exec, s[0:1]
	s_and_saveexec_b64 s[0:1], s[8:9]
	s_cbranch_execz .LBB253_3
	s_branch .LBB253_227
.LBB253_222:                            ;   in Loop: Header=BB253_4 Depth=1
	s_andn2_saveexec_b64 s[10:11], s[12:13]
	s_cbranch_execz .LBB253_218
.LBB253_223:                            ;   in Loop: Header=BB253_4 Depth=1
	v_div_scale_f64 v[1:2], s[12:13], v[24:25], v[24:25], v[26:27]
	v_rcp_f64_e32 v[3:4], v[1:2]
	v_fma_f64 v[28:29], -v[1:2], v[3:4], 1.0
	v_fma_f64 v[3:4], v[3:4], v[28:29], v[3:4]
	v_div_scale_f64 v[28:29], vcc, v[26:27], v[24:25], v[26:27]
	v_fma_f64 v[30:31], -v[1:2], v[3:4], 1.0
	v_fma_f64 v[3:4], v[3:4], v[30:31], v[3:4]
	v_mul_f64 v[30:31], v[28:29], v[3:4]
	v_fma_f64 v[1:2], -v[1:2], v[30:31], v[28:29]
	v_div_fmas_f64 v[1:2], v[1:2], v[3:4], v[30:31]
	v_div_fixup_f64 v[1:2], v[1:2], v[24:25], v[26:27]
	v_fma_f64 v[3:4], v[26:27], v[1:2], v[24:25]
	v_div_scale_f64 v[24:25], s[12:13], v[3:4], v[3:4], 1.0
	v_rcp_f64_e32 v[26:27], v[24:25]
	v_fma_f64 v[28:29], -v[24:25], v[26:27], 1.0
	v_fma_f64 v[26:27], v[26:27], v[28:29], v[26:27]
	v_div_scale_f64 v[28:29], vcc, 1.0, v[3:4], 1.0
	v_fma_f64 v[30:31], -v[24:25], v[26:27], 1.0
	v_fma_f64 v[26:27], v[26:27], v[30:31], v[26:27]
	v_mul_f64 v[30:31], v[28:29], v[26:27]
	v_fma_f64 v[24:25], -v[24:25], v[30:31], v[28:29]
	v_mov_b32_e32 v29, s17
	v_mov_b32_e32 v28, s16
	v_div_fmas_f64 v[24:25], v[24:25], v[26:27], v[30:31]
	v_mov_b32_e32 v27, s19
	v_mov_b32_e32 v26, s18
	v_fma_f64 v[26:27], s[16:17], v[1:2], v[26:27]
	v_div_fixup_f64 v[3:4], v[24:25], v[3:4], 1.0
	v_fma_f64 v[24:25], s[18:19], v[1:2], -v[28:29]
	v_mul_f64 v[1:2], v[26:27], v[3:4]
	v_mul_f64 v[3:4], v[24:25], v[3:4]
	s_or_b64 exec, exec, s[10:11]
	s_and_saveexec_b64 s[10:11], s[0:1]
	s_xor_b64 s[0:1], exec, s[10:11]
	s_cbranch_execnz .LBB253_219
.LBB253_224:                            ;   in Loop: Header=BB253_4 Depth=1
	s_or_b64 exec, exec, s[0:1]
	s_and_saveexec_b64 s[0:1], s[2:3]
	s_cbranch_execz .LBB253_220
.LBB253_225:                            ;   in Loop: Header=BB253_4 Depth=1
	v_mov_b32_e32 v6, s62
	v_add_co_u32_e32 v5, vcc, s33, v44
	v_addc_co_u32_e32 v6, vcc, 0, v6, vcc
	global_store_dwordx4 v[5:6], v[13:16], off
	s_or_b64 exec, exec, s[0:1]
	s_and_saveexec_b64 s[0:1], s[6:7]
	s_cbranch_execnz .LBB253_221
.LBB253_226:                            ;   in Loop: Header=BB253_4 Depth=1
	s_or_b64 exec, exec, s[0:1]
	s_and_saveexec_b64 s[0:1], s[8:9]
	s_cbranch_execz .LBB253_3
.LBB253_227:                            ;   in Loop: Header=BB253_4 Depth=1
	v_mov_b32_e32 v6, s62
	v_add_co_u32_e32 v5, vcc, s33, v20
	v_addc_co_u32_e32 v6, vcc, v6, v21, vcc
	global_store_dwordx4 v[5:6], v[1:4], off offset:-8
	s_branch .LBB253_3
.LBB253_228:
	v_readlane_b32 s2, v79, 6
	v_readlane_b32 s3, v79, 7
	s_cbranch_execz .LBB253_230
	s_branch .LBB253_441
.LBB253_229:
.LBB253_230:
	v_mov_b32_e32 v1, 0x10000
	v_mov_b32_e32 v2, 0
	v_cmp_lt_i64_e32 vcc, s[2:3], v[1:2]
	v_mov_b32_e32 v18, 0
	s_and_b64 s[0:1], vcc, exec
	s_cselect_b32 s7, s3, 0
	s_cselect_b32 s6, s2, 0x10000
	v_lshlrev_b32_e32 v1, 2, v0
	v_mov_b32_e32 v2, v18
	v_cmp_gt_i64_e32 vcc, s[6:7], v[1:2]
	s_and_saveexec_b64 s[0:1], vcc
	s_cbranch_execz .LBB253_441
; %bb.231:
	v_readlane_b32 s0, v79, 0
	v_readlane_b32 s1, v79, 1
	s_load_dword s0, s[0:1], 0xd4c
	v_readlane_b32 s2, v79, 4
	v_readlane_b32 s3, v79, 5
	v_lshlrev_b32_e32 v2, 6, v0
	s_mov_b32 s12, 0
	s_waitcnt lgkmcnt(0)
	s_and_b32 s33, s0, 0xffff
	v_readlane_b32 s0, v79, 2
	v_readlane_b32 s1, v79, 3
	s_add_u32 s0, s0, s2
	s_addc_u32 s1, s1, s3
	v_mov_b32_e32 v3, s1
	v_add_co_u32_e32 v20, vcc, s0, v2
	s_mov_b32 s20, 0x54442d18
	s_mov_b32 s26, 0x6dc9c883
	;; [unrolled: 1-line block ×27, first 2 shown]
	v_mov_b32_e32 v1, v18
	v_addc_co_u32_e32 v21, vcc, 0, v3, vcc
	s_lshl_b32 s8, s33, 6
	s_mov_b64 s[4:5], 0
	s_mov_b32 s11, 0x7ff00000
	s_movk_i32 s9, 0xff80
	s_mov_b32 s13, 0x7ff00000
	s_mov_b32 s15, 0x3ff921fb
	;; [unrolled: 1-line block ×31, first 2 shown]
	s_movk_i32 s10, 0x1f8
	v_mov_b32_e32 v40, 0x40100000
	v_mov_b32_e32 v41, 0x3ff00000
	;; [unrolled: 1-line block ×6, first 2 shown]
	s_mov_b32 s82, 0x555502a1
	s_mov_b32 s85, 0xc0900000
	;; [unrolled: 1-line block ×4, first 2 shown]
	s_branch .LBB253_233
.LBB253_232:                            ;   in Loop: Header=BB253_233 Depth=1
	s_or_b64 exec, exec, s[0:1]
	v_add_co_u32_e32 v0, vcc, s33, v0
	v_addc_co_u32_e32 v1, vcc, 0, v1, vcc
	global_store_dwordx4 v[20:21], v[6:9], off
	global_store_dwordx4 v[20:21], v[14:17], off offset:16
	v_lshlrev_b64 v[6:7], 2, v[0:1]
	global_store_dwordx4 v[20:21], v[10:13], off offset:32
	v_cmp_le_i64_e32 vcc, s[6:7], v[6:7]
	global_store_dwordx4 v[20:21], v[2:5], off offset:48
	s_or_b64 s[4:5], vcc, s[4:5]
	v_add_co_u32_e32 v20, vcc, s8, v20
	v_addc_co_u32_e32 v21, vcc, 0, v21, vcc
	s_andn2_b64 exec, exec, s[4:5]
	s_cbranch_execz .LBB253_441
.LBB253_233:                            ; =>This Inner Loop Header: Depth=1
	global_load_dwordx4 v[6:9], v[20:21], off
	global_load_dwordx4 v[14:17], v[20:21], off offset:16
	global_load_dwordx4 v[2:5], v[20:21], off offset:48
	;; [unrolled: 1-line block ×3, first 2 shown]
                                        ; implicit-def: $vgpr26_vgpr27
	s_waitcnt vmcnt(3)
	v_xor_b32_e32 v25, 0x80000000, v9
	v_and_b32_e32 v30, 0x7fffffff, v25
	v_or_b32_e32 v19, v30, v8
	v_mov_b32_e32 v24, v8
	v_cmp_ne_u32_e32 vcc, 0, v19
	s_and_saveexec_b64 s[0:1], vcc
	s_xor_b64 s[94:95], exec, s[0:1]
	s_cbranch_execz .LBB253_275
; %bb.234:                              ;   in Loop: Header=BB253_233 Depth=1
	v_xor_b32_e32 v29, 0x80000000, v7
	v_and_b32_e32 v19, 0x7fffffff, v29
	v_or_b32_e32 v24, v19, v6
	v_mov_b32_e32 v28, v6
	v_cmp_ne_u32_e32 vcc, 0, v24
                                        ; implicit-def: $vgpr26_vgpr27
	s_and_saveexec_b64 s[0:1], vcc
	s_xor_b64 s[80:81], exec, s[0:1]
	s_cbranch_execz .LBB253_264
; %bb.235:                              ;   in Loop: Header=BB253_233 Depth=1
	v_cmp_gt_u32_e32 vcc, s11, v30
                                        ; implicit-def: $vgpr26_vgpr27
	s_and_saveexec_b64 s[0:1], vcc
	s_xor_b64 s[88:89], exec, s[0:1]
	s_cbranch_execz .LBB253_257
; %bb.236:                              ;   in Loop: Header=BB253_233 Depth=1
	v_add_u32_e32 v19, 0xbf79d1be, v29
	s_mov_b32 s0, 0x108aa2
	v_cmp_lt_u32_e32 vcc, s0, v19
                                        ; implicit-def: $vgpr26_vgpr27
	s_and_saveexec_b64 s[0:1], vcc
	s_xor_b64 s[90:91], exec, s[0:1]
	s_cbranch_execz .LBB253_246
; %bb.237:                              ;   in Loop: Header=BB253_233 Depth=1
	s_mov_b32 s0, 0
	s_mov_b32 s1, 0x41d00000
	v_cmp_nlt_f64_e64 s[0:1], |v[8:9]|, s[0:1]
                                        ; implicit-def: $vgpr24
                                        ; implicit-def: $vgpr26_vgpr27
                                        ; implicit-def: $vgpr28_vgpr29
	s_and_saveexec_b64 s[2:3], s[0:1]
	s_xor_b64 s[2:3], exec, s[2:3]
	s_cbranch_execz .LBB253_239
; %bb.238:                              ;   in Loop: Header=BB253_233 Depth=1
	v_trig_preop_f64 v[26:27], |v[8:9]|, 0
	s_mov_b32 vcc_lo, 0
	s_mov_b32 vcc_hi, 0x7b000000
	v_ldexp_f64 v[28:29], |v[8:9]|, s9
	v_cmp_ge_f64_e64 vcc, |v[8:9]|, vcc
	v_trig_preop_f64 v[30:31], |v[8:9]|, 1
	v_and_b32_e32 v19, 0x7fffffff, v9
	v_trig_preop_f64 v[38:39], |v[8:9]|, 2
	s_mov_b32 s14, s20
	s_mov_b32 s25, s23
	v_cndmask_b32_e32 v29, v19, v29, vcc
	v_cndmask_b32_e32 v28, v8, v28, vcc
	v_mul_f64 v[32:33], v[26:27], v[28:29]
	v_mul_f64 v[34:35], v[30:31], v[28:29]
	;; [unrolled: 1-line block ×3, first 2 shown]
	v_fma_f64 v[26:27], v[26:27], v[28:29], -v[32:33]
	v_fma_f64 v[30:31], v[30:31], v[28:29], -v[34:35]
	;; [unrolled: 1-line block ×3, first 2 shown]
	v_add_f64 v[36:37], v[34:35], v[26:27]
	v_add_f64 v[44:45], v[36:37], -v[34:35]
	v_add_f64 v[50:51], v[32:33], v[36:37]
	v_add_f64 v[46:47], v[36:37], -v[44:45]
	v_add_f64 v[26:27], v[26:27], -v[44:45]
	v_add_f64 v[44:45], v[48:49], v[30:31]
	v_add_f64 v[32:33], v[50:51], -v[32:33]
	v_add_f64 v[34:35], v[34:35], -v[46:47]
	v_ldexp_f64 v[46:47], v[50:51], -2
	v_add_f64 v[52:53], v[44:45], -v[48:49]
	v_add_f64 v[32:33], v[36:37], -v[32:33]
	v_add_f64 v[26:27], v[26:27], v[34:35]
	v_fract_f64_e32 v[34:35], v[46:47]
	v_cmp_neq_f64_e64 vcc, |v[46:47]|, s[12:13]
	v_add_f64 v[30:31], v[30:31], -v[52:53]
	v_add_f64 v[36:37], v[44:45], v[26:27]
	v_ldexp_f64 v[34:35], v[34:35], 2
	v_add_f64 v[46:47], v[32:33], v[36:37]
	v_cndmask_b32_e32 v35, 0, v35, vcc
	v_cndmask_b32_e32 v34, 0, v34, vcc
	v_add_f64 v[54:55], v[36:37], -v[44:45]
	v_add_f64 v[50:51], v[46:47], v[34:35]
	v_add_f64 v[32:33], v[46:47], -v[32:33]
	v_add_f64 v[56:57], v[36:37], -v[54:55]
	;; [unrolled: 1-line block ×3, first 2 shown]
	v_cmp_gt_f64_e32 vcc, 0, v[50:51]
	v_add_f64 v[50:51], v[44:45], -v[52:53]
	v_add_f64 v[32:33], v[36:37], -v[32:33]
	;; [unrolled: 1-line block ×3, first 2 shown]
	v_cndmask_b32_e32 v19, 0, v40, vcc
	v_add_f64 v[34:35], v[34:35], v[18:19]
	v_add_f64 v[50:51], v[48:49], -v[50:51]
	v_add_f64 v[26:27], v[26:27], v[44:45]
	v_add_f64 v[58:59], v[46:47], v[34:35]
	;; [unrolled: 1-line block ×3, first 2 shown]
	v_cvt_i32_f64_e32 v24, v[58:59]
	v_add_f64 v[26:27], v[30:31], v[26:27]
	v_cvt_f64_i32_e32 v[52:53], v24
	v_add_f64 v[34:35], v[34:35], -v[52:53]
	v_add_f64 v[26:27], v[28:29], v[26:27]
	v_add_f64 v[30:31], v[46:47], v[34:35]
	;; [unrolled: 1-line block ×3, first 2 shown]
	v_add_f64 v[28:29], v[30:31], -v[34:35]
	v_cmp_le_f64_e32 vcc, 0.5, v[30:31]
	v_add_f64 v[28:29], v[46:47], -v[28:29]
	v_cndmask_b32_e32 v19, 0, v41, vcc
	v_addc_co_u32_e32 v24, vcc, 0, v24, vcc
	v_add_f64 v[26:27], v[26:27], v[28:29]
	v_add_f64 v[28:29], v[30:31], -v[18:19]
	v_add_f64 v[30:31], v[28:29], v[26:27]
	v_mul_f64 v[32:33], v[30:31], s[14:15]
	v_add_f64 v[28:29], v[30:31], -v[28:29]
	v_fma_f64 v[34:35], v[30:31], s[14:15], -v[32:33]
	v_add_f64 v[26:27], v[26:27], -v[28:29]
	v_fma_f64 v[28:29], v[30:31], s[24:25], v[34:35]
	v_fma_f64 v[28:29], v[26:27], s[14:15], v[28:29]
	v_add_f64 v[26:27], v[32:33], v[28:29]
	v_add_f64 v[30:31], v[26:27], -v[32:33]
	v_add_f64 v[28:29], v[28:29], -v[30:31]
	s_andn2_saveexec_b64 s[2:3], s[2:3]
	s_cbranch_execz .LBB253_241
	s_branch .LBB253_240
.LBB253_239:                            ;   in Loop: Header=BB253_233 Depth=1
	s_andn2_saveexec_b64 s[2:3], s[2:3]
	s_cbranch_execz .LBB253_241
.LBB253_240:                            ;   in Loop: Header=BB253_233 Depth=1
	v_mul_f64 v[26:27], |v[8:9]|, s[26:27]
	s_mov_b32 s22, s28
	v_rndne_f64_e32 v[30:31], v[26:27]
	v_fma_f64 v[26:27], v[30:31], s[20:21], |v[8:9]|
	v_mul_f64 v[28:29], v[30:31], s[28:29]
	v_cvt_i32_f64_e32 v24, v[30:31]
	v_fma_f64 v[36:37], v[30:31], s[28:29], v[26:27]
	v_add_f64 v[32:33], v[26:27], v[28:29]
	v_add_f64 v[34:35], v[26:27], -v[32:33]
	v_add_f64 v[32:33], v[32:33], -v[36:37]
	v_add_f64 v[26:27], v[34:35], v[28:29]
	v_fma_f64 v[28:29], v[30:31], s[22:23], v[28:29]
	v_add_f64 v[26:27], v[32:33], v[26:27]
	v_add_f64 v[26:27], v[26:27], -v[28:29]
	v_fma_f64 v[28:29], v[30:31], s[30:31], v[26:27]
	v_add_f64 v[26:27], v[36:37], v[28:29]
	v_add_f64 v[32:33], v[26:27], -v[36:37]
	v_add_f64 v[28:29], v[28:29], -v[32:33]
.LBB253_241:                            ;   in Loop: Header=BB253_233 Depth=1
	s_or_b64 exec, exec, s[2:3]
                                        ; implicit-def: $vgpr44
                                        ; implicit-def: $vgpr30_vgpr31
                                        ; implicit-def: $vgpr34_vgpr35
	s_and_saveexec_b64 s[2:3], s[0:1]
	s_xor_b64 s[2:3], exec, s[2:3]
	s_cbranch_execz .LBB253_243
; %bb.242:                              ;   in Loop: Header=BB253_233 Depth=1
	v_trig_preop_f64 v[30:31], |v[8:9]|, 0
	s_mov_b32 s0, 0
	s_mov_b32 s1, 0x7b000000
	v_ldexp_f64 v[34:35], |v[8:9]|, s9
	v_cmp_ge_f64_e64 vcc, |v[8:9]|, s[0:1]
	v_trig_preop_f64 v[32:33], |v[8:9]|, 1
	v_and_b32_e32 v19, 0x7fffffff, v9
	v_trig_preop_f64 v[46:47], |v[8:9]|, 2
	s_mov_b32 s14, s20
	s_mov_b32 s25, s23
	v_cndmask_b32_e32 v35, v19, v35, vcc
	v_cndmask_b32_e32 v34, v8, v34, vcc
	v_mul_f64 v[36:37], v[30:31], v[34:35]
	v_mul_f64 v[38:39], v[32:33], v[34:35]
	;; [unrolled: 1-line block ×3, first 2 shown]
	v_fma_f64 v[30:31], v[30:31], v[34:35], -v[36:37]
	v_fma_f64 v[32:33], v[32:33], v[34:35], -v[38:39]
	;; [unrolled: 1-line block ×3, first 2 shown]
	v_add_f64 v[44:45], v[38:39], v[30:31]
	v_add_f64 v[48:49], v[44:45], -v[38:39]
	v_add_f64 v[54:55], v[36:37], v[44:45]
	v_add_f64 v[50:51], v[44:45], -v[48:49]
	v_add_f64 v[30:31], v[30:31], -v[48:49]
	v_add_f64 v[48:49], v[52:53], v[32:33]
	v_add_f64 v[36:37], v[54:55], -v[36:37]
	v_add_f64 v[38:39], v[38:39], -v[50:51]
	v_ldexp_f64 v[50:51], v[54:55], -2
	v_add_f64 v[56:57], v[48:49], -v[52:53]
	v_add_f64 v[36:37], v[44:45], -v[36:37]
	v_add_f64 v[30:31], v[30:31], v[38:39]
	v_fract_f64_e32 v[38:39], v[50:51]
	v_cmp_neq_f64_e64 vcc, |v[50:51]|, s[12:13]
	v_add_f64 v[32:33], v[32:33], -v[56:57]
	v_add_f64 v[44:45], v[48:49], v[30:31]
	v_ldexp_f64 v[38:39], v[38:39], 2
	v_add_f64 v[50:51], v[36:37], v[44:45]
	v_cndmask_b32_e32 v39, 0, v39, vcc
	v_cndmask_b32_e32 v38, 0, v38, vcc
	v_add_f64 v[58:59], v[44:45], -v[48:49]
	v_add_f64 v[54:55], v[50:51], v[38:39]
	v_add_f64 v[36:37], v[50:51], -v[36:37]
	v_add_f64 v[60:61], v[44:45], -v[58:59]
	;; [unrolled: 1-line block ×3, first 2 shown]
	v_cmp_gt_f64_e32 vcc, 0, v[54:55]
	v_add_f64 v[54:55], v[48:49], -v[56:57]
	v_add_f64 v[36:37], v[44:45], -v[36:37]
	;; [unrolled: 1-line block ×3, first 2 shown]
	v_cndmask_b32_e32 v19, 0, v40, vcc
	v_add_f64 v[38:39], v[38:39], v[18:19]
	v_add_f64 v[54:55], v[52:53], -v[54:55]
	v_add_f64 v[30:31], v[30:31], v[48:49]
	v_add_f64 v[62:63], v[50:51], v[38:39]
	;; [unrolled: 1-line block ×3, first 2 shown]
	v_cvt_i32_f64_e32 v19, v[62:63]
	v_add_f64 v[30:31], v[32:33], v[30:31]
	v_cvt_f64_i32_e32 v[56:57], v19
	v_add_f64 v[38:39], v[38:39], -v[56:57]
	v_add_f64 v[30:31], v[34:35], v[30:31]
	v_add_f64 v[32:33], v[50:51], v[38:39]
	;; [unrolled: 1-line block ×3, first 2 shown]
	v_add_f64 v[34:35], v[32:33], -v[38:39]
	v_cmp_le_f64_e32 vcc, 0.5, v[32:33]
	v_add_f64 v[34:35], v[50:51], -v[34:35]
	v_addc_co_u32_e64 v44, s[0:1], 0, v19, vcc
	v_cndmask_b32_e32 v19, 0, v41, vcc
	v_add_f64 v[32:33], v[32:33], -v[18:19]
	v_add_f64 v[30:31], v[30:31], v[34:35]
	v_add_f64 v[34:35], v[32:33], v[30:31]
	v_mul_f64 v[36:37], v[34:35], s[14:15]
	v_add_f64 v[32:33], v[34:35], -v[32:33]
	v_fma_f64 v[38:39], v[34:35], s[14:15], -v[36:37]
	v_add_f64 v[30:31], v[30:31], -v[32:33]
	v_fma_f64 v[32:33], v[34:35], s[24:25], v[38:39]
	v_fma_f64 v[32:33], v[30:31], s[14:15], v[32:33]
	v_add_f64 v[30:31], v[36:37], v[32:33]
	v_add_f64 v[34:35], v[30:31], -v[36:37]
	v_add_f64 v[34:35], v[32:33], -v[34:35]
	s_andn2_saveexec_b64 s[0:1], s[2:3]
	s_cbranch_execnz .LBB253_244
	s_branch .LBB253_245
.LBB253_243:                            ;   in Loop: Header=BB253_233 Depth=1
	s_andn2_saveexec_b64 s[0:1], s[2:3]
	s_cbranch_execz .LBB253_245
.LBB253_244:                            ;   in Loop: Header=BB253_233 Depth=1
	v_mul_f64 v[30:31], |v[8:9]|, s[26:27]
	s_mov_b32 s22, s28
	v_rndne_f64_e32 v[32:33], v[30:31]
	v_fma_f64 v[30:31], v[32:33], s[20:21], |v[8:9]|
	v_mul_f64 v[34:35], v[32:33], s[28:29]
	v_fma_f64 v[44:45], v[32:33], s[28:29], v[30:31]
	v_add_f64 v[36:37], v[30:31], v[34:35]
	v_add_f64 v[38:39], v[30:31], -v[36:37]
	v_add_f64 v[36:37], v[36:37], -v[44:45]
	v_add_f64 v[30:31], v[38:39], v[34:35]
	v_fma_f64 v[34:35], v[32:33], s[22:23], v[34:35]
	v_add_f64 v[30:31], v[36:37], v[30:31]
	v_add_f64 v[30:31], v[30:31], -v[34:35]
	v_fma_f64 v[34:35], v[32:33], s[30:31], v[30:31]
	v_add_f64 v[30:31], v[44:45], v[34:35]
	v_add_f64 v[36:37], v[30:31], -v[44:45]
	v_cvt_i32_f64_e32 v44, v[32:33]
	v_add_f64 v[34:35], v[34:35], -v[36:37]
.LBB253_245:                            ;   in Loop: Header=BB253_233 Depth=1
	s_or_b64 exec, exec, s[0:1]
	s_mov_b32 s34, s36
	v_mul_f64 v[32:33], v[6:7], s[34:35]
	v_mul_f64 v[47:48], v[30:31], v[30:31]
	v_mov_b32_e32 v49, s72
	v_mov_b32_e32 v50, s73
	;; [unrolled: 1-line block ×4, first 2 shown]
	s_mov_b32 s55, s53
	s_mov_b32 s83, s57
	v_rndne_f64_e32 v[32:33], v[32:33]
	v_mul_f64 v[63:64], v[47:48], 0.5
	v_mul_f64 v[55:56], v[28:29], 0.5
	;; [unrolled: 1-line block ×3, first 2 shown]
	v_mul_f64 v[71:72], v[30:31], -v[47:48]
	s_mov_b32 s92, s56
	v_and_b32_e32 v19, 1, v24
	v_lshlrev_b32_e32 v24, 30, v24
	v_fma_f64 v[36:37], v[32:33], s[38:39], -v[6:7]
	v_add_f64 v[69:70], -v[63:64], 1.0
	v_cmp_eq_u32_e32 vcc, 0, v19
	v_cmp_class_f64_e64 s[0:1], v[8:9], s10
	v_fma_f64 v[36:37], v[32:33], s[40:41], v[36:37]
	v_add_f64 v[75:76], -v[69:70], 1.0
	v_cvt_i32_f64_e32 v32, v[32:33]
	v_fma_f64 v[38:39], v[36:37], s[42:43], v[22:23]
	v_fma_f64 v[45:46], v[36:37], v[38:39], s[44:45]
	v_mul_f64 v[38:39], v[26:27], v[26:27]
	v_fma_f64 v[45:46], v[36:37], v[45:46], s[46:47]
	v_fma_f64 v[51:52], v[38:39], s[74:75], v[49:50]
	;; [unrolled: 1-line block ×4, first 2 shown]
	v_mul_f64 v[61:62], v[38:39], 0.5
	v_fma_f64 v[53:54], v[47:48], s[64:65], v[53:54]
	v_mul_f64 v[65:66], v[26:27], -v[38:39]
	v_mul_f64 v[77:78], v[38:39], v[38:39]
	v_fma_f64 v[45:46], v[36:37], v[45:46], s[48:49]
	v_fma_f64 v[51:52], v[38:39], v[51:52], s[76:77]
	;; [unrolled: 1-line block ×4, first 2 shown]
	v_add_f64 v[67:68], -v[61:62], 1.0
	v_fma_f64 v[53:54], v[47:48], v[53:54], s[66:67]
	v_fma_f64 v[45:46], v[36:37], v[45:46], s[50:51]
	;; [unrolled: 1-line block ×5, first 2 shown]
	v_add_f64 v[73:74], -v[67:68], 1.0
	v_fma_f64 v[53:54], v[47:48], v[53:54], s[68:69]
	v_fma_f64 v[45:46], v[36:37], v[45:46], s[54:55]
	;; [unrolled: 1-line block ×8, first 2 shown]
	v_add_f64 v[59:60], v[73:74], -v[61:62]
	v_add_f64 v[61:62], v[75:76], -v[63:64]
	v_fma_f64 v[49:50], v[71:72], v[49:50], v[57:58]
	v_mul_f64 v[57:58], v[47:48], v[47:48]
	v_fma_f64 v[53:54], v[47:48], v[53:54], s[56:57]
	v_fma_f64 v[45:46], v[36:37], v[45:46], s[58:59]
	v_fma_f64 v[51:52], v[38:39], v[51:52], -v[28:29]
	v_fma_f64 v[38:39], v[38:39], v[55:56], s[56:57]
	v_fma_f64 v[28:29], v[26:27], -v[28:29], v[59:60]
	v_fma_f64 v[55:56], v[30:31], -v[34:35], v[61:62]
	v_fma_f64 v[34:35], v[47:48], v[49:50], -v[34:35]
	v_and_b32_e32 v49, 1, v44
	v_lshlrev_b32_e32 v44, 30, v44
	v_fma_f64 v[45:46], v[36:37], v[45:46], s[60:61]
	v_fma_f64 v[47:48], v[65:66], s[92:93], v[51:52]
	v_and_b32_e32 v50, 0x80000000, v24
	v_fma_f64 v[28:29], v[77:78], v[38:39], v[28:29]
	v_fma_f64 v[38:39], v[57:58], v[53:54], v[55:56]
	;; [unrolled: 1-line block ×3, first 2 shown]
	v_xor_b32_e32 v44, v44, v25
	v_cmp_eq_u32_e64 s[2:3], 0, v49
	v_fma_f64 v[45:46], v[36:37], v[45:46], 1.0
	v_add_f64 v[26:27], v[26:27], -v[47:48]
	v_add_f64 v[24:25], v[67:68], v[28:29]
	v_add_f64 v[28:29], v[69:70], v[38:39]
	v_add_f64 v[30:31], v[30:31], -v[34:35]
	v_and_b32_e32 v34, 0x80000000, v44
	v_fma_f64 v[36:37], v[36:37], v[45:46], 1.0
	v_xor_b32_e32 v27, 0x80000000, v27
	v_cndmask_b32_e32 v19, v26, v24, vcc
	v_cndmask_b32_e32 v24, v27, v25, vcc
	v_cndmask_b32_e64 v8, v28, v30, s[2:3]
	v_cndmask_b32_e64 v9, v29, v31, s[2:3]
	v_cmp_ngt_f64_e32 vcc, s[84:85], v[6:7]
	v_ldexp_f64 v[32:33], v[36:37], v32
	v_cmp_nlt_f64_e64 s[2:3], s[86:87], v[6:7]
	v_xor_b32_e32 v9, v9, v34
	v_xor_b32_e32 v7, v24, v50
	v_cndmask_b32_e64 v6, 0, v19, s[0:1]
	v_cndmask_b32_e64 v7, v43, v7, s[0:1]
	;; [unrolled: 1-line block ×4, first 2 shown]
	v_cndmask_b32_e32 v25, v42, v33, vcc
	s_and_b64 vcc, s[2:3], vcc
	v_cndmask_b32_e64 v25, 0, v25, s[2:3]
	v_cndmask_b32_e32 v24, 0, v32, vcc
	v_mul_f64 v[26:27], v[24:25], v[6:7]
	v_mul_f64 v[24:25], v[24:25], v[8:9]
                                        ; implicit-def: $vgpr8_vgpr9
.LBB253_246:                            ;   in Loop: Header=BB253_233 Depth=1
	s_andn2_saveexec_b64 s[90:91], s[90:91]
	s_cbranch_execz .LBB253_249
; %bb.247:                              ;   in Loop: Header=BB253_233 Depth=1
	s_mov_b32 s0, 0
	s_mov_b32 s1, 0x41d00000
	v_cmp_nlt_f64_e64 s[0:1], |v[8:9]|, s[0:1]
                                        ; implicit-def: $vgpr24
                                        ; implicit-def: $vgpr26_vgpr27
                                        ; implicit-def: $vgpr28_vgpr29
	s_and_saveexec_b64 s[2:3], s[0:1]
	s_xor_b64 s[2:3], exec, s[2:3]
	s_cbranch_execz .LBB253_250
; %bb.248:                              ;   in Loop: Header=BB253_233 Depth=1
	v_trig_preop_f64 v[26:27], |v[8:9]|, 0
	s_mov_b32 vcc_lo, 0
	s_mov_b32 vcc_hi, 0x7b000000
	v_ldexp_f64 v[28:29], |v[8:9]|, s9
	v_cmp_ge_f64_e64 vcc, |v[8:9]|, vcc
	v_trig_preop_f64 v[30:31], |v[8:9]|, 1
	v_and_b32_e32 v19, 0x7fffffff, v9
	v_trig_preop_f64 v[38:39], |v[8:9]|, 2
	s_mov_b32 s14, s20
	s_mov_b32 s25, s23
	v_cndmask_b32_e32 v29, v19, v29, vcc
	v_cndmask_b32_e32 v28, v8, v28, vcc
	v_mul_f64 v[32:33], v[26:27], v[28:29]
	v_mul_f64 v[34:35], v[30:31], v[28:29]
	;; [unrolled: 1-line block ×3, first 2 shown]
	v_fma_f64 v[26:27], v[26:27], v[28:29], -v[32:33]
	v_fma_f64 v[30:31], v[30:31], v[28:29], -v[34:35]
	;; [unrolled: 1-line block ×3, first 2 shown]
	v_add_f64 v[36:37], v[34:35], v[26:27]
	v_add_f64 v[44:45], v[36:37], -v[34:35]
	v_add_f64 v[50:51], v[32:33], v[36:37]
	v_add_f64 v[46:47], v[36:37], -v[44:45]
	v_add_f64 v[26:27], v[26:27], -v[44:45]
	v_add_f64 v[44:45], v[48:49], v[30:31]
	v_add_f64 v[32:33], v[50:51], -v[32:33]
	v_add_f64 v[34:35], v[34:35], -v[46:47]
	v_ldexp_f64 v[46:47], v[50:51], -2
	v_add_f64 v[52:53], v[44:45], -v[48:49]
	v_add_f64 v[32:33], v[36:37], -v[32:33]
	v_add_f64 v[26:27], v[26:27], v[34:35]
	v_fract_f64_e32 v[34:35], v[46:47]
	v_cmp_neq_f64_e64 vcc, |v[46:47]|, s[12:13]
	v_add_f64 v[30:31], v[30:31], -v[52:53]
	v_add_f64 v[36:37], v[44:45], v[26:27]
	v_ldexp_f64 v[34:35], v[34:35], 2
	v_add_f64 v[46:47], v[32:33], v[36:37]
	v_cndmask_b32_e32 v35, 0, v35, vcc
	v_cndmask_b32_e32 v34, 0, v34, vcc
	v_add_f64 v[54:55], v[36:37], -v[44:45]
	v_add_f64 v[50:51], v[46:47], v[34:35]
	v_add_f64 v[32:33], v[46:47], -v[32:33]
	v_add_f64 v[56:57], v[36:37], -v[54:55]
	v_add_f64 v[26:27], v[26:27], -v[54:55]
	v_cmp_gt_f64_e32 vcc, 0, v[50:51]
	v_add_f64 v[50:51], v[44:45], -v[52:53]
	v_add_f64 v[32:33], v[36:37], -v[32:33]
	;; [unrolled: 1-line block ×3, first 2 shown]
	v_cndmask_b32_e32 v19, 0, v40, vcc
	v_add_f64 v[34:35], v[34:35], v[18:19]
	v_add_f64 v[50:51], v[48:49], -v[50:51]
	v_add_f64 v[26:27], v[26:27], v[44:45]
	v_add_f64 v[58:59], v[46:47], v[34:35]
	;; [unrolled: 1-line block ×3, first 2 shown]
	v_cvt_i32_f64_e32 v24, v[58:59]
	v_add_f64 v[26:27], v[30:31], v[26:27]
	v_cvt_f64_i32_e32 v[52:53], v24
	v_add_f64 v[34:35], v[34:35], -v[52:53]
	v_add_f64 v[26:27], v[28:29], v[26:27]
	v_add_f64 v[30:31], v[46:47], v[34:35]
	v_add_f64 v[26:27], v[32:33], v[26:27]
	v_add_f64 v[28:29], v[30:31], -v[34:35]
	v_cmp_le_f64_e32 vcc, 0.5, v[30:31]
	v_add_f64 v[28:29], v[46:47], -v[28:29]
	v_cndmask_b32_e32 v19, 0, v41, vcc
	v_addc_co_u32_e32 v24, vcc, 0, v24, vcc
	v_add_f64 v[26:27], v[26:27], v[28:29]
	v_add_f64 v[28:29], v[30:31], -v[18:19]
	v_add_f64 v[30:31], v[28:29], v[26:27]
	v_mul_f64 v[32:33], v[30:31], s[14:15]
	v_add_f64 v[28:29], v[30:31], -v[28:29]
	v_fma_f64 v[34:35], v[30:31], s[14:15], -v[32:33]
	v_add_f64 v[26:27], v[26:27], -v[28:29]
	v_fma_f64 v[28:29], v[30:31], s[24:25], v[34:35]
	v_fma_f64 v[28:29], v[26:27], s[14:15], v[28:29]
	v_add_f64 v[26:27], v[32:33], v[28:29]
	v_add_f64 v[30:31], v[26:27], -v[32:33]
	v_add_f64 v[28:29], v[28:29], -v[30:31]
	s_andn2_saveexec_b64 s[2:3], s[2:3]
	s_cbranch_execz .LBB253_252
	s_branch .LBB253_251
.LBB253_249:                            ;   in Loop: Header=BB253_233 Depth=1
	s_or_b64 exec, exec, s[90:91]
                                        ; implicit-def: $vgpr28_vgpr29
                                        ; implicit-def: $vgpr6_vgpr7
                                        ; implicit-def: $vgpr19
	s_andn2_saveexec_b64 s[2:3], s[88:89]
	s_cbranch_execnz .LBB253_258
	s_branch .LBB253_263
.LBB253_250:                            ;   in Loop: Header=BB253_233 Depth=1
	s_andn2_saveexec_b64 s[2:3], s[2:3]
	s_cbranch_execz .LBB253_252
.LBB253_251:                            ;   in Loop: Header=BB253_233 Depth=1
	v_mul_f64 v[26:27], |v[8:9]|, s[26:27]
	s_mov_b32 s22, s28
	v_rndne_f64_e32 v[30:31], v[26:27]
	v_fma_f64 v[26:27], v[30:31], s[20:21], |v[8:9]|
	v_mul_f64 v[28:29], v[30:31], s[28:29]
	v_cvt_i32_f64_e32 v24, v[30:31]
	v_fma_f64 v[36:37], v[30:31], s[28:29], v[26:27]
	v_add_f64 v[32:33], v[26:27], v[28:29]
	v_add_f64 v[34:35], v[26:27], -v[32:33]
	v_add_f64 v[32:33], v[32:33], -v[36:37]
	v_add_f64 v[26:27], v[34:35], v[28:29]
	v_fma_f64 v[28:29], v[30:31], s[22:23], v[28:29]
	v_add_f64 v[26:27], v[32:33], v[26:27]
	v_add_f64 v[26:27], v[26:27], -v[28:29]
	v_fma_f64 v[28:29], v[30:31], s[30:31], v[26:27]
	v_add_f64 v[26:27], v[36:37], v[28:29]
	v_add_f64 v[32:33], v[26:27], -v[36:37]
	v_add_f64 v[28:29], v[28:29], -v[32:33]
.LBB253_252:                            ;   in Loop: Header=BB253_233 Depth=1
	s_or_b64 exec, exec, s[2:3]
                                        ; implicit-def: $vgpr44
                                        ; implicit-def: $vgpr30_vgpr31
                                        ; implicit-def: $vgpr32_vgpr33
	s_and_saveexec_b64 s[2:3], s[0:1]
	s_xor_b64 s[2:3], exec, s[2:3]
	s_cbranch_execz .LBB253_254
; %bb.253:                              ;   in Loop: Header=BB253_233 Depth=1
	v_trig_preop_f64 v[30:31], |v[8:9]|, 0
	s_mov_b32 s0, 0
	s_mov_b32 s1, 0x7b000000
	v_ldexp_f64 v[34:35], |v[8:9]|, s9
	v_cmp_ge_f64_e64 vcc, |v[8:9]|, s[0:1]
	v_trig_preop_f64 v[32:33], |v[8:9]|, 1
	v_and_b32_e32 v19, 0x7fffffff, v9
	v_trig_preop_f64 v[46:47], |v[8:9]|, 2
	s_mov_b32 s14, s20
	s_mov_b32 s25, s23
	v_cndmask_b32_e32 v35, v19, v35, vcc
	v_cndmask_b32_e32 v34, v8, v34, vcc
	v_mul_f64 v[36:37], v[30:31], v[34:35]
	v_mul_f64 v[38:39], v[32:33], v[34:35]
	;; [unrolled: 1-line block ×3, first 2 shown]
	v_fma_f64 v[30:31], v[30:31], v[34:35], -v[36:37]
	v_fma_f64 v[32:33], v[32:33], v[34:35], -v[38:39]
	;; [unrolled: 1-line block ×3, first 2 shown]
	v_add_f64 v[44:45], v[38:39], v[30:31]
	v_add_f64 v[48:49], v[44:45], -v[38:39]
	v_add_f64 v[54:55], v[36:37], v[44:45]
	v_add_f64 v[50:51], v[44:45], -v[48:49]
	v_add_f64 v[30:31], v[30:31], -v[48:49]
	v_add_f64 v[48:49], v[52:53], v[32:33]
	v_add_f64 v[36:37], v[54:55], -v[36:37]
	v_add_f64 v[38:39], v[38:39], -v[50:51]
	v_ldexp_f64 v[50:51], v[54:55], -2
	v_add_f64 v[56:57], v[48:49], -v[52:53]
	v_add_f64 v[36:37], v[44:45], -v[36:37]
	v_add_f64 v[30:31], v[30:31], v[38:39]
	v_fract_f64_e32 v[38:39], v[50:51]
	v_cmp_neq_f64_e64 vcc, |v[50:51]|, s[12:13]
	v_add_f64 v[32:33], v[32:33], -v[56:57]
	v_add_f64 v[44:45], v[48:49], v[30:31]
	v_ldexp_f64 v[38:39], v[38:39], 2
	v_add_f64 v[50:51], v[36:37], v[44:45]
	v_cndmask_b32_e32 v39, 0, v39, vcc
	v_cndmask_b32_e32 v38, 0, v38, vcc
	v_add_f64 v[58:59], v[44:45], -v[48:49]
	v_add_f64 v[54:55], v[50:51], v[38:39]
	v_add_f64 v[36:37], v[50:51], -v[36:37]
	v_add_f64 v[60:61], v[44:45], -v[58:59]
	;; [unrolled: 1-line block ×3, first 2 shown]
	v_cmp_gt_f64_e32 vcc, 0, v[54:55]
	v_add_f64 v[54:55], v[48:49], -v[56:57]
	v_add_f64 v[36:37], v[44:45], -v[36:37]
	;; [unrolled: 1-line block ×3, first 2 shown]
	v_cndmask_b32_e32 v19, 0, v40, vcc
	v_add_f64 v[38:39], v[38:39], v[18:19]
	v_add_f64 v[54:55], v[52:53], -v[54:55]
	v_add_f64 v[30:31], v[30:31], v[48:49]
	v_add_f64 v[62:63], v[50:51], v[38:39]
	v_add_f64 v[32:33], v[32:33], v[54:55]
	v_cvt_i32_f64_e32 v19, v[62:63]
	v_add_f64 v[30:31], v[32:33], v[30:31]
	v_cvt_f64_i32_e32 v[56:57], v19
	v_add_f64 v[38:39], v[38:39], -v[56:57]
	v_add_f64 v[30:31], v[34:35], v[30:31]
	v_add_f64 v[32:33], v[50:51], v[38:39]
	;; [unrolled: 1-line block ×3, first 2 shown]
	v_add_f64 v[34:35], v[32:33], -v[38:39]
	v_cmp_le_f64_e32 vcc, 0.5, v[32:33]
	v_add_f64 v[34:35], v[50:51], -v[34:35]
	v_addc_co_u32_e64 v44, s[0:1], 0, v19, vcc
	v_cndmask_b32_e32 v19, 0, v41, vcc
	v_add_f64 v[32:33], v[32:33], -v[18:19]
	v_add_f64 v[30:31], v[30:31], v[34:35]
	v_add_f64 v[34:35], v[32:33], v[30:31]
	v_mul_f64 v[36:37], v[34:35], s[14:15]
	v_add_f64 v[32:33], v[34:35], -v[32:33]
	v_fma_f64 v[38:39], v[34:35], s[14:15], -v[36:37]
	v_add_f64 v[30:31], v[30:31], -v[32:33]
	v_fma_f64 v[32:33], v[34:35], s[24:25], v[38:39]
	v_fma_f64 v[32:33], v[30:31], s[14:15], v[32:33]
	v_add_f64 v[30:31], v[36:37], v[32:33]
	v_add_f64 v[34:35], v[30:31], -v[36:37]
	v_add_f64 v[32:33], v[32:33], -v[34:35]
	s_andn2_saveexec_b64 s[0:1], s[2:3]
	s_cbranch_execnz .LBB253_255
	s_branch .LBB253_256
.LBB253_254:                            ;   in Loop: Header=BB253_233 Depth=1
	s_andn2_saveexec_b64 s[0:1], s[2:3]
	s_cbranch_execz .LBB253_256
.LBB253_255:                            ;   in Loop: Header=BB253_233 Depth=1
	v_mul_f64 v[30:31], |v[8:9]|, s[26:27]
	s_mov_b32 s22, s28
	v_rndne_f64_e32 v[34:35], v[30:31]
	v_fma_f64 v[30:31], v[34:35], s[20:21], |v[8:9]|
	v_mul_f64 v[32:33], v[34:35], s[28:29]
	v_fma_f64 v[44:45], v[34:35], s[28:29], v[30:31]
	v_add_f64 v[36:37], v[30:31], v[32:33]
	v_add_f64 v[38:39], v[30:31], -v[36:37]
	v_add_f64 v[36:37], v[36:37], -v[44:45]
	v_add_f64 v[30:31], v[38:39], v[32:33]
	v_fma_f64 v[32:33], v[34:35], s[22:23], v[32:33]
	v_add_f64 v[30:31], v[36:37], v[30:31]
	v_add_f64 v[30:31], v[30:31], -v[32:33]
	v_fma_f64 v[32:33], v[34:35], s[30:31], v[30:31]
	v_add_f64 v[30:31], v[44:45], v[32:33]
	v_add_f64 v[36:37], v[30:31], -v[44:45]
	v_cvt_i32_f64_e32 v44, v[34:35]
	v_add_f64 v[32:33], v[32:33], -v[36:37]
.LBB253_256:                            ;   in Loop: Header=BB253_233 Depth=1
	s_or_b64 exec, exec, s[0:1]
	s_mov_b32 s0, 0x19ba0da4
	s_mov_b32 s1, 0xc0937be3
	v_add_f64 v[6:7], -v[6:7], s[0:1]
	v_mul_f64 v[49:50], v[30:31], v[30:31]
	v_mov_b32_e32 v51, s72
	v_mov_b32_e32 v52, s73
	;; [unrolled: 1-line block ×4, first 2 shown]
	s_mov_b32 s55, s53
	s_mov_b32 s83, s57
	v_mul_f64 v[34:35], v[6:7], s[36:37]
	v_mul_f64 v[63:64], v[49:50], 0.5
	v_mul_f64 v[53:54], v[28:29], 0.5
	v_mul_f64 v[61:62], v[32:33], 0.5
	v_mul_f64 v[73:74], v[30:31], -v[49:50]
	s_mov_b32 s92, s56
	v_and_b32_e32 v19, 1, v24
	v_lshlrev_b32_e32 v24, 30, v24
	v_rndne_f64_e32 v[34:35], v[34:35]
	v_add_f64 v[69:70], -v[63:64], 1.0
	v_cmp_eq_u32_e32 vcc, 0, v19
	v_cmp_class_f64_e64 s[0:1], v[8:9], s10
	v_fma_f64 v[36:37], v[34:35], s[38:39], v[6:7]
	v_add_f64 v[75:76], -v[69:70], 1.0
	v_fma_f64 v[36:37], v[34:35], s[40:41], v[36:37]
	v_add_f64 v[63:64], v[75:76], -v[63:64]
	v_fma_f64 v[38:39], v[36:37], s[42:43], v[22:23]
	v_fma_f64 v[45:46], v[36:37], v[38:39], s[44:45]
	v_mul_f64 v[38:39], v[26:27], v[26:27]
	v_fma_f64 v[45:46], v[36:37], v[45:46], s[46:47]
	v_fma_f64 v[55:56], v[38:39], s[74:75], v[51:52]
	;; [unrolled: 1-line block ×4, first 2 shown]
	v_mul_f64 v[59:60], v[38:39], 0.5
	v_fma_f64 v[47:48], v[49:50], s[64:65], v[47:48]
	v_mul_f64 v[67:68], v[26:27], -v[38:39]
	v_fma_f64 v[45:46], v[36:37], v[45:46], s[48:49]
	v_fma_f64 v[55:56], v[38:39], v[55:56], s[76:77]
	;; [unrolled: 1-line block ×4, first 2 shown]
	v_add_f64 v[65:66], -v[59:60], 1.0
	v_fma_f64 v[47:48], v[49:50], v[47:48], s[66:67]
	v_fma_f64 v[45:46], v[36:37], v[45:46], s[50:51]
	;; [unrolled: 1-line block ×5, first 2 shown]
	v_add_f64 v[71:72], -v[65:66], 1.0
	v_fma_f64 v[47:48], v[49:50], v[47:48], s[68:69]
	v_fma_f64 v[45:46], v[36:37], v[45:46], s[54:55]
	;; [unrolled: 1-line block ×5, first 2 shown]
	v_add_f64 v[59:60], v[71:72], -v[59:60]
	v_fma_f64 v[47:48], v[49:50], v[47:48], s[70:71]
	v_fma_f64 v[45:46], v[36:37], v[45:46], s[82:83]
	;; [unrolled: 1-line block ×4, first 2 shown]
	v_mul_f64 v[55:56], v[38:39], v[38:39]
	v_fma_f64 v[57:58], v[38:39], v[57:58], s[56:57]
	v_fma_f64 v[59:60], v[26:27], -v[28:29], v[59:60]
	v_fma_f64 v[47:48], v[49:50], v[47:48], s[56:57]
	v_fma_f64 v[45:46], v[36:37], v[45:46], s[58:59]
	v_fma_f64 v[28:29], v[38:39], v[53:54], -v[28:29]
	v_mul_f64 v[38:39], v[49:50], v[49:50]
	v_fma_f64 v[53:54], v[30:31], -v[32:33], v[63:64]
	v_fma_f64 v[32:33], v[49:50], v[51:52], -v[32:33]
	v_fma_f64 v[49:50], v[55:56], v[57:58], v[59:60]
	v_and_b32_e32 v51, 1, v44
	v_lshlrev_b32_e32 v52, 30, v44
	v_fma_f64 v[45:46], v[36:37], v[45:46], s[60:61]
	v_fma_f64 v[28:29], v[67:68], s[92:93], v[28:29]
	v_cmp_eq_u32_e64 s[2:3], 0, v51
	v_fma_f64 v[38:39], v[38:39], v[47:48], v[53:54]
	v_fma_f64 v[32:33], v[73:74], s[92:93], v[32:33]
	v_and_b32_e32 v48, 0x80000000, v24
	v_xor_b32_e32 v24, v52, v25
	v_fma_f64 v[44:45], v[36:37], v[45:46], 1.0
	v_add_f64 v[46:47], v[65:66], v[49:50]
	v_add_f64 v[26:27], v[26:27], -v[28:29]
	v_and_b32_e32 v49, 0x80000000, v24
	v_add_f64 v[28:29], v[69:70], v[38:39]
	v_add_f64 v[30:31], v[30:31], -v[32:33]
	v_cvt_i32_f64_e32 v32, v[34:35]
	v_fma_f64 v[24:25], v[36:37], v[44:45], 1.0
	v_cndmask_b32_e32 v19, v26, v46, vcc
	v_xor_b32_e32 v26, 0x80000000, v27
	v_cndmask_b32_e32 v26, v26, v47, vcc
	v_cndmask_b32_e64 v27, v28, v30, s[2:3]
	v_ldexp_f64 v[8:9], v[24:25], v32
	v_cndmask_b32_e64 v25, v29, v31, s[2:3]
	s_mov_b32 s2, 0
	s_mov_b32 s3, 0x40900000
	v_cmp_nlt_f64_e32 vcc, s[2:3], v[6:7]
	s_mov_b32 s2, 0
	s_mov_b32 s3, 0xc090cc00
	v_cmp_ngt_f64_e64 s[2:3], s[2:3], v[6:7]
	v_cndmask_b32_e64 v24, 0, v19, s[0:1]
	v_xor_b32_e32 v19, v25, v49
	v_xor_b32_e32 v25, v26, v48
	v_cndmask_b32_e64 v7, v43, v19, s[0:1]
	v_cndmask_b32_e32 v9, v42, v9, vcc
	v_cndmask_b32_e64 v25, v43, v25, s[0:1]
	v_cndmask_b32_e64 v6, 0, v27, s[0:1]
	;; [unrolled: 1-line block ×3, first 2 shown]
	v_and_b32_e32 v19, 0xfffff, v9
	s_and_b64 vcc, s[2:3], vcc
	v_lshrrev_b32_e32 v26, 20, v9
	v_or_b32_e32 v9, 0x7fe00000, v19
	v_cndmask_b32_e32 v8, 0, v8, vcc
	v_mul_f64 v[24:25], v[8:9], v[24:25]
	v_mul_f64 v[6:7], v[8:9], v[6:7]
	v_add_u32_e32 v26, 0xffffff09, v26
	v_lshrrev_b16_e32 v8, 15, v26
	v_add_u16_e32 v8, v26, v8
	v_ashrrev_i16_e32 v8, 1, v8
	v_bfe_i32 v27, v8, 0, 16
	v_lshl_add_u32 v19, v27, 20, v41
	v_mul_f64 v[8:9], v[24:25], v[18:19]
	v_mul_f64 v[6:7], v[6:7], v[18:19]
	v_sub_u32_e32 v19, v26, v27
	v_mov_b32_e32 v24, v18
	v_lshl_add_u32 v25, v19, 20, v41
	v_mul_f64 v[26:27], v[8:9], v[24:25]
	v_mul_f64 v[24:25], v[6:7], v[24:25]
	s_or_b64 exec, exec, s[90:91]
                                        ; implicit-def: $vgpr28_vgpr29
                                        ; implicit-def: $vgpr6_vgpr7
                                        ; implicit-def: $vgpr19
.LBB253_257:                            ;   in Loop: Header=BB253_233 Depth=1
	s_andn2_saveexec_b64 s[2:3], s[88:89]
	s_cbranch_execz .LBB253_263
.LBB253_258:                            ;   in Loop: Header=BB253_233 Depth=1
	v_add_f64 v[24:25], v[8:9], -v[8:9]
	v_cmp_ne_u32_e32 vcc, 0, v6
	v_cmp_ne_u32_e64 s[0:1], s11, v19
	s_or_b64 s[0:1], vcc, s[0:1]
	s_and_saveexec_b64 s[88:89], s[0:1]
	s_xor_b64 s[0:1], exec, s[88:89]
; %bb.259:                              ;   in Loop: Header=BB253_233 Depth=1
                                        ; implicit-def: $vgpr28_vgpr29
                                        ; implicit-def: $vgpr6_vgpr7
; %bb.260:                              ;   in Loop: Header=BB253_233 Depth=1
	s_or_saveexec_b64 s[0:1], s[0:1]
	v_mov_b32_e32 v27, v25
	v_mov_b32_e32 v26, v24
	s_xor_b64 exec, exec, s[0:1]
; %bb.261:                              ;   in Loop: Header=BB253_233 Depth=1
	v_cmp_lt_i64_e32 vcc, -1, v[28:29]
	v_cndmask_b32_e32 v27, 0, v29, vcc
	v_cndmask_b32_e32 v26, 0, v6, vcc
	v_cndmask_b32_e32 v25, 0, v25, vcc
	v_cndmask_b32_e32 v24, 0, v24, vcc
; %bb.262:                              ;   in Loop: Header=BB253_233 Depth=1
	s_or_b64 exec, exec, s[0:1]
.LBB253_263:                            ;   in Loop: Header=BB253_233 Depth=1
	s_or_b64 exec, exec, s[2:3]
                                        ; implicit-def: $vgpr8_vgpr9
.LBB253_264:                            ;   in Loop: Header=BB253_233 Depth=1
	s_andn2_saveexec_b64 s[2:3], s[80:81]
	s_cbranch_execz .LBB253_274
; %bb.265:                              ;   in Loop: Header=BB253_233 Depth=1
	s_mov_b32 s0, 0
	s_mov_b32 s1, 0x41d00000
	v_cmp_nlt_f64_e64 s[80:81], |v[8:9]|, s[0:1]
                                        ; implicit-def: $vgpr24
                                        ; implicit-def: $vgpr6_vgpr7
                                        ; implicit-def: $vgpr26_vgpr27
	s_and_saveexec_b64 s[0:1], s[80:81]
	s_xor_b64 s[88:89], exec, s[0:1]
	s_cbranch_execz .LBB253_267
; %bb.266:                              ;   in Loop: Header=BB253_233 Depth=1
	v_trig_preop_f64 v[6:7], |v[8:9]|, 0
	s_mov_b32 s0, 0
	s_mov_b32 s1, 0x7b000000
	v_ldexp_f64 v[28:29], |v[8:9]|, s9
	v_cmp_ge_f64_e64 vcc, |v[8:9]|, s[0:1]
	v_trig_preop_f64 v[26:27], |v[8:9]|, 1
	v_and_b32_e32 v19, 0x7fffffff, v9
	v_trig_preop_f64 v[36:37], |v[8:9]|, 2
	s_mov_b32 s14, s20
	s_mov_b32 s25, s23
	v_cndmask_b32_e32 v29, v19, v29, vcc
	v_cndmask_b32_e32 v28, v8, v28, vcc
	v_mul_f64 v[30:31], v[6:7], v[28:29]
	v_mul_f64 v[32:33], v[26:27], v[28:29]
	;; [unrolled: 1-line block ×3, first 2 shown]
	v_fma_f64 v[6:7], v[6:7], v[28:29], -v[30:31]
	v_fma_f64 v[26:27], v[26:27], v[28:29], -v[32:33]
	;; [unrolled: 1-line block ×3, first 2 shown]
	v_add_f64 v[34:35], v[32:33], v[6:7]
	v_add_f64 v[38:39], v[34:35], -v[32:33]
	v_add_f64 v[48:49], v[30:31], v[34:35]
	v_add_f64 v[44:45], v[34:35], -v[38:39]
	v_add_f64 v[6:7], v[6:7], -v[38:39]
	v_add_f64 v[38:39], v[46:47], v[26:27]
	v_add_f64 v[30:31], v[48:49], -v[30:31]
	v_add_f64 v[32:33], v[32:33], -v[44:45]
	v_ldexp_f64 v[44:45], v[48:49], -2
	v_add_f64 v[50:51], v[38:39], -v[46:47]
	v_add_f64 v[30:31], v[34:35], -v[30:31]
	v_add_f64 v[6:7], v[6:7], v[32:33]
	v_fract_f64_e32 v[32:33], v[44:45]
	v_cmp_neq_f64_e64 vcc, |v[44:45]|, s[12:13]
	v_add_f64 v[26:27], v[26:27], -v[50:51]
	v_add_f64 v[34:35], v[38:39], v[6:7]
	v_ldexp_f64 v[32:33], v[32:33], 2
	v_add_f64 v[44:45], v[30:31], v[34:35]
	v_cndmask_b32_e32 v33, 0, v33, vcc
	v_cndmask_b32_e32 v32, 0, v32, vcc
	v_add_f64 v[52:53], v[34:35], -v[38:39]
	v_add_f64 v[48:49], v[44:45], v[32:33]
	v_add_f64 v[30:31], v[44:45], -v[30:31]
	v_add_f64 v[54:55], v[34:35], -v[52:53]
	;; [unrolled: 1-line block ×3, first 2 shown]
	v_cmp_gt_f64_e32 vcc, 0, v[48:49]
	v_add_f64 v[48:49], v[38:39], -v[50:51]
	v_add_f64 v[30:31], v[34:35], -v[30:31]
	;; [unrolled: 1-line block ×3, first 2 shown]
	v_cndmask_b32_e32 v19, 0, v40, vcc
	v_add_f64 v[32:33], v[32:33], v[18:19]
	v_add_f64 v[48:49], v[46:47], -v[48:49]
	v_add_f64 v[6:7], v[6:7], v[38:39]
	v_add_f64 v[56:57], v[44:45], v[32:33]
	;; [unrolled: 1-line block ×3, first 2 shown]
	v_cvt_i32_f64_e32 v19, v[56:57]
	v_add_f64 v[6:7], v[26:27], v[6:7]
	v_cvt_f64_i32_e32 v[50:51], v19
	v_add_f64 v[32:33], v[32:33], -v[50:51]
	v_add_f64 v[6:7], v[28:29], v[6:7]
	v_add_f64 v[26:27], v[44:45], v[32:33]
	;; [unrolled: 1-line block ×3, first 2 shown]
	v_add_f64 v[28:29], v[26:27], -v[32:33]
	v_cmp_le_f64_e32 vcc, 0.5, v[26:27]
	v_add_f64 v[28:29], v[44:45], -v[28:29]
	v_addc_co_u32_e64 v24, s[0:1], 0, v19, vcc
	v_cndmask_b32_e32 v19, 0, v41, vcc
	v_add_f64 v[26:27], v[26:27], -v[18:19]
	v_add_f64 v[6:7], v[6:7], v[28:29]
	v_add_f64 v[28:29], v[26:27], v[6:7]
	v_mul_f64 v[30:31], v[28:29], s[14:15]
	v_add_f64 v[26:27], v[28:29], -v[26:27]
	v_fma_f64 v[32:33], v[28:29], s[14:15], -v[30:31]
	v_add_f64 v[6:7], v[6:7], -v[26:27]
	v_fma_f64 v[26:27], v[28:29], s[24:25], v[32:33]
	v_fma_f64 v[26:27], v[6:7], s[14:15], v[26:27]
	v_add_f64 v[6:7], v[30:31], v[26:27]
	v_add_f64 v[28:29], v[6:7], -v[30:31]
	v_add_f64 v[26:27], v[26:27], -v[28:29]
	s_andn2_saveexec_b64 s[0:1], s[88:89]
	s_cbranch_execz .LBB253_269
	s_branch .LBB253_268
.LBB253_267:                            ;   in Loop: Header=BB253_233 Depth=1
	s_andn2_saveexec_b64 s[0:1], s[88:89]
	s_cbranch_execz .LBB253_269
.LBB253_268:                            ;   in Loop: Header=BB253_233 Depth=1
	v_mul_f64 v[6:7], |v[8:9]|, s[26:27]
	s_mov_b32 s22, s28
	v_rndne_f64_e32 v[28:29], v[6:7]
	v_fma_f64 v[6:7], v[28:29], s[20:21], |v[8:9]|
	v_mul_f64 v[26:27], v[28:29], s[28:29]
	v_cvt_i32_f64_e32 v24, v[28:29]
	v_fma_f64 v[34:35], v[28:29], s[28:29], v[6:7]
	v_add_f64 v[30:31], v[6:7], v[26:27]
	v_add_f64 v[32:33], v[6:7], -v[30:31]
	v_add_f64 v[30:31], v[30:31], -v[34:35]
	v_add_f64 v[6:7], v[32:33], v[26:27]
	v_fma_f64 v[26:27], v[28:29], s[22:23], v[26:27]
	v_add_f64 v[6:7], v[30:31], v[6:7]
	v_add_f64 v[6:7], v[6:7], -v[26:27]
	v_fma_f64 v[26:27], v[28:29], s[30:31], v[6:7]
	v_add_f64 v[6:7], v[34:35], v[26:27]
	v_add_f64 v[30:31], v[6:7], -v[34:35]
	v_add_f64 v[26:27], v[26:27], -v[30:31]
.LBB253_269:                            ;   in Loop: Header=BB253_233 Depth=1
	s_or_b64 exec, exec, s[0:1]
                                        ; implicit-def: $vgpr32
                                        ; implicit-def: $vgpr28_vgpr29
                                        ; implicit-def: $vgpr30_vgpr31
	s_and_saveexec_b64 s[0:1], s[80:81]
	s_xor_b64 s[80:81], exec, s[0:1]
	s_cbranch_execz .LBB253_271
; %bb.270:                              ;   in Loop: Header=BB253_233 Depth=1
	v_trig_preop_f64 v[28:29], |v[8:9]|, 0
	s_mov_b32 s0, 0
	s_mov_b32 s1, 0x7b000000
	v_ldexp_f64 v[32:33], |v[8:9]|, s9
	v_cmp_ge_f64_e64 vcc, |v[8:9]|, s[0:1]
	v_trig_preop_f64 v[30:31], |v[8:9]|, 1
	v_and_b32_e32 v19, 0x7fffffff, v9
	v_trig_preop_f64 v[44:45], |v[8:9]|, 2
	s_mov_b32 s14, s20
	s_mov_b32 s25, s23
	v_cndmask_b32_e32 v33, v19, v33, vcc
	v_cndmask_b32_e32 v32, v8, v32, vcc
	v_mul_f64 v[34:35], v[28:29], v[32:33]
	v_mul_f64 v[36:37], v[30:31], v[32:33]
	;; [unrolled: 1-line block ×3, first 2 shown]
	v_fma_f64 v[28:29], v[28:29], v[32:33], -v[34:35]
	v_fma_f64 v[30:31], v[30:31], v[32:33], -v[36:37]
	;; [unrolled: 1-line block ×3, first 2 shown]
	v_add_f64 v[38:39], v[36:37], v[28:29]
	v_add_f64 v[46:47], v[38:39], -v[36:37]
	v_add_f64 v[52:53], v[34:35], v[38:39]
	v_add_f64 v[48:49], v[38:39], -v[46:47]
	v_add_f64 v[28:29], v[28:29], -v[46:47]
	v_add_f64 v[46:47], v[50:51], v[30:31]
	v_add_f64 v[34:35], v[52:53], -v[34:35]
	v_add_f64 v[36:37], v[36:37], -v[48:49]
	v_ldexp_f64 v[48:49], v[52:53], -2
	v_add_f64 v[54:55], v[46:47], -v[50:51]
	v_add_f64 v[34:35], v[38:39], -v[34:35]
	v_add_f64 v[28:29], v[28:29], v[36:37]
	v_fract_f64_e32 v[36:37], v[48:49]
	v_cmp_neq_f64_e64 vcc, |v[48:49]|, s[12:13]
	v_add_f64 v[30:31], v[30:31], -v[54:55]
	v_add_f64 v[38:39], v[46:47], v[28:29]
	v_ldexp_f64 v[36:37], v[36:37], 2
	v_add_f64 v[48:49], v[34:35], v[38:39]
	v_cndmask_b32_e32 v37, 0, v37, vcc
	v_cndmask_b32_e32 v36, 0, v36, vcc
	v_add_f64 v[56:57], v[38:39], -v[46:47]
	v_add_f64 v[52:53], v[48:49], v[36:37]
	v_add_f64 v[34:35], v[48:49], -v[34:35]
	v_add_f64 v[58:59], v[38:39], -v[56:57]
	;; [unrolled: 1-line block ×3, first 2 shown]
	v_cmp_gt_f64_e32 vcc, 0, v[52:53]
	v_add_f64 v[52:53], v[46:47], -v[54:55]
	v_add_f64 v[34:35], v[38:39], -v[34:35]
	;; [unrolled: 1-line block ×3, first 2 shown]
	v_cndmask_b32_e32 v19, 0, v40, vcc
	v_add_f64 v[36:37], v[36:37], v[18:19]
	v_add_f64 v[52:53], v[50:51], -v[52:53]
	v_add_f64 v[28:29], v[28:29], v[46:47]
	v_add_f64 v[60:61], v[48:49], v[36:37]
	;; [unrolled: 1-line block ×3, first 2 shown]
	v_cvt_i32_f64_e32 v19, v[60:61]
	v_add_f64 v[28:29], v[30:31], v[28:29]
	v_cvt_f64_i32_e32 v[54:55], v19
	v_add_f64 v[36:37], v[36:37], -v[54:55]
	v_add_f64 v[28:29], v[32:33], v[28:29]
	v_add_f64 v[30:31], v[48:49], v[36:37]
	v_add_f64 v[28:29], v[34:35], v[28:29]
	v_add_f64 v[32:33], v[30:31], -v[36:37]
	v_cmp_le_f64_e32 vcc, 0.5, v[30:31]
	v_add_f64 v[33:34], v[48:49], -v[32:33]
	v_addc_co_u32_e64 v32, s[0:1], 0, v19, vcc
	v_cndmask_b32_e32 v19, 0, v41, vcc
	v_add_f64 v[30:31], v[30:31], -v[18:19]
	v_add_f64 v[28:29], v[28:29], v[33:34]
	v_add_f64 v[33:34], v[30:31], v[28:29]
	v_mul_f64 v[35:36], v[33:34], s[14:15]
	v_add_f64 v[30:31], v[33:34], -v[30:31]
	v_fma_f64 v[37:38], v[33:34], s[14:15], -v[35:36]
	v_add_f64 v[28:29], v[28:29], -v[30:31]
	v_fma_f64 v[30:31], v[33:34], s[24:25], v[37:38]
	v_fma_f64 v[30:31], v[28:29], s[14:15], v[30:31]
	v_add_f64 v[28:29], v[35:36], v[30:31]
	v_add_f64 v[33:34], v[28:29], -v[35:36]
	v_add_f64 v[30:31], v[30:31], -v[33:34]
	s_andn2_saveexec_b64 s[0:1], s[80:81]
	s_cbranch_execnz .LBB253_272
	s_branch .LBB253_273
.LBB253_271:                            ;   in Loop: Header=BB253_233 Depth=1
	s_andn2_saveexec_b64 s[0:1], s[80:81]
	s_cbranch_execz .LBB253_273
.LBB253_272:                            ;   in Loop: Header=BB253_233 Depth=1
	v_mul_f64 v[28:29], |v[8:9]|, s[26:27]
	s_mov_b32 s22, s28
	v_rndne_f64_e32 v[32:33], v[28:29]
	v_fma_f64 v[28:29], v[32:33], s[20:21], |v[8:9]|
	v_mul_f64 v[30:31], v[32:33], s[28:29]
	v_fma_f64 v[38:39], v[32:33], s[28:29], v[28:29]
	v_add_f64 v[34:35], v[28:29], v[30:31]
	v_add_f64 v[36:37], v[28:29], -v[34:35]
	v_add_f64 v[34:35], v[34:35], -v[38:39]
	v_add_f64 v[28:29], v[36:37], v[30:31]
	v_fma_f64 v[30:31], v[32:33], s[22:23], v[30:31]
	v_add_f64 v[28:29], v[34:35], v[28:29]
	v_add_f64 v[28:29], v[28:29], -v[30:31]
	v_fma_f64 v[30:31], v[32:33], s[30:31], v[28:29]
	v_cvt_i32_f64_e32 v32, v[32:33]
	v_add_f64 v[28:29], v[38:39], v[30:31]
	v_add_f64 v[34:35], v[28:29], -v[38:39]
	v_add_f64 v[30:31], v[30:31], -v[34:35]
.LBB253_273:                            ;   in Loop: Header=BB253_233 Depth=1
	s_or_b64 exec, exec, s[0:1]
	v_mul_f64 v[33:34], v[6:7], v[6:7]
	v_mov_b32_e32 v46, s62
	v_mov_b32_e32 v47, s63
	v_mul_f64 v[50:51], v[26:27], 0.5
	s_mov_b32 s92, s56
	v_and_b32_e32 v19, 1, v24
	v_cmp_eq_u32_e32 vcc, 0, v19
	v_lshlrev_b32_e32 v19, 30, v24
	v_mul_f64 v[35:36], v[33:34], 0.5
	v_fma_f64 v[48:49], v[33:34], s[64:65], v[46:47]
	v_and_b32_e32 v19, 0x80000000, v19
	v_add_f64 v[37:38], -v[35:36], 1.0
	v_fma_f64 v[48:49], v[33:34], v[48:49], s[66:67]
	v_add_f64 v[44:45], -v[37:38], 1.0
	v_fma_f64 v[48:49], v[33:34], v[48:49], s[68:69]
	v_add_f64 v[35:36], v[44:45], -v[35:36]
	v_fma_f64 v[48:49], v[33:34], v[48:49], s[70:71]
	v_mul_f64 v[44:45], v[33:34], v[33:34]
	v_fma_f64 v[35:36], v[6:7], -v[26:27], v[35:36]
	v_fma_f64 v[48:49], v[33:34], v[48:49], s[56:57]
	v_fma_f64 v[35:36], v[44:45], v[48:49], v[35:36]
	v_mul_f64 v[48:49], v[6:7], -v[33:34]
	v_add_f64 v[35:36], v[37:38], v[35:36]
	v_mov_b32_e32 v37, s72
	v_mov_b32_e32 v38, s73
	v_fma_f64 v[44:45], v[33:34], s[74:75], v[37:38]
	v_fma_f64 v[44:45], v[33:34], v[44:45], s[76:77]
	;; [unrolled: 1-line block ×5, first 2 shown]
	v_fma_f64 v[26:27], v[33:34], v[44:45], -v[26:27]
	v_fma_f64 v[26:27], v[48:49], s[92:93], v[26:27]
	v_add_f64 v[6:7], v[6:7], -v[26:27]
	v_xor_b32_e32 v7, 0x80000000, v7
	v_cndmask_b32_e32 v6, v6, v35, vcc
	v_cndmask_b32_e32 v7, v7, v36, vcc
	v_cmp_class_f64_e64 vcc, v[8:9], s10
	v_xor_b32_e32 v7, v7, v19
	v_and_b32_e32 v19, 1, v32
	v_cmp_eq_u32_e64 s[0:1], 0, v19
	v_cndmask_b32_e32 v26, 0, v6, vcc
	v_cndmask_b32_e32 v27, v43, v7, vcc
	v_mul_f64 v[6:7], v[28:29], v[28:29]
	v_mul_f64 v[8:9], v[6:7], 0.5
	v_fma_f64 v[44:45], v[6:7], s[64:65], v[46:47]
	v_add_f64 v[33:34], -v[8:9], 1.0
	v_fma_f64 v[44:45], v[6:7], v[44:45], s[66:67]
	v_add_f64 v[35:36], -v[33:34], 1.0
	v_fma_f64 v[44:45], v[6:7], v[44:45], s[68:69]
	v_add_f64 v[8:9], v[35:36], -v[8:9]
	v_fma_f64 v[44:45], v[6:7], v[44:45], s[70:71]
	v_mul_f64 v[35:36], v[6:7], v[6:7]
	v_fma_f64 v[8:9], v[28:29], -v[30:31], v[8:9]
	v_fma_f64 v[44:45], v[6:7], v[44:45], s[56:57]
	v_fma_f64 v[8:9], v[35:36], v[44:45], v[8:9]
	v_mul_f64 v[35:36], v[28:29], -v[6:7]
	v_add_f64 v[8:9], v[33:34], v[8:9]
	v_fma_f64 v[33:34], v[6:7], s[74:75], v[37:38]
	v_mul_f64 v[37:38], v[30:31], 0.5
	v_fma_f64 v[33:34], v[6:7], v[33:34], s[76:77]
	v_fma_f64 v[33:34], v[6:7], v[33:34], s[78:79]
	;; [unrolled: 1-line block ×4, first 2 shown]
	v_fma_f64 v[6:7], v[6:7], v[33:34], -v[30:31]
	v_fma_f64 v[6:7], v[35:36], s[92:93], v[6:7]
	v_add_f64 v[6:7], v[28:29], -v[6:7]
	v_cndmask_b32_e64 v6, v8, v6, s[0:1]
	v_lshlrev_b32_e32 v8, 30, v32
	v_xor_b32_e32 v8, v8, v25
	v_cndmask_b32_e64 v7, v9, v7, s[0:1]
	v_and_b32_e32 v8, 0x80000000, v8
	v_xor_b32_e32 v7, v7, v8
	v_cndmask_b32_e32 v24, 0, v6, vcc
	v_cndmask_b32_e32 v25, v43, v7, vcc
.LBB253_274:                            ;   in Loop: Header=BB253_233 Depth=1
	s_or_b64 exec, exec, s[2:3]
                                        ; implicit-def: $vgpr6_vgpr7
.LBB253_275:                            ;   in Loop: Header=BB253_233 Depth=1
	s_andn2_saveexec_b64 s[2:3], s[94:95]
	s_cbranch_execz .LBB253_277
; %bb.276:                              ;   in Loop: Header=BB253_233 Depth=1
	s_mov_b32 s34, s36
	v_mul_f64 v[8:9], v[6:7], s[34:35]
	s_mov_b32 s55, s53
	s_mov_b32 s83, s57
	v_cmp_ngt_f64_e32 vcc, s[84:85], v[6:7]
	v_cmp_nlt_f64_e64 s[0:1], s[86:87], v[6:7]
	v_rndne_f64_e32 v[8:9], v[8:9]
	v_fma_f64 v[26:27], v[8:9], s[38:39], -v[6:7]
	v_fma_f64 v[26:27], v[8:9], s[40:41], v[26:27]
	v_cvt_i32_f64_e32 v8, v[8:9]
	v_fma_f64 v[28:29], v[26:27], s[42:43], v[22:23]
	v_fma_f64 v[28:29], v[26:27], v[28:29], s[44:45]
	;; [unrolled: 1-line block ×9, first 2 shown]
	v_fma_f64 v[28:29], v[26:27], v[28:29], 1.0
	v_fma_f64 v[26:27], v[26:27], v[28:29], 1.0
	v_ldexp_f64 v[8:9], v[26:27], v8
	v_cndmask_b32_e32 v9, v42, v9, vcc
	s_and_b64 vcc, s[0:1], vcc
	v_cndmask_b32_e64 v27, 0, v9, s[0:1]
	v_cndmask_b32_e32 v26, 0, v8, vcc
.LBB253_277:                            ;   in Loop: Header=BB253_233 Depth=1
	s_or_b64 exec, exec, s[2:3]
	v_add_f64 v[28:29], s[16:17], v[26:27]
	v_add_f64 v[26:27], s[18:19], v[24:25]
	v_cmp_gt_f64_e32 vcc, 0, v[28:29]
	v_xor_b32_e32 v6, 0x80000000, v29
	v_xor_b32_e32 v7, 0x80000000, v27
	v_mov_b32_e32 v24, v28
	v_mov_b32_e32 v30, v26
	v_cndmask_b32_e32 v25, v29, v6, vcc
	v_cmp_gt_f64_e32 vcc, 0, v[26:27]
	v_cndmask_b32_e32 v31, v27, v7, vcc
	v_cmp_ge_f64_e32 vcc, v[24:25], v[30:31]
                                        ; implicit-def: $vgpr8_vgpr9
	s_and_saveexec_b64 s[0:1], vcc
	s_xor_b64 s[2:3], exec, s[0:1]
	s_cbranch_execz .LBB253_283
; %bb.278:                              ;   in Loop: Header=BB253_233 Depth=1
	v_cmp_neq_f64_e32 vcc, 0, v[28:29]
	v_cmp_neq_f64_e64 s[0:1], 0, v[26:27]
                                        ; implicit-def: $vgpr8_vgpr9
	s_or_b64 s[0:1], vcc, s[0:1]
	s_and_saveexec_b64 s[80:81], s[0:1]
	s_xor_b64 s[0:1], exec, s[80:81]
	s_cbranch_execz .LBB253_280
; %bb.279:                              ;   in Loop: Header=BB253_233 Depth=1
	v_div_scale_f64 v[6:7], s[80:81], v[28:29], v[28:29], v[26:27]
	v_rcp_f64_e32 v[8:9], v[6:7]
	v_fma_f64 v[24:25], -v[6:7], v[8:9], 1.0
	v_fma_f64 v[8:9], v[8:9], v[24:25], v[8:9]
	v_div_scale_f64 v[24:25], vcc, v[26:27], v[28:29], v[26:27]
	v_fma_f64 v[30:31], -v[6:7], v[8:9], 1.0
	v_fma_f64 v[8:9], v[8:9], v[30:31], v[8:9]
	v_mul_f64 v[30:31], v[24:25], v[8:9]
	v_fma_f64 v[6:7], -v[6:7], v[30:31], v[24:25]
	v_div_fmas_f64 v[6:7], v[6:7], v[8:9], v[30:31]
	v_div_fixup_f64 v[6:7], v[6:7], v[28:29], v[26:27]
	v_fma_f64 v[8:9], v[26:27], v[6:7], v[28:29]
	v_div_scale_f64 v[24:25], s[80:81], v[8:9], v[8:9], 1.0
	v_rcp_f64_e32 v[26:27], v[24:25]
	v_fma_f64 v[28:29], -v[24:25], v[26:27], 1.0
	v_fma_f64 v[26:27], v[26:27], v[28:29], v[26:27]
	v_div_scale_f64 v[28:29], vcc, 1.0, v[8:9], 1.0
	v_fma_f64 v[30:31], -v[24:25], v[26:27], 1.0
	v_fma_f64 v[26:27], v[26:27], v[30:31], v[26:27]
	v_mul_f64 v[30:31], v[28:29], v[26:27]
	v_fma_f64 v[24:25], -v[24:25], v[30:31], v[28:29]
	v_mov_b32_e32 v29, s19
	v_mov_b32_e32 v28, s18
	v_div_fmas_f64 v[24:25], v[24:25], v[26:27], v[30:31]
	v_mov_b32_e32 v27, s17
	v_mov_b32_e32 v26, s16
	v_fma_f64 v[26:27], s[18:19], v[6:7], v[26:27]
                                        ; implicit-def: $vgpr30_vgpr31
	v_div_fixup_f64 v[8:9], v[24:25], v[8:9], 1.0
	v_fma_f64 v[24:25], -s[16:17], v[6:7], v[28:29]
	v_mul_f64 v[6:7], v[26:27], v[8:9]
	v_mul_f64 v[8:9], v[24:25], v[8:9]
                                        ; implicit-def: $vgpr24_vgpr25
.LBB253_280:                            ;   in Loop: Header=BB253_233 Depth=1
	s_andn2_saveexec_b64 s[80:81], s[0:1]
	s_cbranch_execz .LBB253_282
; %bb.281:                              ;   in Loop: Header=BB253_233 Depth=1
	v_div_scale_f64 v[6:7], s[0:1], v[24:25], v[24:25], s[16:17]
	v_div_scale_f64 v[8:9], s[0:1], v[30:31], v[30:31], s[18:19]
	v_div_scale_f64 v[36:37], s[0:1], s[18:19], v[30:31], s[18:19]
	v_rcp_f64_e32 v[26:27], v[6:7]
	v_rcp_f64_e32 v[28:29], v[8:9]
	v_fma_f64 v[32:33], -v[6:7], v[26:27], 1.0
	v_fma_f64 v[34:35], -v[8:9], v[28:29], 1.0
	v_fma_f64 v[26:27], v[26:27], v[32:33], v[26:27]
	v_div_scale_f64 v[32:33], vcc, s[16:17], v[24:25], s[16:17]
	v_fma_f64 v[28:29], v[28:29], v[34:35], v[28:29]
	v_fma_f64 v[34:35], -v[6:7], v[26:27], 1.0
	v_fma_f64 v[38:39], -v[8:9], v[28:29], 1.0
	v_fma_f64 v[26:27], v[26:27], v[34:35], v[26:27]
	v_fma_f64 v[28:29], v[28:29], v[38:39], v[28:29]
	v_mul_f64 v[34:35], v[32:33], v[26:27]
	v_mul_f64 v[38:39], v[36:37], v[28:29]
	v_fma_f64 v[6:7], -v[6:7], v[34:35], v[32:33]
	v_fma_f64 v[8:9], -v[8:9], v[38:39], v[36:37]
	v_div_fmas_f64 v[6:7], v[6:7], v[26:27], v[34:35]
	s_mov_b64 vcc, s[0:1]
	v_div_fmas_f64 v[8:9], v[8:9], v[28:29], v[38:39]
	v_div_fixup_f64 v[6:7], v[6:7], v[24:25], s[16:17]
	v_div_fixup_f64 v[8:9], v[8:9], v[30:31], s[18:19]
.LBB253_282:                            ;   in Loop: Header=BB253_233 Depth=1
	s_or_b64 exec, exec, s[80:81]
                                        ; implicit-def: $vgpr26_vgpr27
                                        ; implicit-def: $vgpr28_vgpr29
.LBB253_283:                            ;   in Loop: Header=BB253_233 Depth=1
	s_andn2_saveexec_b64 s[0:1], s[2:3]
	s_cbranch_execz .LBB253_285
; %bb.284:                              ;   in Loop: Header=BB253_233 Depth=1
	v_div_scale_f64 v[6:7], s[2:3], v[26:27], v[26:27], v[28:29]
	v_rcp_f64_e32 v[8:9], v[6:7]
	v_fma_f64 v[24:25], -v[6:7], v[8:9], 1.0
	v_fma_f64 v[8:9], v[8:9], v[24:25], v[8:9]
	v_div_scale_f64 v[24:25], vcc, v[28:29], v[26:27], v[28:29]
	v_fma_f64 v[30:31], -v[6:7], v[8:9], 1.0
	v_fma_f64 v[8:9], v[8:9], v[30:31], v[8:9]
	v_mul_f64 v[30:31], v[24:25], v[8:9]
	v_fma_f64 v[6:7], -v[6:7], v[30:31], v[24:25]
	v_div_fmas_f64 v[6:7], v[6:7], v[8:9], v[30:31]
	v_div_fixup_f64 v[6:7], v[6:7], v[26:27], v[28:29]
	v_fma_f64 v[8:9], v[28:29], v[6:7], v[26:27]
	v_div_scale_f64 v[24:25], s[2:3], v[8:9], v[8:9], 1.0
	v_rcp_f64_e32 v[26:27], v[24:25]
	v_fma_f64 v[28:29], -v[24:25], v[26:27], 1.0
	v_fma_f64 v[26:27], v[26:27], v[28:29], v[26:27]
	v_div_scale_f64 v[28:29], vcc, 1.0, v[8:9], 1.0
	v_fma_f64 v[30:31], -v[24:25], v[26:27], 1.0
	v_fma_f64 v[26:27], v[26:27], v[30:31], v[26:27]
	v_mul_f64 v[30:31], v[28:29], v[26:27]
	v_fma_f64 v[24:25], -v[24:25], v[30:31], v[28:29]
	v_mov_b32_e32 v29, s17
	v_mov_b32_e32 v28, s16
	v_div_fmas_f64 v[24:25], v[24:25], v[26:27], v[30:31]
	v_mov_b32_e32 v27, s19
	v_mov_b32_e32 v26, s18
	v_fma_f64 v[26:27], s[16:17], v[6:7], v[26:27]
	v_div_fixup_f64 v[8:9], v[24:25], v[8:9], 1.0
	v_fma_f64 v[24:25], s[18:19], v[6:7], -v[28:29]
	v_mul_f64 v[6:7], v[26:27], v[8:9]
	v_mul_f64 v[8:9], v[24:25], v[8:9]
.LBB253_285:                            ;   in Loop: Header=BB253_233 Depth=1
	s_or_b64 exec, exec, s[0:1]
	s_waitcnt vmcnt(2)
	v_xor_b32_e32 v25, 0x80000000, v17
	v_and_b32_e32 v30, 0x7fffffff, v25
	v_or_b32_e32 v19, v30, v16
	v_mov_b32_e32 v24, v16
	v_cmp_ne_u32_e32 vcc, 0, v19
                                        ; implicit-def: $vgpr26_vgpr27
	s_and_saveexec_b64 s[0:1], vcc
	s_xor_b64 s[94:95], exec, s[0:1]
	s_cbranch_execz .LBB253_327
; %bb.286:                              ;   in Loop: Header=BB253_233 Depth=1
	v_xor_b32_e32 v29, 0x80000000, v15
	v_and_b32_e32 v19, 0x7fffffff, v29
	v_or_b32_e32 v24, v19, v14
	v_mov_b32_e32 v28, v14
	v_cmp_ne_u32_e32 vcc, 0, v24
                                        ; implicit-def: $vgpr26_vgpr27
	s_and_saveexec_b64 s[0:1], vcc
	s_xor_b64 s[80:81], exec, s[0:1]
	s_cbranch_execz .LBB253_316
; %bb.287:                              ;   in Loop: Header=BB253_233 Depth=1
	v_cmp_gt_u32_e32 vcc, s11, v30
                                        ; implicit-def: $vgpr26_vgpr27
	s_and_saveexec_b64 s[0:1], vcc
	s_xor_b64 s[88:89], exec, s[0:1]
	s_cbranch_execz .LBB253_309
; %bb.288:                              ;   in Loop: Header=BB253_233 Depth=1
	v_add_u32_e32 v19, 0xbf79d1be, v29
	s_mov_b32 s0, 0x108aa2
	v_cmp_lt_u32_e32 vcc, s0, v19
                                        ; implicit-def: $vgpr26_vgpr27
	s_and_saveexec_b64 s[0:1], vcc
	s_xor_b64 s[90:91], exec, s[0:1]
	s_cbranch_execz .LBB253_298
; %bb.289:                              ;   in Loop: Header=BB253_233 Depth=1
	s_mov_b32 s0, 0
	s_mov_b32 s1, 0x41d00000
	v_cmp_nlt_f64_e64 s[0:1], |v[16:17]|, s[0:1]
                                        ; implicit-def: $vgpr24
                                        ; implicit-def: $vgpr26_vgpr27
                                        ; implicit-def: $vgpr28_vgpr29
	s_and_saveexec_b64 s[2:3], s[0:1]
	s_xor_b64 s[2:3], exec, s[2:3]
	s_cbranch_execz .LBB253_291
; %bb.290:                              ;   in Loop: Header=BB253_233 Depth=1
	v_trig_preop_f64 v[26:27], |v[16:17]|, 0
	s_mov_b32 vcc_lo, 0
	s_mov_b32 vcc_hi, 0x7b000000
	v_ldexp_f64 v[28:29], |v[16:17]|, s9
	v_cmp_ge_f64_e64 vcc, |v[16:17]|, vcc
	v_trig_preop_f64 v[30:31], |v[16:17]|, 1
	v_and_b32_e32 v19, 0x7fffffff, v17
	v_trig_preop_f64 v[38:39], |v[16:17]|, 2
	s_mov_b32 s14, s20
	s_mov_b32 s25, s23
	v_cndmask_b32_e32 v29, v19, v29, vcc
	v_cndmask_b32_e32 v28, v16, v28, vcc
	v_mul_f64 v[32:33], v[26:27], v[28:29]
	v_mul_f64 v[34:35], v[30:31], v[28:29]
	;; [unrolled: 1-line block ×3, first 2 shown]
	v_fma_f64 v[26:27], v[26:27], v[28:29], -v[32:33]
	v_fma_f64 v[30:31], v[30:31], v[28:29], -v[34:35]
	;; [unrolled: 1-line block ×3, first 2 shown]
	v_add_f64 v[36:37], v[34:35], v[26:27]
	v_add_f64 v[44:45], v[36:37], -v[34:35]
	v_add_f64 v[50:51], v[32:33], v[36:37]
	v_add_f64 v[46:47], v[36:37], -v[44:45]
	v_add_f64 v[26:27], v[26:27], -v[44:45]
	v_add_f64 v[44:45], v[48:49], v[30:31]
	v_add_f64 v[32:33], v[50:51], -v[32:33]
	v_add_f64 v[34:35], v[34:35], -v[46:47]
	v_ldexp_f64 v[46:47], v[50:51], -2
	v_add_f64 v[52:53], v[44:45], -v[48:49]
	v_add_f64 v[32:33], v[36:37], -v[32:33]
	v_add_f64 v[26:27], v[26:27], v[34:35]
	v_fract_f64_e32 v[34:35], v[46:47]
	v_cmp_neq_f64_e64 vcc, |v[46:47]|, s[12:13]
	v_add_f64 v[30:31], v[30:31], -v[52:53]
	v_add_f64 v[36:37], v[44:45], v[26:27]
	v_ldexp_f64 v[34:35], v[34:35], 2
	v_add_f64 v[46:47], v[32:33], v[36:37]
	v_cndmask_b32_e32 v35, 0, v35, vcc
	v_cndmask_b32_e32 v34, 0, v34, vcc
	v_add_f64 v[54:55], v[36:37], -v[44:45]
	v_add_f64 v[50:51], v[46:47], v[34:35]
	v_add_f64 v[32:33], v[46:47], -v[32:33]
	v_add_f64 v[56:57], v[36:37], -v[54:55]
	v_add_f64 v[26:27], v[26:27], -v[54:55]
	v_cmp_gt_f64_e32 vcc, 0, v[50:51]
	v_add_f64 v[50:51], v[44:45], -v[52:53]
	v_add_f64 v[32:33], v[36:37], -v[32:33]
	;; [unrolled: 1-line block ×3, first 2 shown]
	v_cndmask_b32_e32 v19, 0, v40, vcc
	v_add_f64 v[34:35], v[34:35], v[18:19]
	v_add_f64 v[50:51], v[48:49], -v[50:51]
	v_add_f64 v[26:27], v[26:27], v[44:45]
	v_add_f64 v[58:59], v[46:47], v[34:35]
	;; [unrolled: 1-line block ×3, first 2 shown]
	v_cvt_i32_f64_e32 v24, v[58:59]
	v_add_f64 v[26:27], v[30:31], v[26:27]
	v_cvt_f64_i32_e32 v[52:53], v24
	v_add_f64 v[34:35], v[34:35], -v[52:53]
	v_add_f64 v[26:27], v[28:29], v[26:27]
	v_add_f64 v[30:31], v[46:47], v[34:35]
	;; [unrolled: 1-line block ×3, first 2 shown]
	v_add_f64 v[28:29], v[30:31], -v[34:35]
	v_cmp_le_f64_e32 vcc, 0.5, v[30:31]
	v_add_f64 v[28:29], v[46:47], -v[28:29]
	v_cndmask_b32_e32 v19, 0, v41, vcc
	v_addc_co_u32_e32 v24, vcc, 0, v24, vcc
	v_add_f64 v[26:27], v[26:27], v[28:29]
	v_add_f64 v[28:29], v[30:31], -v[18:19]
	v_add_f64 v[30:31], v[28:29], v[26:27]
	v_mul_f64 v[32:33], v[30:31], s[14:15]
	v_add_f64 v[28:29], v[30:31], -v[28:29]
	v_fma_f64 v[34:35], v[30:31], s[14:15], -v[32:33]
	v_add_f64 v[26:27], v[26:27], -v[28:29]
	v_fma_f64 v[28:29], v[30:31], s[24:25], v[34:35]
	v_fma_f64 v[28:29], v[26:27], s[14:15], v[28:29]
	v_add_f64 v[26:27], v[32:33], v[28:29]
	v_add_f64 v[30:31], v[26:27], -v[32:33]
	v_add_f64 v[28:29], v[28:29], -v[30:31]
	s_andn2_saveexec_b64 s[2:3], s[2:3]
	s_cbranch_execz .LBB253_293
	s_branch .LBB253_292
.LBB253_291:                            ;   in Loop: Header=BB253_233 Depth=1
	s_andn2_saveexec_b64 s[2:3], s[2:3]
	s_cbranch_execz .LBB253_293
.LBB253_292:                            ;   in Loop: Header=BB253_233 Depth=1
	v_mul_f64 v[26:27], |v[16:17]|, s[26:27]
	s_mov_b32 s22, s28
	v_rndne_f64_e32 v[30:31], v[26:27]
	v_fma_f64 v[26:27], v[30:31], s[20:21], |v[16:17]|
	v_mul_f64 v[28:29], v[30:31], s[28:29]
	v_cvt_i32_f64_e32 v24, v[30:31]
	v_fma_f64 v[36:37], v[30:31], s[28:29], v[26:27]
	v_add_f64 v[32:33], v[26:27], v[28:29]
	v_add_f64 v[34:35], v[26:27], -v[32:33]
	v_add_f64 v[32:33], v[32:33], -v[36:37]
	v_add_f64 v[26:27], v[34:35], v[28:29]
	v_fma_f64 v[28:29], v[30:31], s[22:23], v[28:29]
	v_add_f64 v[26:27], v[32:33], v[26:27]
	v_add_f64 v[26:27], v[26:27], -v[28:29]
	v_fma_f64 v[28:29], v[30:31], s[30:31], v[26:27]
	v_add_f64 v[26:27], v[36:37], v[28:29]
	v_add_f64 v[32:33], v[26:27], -v[36:37]
	v_add_f64 v[28:29], v[28:29], -v[32:33]
.LBB253_293:                            ;   in Loop: Header=BB253_233 Depth=1
	s_or_b64 exec, exec, s[2:3]
                                        ; implicit-def: $vgpr44
                                        ; implicit-def: $vgpr30_vgpr31
                                        ; implicit-def: $vgpr34_vgpr35
	s_and_saveexec_b64 s[2:3], s[0:1]
	s_xor_b64 s[2:3], exec, s[2:3]
	s_cbranch_execz .LBB253_295
; %bb.294:                              ;   in Loop: Header=BB253_233 Depth=1
	v_trig_preop_f64 v[30:31], |v[16:17]|, 0
	s_mov_b32 s0, 0
	s_mov_b32 s1, 0x7b000000
	v_ldexp_f64 v[34:35], |v[16:17]|, s9
	v_cmp_ge_f64_e64 vcc, |v[16:17]|, s[0:1]
	v_trig_preop_f64 v[32:33], |v[16:17]|, 1
	v_and_b32_e32 v19, 0x7fffffff, v17
	v_trig_preop_f64 v[46:47], |v[16:17]|, 2
	s_mov_b32 s14, s20
	s_mov_b32 s25, s23
	v_cndmask_b32_e32 v35, v19, v35, vcc
	v_cndmask_b32_e32 v34, v16, v34, vcc
	v_mul_f64 v[36:37], v[30:31], v[34:35]
	v_mul_f64 v[38:39], v[32:33], v[34:35]
	;; [unrolled: 1-line block ×3, first 2 shown]
	v_fma_f64 v[30:31], v[30:31], v[34:35], -v[36:37]
	v_fma_f64 v[32:33], v[32:33], v[34:35], -v[38:39]
	;; [unrolled: 1-line block ×3, first 2 shown]
	v_add_f64 v[44:45], v[38:39], v[30:31]
	v_add_f64 v[48:49], v[44:45], -v[38:39]
	v_add_f64 v[54:55], v[36:37], v[44:45]
	v_add_f64 v[50:51], v[44:45], -v[48:49]
	v_add_f64 v[30:31], v[30:31], -v[48:49]
	v_add_f64 v[48:49], v[52:53], v[32:33]
	v_add_f64 v[36:37], v[54:55], -v[36:37]
	v_add_f64 v[38:39], v[38:39], -v[50:51]
	v_ldexp_f64 v[50:51], v[54:55], -2
	v_add_f64 v[56:57], v[48:49], -v[52:53]
	v_add_f64 v[36:37], v[44:45], -v[36:37]
	v_add_f64 v[30:31], v[30:31], v[38:39]
	v_fract_f64_e32 v[38:39], v[50:51]
	v_cmp_neq_f64_e64 vcc, |v[50:51]|, s[12:13]
	v_add_f64 v[32:33], v[32:33], -v[56:57]
	v_add_f64 v[44:45], v[48:49], v[30:31]
	v_ldexp_f64 v[38:39], v[38:39], 2
	v_add_f64 v[50:51], v[36:37], v[44:45]
	v_cndmask_b32_e32 v39, 0, v39, vcc
	v_cndmask_b32_e32 v38, 0, v38, vcc
	v_add_f64 v[58:59], v[44:45], -v[48:49]
	v_add_f64 v[54:55], v[50:51], v[38:39]
	v_add_f64 v[36:37], v[50:51], -v[36:37]
	v_add_f64 v[60:61], v[44:45], -v[58:59]
	;; [unrolled: 1-line block ×3, first 2 shown]
	v_cmp_gt_f64_e32 vcc, 0, v[54:55]
	v_add_f64 v[54:55], v[48:49], -v[56:57]
	v_add_f64 v[36:37], v[44:45], -v[36:37]
	;; [unrolled: 1-line block ×3, first 2 shown]
	v_cndmask_b32_e32 v19, 0, v40, vcc
	v_add_f64 v[38:39], v[38:39], v[18:19]
	v_add_f64 v[54:55], v[52:53], -v[54:55]
	v_add_f64 v[30:31], v[30:31], v[48:49]
	v_add_f64 v[62:63], v[50:51], v[38:39]
	;; [unrolled: 1-line block ×3, first 2 shown]
	v_cvt_i32_f64_e32 v19, v[62:63]
	v_add_f64 v[30:31], v[32:33], v[30:31]
	v_cvt_f64_i32_e32 v[56:57], v19
	v_add_f64 v[38:39], v[38:39], -v[56:57]
	v_add_f64 v[30:31], v[34:35], v[30:31]
	v_add_f64 v[32:33], v[50:51], v[38:39]
	v_add_f64 v[30:31], v[36:37], v[30:31]
	v_add_f64 v[34:35], v[32:33], -v[38:39]
	v_cmp_le_f64_e32 vcc, 0.5, v[32:33]
	v_add_f64 v[34:35], v[50:51], -v[34:35]
	v_addc_co_u32_e64 v44, s[0:1], 0, v19, vcc
	v_cndmask_b32_e32 v19, 0, v41, vcc
	v_add_f64 v[32:33], v[32:33], -v[18:19]
	v_add_f64 v[30:31], v[30:31], v[34:35]
	v_add_f64 v[34:35], v[32:33], v[30:31]
	v_mul_f64 v[36:37], v[34:35], s[14:15]
	v_add_f64 v[32:33], v[34:35], -v[32:33]
	v_fma_f64 v[38:39], v[34:35], s[14:15], -v[36:37]
	v_add_f64 v[30:31], v[30:31], -v[32:33]
	v_fma_f64 v[32:33], v[34:35], s[24:25], v[38:39]
	v_fma_f64 v[32:33], v[30:31], s[14:15], v[32:33]
	v_add_f64 v[30:31], v[36:37], v[32:33]
	v_add_f64 v[34:35], v[30:31], -v[36:37]
	v_add_f64 v[34:35], v[32:33], -v[34:35]
	s_andn2_saveexec_b64 s[0:1], s[2:3]
	s_cbranch_execnz .LBB253_296
	s_branch .LBB253_297
.LBB253_295:                            ;   in Loop: Header=BB253_233 Depth=1
	s_andn2_saveexec_b64 s[0:1], s[2:3]
	s_cbranch_execz .LBB253_297
.LBB253_296:                            ;   in Loop: Header=BB253_233 Depth=1
	v_mul_f64 v[30:31], |v[16:17]|, s[26:27]
	s_mov_b32 s22, s28
	v_rndne_f64_e32 v[32:33], v[30:31]
	v_fma_f64 v[30:31], v[32:33], s[20:21], |v[16:17]|
	v_mul_f64 v[34:35], v[32:33], s[28:29]
	v_fma_f64 v[44:45], v[32:33], s[28:29], v[30:31]
	v_add_f64 v[36:37], v[30:31], v[34:35]
	v_add_f64 v[38:39], v[30:31], -v[36:37]
	v_add_f64 v[36:37], v[36:37], -v[44:45]
	v_add_f64 v[30:31], v[38:39], v[34:35]
	v_fma_f64 v[34:35], v[32:33], s[22:23], v[34:35]
	v_add_f64 v[30:31], v[36:37], v[30:31]
	v_add_f64 v[30:31], v[30:31], -v[34:35]
	v_fma_f64 v[34:35], v[32:33], s[30:31], v[30:31]
	v_add_f64 v[30:31], v[44:45], v[34:35]
	v_add_f64 v[36:37], v[30:31], -v[44:45]
	v_cvt_i32_f64_e32 v44, v[32:33]
	v_add_f64 v[34:35], v[34:35], -v[36:37]
.LBB253_297:                            ;   in Loop: Header=BB253_233 Depth=1
	s_or_b64 exec, exec, s[0:1]
	s_mov_b32 s34, s36
	v_mul_f64 v[32:33], v[14:15], s[34:35]
	v_mul_f64 v[47:48], v[30:31], v[30:31]
	v_mov_b32_e32 v49, s72
	v_mov_b32_e32 v50, s73
	;; [unrolled: 1-line block ×4, first 2 shown]
	s_mov_b32 s55, s53
	s_mov_b32 s83, s57
	v_rndne_f64_e32 v[32:33], v[32:33]
	v_mul_f64 v[63:64], v[47:48], 0.5
	v_mul_f64 v[55:56], v[28:29], 0.5
	;; [unrolled: 1-line block ×3, first 2 shown]
	v_mul_f64 v[71:72], v[30:31], -v[47:48]
	s_mov_b32 s92, s56
	v_and_b32_e32 v19, 1, v24
	v_lshlrev_b32_e32 v24, 30, v24
	v_fma_f64 v[36:37], v[32:33], s[38:39], -v[14:15]
	v_add_f64 v[69:70], -v[63:64], 1.0
	v_cmp_eq_u32_e32 vcc, 0, v19
	v_cmp_class_f64_e64 s[0:1], v[16:17], s10
	v_fma_f64 v[36:37], v[32:33], s[40:41], v[36:37]
	v_add_f64 v[75:76], -v[69:70], 1.0
	v_cvt_i32_f64_e32 v32, v[32:33]
	v_fma_f64 v[38:39], v[36:37], s[42:43], v[22:23]
	v_fma_f64 v[45:46], v[36:37], v[38:39], s[44:45]
	v_mul_f64 v[38:39], v[26:27], v[26:27]
	v_fma_f64 v[45:46], v[36:37], v[45:46], s[46:47]
	v_fma_f64 v[51:52], v[38:39], s[74:75], v[49:50]
	;; [unrolled: 1-line block ×4, first 2 shown]
	v_mul_f64 v[61:62], v[38:39], 0.5
	v_fma_f64 v[53:54], v[47:48], s[64:65], v[53:54]
	v_mul_f64 v[65:66], v[26:27], -v[38:39]
	v_mul_f64 v[77:78], v[38:39], v[38:39]
	v_fma_f64 v[45:46], v[36:37], v[45:46], s[48:49]
	v_fma_f64 v[51:52], v[38:39], v[51:52], s[76:77]
	;; [unrolled: 1-line block ×4, first 2 shown]
	v_add_f64 v[67:68], -v[61:62], 1.0
	v_fma_f64 v[53:54], v[47:48], v[53:54], s[66:67]
	v_fma_f64 v[45:46], v[36:37], v[45:46], s[50:51]
	;; [unrolled: 1-line block ×5, first 2 shown]
	v_add_f64 v[73:74], -v[67:68], 1.0
	v_fma_f64 v[53:54], v[47:48], v[53:54], s[68:69]
	v_fma_f64 v[45:46], v[36:37], v[45:46], s[54:55]
	;; [unrolled: 1-line block ×8, first 2 shown]
	v_add_f64 v[59:60], v[73:74], -v[61:62]
	v_add_f64 v[61:62], v[75:76], -v[63:64]
	v_fma_f64 v[49:50], v[71:72], v[49:50], v[57:58]
	v_mul_f64 v[57:58], v[47:48], v[47:48]
	v_fma_f64 v[53:54], v[47:48], v[53:54], s[56:57]
	v_fma_f64 v[45:46], v[36:37], v[45:46], s[58:59]
	v_fma_f64 v[51:52], v[38:39], v[51:52], -v[28:29]
	v_fma_f64 v[38:39], v[38:39], v[55:56], s[56:57]
	v_fma_f64 v[28:29], v[26:27], -v[28:29], v[59:60]
	v_fma_f64 v[55:56], v[30:31], -v[34:35], v[61:62]
	v_fma_f64 v[34:35], v[47:48], v[49:50], -v[34:35]
	v_and_b32_e32 v49, 1, v44
	v_lshlrev_b32_e32 v44, 30, v44
	v_fma_f64 v[45:46], v[36:37], v[45:46], s[60:61]
	v_fma_f64 v[47:48], v[65:66], s[92:93], v[51:52]
	v_and_b32_e32 v50, 0x80000000, v24
	v_fma_f64 v[28:29], v[77:78], v[38:39], v[28:29]
	v_fma_f64 v[38:39], v[57:58], v[53:54], v[55:56]
	;; [unrolled: 1-line block ×3, first 2 shown]
	v_xor_b32_e32 v44, v44, v25
	v_cmp_eq_u32_e64 s[2:3], 0, v49
	v_fma_f64 v[45:46], v[36:37], v[45:46], 1.0
	v_add_f64 v[26:27], v[26:27], -v[47:48]
	v_add_f64 v[24:25], v[67:68], v[28:29]
	v_add_f64 v[28:29], v[69:70], v[38:39]
	v_add_f64 v[30:31], v[30:31], -v[34:35]
	v_and_b32_e32 v34, 0x80000000, v44
	v_fma_f64 v[36:37], v[36:37], v[45:46], 1.0
	v_xor_b32_e32 v27, 0x80000000, v27
	v_cndmask_b32_e32 v19, v26, v24, vcc
	v_cndmask_b32_e32 v24, v27, v25, vcc
	v_cndmask_b32_e64 v16, v28, v30, s[2:3]
	v_cndmask_b32_e64 v17, v29, v31, s[2:3]
	v_cmp_ngt_f64_e32 vcc, s[84:85], v[14:15]
	v_ldexp_f64 v[32:33], v[36:37], v32
	v_cmp_nlt_f64_e64 s[2:3], s[86:87], v[14:15]
	v_xor_b32_e32 v17, v17, v34
	v_xor_b32_e32 v15, v24, v50
	v_cndmask_b32_e64 v14, 0, v19, s[0:1]
	v_cndmask_b32_e64 v15, v43, v15, s[0:1]
	;; [unrolled: 1-line block ×4, first 2 shown]
	v_cndmask_b32_e32 v25, v42, v33, vcc
	s_and_b64 vcc, s[2:3], vcc
	v_cndmask_b32_e64 v25, 0, v25, s[2:3]
	v_cndmask_b32_e32 v24, 0, v32, vcc
	v_mul_f64 v[26:27], v[24:25], v[14:15]
	v_mul_f64 v[24:25], v[24:25], v[16:17]
                                        ; implicit-def: $vgpr16_vgpr17
.LBB253_298:                            ;   in Loop: Header=BB253_233 Depth=1
	s_andn2_saveexec_b64 s[90:91], s[90:91]
	s_cbranch_execz .LBB253_308
; %bb.299:                              ;   in Loop: Header=BB253_233 Depth=1
	s_mov_b32 s0, 0
	s_mov_b32 s1, 0x41d00000
	v_cmp_nlt_f64_e64 s[0:1], |v[16:17]|, s[0:1]
                                        ; implicit-def: $vgpr24
                                        ; implicit-def: $vgpr26_vgpr27
                                        ; implicit-def: $vgpr28_vgpr29
	s_and_saveexec_b64 s[2:3], s[0:1]
	s_xor_b64 s[2:3], exec, s[2:3]
	s_cbranch_execz .LBB253_301
; %bb.300:                              ;   in Loop: Header=BB253_233 Depth=1
	v_trig_preop_f64 v[26:27], |v[16:17]|, 0
	s_mov_b32 vcc_lo, 0
	s_mov_b32 vcc_hi, 0x7b000000
	v_ldexp_f64 v[28:29], |v[16:17]|, s9
	v_cmp_ge_f64_e64 vcc, |v[16:17]|, vcc
	v_trig_preop_f64 v[30:31], |v[16:17]|, 1
	v_and_b32_e32 v19, 0x7fffffff, v17
	v_trig_preop_f64 v[38:39], |v[16:17]|, 2
	s_mov_b32 s14, s20
	s_mov_b32 s25, s23
	v_cndmask_b32_e32 v29, v19, v29, vcc
	v_cndmask_b32_e32 v28, v16, v28, vcc
	v_mul_f64 v[32:33], v[26:27], v[28:29]
	v_mul_f64 v[34:35], v[30:31], v[28:29]
	;; [unrolled: 1-line block ×3, first 2 shown]
	v_fma_f64 v[26:27], v[26:27], v[28:29], -v[32:33]
	v_fma_f64 v[30:31], v[30:31], v[28:29], -v[34:35]
	;; [unrolled: 1-line block ×3, first 2 shown]
	v_add_f64 v[36:37], v[34:35], v[26:27]
	v_add_f64 v[44:45], v[36:37], -v[34:35]
	v_add_f64 v[50:51], v[32:33], v[36:37]
	v_add_f64 v[46:47], v[36:37], -v[44:45]
	v_add_f64 v[26:27], v[26:27], -v[44:45]
	v_add_f64 v[44:45], v[48:49], v[30:31]
	v_add_f64 v[32:33], v[50:51], -v[32:33]
	v_add_f64 v[34:35], v[34:35], -v[46:47]
	v_ldexp_f64 v[46:47], v[50:51], -2
	v_add_f64 v[52:53], v[44:45], -v[48:49]
	v_add_f64 v[32:33], v[36:37], -v[32:33]
	v_add_f64 v[26:27], v[26:27], v[34:35]
	v_fract_f64_e32 v[34:35], v[46:47]
	v_cmp_neq_f64_e64 vcc, |v[46:47]|, s[12:13]
	v_add_f64 v[30:31], v[30:31], -v[52:53]
	v_add_f64 v[36:37], v[44:45], v[26:27]
	v_ldexp_f64 v[34:35], v[34:35], 2
	v_add_f64 v[46:47], v[32:33], v[36:37]
	v_cndmask_b32_e32 v35, 0, v35, vcc
	v_cndmask_b32_e32 v34, 0, v34, vcc
	v_add_f64 v[54:55], v[36:37], -v[44:45]
	v_add_f64 v[50:51], v[46:47], v[34:35]
	v_add_f64 v[32:33], v[46:47], -v[32:33]
	v_add_f64 v[56:57], v[36:37], -v[54:55]
	;; [unrolled: 1-line block ×3, first 2 shown]
	v_cmp_gt_f64_e32 vcc, 0, v[50:51]
	v_add_f64 v[50:51], v[44:45], -v[52:53]
	v_add_f64 v[32:33], v[36:37], -v[32:33]
	;; [unrolled: 1-line block ×3, first 2 shown]
	v_cndmask_b32_e32 v19, 0, v40, vcc
	v_add_f64 v[34:35], v[34:35], v[18:19]
	v_add_f64 v[50:51], v[48:49], -v[50:51]
	v_add_f64 v[26:27], v[26:27], v[44:45]
	v_add_f64 v[58:59], v[46:47], v[34:35]
	;; [unrolled: 1-line block ×3, first 2 shown]
	v_cvt_i32_f64_e32 v24, v[58:59]
	v_add_f64 v[26:27], v[30:31], v[26:27]
	v_cvt_f64_i32_e32 v[52:53], v24
	v_add_f64 v[34:35], v[34:35], -v[52:53]
	v_add_f64 v[26:27], v[28:29], v[26:27]
	v_add_f64 v[30:31], v[46:47], v[34:35]
	;; [unrolled: 1-line block ×3, first 2 shown]
	v_add_f64 v[28:29], v[30:31], -v[34:35]
	v_cmp_le_f64_e32 vcc, 0.5, v[30:31]
	v_add_f64 v[28:29], v[46:47], -v[28:29]
	v_cndmask_b32_e32 v19, 0, v41, vcc
	v_addc_co_u32_e32 v24, vcc, 0, v24, vcc
	v_add_f64 v[26:27], v[26:27], v[28:29]
	v_add_f64 v[28:29], v[30:31], -v[18:19]
	v_add_f64 v[30:31], v[28:29], v[26:27]
	v_mul_f64 v[32:33], v[30:31], s[14:15]
	v_add_f64 v[28:29], v[30:31], -v[28:29]
	v_fma_f64 v[34:35], v[30:31], s[14:15], -v[32:33]
	v_add_f64 v[26:27], v[26:27], -v[28:29]
	v_fma_f64 v[28:29], v[30:31], s[24:25], v[34:35]
	v_fma_f64 v[28:29], v[26:27], s[14:15], v[28:29]
	v_add_f64 v[26:27], v[32:33], v[28:29]
	v_add_f64 v[30:31], v[26:27], -v[32:33]
	v_add_f64 v[28:29], v[28:29], -v[30:31]
	s_andn2_saveexec_b64 s[2:3], s[2:3]
	s_cbranch_execz .LBB253_303
	s_branch .LBB253_302
.LBB253_301:                            ;   in Loop: Header=BB253_233 Depth=1
	s_andn2_saveexec_b64 s[2:3], s[2:3]
	s_cbranch_execz .LBB253_303
.LBB253_302:                            ;   in Loop: Header=BB253_233 Depth=1
	v_mul_f64 v[26:27], |v[16:17]|, s[26:27]
	s_mov_b32 s22, s28
	v_rndne_f64_e32 v[30:31], v[26:27]
	v_fma_f64 v[26:27], v[30:31], s[20:21], |v[16:17]|
	v_mul_f64 v[28:29], v[30:31], s[28:29]
	v_cvt_i32_f64_e32 v24, v[30:31]
	v_fma_f64 v[36:37], v[30:31], s[28:29], v[26:27]
	v_add_f64 v[32:33], v[26:27], v[28:29]
	v_add_f64 v[34:35], v[26:27], -v[32:33]
	v_add_f64 v[32:33], v[32:33], -v[36:37]
	v_add_f64 v[26:27], v[34:35], v[28:29]
	v_fma_f64 v[28:29], v[30:31], s[22:23], v[28:29]
	v_add_f64 v[26:27], v[32:33], v[26:27]
	v_add_f64 v[26:27], v[26:27], -v[28:29]
	v_fma_f64 v[28:29], v[30:31], s[30:31], v[26:27]
	v_add_f64 v[26:27], v[36:37], v[28:29]
	v_add_f64 v[32:33], v[26:27], -v[36:37]
	v_add_f64 v[28:29], v[28:29], -v[32:33]
.LBB253_303:                            ;   in Loop: Header=BB253_233 Depth=1
	s_or_b64 exec, exec, s[2:3]
                                        ; implicit-def: $vgpr44
                                        ; implicit-def: $vgpr30_vgpr31
                                        ; implicit-def: $vgpr32_vgpr33
	s_and_saveexec_b64 s[2:3], s[0:1]
	s_xor_b64 s[2:3], exec, s[2:3]
	s_cbranch_execz .LBB253_305
; %bb.304:                              ;   in Loop: Header=BB253_233 Depth=1
	v_trig_preop_f64 v[30:31], |v[16:17]|, 0
	s_mov_b32 s0, 0
	s_mov_b32 s1, 0x7b000000
	v_ldexp_f64 v[34:35], |v[16:17]|, s9
	v_cmp_ge_f64_e64 vcc, |v[16:17]|, s[0:1]
	v_trig_preop_f64 v[32:33], |v[16:17]|, 1
	v_and_b32_e32 v19, 0x7fffffff, v17
	v_trig_preop_f64 v[46:47], |v[16:17]|, 2
	s_mov_b32 s14, s20
	s_mov_b32 s25, s23
	v_cndmask_b32_e32 v35, v19, v35, vcc
	v_cndmask_b32_e32 v34, v16, v34, vcc
	v_mul_f64 v[36:37], v[30:31], v[34:35]
	v_mul_f64 v[38:39], v[32:33], v[34:35]
	;; [unrolled: 1-line block ×3, first 2 shown]
	v_fma_f64 v[30:31], v[30:31], v[34:35], -v[36:37]
	v_fma_f64 v[32:33], v[32:33], v[34:35], -v[38:39]
	;; [unrolled: 1-line block ×3, first 2 shown]
	v_add_f64 v[44:45], v[38:39], v[30:31]
	v_add_f64 v[48:49], v[44:45], -v[38:39]
	v_add_f64 v[54:55], v[36:37], v[44:45]
	v_add_f64 v[50:51], v[44:45], -v[48:49]
	v_add_f64 v[30:31], v[30:31], -v[48:49]
	v_add_f64 v[48:49], v[52:53], v[32:33]
	v_add_f64 v[36:37], v[54:55], -v[36:37]
	v_add_f64 v[38:39], v[38:39], -v[50:51]
	v_ldexp_f64 v[50:51], v[54:55], -2
	v_add_f64 v[56:57], v[48:49], -v[52:53]
	v_add_f64 v[36:37], v[44:45], -v[36:37]
	v_add_f64 v[30:31], v[30:31], v[38:39]
	v_fract_f64_e32 v[38:39], v[50:51]
	v_cmp_neq_f64_e64 vcc, |v[50:51]|, s[12:13]
	v_add_f64 v[32:33], v[32:33], -v[56:57]
	v_add_f64 v[44:45], v[48:49], v[30:31]
	v_ldexp_f64 v[38:39], v[38:39], 2
	v_add_f64 v[50:51], v[36:37], v[44:45]
	v_cndmask_b32_e32 v39, 0, v39, vcc
	v_cndmask_b32_e32 v38, 0, v38, vcc
	v_add_f64 v[58:59], v[44:45], -v[48:49]
	v_add_f64 v[54:55], v[50:51], v[38:39]
	v_add_f64 v[36:37], v[50:51], -v[36:37]
	v_add_f64 v[60:61], v[44:45], -v[58:59]
	;; [unrolled: 1-line block ×3, first 2 shown]
	v_cmp_gt_f64_e32 vcc, 0, v[54:55]
	v_add_f64 v[54:55], v[48:49], -v[56:57]
	v_add_f64 v[36:37], v[44:45], -v[36:37]
	;; [unrolled: 1-line block ×3, first 2 shown]
	v_cndmask_b32_e32 v19, 0, v40, vcc
	v_add_f64 v[38:39], v[38:39], v[18:19]
	v_add_f64 v[54:55], v[52:53], -v[54:55]
	v_add_f64 v[30:31], v[30:31], v[48:49]
	v_add_f64 v[62:63], v[50:51], v[38:39]
	;; [unrolled: 1-line block ×3, first 2 shown]
	v_cvt_i32_f64_e32 v19, v[62:63]
	v_add_f64 v[30:31], v[32:33], v[30:31]
	v_cvt_f64_i32_e32 v[56:57], v19
	v_add_f64 v[38:39], v[38:39], -v[56:57]
	v_add_f64 v[30:31], v[34:35], v[30:31]
	v_add_f64 v[32:33], v[50:51], v[38:39]
	;; [unrolled: 1-line block ×3, first 2 shown]
	v_add_f64 v[34:35], v[32:33], -v[38:39]
	v_cmp_le_f64_e32 vcc, 0.5, v[32:33]
	v_add_f64 v[34:35], v[50:51], -v[34:35]
	v_addc_co_u32_e64 v44, s[0:1], 0, v19, vcc
	v_cndmask_b32_e32 v19, 0, v41, vcc
	v_add_f64 v[32:33], v[32:33], -v[18:19]
	v_add_f64 v[30:31], v[30:31], v[34:35]
	v_add_f64 v[34:35], v[32:33], v[30:31]
	v_mul_f64 v[36:37], v[34:35], s[14:15]
	v_add_f64 v[32:33], v[34:35], -v[32:33]
	v_fma_f64 v[38:39], v[34:35], s[14:15], -v[36:37]
	v_add_f64 v[30:31], v[30:31], -v[32:33]
	v_fma_f64 v[32:33], v[34:35], s[24:25], v[38:39]
	v_fma_f64 v[32:33], v[30:31], s[14:15], v[32:33]
	v_add_f64 v[30:31], v[36:37], v[32:33]
	v_add_f64 v[34:35], v[30:31], -v[36:37]
	v_add_f64 v[32:33], v[32:33], -v[34:35]
	s_andn2_saveexec_b64 s[0:1], s[2:3]
	s_cbranch_execnz .LBB253_306
	s_branch .LBB253_307
.LBB253_305:                            ;   in Loop: Header=BB253_233 Depth=1
	s_andn2_saveexec_b64 s[0:1], s[2:3]
	s_cbranch_execz .LBB253_307
.LBB253_306:                            ;   in Loop: Header=BB253_233 Depth=1
	v_mul_f64 v[30:31], |v[16:17]|, s[26:27]
	s_mov_b32 s22, s28
	v_rndne_f64_e32 v[34:35], v[30:31]
	v_fma_f64 v[30:31], v[34:35], s[20:21], |v[16:17]|
	v_mul_f64 v[32:33], v[34:35], s[28:29]
	v_fma_f64 v[44:45], v[34:35], s[28:29], v[30:31]
	v_add_f64 v[36:37], v[30:31], v[32:33]
	v_add_f64 v[38:39], v[30:31], -v[36:37]
	v_add_f64 v[36:37], v[36:37], -v[44:45]
	v_add_f64 v[30:31], v[38:39], v[32:33]
	v_fma_f64 v[32:33], v[34:35], s[22:23], v[32:33]
	v_add_f64 v[30:31], v[36:37], v[30:31]
	v_add_f64 v[30:31], v[30:31], -v[32:33]
	v_fma_f64 v[32:33], v[34:35], s[30:31], v[30:31]
	v_add_f64 v[30:31], v[44:45], v[32:33]
	v_add_f64 v[36:37], v[30:31], -v[44:45]
	v_cvt_i32_f64_e32 v44, v[34:35]
	v_add_f64 v[32:33], v[32:33], -v[36:37]
.LBB253_307:                            ;   in Loop: Header=BB253_233 Depth=1
	s_or_b64 exec, exec, s[0:1]
	s_mov_b32 s0, 0x19ba0da4
	s_mov_b32 s1, 0xc0937be3
	v_add_f64 v[14:15], -v[14:15], s[0:1]
	v_mul_f64 v[49:50], v[30:31], v[30:31]
	v_mov_b32_e32 v51, s72
	v_mov_b32_e32 v52, s73
	;; [unrolled: 1-line block ×4, first 2 shown]
	s_mov_b32 s55, s53
	s_mov_b32 s83, s57
	v_mul_f64 v[34:35], v[14:15], s[36:37]
	v_mul_f64 v[63:64], v[49:50], 0.5
	v_mul_f64 v[53:54], v[28:29], 0.5
	;; [unrolled: 1-line block ×3, first 2 shown]
	v_mul_f64 v[73:74], v[30:31], -v[49:50]
	s_mov_b32 s92, s56
	v_and_b32_e32 v19, 1, v24
	v_lshlrev_b32_e32 v24, 30, v24
	v_rndne_f64_e32 v[34:35], v[34:35]
	v_add_f64 v[69:70], -v[63:64], 1.0
	v_cmp_eq_u32_e32 vcc, 0, v19
	v_cmp_class_f64_e64 s[0:1], v[16:17], s10
	v_fma_f64 v[36:37], v[34:35], s[38:39], v[14:15]
	v_add_f64 v[75:76], -v[69:70], 1.0
	v_fma_f64 v[36:37], v[34:35], s[40:41], v[36:37]
	v_add_f64 v[63:64], v[75:76], -v[63:64]
	v_fma_f64 v[38:39], v[36:37], s[42:43], v[22:23]
	v_fma_f64 v[45:46], v[36:37], v[38:39], s[44:45]
	v_mul_f64 v[38:39], v[26:27], v[26:27]
	v_fma_f64 v[45:46], v[36:37], v[45:46], s[46:47]
	v_fma_f64 v[55:56], v[38:39], s[74:75], v[51:52]
	;; [unrolled: 1-line block ×4, first 2 shown]
	v_mul_f64 v[59:60], v[38:39], 0.5
	v_fma_f64 v[47:48], v[49:50], s[64:65], v[47:48]
	v_mul_f64 v[67:68], v[26:27], -v[38:39]
	v_fma_f64 v[45:46], v[36:37], v[45:46], s[48:49]
	v_fma_f64 v[55:56], v[38:39], v[55:56], s[76:77]
	;; [unrolled: 1-line block ×4, first 2 shown]
	v_add_f64 v[65:66], -v[59:60], 1.0
	v_fma_f64 v[47:48], v[49:50], v[47:48], s[66:67]
	v_fma_f64 v[45:46], v[36:37], v[45:46], s[50:51]
	;; [unrolled: 1-line block ×5, first 2 shown]
	v_add_f64 v[71:72], -v[65:66], 1.0
	v_fma_f64 v[47:48], v[49:50], v[47:48], s[68:69]
	v_fma_f64 v[45:46], v[36:37], v[45:46], s[54:55]
	;; [unrolled: 1-line block ×5, first 2 shown]
	v_add_f64 v[59:60], v[71:72], -v[59:60]
	v_fma_f64 v[47:48], v[49:50], v[47:48], s[70:71]
	v_fma_f64 v[45:46], v[36:37], v[45:46], s[82:83]
	;; [unrolled: 1-line block ×4, first 2 shown]
	v_mul_f64 v[55:56], v[38:39], v[38:39]
	v_fma_f64 v[57:58], v[38:39], v[57:58], s[56:57]
	v_fma_f64 v[59:60], v[26:27], -v[28:29], v[59:60]
	v_fma_f64 v[47:48], v[49:50], v[47:48], s[56:57]
	v_fma_f64 v[45:46], v[36:37], v[45:46], s[58:59]
	v_fma_f64 v[28:29], v[38:39], v[53:54], -v[28:29]
	v_mul_f64 v[38:39], v[49:50], v[49:50]
	v_fma_f64 v[53:54], v[30:31], -v[32:33], v[63:64]
	v_fma_f64 v[32:33], v[49:50], v[51:52], -v[32:33]
	v_fma_f64 v[49:50], v[55:56], v[57:58], v[59:60]
	v_and_b32_e32 v51, 1, v44
	v_lshlrev_b32_e32 v52, 30, v44
	v_fma_f64 v[45:46], v[36:37], v[45:46], s[60:61]
	v_fma_f64 v[28:29], v[67:68], s[92:93], v[28:29]
	v_cmp_eq_u32_e64 s[2:3], 0, v51
	v_fma_f64 v[38:39], v[38:39], v[47:48], v[53:54]
	v_fma_f64 v[32:33], v[73:74], s[92:93], v[32:33]
	v_and_b32_e32 v48, 0x80000000, v24
	v_xor_b32_e32 v24, v52, v25
	v_fma_f64 v[44:45], v[36:37], v[45:46], 1.0
	v_add_f64 v[46:47], v[65:66], v[49:50]
	v_add_f64 v[26:27], v[26:27], -v[28:29]
	v_and_b32_e32 v49, 0x80000000, v24
	v_add_f64 v[28:29], v[69:70], v[38:39]
	v_add_f64 v[30:31], v[30:31], -v[32:33]
	v_cvt_i32_f64_e32 v32, v[34:35]
	v_fma_f64 v[24:25], v[36:37], v[44:45], 1.0
	v_cndmask_b32_e32 v19, v26, v46, vcc
	v_xor_b32_e32 v26, 0x80000000, v27
	v_cndmask_b32_e32 v26, v26, v47, vcc
	v_cndmask_b32_e64 v27, v28, v30, s[2:3]
	v_ldexp_f64 v[16:17], v[24:25], v32
	v_cndmask_b32_e64 v25, v29, v31, s[2:3]
	s_mov_b32 s2, 0
	s_mov_b32 s3, 0x40900000
	v_cmp_nlt_f64_e32 vcc, s[2:3], v[14:15]
	s_mov_b32 s2, 0
	s_mov_b32 s3, 0xc090cc00
	v_cmp_ngt_f64_e64 s[2:3], s[2:3], v[14:15]
	v_cndmask_b32_e64 v24, 0, v19, s[0:1]
	v_xor_b32_e32 v19, v25, v49
	v_xor_b32_e32 v25, v26, v48
	v_cndmask_b32_e64 v15, v43, v19, s[0:1]
	v_cndmask_b32_e32 v17, v42, v17, vcc
	v_cndmask_b32_e64 v25, v43, v25, s[0:1]
	v_cndmask_b32_e64 v14, 0, v27, s[0:1]
	;; [unrolled: 1-line block ×3, first 2 shown]
	v_and_b32_e32 v19, 0xfffff, v17
	s_and_b64 vcc, s[2:3], vcc
	v_lshrrev_b32_e32 v26, 20, v17
	v_or_b32_e32 v17, 0x7fe00000, v19
	v_cndmask_b32_e32 v16, 0, v16, vcc
	v_mul_f64 v[24:25], v[16:17], v[24:25]
	v_mul_f64 v[14:15], v[16:17], v[14:15]
	v_add_u32_e32 v26, 0xffffff09, v26
	v_lshrrev_b16_e32 v16, 15, v26
	v_add_u16_e32 v16, v26, v16
	v_ashrrev_i16_e32 v16, 1, v16
	v_bfe_i32 v27, v16, 0, 16
	v_lshl_add_u32 v19, v27, 20, v41
	v_mul_f64 v[16:17], v[24:25], v[18:19]
	v_mul_f64 v[14:15], v[14:15], v[18:19]
	v_sub_u32_e32 v19, v26, v27
	v_mov_b32_e32 v24, v18
	v_lshl_add_u32 v25, v19, 20, v41
	v_mul_f64 v[26:27], v[16:17], v[24:25]
	v_mul_f64 v[24:25], v[14:15], v[24:25]
.LBB253_308:                            ;   in Loop: Header=BB253_233 Depth=1
	s_or_b64 exec, exec, s[90:91]
                                        ; implicit-def: $vgpr28_vgpr29
                                        ; implicit-def: $vgpr14_vgpr15
                                        ; implicit-def: $vgpr19
.LBB253_309:                            ;   in Loop: Header=BB253_233 Depth=1
	s_andn2_saveexec_b64 s[2:3], s[88:89]
	s_cbranch_execz .LBB253_315
; %bb.310:                              ;   in Loop: Header=BB253_233 Depth=1
	v_add_f64 v[24:25], v[16:17], -v[16:17]
	v_cmp_ne_u32_e32 vcc, 0, v14
	v_cmp_ne_u32_e64 s[0:1], s11, v19
	s_or_b64 s[0:1], vcc, s[0:1]
	s_and_saveexec_b64 s[88:89], s[0:1]
	s_xor_b64 s[0:1], exec, s[88:89]
; %bb.311:                              ;   in Loop: Header=BB253_233 Depth=1
                                        ; implicit-def: $vgpr28_vgpr29
                                        ; implicit-def: $vgpr14_vgpr15
; %bb.312:                              ;   in Loop: Header=BB253_233 Depth=1
	s_or_saveexec_b64 s[0:1], s[0:1]
	v_mov_b32_e32 v27, v25
	v_mov_b32_e32 v26, v24
	s_xor_b64 exec, exec, s[0:1]
; %bb.313:                              ;   in Loop: Header=BB253_233 Depth=1
	v_cmp_lt_i64_e32 vcc, -1, v[28:29]
	v_cndmask_b32_e32 v27, 0, v29, vcc
	v_cndmask_b32_e32 v26, 0, v14, vcc
	v_cndmask_b32_e32 v25, 0, v25, vcc
	v_cndmask_b32_e32 v24, 0, v24, vcc
; %bb.314:                              ;   in Loop: Header=BB253_233 Depth=1
	s_or_b64 exec, exec, s[0:1]
.LBB253_315:                            ;   in Loop: Header=BB253_233 Depth=1
	s_or_b64 exec, exec, s[2:3]
                                        ; implicit-def: $vgpr16_vgpr17
.LBB253_316:                            ;   in Loop: Header=BB253_233 Depth=1
	s_andn2_saveexec_b64 s[2:3], s[80:81]
	s_cbranch_execz .LBB253_326
; %bb.317:                              ;   in Loop: Header=BB253_233 Depth=1
	s_mov_b32 s0, 0
	s_mov_b32 s1, 0x41d00000
	v_cmp_nlt_f64_e64 s[80:81], |v[16:17]|, s[0:1]
                                        ; implicit-def: $vgpr24
                                        ; implicit-def: $vgpr14_vgpr15
                                        ; implicit-def: $vgpr26_vgpr27
	s_and_saveexec_b64 s[0:1], s[80:81]
	s_xor_b64 s[88:89], exec, s[0:1]
	s_cbranch_execz .LBB253_319
; %bb.318:                              ;   in Loop: Header=BB253_233 Depth=1
	v_trig_preop_f64 v[14:15], |v[16:17]|, 0
	s_mov_b32 s0, 0
	s_mov_b32 s1, 0x7b000000
	v_ldexp_f64 v[28:29], |v[16:17]|, s9
	v_cmp_ge_f64_e64 vcc, |v[16:17]|, s[0:1]
	v_trig_preop_f64 v[26:27], |v[16:17]|, 1
	v_and_b32_e32 v19, 0x7fffffff, v17
	v_trig_preop_f64 v[36:37], |v[16:17]|, 2
	s_mov_b32 s14, s20
	s_mov_b32 s25, s23
	v_cndmask_b32_e32 v29, v19, v29, vcc
	v_cndmask_b32_e32 v28, v16, v28, vcc
	v_mul_f64 v[30:31], v[14:15], v[28:29]
	v_mul_f64 v[32:33], v[26:27], v[28:29]
	;; [unrolled: 1-line block ×3, first 2 shown]
	v_fma_f64 v[14:15], v[14:15], v[28:29], -v[30:31]
	v_fma_f64 v[26:27], v[26:27], v[28:29], -v[32:33]
	;; [unrolled: 1-line block ×3, first 2 shown]
	v_add_f64 v[34:35], v[32:33], v[14:15]
	v_add_f64 v[38:39], v[34:35], -v[32:33]
	v_add_f64 v[48:49], v[30:31], v[34:35]
	v_add_f64 v[44:45], v[34:35], -v[38:39]
	v_add_f64 v[14:15], v[14:15], -v[38:39]
	v_add_f64 v[38:39], v[46:47], v[26:27]
	v_add_f64 v[30:31], v[48:49], -v[30:31]
	v_add_f64 v[32:33], v[32:33], -v[44:45]
	v_ldexp_f64 v[44:45], v[48:49], -2
	v_add_f64 v[50:51], v[38:39], -v[46:47]
	v_add_f64 v[30:31], v[34:35], -v[30:31]
	v_add_f64 v[14:15], v[14:15], v[32:33]
	v_fract_f64_e32 v[32:33], v[44:45]
	v_cmp_neq_f64_e64 vcc, |v[44:45]|, s[12:13]
	v_add_f64 v[26:27], v[26:27], -v[50:51]
	v_add_f64 v[34:35], v[38:39], v[14:15]
	v_ldexp_f64 v[32:33], v[32:33], 2
	v_add_f64 v[44:45], v[30:31], v[34:35]
	v_cndmask_b32_e32 v33, 0, v33, vcc
	v_cndmask_b32_e32 v32, 0, v32, vcc
	v_add_f64 v[52:53], v[34:35], -v[38:39]
	v_add_f64 v[48:49], v[44:45], v[32:33]
	v_add_f64 v[30:31], v[44:45], -v[30:31]
	v_add_f64 v[54:55], v[34:35], -v[52:53]
	;; [unrolled: 1-line block ×3, first 2 shown]
	v_cmp_gt_f64_e32 vcc, 0, v[48:49]
	v_add_f64 v[48:49], v[38:39], -v[50:51]
	v_add_f64 v[30:31], v[34:35], -v[30:31]
	;; [unrolled: 1-line block ×3, first 2 shown]
	v_cndmask_b32_e32 v19, 0, v40, vcc
	v_add_f64 v[32:33], v[32:33], v[18:19]
	v_add_f64 v[48:49], v[46:47], -v[48:49]
	v_add_f64 v[14:15], v[14:15], v[38:39]
	v_add_f64 v[56:57], v[44:45], v[32:33]
	;; [unrolled: 1-line block ×3, first 2 shown]
	v_cvt_i32_f64_e32 v19, v[56:57]
	v_add_f64 v[14:15], v[26:27], v[14:15]
	v_cvt_f64_i32_e32 v[50:51], v19
	v_add_f64 v[32:33], v[32:33], -v[50:51]
	v_add_f64 v[14:15], v[28:29], v[14:15]
	v_add_f64 v[26:27], v[44:45], v[32:33]
	;; [unrolled: 1-line block ×3, first 2 shown]
	v_add_f64 v[28:29], v[26:27], -v[32:33]
	v_cmp_le_f64_e32 vcc, 0.5, v[26:27]
	v_add_f64 v[28:29], v[44:45], -v[28:29]
	v_addc_co_u32_e64 v24, s[0:1], 0, v19, vcc
	v_cndmask_b32_e32 v19, 0, v41, vcc
	v_add_f64 v[26:27], v[26:27], -v[18:19]
	v_add_f64 v[14:15], v[14:15], v[28:29]
	v_add_f64 v[28:29], v[26:27], v[14:15]
	v_mul_f64 v[30:31], v[28:29], s[14:15]
	v_add_f64 v[26:27], v[28:29], -v[26:27]
	v_fma_f64 v[32:33], v[28:29], s[14:15], -v[30:31]
	v_add_f64 v[14:15], v[14:15], -v[26:27]
	v_fma_f64 v[26:27], v[28:29], s[24:25], v[32:33]
	v_fma_f64 v[26:27], v[14:15], s[14:15], v[26:27]
	v_add_f64 v[14:15], v[30:31], v[26:27]
	v_add_f64 v[28:29], v[14:15], -v[30:31]
	v_add_f64 v[26:27], v[26:27], -v[28:29]
	s_andn2_saveexec_b64 s[0:1], s[88:89]
	s_cbranch_execz .LBB253_321
	s_branch .LBB253_320
.LBB253_319:                            ;   in Loop: Header=BB253_233 Depth=1
	s_andn2_saveexec_b64 s[0:1], s[88:89]
	s_cbranch_execz .LBB253_321
.LBB253_320:                            ;   in Loop: Header=BB253_233 Depth=1
	v_mul_f64 v[14:15], |v[16:17]|, s[26:27]
	s_mov_b32 s22, s28
	v_rndne_f64_e32 v[28:29], v[14:15]
	v_fma_f64 v[14:15], v[28:29], s[20:21], |v[16:17]|
	v_mul_f64 v[26:27], v[28:29], s[28:29]
	v_cvt_i32_f64_e32 v24, v[28:29]
	v_fma_f64 v[34:35], v[28:29], s[28:29], v[14:15]
	v_add_f64 v[30:31], v[14:15], v[26:27]
	v_add_f64 v[32:33], v[14:15], -v[30:31]
	v_add_f64 v[30:31], v[30:31], -v[34:35]
	v_add_f64 v[14:15], v[32:33], v[26:27]
	v_fma_f64 v[26:27], v[28:29], s[22:23], v[26:27]
	v_add_f64 v[14:15], v[30:31], v[14:15]
	v_add_f64 v[14:15], v[14:15], -v[26:27]
	v_fma_f64 v[26:27], v[28:29], s[30:31], v[14:15]
	v_add_f64 v[14:15], v[34:35], v[26:27]
	v_add_f64 v[30:31], v[14:15], -v[34:35]
	v_add_f64 v[26:27], v[26:27], -v[30:31]
.LBB253_321:                            ;   in Loop: Header=BB253_233 Depth=1
	s_or_b64 exec, exec, s[0:1]
                                        ; implicit-def: $vgpr32
                                        ; implicit-def: $vgpr28_vgpr29
                                        ; implicit-def: $vgpr30_vgpr31
	s_and_saveexec_b64 s[0:1], s[80:81]
	s_xor_b64 s[80:81], exec, s[0:1]
	s_cbranch_execz .LBB253_323
; %bb.322:                              ;   in Loop: Header=BB253_233 Depth=1
	v_trig_preop_f64 v[28:29], |v[16:17]|, 0
	s_mov_b32 s0, 0
	s_mov_b32 s1, 0x7b000000
	v_ldexp_f64 v[32:33], |v[16:17]|, s9
	v_cmp_ge_f64_e64 vcc, |v[16:17]|, s[0:1]
	v_trig_preop_f64 v[30:31], |v[16:17]|, 1
	v_and_b32_e32 v19, 0x7fffffff, v17
	v_trig_preop_f64 v[44:45], |v[16:17]|, 2
	s_mov_b32 s14, s20
	s_mov_b32 s25, s23
	v_cndmask_b32_e32 v33, v19, v33, vcc
	v_cndmask_b32_e32 v32, v16, v32, vcc
	v_mul_f64 v[34:35], v[28:29], v[32:33]
	v_mul_f64 v[36:37], v[30:31], v[32:33]
	;; [unrolled: 1-line block ×3, first 2 shown]
	v_fma_f64 v[28:29], v[28:29], v[32:33], -v[34:35]
	v_fma_f64 v[30:31], v[30:31], v[32:33], -v[36:37]
	;; [unrolled: 1-line block ×3, first 2 shown]
	v_add_f64 v[38:39], v[36:37], v[28:29]
	v_add_f64 v[46:47], v[38:39], -v[36:37]
	v_add_f64 v[52:53], v[34:35], v[38:39]
	v_add_f64 v[48:49], v[38:39], -v[46:47]
	v_add_f64 v[28:29], v[28:29], -v[46:47]
	v_add_f64 v[46:47], v[50:51], v[30:31]
	v_add_f64 v[34:35], v[52:53], -v[34:35]
	v_add_f64 v[36:37], v[36:37], -v[48:49]
	v_ldexp_f64 v[48:49], v[52:53], -2
	v_add_f64 v[54:55], v[46:47], -v[50:51]
	v_add_f64 v[34:35], v[38:39], -v[34:35]
	v_add_f64 v[28:29], v[28:29], v[36:37]
	v_fract_f64_e32 v[36:37], v[48:49]
	v_cmp_neq_f64_e64 vcc, |v[48:49]|, s[12:13]
	v_add_f64 v[30:31], v[30:31], -v[54:55]
	v_add_f64 v[38:39], v[46:47], v[28:29]
	v_ldexp_f64 v[36:37], v[36:37], 2
	v_add_f64 v[48:49], v[34:35], v[38:39]
	v_cndmask_b32_e32 v37, 0, v37, vcc
	v_cndmask_b32_e32 v36, 0, v36, vcc
	v_add_f64 v[56:57], v[38:39], -v[46:47]
	v_add_f64 v[52:53], v[48:49], v[36:37]
	v_add_f64 v[34:35], v[48:49], -v[34:35]
	v_add_f64 v[58:59], v[38:39], -v[56:57]
	v_add_f64 v[28:29], v[28:29], -v[56:57]
	v_cmp_gt_f64_e32 vcc, 0, v[52:53]
	v_add_f64 v[52:53], v[46:47], -v[54:55]
	v_add_f64 v[34:35], v[38:39], -v[34:35]
	;; [unrolled: 1-line block ×3, first 2 shown]
	v_cndmask_b32_e32 v19, 0, v40, vcc
	v_add_f64 v[36:37], v[36:37], v[18:19]
	v_add_f64 v[52:53], v[50:51], -v[52:53]
	v_add_f64 v[28:29], v[28:29], v[46:47]
	v_add_f64 v[60:61], v[48:49], v[36:37]
	v_add_f64 v[30:31], v[30:31], v[52:53]
	v_cvt_i32_f64_e32 v19, v[60:61]
	v_add_f64 v[28:29], v[30:31], v[28:29]
	v_cvt_f64_i32_e32 v[54:55], v19
	v_add_f64 v[36:37], v[36:37], -v[54:55]
	v_add_f64 v[28:29], v[32:33], v[28:29]
	v_add_f64 v[30:31], v[48:49], v[36:37]
	;; [unrolled: 1-line block ×3, first 2 shown]
	v_add_f64 v[32:33], v[30:31], -v[36:37]
	v_cmp_le_f64_e32 vcc, 0.5, v[30:31]
	v_add_f64 v[33:34], v[48:49], -v[32:33]
	v_addc_co_u32_e64 v32, s[0:1], 0, v19, vcc
	v_cndmask_b32_e32 v19, 0, v41, vcc
	v_add_f64 v[30:31], v[30:31], -v[18:19]
	v_add_f64 v[28:29], v[28:29], v[33:34]
	v_add_f64 v[33:34], v[30:31], v[28:29]
	v_mul_f64 v[35:36], v[33:34], s[14:15]
	v_add_f64 v[30:31], v[33:34], -v[30:31]
	v_fma_f64 v[37:38], v[33:34], s[14:15], -v[35:36]
	v_add_f64 v[28:29], v[28:29], -v[30:31]
	v_fma_f64 v[30:31], v[33:34], s[24:25], v[37:38]
	v_fma_f64 v[30:31], v[28:29], s[14:15], v[30:31]
	v_add_f64 v[28:29], v[35:36], v[30:31]
	v_add_f64 v[33:34], v[28:29], -v[35:36]
	v_add_f64 v[30:31], v[30:31], -v[33:34]
	s_andn2_saveexec_b64 s[0:1], s[80:81]
	s_cbranch_execnz .LBB253_324
	s_branch .LBB253_325
.LBB253_323:                            ;   in Loop: Header=BB253_233 Depth=1
	s_andn2_saveexec_b64 s[0:1], s[80:81]
	s_cbranch_execz .LBB253_325
.LBB253_324:                            ;   in Loop: Header=BB253_233 Depth=1
	v_mul_f64 v[28:29], |v[16:17]|, s[26:27]
	s_mov_b32 s22, s28
	v_rndne_f64_e32 v[32:33], v[28:29]
	v_fma_f64 v[28:29], v[32:33], s[20:21], |v[16:17]|
	v_mul_f64 v[30:31], v[32:33], s[28:29]
	v_fma_f64 v[38:39], v[32:33], s[28:29], v[28:29]
	v_add_f64 v[34:35], v[28:29], v[30:31]
	v_add_f64 v[36:37], v[28:29], -v[34:35]
	v_add_f64 v[34:35], v[34:35], -v[38:39]
	v_add_f64 v[28:29], v[36:37], v[30:31]
	v_fma_f64 v[30:31], v[32:33], s[22:23], v[30:31]
	v_add_f64 v[28:29], v[34:35], v[28:29]
	v_add_f64 v[28:29], v[28:29], -v[30:31]
	v_fma_f64 v[30:31], v[32:33], s[30:31], v[28:29]
	v_cvt_i32_f64_e32 v32, v[32:33]
	v_add_f64 v[28:29], v[38:39], v[30:31]
	v_add_f64 v[34:35], v[28:29], -v[38:39]
	v_add_f64 v[30:31], v[30:31], -v[34:35]
.LBB253_325:                            ;   in Loop: Header=BB253_233 Depth=1
	s_or_b64 exec, exec, s[0:1]
	v_mul_f64 v[33:34], v[14:15], v[14:15]
	v_mov_b32_e32 v46, s62
	v_mov_b32_e32 v47, s63
	v_mul_f64 v[50:51], v[26:27], 0.5
	s_mov_b32 s92, s56
	v_and_b32_e32 v19, 1, v24
	v_cmp_eq_u32_e32 vcc, 0, v19
	v_lshlrev_b32_e32 v19, 30, v24
	v_mul_f64 v[35:36], v[33:34], 0.5
	v_fma_f64 v[48:49], v[33:34], s[64:65], v[46:47]
	v_and_b32_e32 v19, 0x80000000, v19
	v_add_f64 v[37:38], -v[35:36], 1.0
	v_fma_f64 v[48:49], v[33:34], v[48:49], s[66:67]
	v_add_f64 v[44:45], -v[37:38], 1.0
	v_fma_f64 v[48:49], v[33:34], v[48:49], s[68:69]
	v_add_f64 v[35:36], v[44:45], -v[35:36]
	v_fma_f64 v[48:49], v[33:34], v[48:49], s[70:71]
	v_mul_f64 v[44:45], v[33:34], v[33:34]
	v_fma_f64 v[35:36], v[14:15], -v[26:27], v[35:36]
	v_fma_f64 v[48:49], v[33:34], v[48:49], s[56:57]
	v_fma_f64 v[35:36], v[44:45], v[48:49], v[35:36]
	v_mul_f64 v[48:49], v[14:15], -v[33:34]
	v_add_f64 v[35:36], v[37:38], v[35:36]
	v_mov_b32_e32 v37, s72
	v_mov_b32_e32 v38, s73
	v_fma_f64 v[44:45], v[33:34], s[74:75], v[37:38]
	v_fma_f64 v[44:45], v[33:34], v[44:45], s[76:77]
	;; [unrolled: 1-line block ×5, first 2 shown]
	v_fma_f64 v[26:27], v[33:34], v[44:45], -v[26:27]
	v_fma_f64 v[26:27], v[48:49], s[92:93], v[26:27]
	v_add_f64 v[14:15], v[14:15], -v[26:27]
	v_xor_b32_e32 v15, 0x80000000, v15
	v_cndmask_b32_e32 v14, v14, v35, vcc
	v_cndmask_b32_e32 v15, v15, v36, vcc
	v_cmp_class_f64_e64 vcc, v[16:17], s10
	v_xor_b32_e32 v15, v15, v19
	v_and_b32_e32 v19, 1, v32
	v_cmp_eq_u32_e64 s[0:1], 0, v19
	v_cndmask_b32_e32 v26, 0, v14, vcc
	v_cndmask_b32_e32 v27, v43, v15, vcc
	v_mul_f64 v[14:15], v[28:29], v[28:29]
	v_mul_f64 v[16:17], v[14:15], 0.5
	v_fma_f64 v[44:45], v[14:15], s[64:65], v[46:47]
	v_add_f64 v[33:34], -v[16:17], 1.0
	v_fma_f64 v[44:45], v[14:15], v[44:45], s[66:67]
	v_add_f64 v[35:36], -v[33:34], 1.0
	v_fma_f64 v[44:45], v[14:15], v[44:45], s[68:69]
	v_add_f64 v[16:17], v[35:36], -v[16:17]
	v_fma_f64 v[44:45], v[14:15], v[44:45], s[70:71]
	v_mul_f64 v[35:36], v[14:15], v[14:15]
	v_fma_f64 v[16:17], v[28:29], -v[30:31], v[16:17]
	v_fma_f64 v[44:45], v[14:15], v[44:45], s[56:57]
	v_fma_f64 v[16:17], v[35:36], v[44:45], v[16:17]
	v_mul_f64 v[35:36], v[28:29], -v[14:15]
	v_add_f64 v[16:17], v[33:34], v[16:17]
	v_fma_f64 v[33:34], v[14:15], s[74:75], v[37:38]
	v_mul_f64 v[37:38], v[30:31], 0.5
	v_fma_f64 v[33:34], v[14:15], v[33:34], s[76:77]
	v_fma_f64 v[33:34], v[14:15], v[33:34], s[78:79]
	;; [unrolled: 1-line block ×4, first 2 shown]
	v_fma_f64 v[14:15], v[14:15], v[33:34], -v[30:31]
	v_fma_f64 v[14:15], v[35:36], s[92:93], v[14:15]
	v_add_f64 v[14:15], v[28:29], -v[14:15]
	v_cndmask_b32_e64 v14, v16, v14, s[0:1]
	v_lshlrev_b32_e32 v16, 30, v32
	v_xor_b32_e32 v16, v16, v25
	v_cndmask_b32_e64 v15, v17, v15, s[0:1]
	v_and_b32_e32 v16, 0x80000000, v16
	v_xor_b32_e32 v15, v15, v16
	v_cndmask_b32_e32 v24, 0, v14, vcc
	v_cndmask_b32_e32 v25, v43, v15, vcc
.LBB253_326:                            ;   in Loop: Header=BB253_233 Depth=1
	s_or_b64 exec, exec, s[2:3]
                                        ; implicit-def: $vgpr14_vgpr15
.LBB253_327:                            ;   in Loop: Header=BB253_233 Depth=1
	s_andn2_saveexec_b64 s[2:3], s[94:95]
	s_cbranch_execz .LBB253_329
; %bb.328:                              ;   in Loop: Header=BB253_233 Depth=1
	s_mov_b32 s34, s36
	v_mul_f64 v[16:17], v[14:15], s[34:35]
	s_mov_b32 s55, s53
	s_mov_b32 s83, s57
	v_cmp_ngt_f64_e32 vcc, s[84:85], v[14:15]
	v_cmp_nlt_f64_e64 s[0:1], s[86:87], v[14:15]
	v_rndne_f64_e32 v[16:17], v[16:17]
	v_fma_f64 v[26:27], v[16:17], s[38:39], -v[14:15]
	v_fma_f64 v[26:27], v[16:17], s[40:41], v[26:27]
	v_cvt_i32_f64_e32 v16, v[16:17]
	v_fma_f64 v[28:29], v[26:27], s[42:43], v[22:23]
	v_fma_f64 v[28:29], v[26:27], v[28:29], s[44:45]
	;; [unrolled: 1-line block ×9, first 2 shown]
	v_fma_f64 v[28:29], v[26:27], v[28:29], 1.0
	v_fma_f64 v[26:27], v[26:27], v[28:29], 1.0
	v_ldexp_f64 v[16:17], v[26:27], v16
	v_cndmask_b32_e32 v17, v42, v17, vcc
	s_and_b64 vcc, s[0:1], vcc
	v_cndmask_b32_e64 v27, 0, v17, s[0:1]
	v_cndmask_b32_e32 v26, 0, v16, vcc
.LBB253_329:                            ;   in Loop: Header=BB253_233 Depth=1
	s_or_b64 exec, exec, s[2:3]
	v_add_f64 v[26:27], s[16:17], v[26:27]
	v_add_f64 v[24:25], s[18:19], v[24:25]
	v_cmp_gt_f64_e32 vcc, 0, v[26:27]
	v_xor_b32_e32 v14, 0x80000000, v27
	v_xor_b32_e32 v15, 0x80000000, v25
	v_mov_b32_e32 v28, v26
	v_mov_b32_e32 v30, v24
	v_cndmask_b32_e32 v29, v27, v14, vcc
	v_cmp_gt_f64_e32 vcc, 0, v[24:25]
	v_cndmask_b32_e32 v31, v25, v15, vcc
	v_cmp_ge_f64_e32 vcc, v[28:29], v[30:31]
                                        ; implicit-def: $vgpr16_vgpr17
	s_and_saveexec_b64 s[0:1], vcc
	s_xor_b64 s[2:3], exec, s[0:1]
	s_cbranch_execz .LBB253_335
; %bb.330:                              ;   in Loop: Header=BB253_233 Depth=1
	v_cmp_neq_f64_e32 vcc, 0, v[26:27]
	v_cmp_neq_f64_e64 s[0:1], 0, v[24:25]
                                        ; implicit-def: $vgpr16_vgpr17
	s_or_b64 s[0:1], vcc, s[0:1]
	s_and_saveexec_b64 s[80:81], s[0:1]
	s_xor_b64 s[0:1], exec, s[80:81]
	s_cbranch_execz .LBB253_332
; %bb.331:                              ;   in Loop: Header=BB253_233 Depth=1
	v_div_scale_f64 v[14:15], s[80:81], v[26:27], v[26:27], v[24:25]
	v_rcp_f64_e32 v[16:17], v[14:15]
	v_fma_f64 v[28:29], -v[14:15], v[16:17], 1.0
	v_fma_f64 v[16:17], v[16:17], v[28:29], v[16:17]
	v_div_scale_f64 v[28:29], vcc, v[24:25], v[26:27], v[24:25]
	v_fma_f64 v[30:31], -v[14:15], v[16:17], 1.0
	v_fma_f64 v[16:17], v[16:17], v[30:31], v[16:17]
	v_mul_f64 v[30:31], v[28:29], v[16:17]
	v_fma_f64 v[14:15], -v[14:15], v[30:31], v[28:29]
	v_div_fmas_f64 v[14:15], v[14:15], v[16:17], v[30:31]
	v_div_fixup_f64 v[14:15], v[14:15], v[26:27], v[24:25]
	v_fma_f64 v[16:17], v[24:25], v[14:15], v[26:27]
	v_div_scale_f64 v[24:25], s[80:81], v[16:17], v[16:17], 1.0
	v_rcp_f64_e32 v[26:27], v[24:25]
	v_fma_f64 v[28:29], -v[24:25], v[26:27], 1.0
	v_fma_f64 v[26:27], v[26:27], v[28:29], v[26:27]
	v_div_scale_f64 v[28:29], vcc, 1.0, v[16:17], 1.0
	v_fma_f64 v[30:31], -v[24:25], v[26:27], 1.0
	v_fma_f64 v[26:27], v[26:27], v[30:31], v[26:27]
	v_mul_f64 v[30:31], v[28:29], v[26:27]
	v_fma_f64 v[24:25], -v[24:25], v[30:31], v[28:29]
	v_mov_b32_e32 v29, s19
	v_mov_b32_e32 v28, s18
	v_div_fmas_f64 v[24:25], v[24:25], v[26:27], v[30:31]
	v_mov_b32_e32 v27, s17
	v_mov_b32_e32 v26, s16
	v_fma_f64 v[26:27], s[18:19], v[14:15], v[26:27]
                                        ; implicit-def: $vgpr30_vgpr31
	v_div_fixup_f64 v[16:17], v[24:25], v[16:17], 1.0
	v_fma_f64 v[24:25], -s[16:17], v[14:15], v[28:29]
                                        ; implicit-def: $vgpr28_vgpr29
	v_mul_f64 v[14:15], v[26:27], v[16:17]
	v_mul_f64 v[16:17], v[24:25], v[16:17]
.LBB253_332:                            ;   in Loop: Header=BB253_233 Depth=1
	s_andn2_saveexec_b64 s[80:81], s[0:1]
	s_cbranch_execz .LBB253_334
; %bb.333:                              ;   in Loop: Header=BB253_233 Depth=1
	v_div_scale_f64 v[14:15], s[0:1], v[28:29], v[28:29], s[16:17]
	v_div_scale_f64 v[16:17], s[0:1], v[30:31], v[30:31], s[18:19]
	;; [unrolled: 1-line block ×3, first 2 shown]
	v_rcp_f64_e32 v[24:25], v[14:15]
	v_rcp_f64_e32 v[26:27], v[16:17]
	v_fma_f64 v[32:33], -v[14:15], v[24:25], 1.0
	v_fma_f64 v[34:35], -v[16:17], v[26:27], 1.0
	v_fma_f64 v[24:25], v[24:25], v[32:33], v[24:25]
	v_div_scale_f64 v[32:33], vcc, s[16:17], v[28:29], s[16:17]
	v_fma_f64 v[26:27], v[26:27], v[34:35], v[26:27]
	v_fma_f64 v[34:35], -v[14:15], v[24:25], 1.0
	v_fma_f64 v[38:39], -v[16:17], v[26:27], 1.0
	v_fma_f64 v[24:25], v[24:25], v[34:35], v[24:25]
	v_fma_f64 v[26:27], v[26:27], v[38:39], v[26:27]
	v_mul_f64 v[34:35], v[32:33], v[24:25]
	v_mul_f64 v[38:39], v[36:37], v[26:27]
	v_fma_f64 v[14:15], -v[14:15], v[34:35], v[32:33]
	v_fma_f64 v[16:17], -v[16:17], v[38:39], v[36:37]
	v_div_fmas_f64 v[14:15], v[14:15], v[24:25], v[34:35]
	s_mov_b64 vcc, s[0:1]
	v_div_fmas_f64 v[16:17], v[16:17], v[26:27], v[38:39]
	v_div_fixup_f64 v[14:15], v[14:15], v[28:29], s[16:17]
	v_div_fixup_f64 v[16:17], v[16:17], v[30:31], s[18:19]
.LBB253_334:                            ;   in Loop: Header=BB253_233 Depth=1
	s_or_b64 exec, exec, s[80:81]
                                        ; implicit-def: $vgpr24_vgpr25
                                        ; implicit-def: $vgpr26_vgpr27
.LBB253_335:                            ;   in Loop: Header=BB253_233 Depth=1
	s_andn2_saveexec_b64 s[0:1], s[2:3]
	s_cbranch_execz .LBB253_337
; %bb.336:                              ;   in Loop: Header=BB253_233 Depth=1
	v_div_scale_f64 v[14:15], s[2:3], v[24:25], v[24:25], v[26:27]
	v_rcp_f64_e32 v[16:17], v[14:15]
	v_fma_f64 v[28:29], -v[14:15], v[16:17], 1.0
	v_fma_f64 v[16:17], v[16:17], v[28:29], v[16:17]
	v_div_scale_f64 v[28:29], vcc, v[26:27], v[24:25], v[26:27]
	v_fma_f64 v[30:31], -v[14:15], v[16:17], 1.0
	v_fma_f64 v[16:17], v[16:17], v[30:31], v[16:17]
	v_mul_f64 v[30:31], v[28:29], v[16:17]
	v_fma_f64 v[14:15], -v[14:15], v[30:31], v[28:29]
	v_div_fmas_f64 v[14:15], v[14:15], v[16:17], v[30:31]
	v_div_fixup_f64 v[14:15], v[14:15], v[24:25], v[26:27]
	v_fma_f64 v[16:17], v[26:27], v[14:15], v[24:25]
	v_div_scale_f64 v[24:25], s[2:3], v[16:17], v[16:17], 1.0
	v_rcp_f64_e32 v[26:27], v[24:25]
	v_fma_f64 v[28:29], -v[24:25], v[26:27], 1.0
	v_fma_f64 v[26:27], v[26:27], v[28:29], v[26:27]
	v_div_scale_f64 v[28:29], vcc, 1.0, v[16:17], 1.0
	v_fma_f64 v[30:31], -v[24:25], v[26:27], 1.0
	v_fma_f64 v[26:27], v[26:27], v[30:31], v[26:27]
	v_mul_f64 v[30:31], v[28:29], v[26:27]
	v_fma_f64 v[24:25], -v[24:25], v[30:31], v[28:29]
	v_mov_b32_e32 v29, s17
	v_mov_b32_e32 v28, s16
	v_div_fmas_f64 v[24:25], v[24:25], v[26:27], v[30:31]
	v_mov_b32_e32 v27, s19
	v_mov_b32_e32 v26, s18
	v_fma_f64 v[26:27], s[16:17], v[14:15], v[26:27]
	v_div_fixup_f64 v[16:17], v[24:25], v[16:17], 1.0
	v_fma_f64 v[24:25], s[18:19], v[14:15], -v[28:29]
	v_mul_f64 v[14:15], v[26:27], v[16:17]
	v_mul_f64 v[16:17], v[24:25], v[16:17]
.LBB253_337:                            ;   in Loop: Header=BB253_233 Depth=1
	s_or_b64 exec, exec, s[0:1]
	s_waitcnt vmcnt(0)
	v_xor_b32_e32 v25, 0x80000000, v13
	v_and_b32_e32 v30, 0x7fffffff, v25
	v_or_b32_e32 v19, v30, v12
	v_mov_b32_e32 v24, v12
	v_cmp_ne_u32_e32 vcc, 0, v19
                                        ; implicit-def: $vgpr26_vgpr27
	s_and_saveexec_b64 s[0:1], vcc
	s_xor_b64 s[94:95], exec, s[0:1]
	s_cbranch_execz .LBB253_379
; %bb.338:                              ;   in Loop: Header=BB253_233 Depth=1
	v_xor_b32_e32 v29, 0x80000000, v11
	v_and_b32_e32 v19, 0x7fffffff, v29
	v_or_b32_e32 v24, v19, v10
	v_mov_b32_e32 v28, v10
	v_cmp_ne_u32_e32 vcc, 0, v24
                                        ; implicit-def: $vgpr26_vgpr27
	s_and_saveexec_b64 s[0:1], vcc
	s_xor_b64 s[80:81], exec, s[0:1]
	s_cbranch_execz .LBB253_368
; %bb.339:                              ;   in Loop: Header=BB253_233 Depth=1
	v_cmp_gt_u32_e32 vcc, s11, v30
                                        ; implicit-def: $vgpr26_vgpr27
	s_and_saveexec_b64 s[0:1], vcc
	s_xor_b64 s[88:89], exec, s[0:1]
	s_cbranch_execz .LBB253_361
; %bb.340:                              ;   in Loop: Header=BB253_233 Depth=1
	v_add_u32_e32 v19, 0xbf79d1be, v29
	s_mov_b32 s0, 0x108aa2
	v_cmp_lt_u32_e32 vcc, s0, v19
                                        ; implicit-def: $vgpr26_vgpr27
	s_and_saveexec_b64 s[0:1], vcc
	s_xor_b64 s[90:91], exec, s[0:1]
	s_cbranch_execz .LBB253_350
; %bb.341:                              ;   in Loop: Header=BB253_233 Depth=1
	s_mov_b32 s0, 0
	s_mov_b32 s1, 0x41d00000
	v_cmp_nlt_f64_e64 s[0:1], |v[12:13]|, s[0:1]
                                        ; implicit-def: $vgpr24
                                        ; implicit-def: $vgpr26_vgpr27
                                        ; implicit-def: $vgpr28_vgpr29
	s_and_saveexec_b64 s[2:3], s[0:1]
	s_xor_b64 s[2:3], exec, s[2:3]
	s_cbranch_execz .LBB253_343
; %bb.342:                              ;   in Loop: Header=BB253_233 Depth=1
	v_trig_preop_f64 v[26:27], |v[12:13]|, 0
	s_mov_b32 vcc_lo, 0
	s_mov_b32 vcc_hi, 0x7b000000
	v_ldexp_f64 v[28:29], |v[12:13]|, s9
	v_cmp_ge_f64_e64 vcc, |v[12:13]|, vcc
	v_trig_preop_f64 v[30:31], |v[12:13]|, 1
	v_and_b32_e32 v19, 0x7fffffff, v13
	v_trig_preop_f64 v[38:39], |v[12:13]|, 2
	s_mov_b32 s14, s20
	s_mov_b32 s25, s23
	v_cndmask_b32_e32 v29, v19, v29, vcc
	v_cndmask_b32_e32 v28, v12, v28, vcc
	v_mul_f64 v[32:33], v[26:27], v[28:29]
	v_mul_f64 v[34:35], v[30:31], v[28:29]
	;; [unrolled: 1-line block ×3, first 2 shown]
	v_fma_f64 v[26:27], v[26:27], v[28:29], -v[32:33]
	v_fma_f64 v[30:31], v[30:31], v[28:29], -v[34:35]
	;; [unrolled: 1-line block ×3, first 2 shown]
	v_add_f64 v[36:37], v[34:35], v[26:27]
	v_add_f64 v[44:45], v[36:37], -v[34:35]
	v_add_f64 v[50:51], v[32:33], v[36:37]
	v_add_f64 v[46:47], v[36:37], -v[44:45]
	v_add_f64 v[26:27], v[26:27], -v[44:45]
	v_add_f64 v[44:45], v[48:49], v[30:31]
	v_add_f64 v[32:33], v[50:51], -v[32:33]
	v_add_f64 v[34:35], v[34:35], -v[46:47]
	v_ldexp_f64 v[46:47], v[50:51], -2
	v_add_f64 v[52:53], v[44:45], -v[48:49]
	v_add_f64 v[32:33], v[36:37], -v[32:33]
	v_add_f64 v[26:27], v[26:27], v[34:35]
	v_fract_f64_e32 v[34:35], v[46:47]
	v_cmp_neq_f64_e64 vcc, |v[46:47]|, s[12:13]
	v_add_f64 v[30:31], v[30:31], -v[52:53]
	v_add_f64 v[36:37], v[44:45], v[26:27]
	v_ldexp_f64 v[34:35], v[34:35], 2
	v_add_f64 v[46:47], v[32:33], v[36:37]
	v_cndmask_b32_e32 v35, 0, v35, vcc
	v_cndmask_b32_e32 v34, 0, v34, vcc
	v_add_f64 v[54:55], v[36:37], -v[44:45]
	v_add_f64 v[50:51], v[46:47], v[34:35]
	v_add_f64 v[32:33], v[46:47], -v[32:33]
	v_add_f64 v[56:57], v[36:37], -v[54:55]
	;; [unrolled: 1-line block ×3, first 2 shown]
	v_cmp_gt_f64_e32 vcc, 0, v[50:51]
	v_add_f64 v[50:51], v[44:45], -v[52:53]
	v_add_f64 v[32:33], v[36:37], -v[32:33]
	;; [unrolled: 1-line block ×3, first 2 shown]
	v_cndmask_b32_e32 v19, 0, v40, vcc
	v_add_f64 v[34:35], v[34:35], v[18:19]
	v_add_f64 v[50:51], v[48:49], -v[50:51]
	v_add_f64 v[26:27], v[26:27], v[44:45]
	v_add_f64 v[58:59], v[46:47], v[34:35]
	;; [unrolled: 1-line block ×3, first 2 shown]
	v_cvt_i32_f64_e32 v24, v[58:59]
	v_add_f64 v[26:27], v[30:31], v[26:27]
	v_cvt_f64_i32_e32 v[52:53], v24
	v_add_f64 v[34:35], v[34:35], -v[52:53]
	v_add_f64 v[26:27], v[28:29], v[26:27]
	v_add_f64 v[30:31], v[46:47], v[34:35]
	;; [unrolled: 1-line block ×3, first 2 shown]
	v_add_f64 v[28:29], v[30:31], -v[34:35]
	v_cmp_le_f64_e32 vcc, 0.5, v[30:31]
	v_add_f64 v[28:29], v[46:47], -v[28:29]
	v_cndmask_b32_e32 v19, 0, v41, vcc
	v_addc_co_u32_e32 v24, vcc, 0, v24, vcc
	v_add_f64 v[26:27], v[26:27], v[28:29]
	v_add_f64 v[28:29], v[30:31], -v[18:19]
	v_add_f64 v[30:31], v[28:29], v[26:27]
	v_mul_f64 v[32:33], v[30:31], s[14:15]
	v_add_f64 v[28:29], v[30:31], -v[28:29]
	v_fma_f64 v[34:35], v[30:31], s[14:15], -v[32:33]
	v_add_f64 v[26:27], v[26:27], -v[28:29]
	v_fma_f64 v[28:29], v[30:31], s[24:25], v[34:35]
	v_fma_f64 v[28:29], v[26:27], s[14:15], v[28:29]
	v_add_f64 v[26:27], v[32:33], v[28:29]
	v_add_f64 v[30:31], v[26:27], -v[32:33]
	v_add_f64 v[28:29], v[28:29], -v[30:31]
	s_andn2_saveexec_b64 s[2:3], s[2:3]
	s_cbranch_execz .LBB253_345
	s_branch .LBB253_344
.LBB253_343:                            ;   in Loop: Header=BB253_233 Depth=1
	s_andn2_saveexec_b64 s[2:3], s[2:3]
	s_cbranch_execz .LBB253_345
.LBB253_344:                            ;   in Loop: Header=BB253_233 Depth=1
	v_mul_f64 v[26:27], |v[12:13]|, s[26:27]
	s_mov_b32 s22, s28
	v_rndne_f64_e32 v[30:31], v[26:27]
	v_fma_f64 v[26:27], v[30:31], s[20:21], |v[12:13]|
	v_mul_f64 v[28:29], v[30:31], s[28:29]
	v_cvt_i32_f64_e32 v24, v[30:31]
	v_fma_f64 v[36:37], v[30:31], s[28:29], v[26:27]
	v_add_f64 v[32:33], v[26:27], v[28:29]
	v_add_f64 v[34:35], v[26:27], -v[32:33]
	v_add_f64 v[32:33], v[32:33], -v[36:37]
	v_add_f64 v[26:27], v[34:35], v[28:29]
	v_fma_f64 v[28:29], v[30:31], s[22:23], v[28:29]
	v_add_f64 v[26:27], v[32:33], v[26:27]
	v_add_f64 v[26:27], v[26:27], -v[28:29]
	v_fma_f64 v[28:29], v[30:31], s[30:31], v[26:27]
	v_add_f64 v[26:27], v[36:37], v[28:29]
	v_add_f64 v[32:33], v[26:27], -v[36:37]
	v_add_f64 v[28:29], v[28:29], -v[32:33]
.LBB253_345:                            ;   in Loop: Header=BB253_233 Depth=1
	s_or_b64 exec, exec, s[2:3]
                                        ; implicit-def: $vgpr44
                                        ; implicit-def: $vgpr30_vgpr31
                                        ; implicit-def: $vgpr34_vgpr35
	s_and_saveexec_b64 s[2:3], s[0:1]
	s_xor_b64 s[2:3], exec, s[2:3]
	s_cbranch_execz .LBB253_347
; %bb.346:                              ;   in Loop: Header=BB253_233 Depth=1
	v_trig_preop_f64 v[30:31], |v[12:13]|, 0
	s_mov_b32 s0, 0
	s_mov_b32 s1, 0x7b000000
	v_ldexp_f64 v[34:35], |v[12:13]|, s9
	v_cmp_ge_f64_e64 vcc, |v[12:13]|, s[0:1]
	v_trig_preop_f64 v[32:33], |v[12:13]|, 1
	v_and_b32_e32 v19, 0x7fffffff, v13
	v_trig_preop_f64 v[46:47], |v[12:13]|, 2
	s_mov_b32 s14, s20
	s_mov_b32 s25, s23
	v_cndmask_b32_e32 v35, v19, v35, vcc
	v_cndmask_b32_e32 v34, v12, v34, vcc
	v_mul_f64 v[36:37], v[30:31], v[34:35]
	v_mul_f64 v[38:39], v[32:33], v[34:35]
	;; [unrolled: 1-line block ×3, first 2 shown]
	v_fma_f64 v[30:31], v[30:31], v[34:35], -v[36:37]
	v_fma_f64 v[32:33], v[32:33], v[34:35], -v[38:39]
	;; [unrolled: 1-line block ×3, first 2 shown]
	v_add_f64 v[44:45], v[38:39], v[30:31]
	v_add_f64 v[48:49], v[44:45], -v[38:39]
	v_add_f64 v[54:55], v[36:37], v[44:45]
	v_add_f64 v[50:51], v[44:45], -v[48:49]
	v_add_f64 v[30:31], v[30:31], -v[48:49]
	v_add_f64 v[48:49], v[52:53], v[32:33]
	v_add_f64 v[36:37], v[54:55], -v[36:37]
	v_add_f64 v[38:39], v[38:39], -v[50:51]
	v_ldexp_f64 v[50:51], v[54:55], -2
	v_add_f64 v[56:57], v[48:49], -v[52:53]
	v_add_f64 v[36:37], v[44:45], -v[36:37]
	v_add_f64 v[30:31], v[30:31], v[38:39]
	v_fract_f64_e32 v[38:39], v[50:51]
	v_cmp_neq_f64_e64 vcc, |v[50:51]|, s[12:13]
	v_add_f64 v[32:33], v[32:33], -v[56:57]
	v_add_f64 v[44:45], v[48:49], v[30:31]
	v_ldexp_f64 v[38:39], v[38:39], 2
	v_add_f64 v[50:51], v[36:37], v[44:45]
	v_cndmask_b32_e32 v39, 0, v39, vcc
	v_cndmask_b32_e32 v38, 0, v38, vcc
	v_add_f64 v[58:59], v[44:45], -v[48:49]
	v_add_f64 v[54:55], v[50:51], v[38:39]
	v_add_f64 v[36:37], v[50:51], -v[36:37]
	v_add_f64 v[60:61], v[44:45], -v[58:59]
	;; [unrolled: 1-line block ×3, first 2 shown]
	v_cmp_gt_f64_e32 vcc, 0, v[54:55]
	v_add_f64 v[54:55], v[48:49], -v[56:57]
	v_add_f64 v[36:37], v[44:45], -v[36:37]
	;; [unrolled: 1-line block ×3, first 2 shown]
	v_cndmask_b32_e32 v19, 0, v40, vcc
	v_add_f64 v[38:39], v[38:39], v[18:19]
	v_add_f64 v[54:55], v[52:53], -v[54:55]
	v_add_f64 v[30:31], v[30:31], v[48:49]
	v_add_f64 v[62:63], v[50:51], v[38:39]
	;; [unrolled: 1-line block ×3, first 2 shown]
	v_cvt_i32_f64_e32 v19, v[62:63]
	v_add_f64 v[30:31], v[32:33], v[30:31]
	v_cvt_f64_i32_e32 v[56:57], v19
	v_add_f64 v[38:39], v[38:39], -v[56:57]
	v_add_f64 v[30:31], v[34:35], v[30:31]
	v_add_f64 v[32:33], v[50:51], v[38:39]
	;; [unrolled: 1-line block ×3, first 2 shown]
	v_add_f64 v[34:35], v[32:33], -v[38:39]
	v_cmp_le_f64_e32 vcc, 0.5, v[32:33]
	v_add_f64 v[34:35], v[50:51], -v[34:35]
	v_addc_co_u32_e64 v44, s[0:1], 0, v19, vcc
	v_cndmask_b32_e32 v19, 0, v41, vcc
	v_add_f64 v[32:33], v[32:33], -v[18:19]
	v_add_f64 v[30:31], v[30:31], v[34:35]
	v_add_f64 v[34:35], v[32:33], v[30:31]
	v_mul_f64 v[36:37], v[34:35], s[14:15]
	v_add_f64 v[32:33], v[34:35], -v[32:33]
	v_fma_f64 v[38:39], v[34:35], s[14:15], -v[36:37]
	v_add_f64 v[30:31], v[30:31], -v[32:33]
	v_fma_f64 v[32:33], v[34:35], s[24:25], v[38:39]
	v_fma_f64 v[32:33], v[30:31], s[14:15], v[32:33]
	v_add_f64 v[30:31], v[36:37], v[32:33]
	v_add_f64 v[34:35], v[30:31], -v[36:37]
	v_add_f64 v[34:35], v[32:33], -v[34:35]
	s_andn2_saveexec_b64 s[0:1], s[2:3]
	s_cbranch_execnz .LBB253_348
	s_branch .LBB253_349
.LBB253_347:                            ;   in Loop: Header=BB253_233 Depth=1
	s_andn2_saveexec_b64 s[0:1], s[2:3]
	s_cbranch_execz .LBB253_349
.LBB253_348:                            ;   in Loop: Header=BB253_233 Depth=1
	v_mul_f64 v[30:31], |v[12:13]|, s[26:27]
	s_mov_b32 s22, s28
	v_rndne_f64_e32 v[32:33], v[30:31]
	v_fma_f64 v[30:31], v[32:33], s[20:21], |v[12:13]|
	v_mul_f64 v[34:35], v[32:33], s[28:29]
	v_fma_f64 v[44:45], v[32:33], s[28:29], v[30:31]
	v_add_f64 v[36:37], v[30:31], v[34:35]
	v_add_f64 v[38:39], v[30:31], -v[36:37]
	v_add_f64 v[36:37], v[36:37], -v[44:45]
	v_add_f64 v[30:31], v[38:39], v[34:35]
	v_fma_f64 v[34:35], v[32:33], s[22:23], v[34:35]
	v_add_f64 v[30:31], v[36:37], v[30:31]
	v_add_f64 v[30:31], v[30:31], -v[34:35]
	v_fma_f64 v[34:35], v[32:33], s[30:31], v[30:31]
	v_add_f64 v[30:31], v[44:45], v[34:35]
	v_add_f64 v[36:37], v[30:31], -v[44:45]
	v_cvt_i32_f64_e32 v44, v[32:33]
	v_add_f64 v[34:35], v[34:35], -v[36:37]
.LBB253_349:                            ;   in Loop: Header=BB253_233 Depth=1
	s_or_b64 exec, exec, s[0:1]
	s_mov_b32 s34, s36
	v_mul_f64 v[32:33], v[10:11], s[34:35]
	v_mul_f64 v[47:48], v[30:31], v[30:31]
	v_mov_b32_e32 v49, s72
	v_mov_b32_e32 v50, s73
	;; [unrolled: 1-line block ×4, first 2 shown]
	s_mov_b32 s55, s53
	s_mov_b32 s83, s57
	v_rndne_f64_e32 v[32:33], v[32:33]
	v_mul_f64 v[63:64], v[47:48], 0.5
	v_mul_f64 v[55:56], v[28:29], 0.5
	;; [unrolled: 1-line block ×3, first 2 shown]
	v_mul_f64 v[71:72], v[30:31], -v[47:48]
	s_mov_b32 s92, s56
	v_and_b32_e32 v19, 1, v24
	v_lshlrev_b32_e32 v24, 30, v24
	v_fma_f64 v[36:37], v[32:33], s[38:39], -v[10:11]
	v_add_f64 v[69:70], -v[63:64], 1.0
	v_cmp_eq_u32_e32 vcc, 0, v19
	v_cmp_class_f64_e64 s[0:1], v[12:13], s10
	v_fma_f64 v[36:37], v[32:33], s[40:41], v[36:37]
	v_add_f64 v[75:76], -v[69:70], 1.0
	v_cvt_i32_f64_e32 v32, v[32:33]
	v_fma_f64 v[38:39], v[36:37], s[42:43], v[22:23]
	v_fma_f64 v[45:46], v[36:37], v[38:39], s[44:45]
	v_mul_f64 v[38:39], v[26:27], v[26:27]
	v_fma_f64 v[45:46], v[36:37], v[45:46], s[46:47]
	v_fma_f64 v[51:52], v[38:39], s[74:75], v[49:50]
	;; [unrolled: 1-line block ×4, first 2 shown]
	v_mul_f64 v[61:62], v[38:39], 0.5
	v_fma_f64 v[53:54], v[47:48], s[64:65], v[53:54]
	v_mul_f64 v[65:66], v[26:27], -v[38:39]
	v_mul_f64 v[77:78], v[38:39], v[38:39]
	v_fma_f64 v[45:46], v[36:37], v[45:46], s[48:49]
	v_fma_f64 v[51:52], v[38:39], v[51:52], s[76:77]
	;; [unrolled: 1-line block ×4, first 2 shown]
	v_add_f64 v[67:68], -v[61:62], 1.0
	v_fma_f64 v[53:54], v[47:48], v[53:54], s[66:67]
	v_fma_f64 v[45:46], v[36:37], v[45:46], s[50:51]
	;; [unrolled: 1-line block ×5, first 2 shown]
	v_add_f64 v[73:74], -v[67:68], 1.0
	v_fma_f64 v[53:54], v[47:48], v[53:54], s[68:69]
	v_fma_f64 v[45:46], v[36:37], v[45:46], s[54:55]
	;; [unrolled: 1-line block ×8, first 2 shown]
	v_add_f64 v[59:60], v[73:74], -v[61:62]
	v_add_f64 v[61:62], v[75:76], -v[63:64]
	v_fma_f64 v[49:50], v[71:72], v[49:50], v[57:58]
	v_mul_f64 v[57:58], v[47:48], v[47:48]
	v_fma_f64 v[53:54], v[47:48], v[53:54], s[56:57]
	v_fma_f64 v[45:46], v[36:37], v[45:46], s[58:59]
	v_fma_f64 v[51:52], v[38:39], v[51:52], -v[28:29]
	v_fma_f64 v[38:39], v[38:39], v[55:56], s[56:57]
	v_fma_f64 v[28:29], v[26:27], -v[28:29], v[59:60]
	v_fma_f64 v[55:56], v[30:31], -v[34:35], v[61:62]
	v_fma_f64 v[34:35], v[47:48], v[49:50], -v[34:35]
	v_and_b32_e32 v49, 1, v44
	v_lshlrev_b32_e32 v44, 30, v44
	v_fma_f64 v[45:46], v[36:37], v[45:46], s[60:61]
	v_fma_f64 v[47:48], v[65:66], s[92:93], v[51:52]
	v_and_b32_e32 v50, 0x80000000, v24
	v_fma_f64 v[28:29], v[77:78], v[38:39], v[28:29]
	v_fma_f64 v[38:39], v[57:58], v[53:54], v[55:56]
	;; [unrolled: 1-line block ×3, first 2 shown]
	v_xor_b32_e32 v44, v44, v25
	v_cmp_eq_u32_e64 s[2:3], 0, v49
	v_fma_f64 v[45:46], v[36:37], v[45:46], 1.0
	v_add_f64 v[26:27], v[26:27], -v[47:48]
	v_add_f64 v[24:25], v[67:68], v[28:29]
	v_add_f64 v[28:29], v[69:70], v[38:39]
	v_add_f64 v[30:31], v[30:31], -v[34:35]
	v_and_b32_e32 v34, 0x80000000, v44
	v_fma_f64 v[36:37], v[36:37], v[45:46], 1.0
	v_xor_b32_e32 v27, 0x80000000, v27
	v_cndmask_b32_e32 v19, v26, v24, vcc
	v_cndmask_b32_e32 v24, v27, v25, vcc
	v_cndmask_b32_e64 v12, v28, v30, s[2:3]
	v_cndmask_b32_e64 v13, v29, v31, s[2:3]
	v_cmp_ngt_f64_e32 vcc, s[84:85], v[10:11]
	v_ldexp_f64 v[32:33], v[36:37], v32
	v_cmp_nlt_f64_e64 s[2:3], s[86:87], v[10:11]
	v_xor_b32_e32 v13, v13, v34
	v_xor_b32_e32 v11, v24, v50
	v_cndmask_b32_e64 v10, 0, v19, s[0:1]
	v_cndmask_b32_e64 v11, v43, v11, s[0:1]
	;; [unrolled: 1-line block ×4, first 2 shown]
	v_cndmask_b32_e32 v25, v42, v33, vcc
	s_and_b64 vcc, s[2:3], vcc
	v_cndmask_b32_e64 v25, 0, v25, s[2:3]
	v_cndmask_b32_e32 v24, 0, v32, vcc
	v_mul_f64 v[26:27], v[24:25], v[10:11]
	v_mul_f64 v[24:25], v[24:25], v[12:13]
                                        ; implicit-def: $vgpr12_vgpr13
.LBB253_350:                            ;   in Loop: Header=BB253_233 Depth=1
	s_andn2_saveexec_b64 s[90:91], s[90:91]
	s_cbranch_execz .LBB253_360
; %bb.351:                              ;   in Loop: Header=BB253_233 Depth=1
	s_mov_b32 s0, 0
	s_mov_b32 s1, 0x41d00000
	v_cmp_nlt_f64_e64 s[0:1], |v[12:13]|, s[0:1]
                                        ; implicit-def: $vgpr24
                                        ; implicit-def: $vgpr26_vgpr27
                                        ; implicit-def: $vgpr28_vgpr29
	s_and_saveexec_b64 s[2:3], s[0:1]
	s_xor_b64 s[2:3], exec, s[2:3]
	s_cbranch_execz .LBB253_353
; %bb.352:                              ;   in Loop: Header=BB253_233 Depth=1
	v_trig_preop_f64 v[26:27], |v[12:13]|, 0
	s_mov_b32 vcc_lo, 0
	s_mov_b32 vcc_hi, 0x7b000000
	v_ldexp_f64 v[28:29], |v[12:13]|, s9
	v_cmp_ge_f64_e64 vcc, |v[12:13]|, vcc
	v_trig_preop_f64 v[30:31], |v[12:13]|, 1
	v_and_b32_e32 v19, 0x7fffffff, v13
	v_trig_preop_f64 v[38:39], |v[12:13]|, 2
	s_mov_b32 s14, s20
	s_mov_b32 s25, s23
	v_cndmask_b32_e32 v29, v19, v29, vcc
	v_cndmask_b32_e32 v28, v12, v28, vcc
	v_mul_f64 v[32:33], v[26:27], v[28:29]
	v_mul_f64 v[34:35], v[30:31], v[28:29]
	;; [unrolled: 1-line block ×3, first 2 shown]
	v_fma_f64 v[26:27], v[26:27], v[28:29], -v[32:33]
	v_fma_f64 v[30:31], v[30:31], v[28:29], -v[34:35]
	;; [unrolled: 1-line block ×3, first 2 shown]
	v_add_f64 v[36:37], v[34:35], v[26:27]
	v_add_f64 v[44:45], v[36:37], -v[34:35]
	v_add_f64 v[50:51], v[32:33], v[36:37]
	v_add_f64 v[46:47], v[36:37], -v[44:45]
	v_add_f64 v[26:27], v[26:27], -v[44:45]
	v_add_f64 v[44:45], v[48:49], v[30:31]
	v_add_f64 v[32:33], v[50:51], -v[32:33]
	v_add_f64 v[34:35], v[34:35], -v[46:47]
	v_ldexp_f64 v[46:47], v[50:51], -2
	v_add_f64 v[52:53], v[44:45], -v[48:49]
	v_add_f64 v[32:33], v[36:37], -v[32:33]
	v_add_f64 v[26:27], v[26:27], v[34:35]
	v_fract_f64_e32 v[34:35], v[46:47]
	v_cmp_neq_f64_e64 vcc, |v[46:47]|, s[12:13]
	v_add_f64 v[30:31], v[30:31], -v[52:53]
	v_add_f64 v[36:37], v[44:45], v[26:27]
	v_ldexp_f64 v[34:35], v[34:35], 2
	v_add_f64 v[46:47], v[32:33], v[36:37]
	v_cndmask_b32_e32 v35, 0, v35, vcc
	v_cndmask_b32_e32 v34, 0, v34, vcc
	v_add_f64 v[54:55], v[36:37], -v[44:45]
	v_add_f64 v[50:51], v[46:47], v[34:35]
	v_add_f64 v[32:33], v[46:47], -v[32:33]
	v_add_f64 v[56:57], v[36:37], -v[54:55]
	;; [unrolled: 1-line block ×3, first 2 shown]
	v_cmp_gt_f64_e32 vcc, 0, v[50:51]
	v_add_f64 v[50:51], v[44:45], -v[52:53]
	v_add_f64 v[32:33], v[36:37], -v[32:33]
	;; [unrolled: 1-line block ×3, first 2 shown]
	v_cndmask_b32_e32 v19, 0, v40, vcc
	v_add_f64 v[34:35], v[34:35], v[18:19]
	v_add_f64 v[50:51], v[48:49], -v[50:51]
	v_add_f64 v[26:27], v[26:27], v[44:45]
	v_add_f64 v[58:59], v[46:47], v[34:35]
	v_add_f64 v[30:31], v[30:31], v[50:51]
	v_cvt_i32_f64_e32 v24, v[58:59]
	v_add_f64 v[26:27], v[30:31], v[26:27]
	v_cvt_f64_i32_e32 v[52:53], v24
	v_add_f64 v[34:35], v[34:35], -v[52:53]
	v_add_f64 v[26:27], v[28:29], v[26:27]
	v_add_f64 v[30:31], v[46:47], v[34:35]
	;; [unrolled: 1-line block ×3, first 2 shown]
	v_add_f64 v[28:29], v[30:31], -v[34:35]
	v_cmp_le_f64_e32 vcc, 0.5, v[30:31]
	v_add_f64 v[28:29], v[46:47], -v[28:29]
	v_cndmask_b32_e32 v19, 0, v41, vcc
	v_addc_co_u32_e32 v24, vcc, 0, v24, vcc
	v_add_f64 v[26:27], v[26:27], v[28:29]
	v_add_f64 v[28:29], v[30:31], -v[18:19]
	v_add_f64 v[30:31], v[28:29], v[26:27]
	v_mul_f64 v[32:33], v[30:31], s[14:15]
	v_add_f64 v[28:29], v[30:31], -v[28:29]
	v_fma_f64 v[34:35], v[30:31], s[14:15], -v[32:33]
	v_add_f64 v[26:27], v[26:27], -v[28:29]
	v_fma_f64 v[28:29], v[30:31], s[24:25], v[34:35]
	v_fma_f64 v[28:29], v[26:27], s[14:15], v[28:29]
	v_add_f64 v[26:27], v[32:33], v[28:29]
	v_add_f64 v[30:31], v[26:27], -v[32:33]
	v_add_f64 v[28:29], v[28:29], -v[30:31]
	s_andn2_saveexec_b64 s[2:3], s[2:3]
	s_cbranch_execz .LBB253_355
	s_branch .LBB253_354
.LBB253_353:                            ;   in Loop: Header=BB253_233 Depth=1
	s_andn2_saveexec_b64 s[2:3], s[2:3]
	s_cbranch_execz .LBB253_355
.LBB253_354:                            ;   in Loop: Header=BB253_233 Depth=1
	v_mul_f64 v[26:27], |v[12:13]|, s[26:27]
	s_mov_b32 s22, s28
	v_rndne_f64_e32 v[30:31], v[26:27]
	v_fma_f64 v[26:27], v[30:31], s[20:21], |v[12:13]|
	v_mul_f64 v[28:29], v[30:31], s[28:29]
	v_cvt_i32_f64_e32 v24, v[30:31]
	v_fma_f64 v[36:37], v[30:31], s[28:29], v[26:27]
	v_add_f64 v[32:33], v[26:27], v[28:29]
	v_add_f64 v[34:35], v[26:27], -v[32:33]
	v_add_f64 v[32:33], v[32:33], -v[36:37]
	v_add_f64 v[26:27], v[34:35], v[28:29]
	v_fma_f64 v[28:29], v[30:31], s[22:23], v[28:29]
	v_add_f64 v[26:27], v[32:33], v[26:27]
	v_add_f64 v[26:27], v[26:27], -v[28:29]
	v_fma_f64 v[28:29], v[30:31], s[30:31], v[26:27]
	v_add_f64 v[26:27], v[36:37], v[28:29]
	v_add_f64 v[32:33], v[26:27], -v[36:37]
	v_add_f64 v[28:29], v[28:29], -v[32:33]
.LBB253_355:                            ;   in Loop: Header=BB253_233 Depth=1
	s_or_b64 exec, exec, s[2:3]
                                        ; implicit-def: $vgpr44
                                        ; implicit-def: $vgpr30_vgpr31
                                        ; implicit-def: $vgpr32_vgpr33
	s_and_saveexec_b64 s[2:3], s[0:1]
	s_xor_b64 s[2:3], exec, s[2:3]
	s_cbranch_execz .LBB253_357
; %bb.356:                              ;   in Loop: Header=BB253_233 Depth=1
	v_trig_preop_f64 v[30:31], |v[12:13]|, 0
	s_mov_b32 s0, 0
	s_mov_b32 s1, 0x7b000000
	v_ldexp_f64 v[34:35], |v[12:13]|, s9
	v_cmp_ge_f64_e64 vcc, |v[12:13]|, s[0:1]
	v_trig_preop_f64 v[32:33], |v[12:13]|, 1
	v_and_b32_e32 v19, 0x7fffffff, v13
	v_trig_preop_f64 v[46:47], |v[12:13]|, 2
	s_mov_b32 s14, s20
	s_mov_b32 s25, s23
	v_cndmask_b32_e32 v35, v19, v35, vcc
	v_cndmask_b32_e32 v34, v12, v34, vcc
	v_mul_f64 v[36:37], v[30:31], v[34:35]
	v_mul_f64 v[38:39], v[32:33], v[34:35]
	v_mul_f64 v[52:53], v[46:47], v[34:35]
	v_fma_f64 v[30:31], v[30:31], v[34:35], -v[36:37]
	v_fma_f64 v[32:33], v[32:33], v[34:35], -v[38:39]
	;; [unrolled: 1-line block ×3, first 2 shown]
	v_add_f64 v[44:45], v[38:39], v[30:31]
	v_add_f64 v[48:49], v[44:45], -v[38:39]
	v_add_f64 v[54:55], v[36:37], v[44:45]
	v_add_f64 v[50:51], v[44:45], -v[48:49]
	v_add_f64 v[30:31], v[30:31], -v[48:49]
	v_add_f64 v[48:49], v[52:53], v[32:33]
	v_add_f64 v[36:37], v[54:55], -v[36:37]
	v_add_f64 v[38:39], v[38:39], -v[50:51]
	v_ldexp_f64 v[50:51], v[54:55], -2
	v_add_f64 v[56:57], v[48:49], -v[52:53]
	v_add_f64 v[36:37], v[44:45], -v[36:37]
	v_add_f64 v[30:31], v[30:31], v[38:39]
	v_fract_f64_e32 v[38:39], v[50:51]
	v_cmp_neq_f64_e64 vcc, |v[50:51]|, s[12:13]
	v_add_f64 v[32:33], v[32:33], -v[56:57]
	v_add_f64 v[44:45], v[48:49], v[30:31]
	v_ldexp_f64 v[38:39], v[38:39], 2
	v_add_f64 v[50:51], v[36:37], v[44:45]
	v_cndmask_b32_e32 v39, 0, v39, vcc
	v_cndmask_b32_e32 v38, 0, v38, vcc
	v_add_f64 v[58:59], v[44:45], -v[48:49]
	v_add_f64 v[54:55], v[50:51], v[38:39]
	v_add_f64 v[36:37], v[50:51], -v[36:37]
	v_add_f64 v[60:61], v[44:45], -v[58:59]
	;; [unrolled: 1-line block ×3, first 2 shown]
	v_cmp_gt_f64_e32 vcc, 0, v[54:55]
	v_add_f64 v[54:55], v[48:49], -v[56:57]
	v_add_f64 v[36:37], v[44:45], -v[36:37]
	;; [unrolled: 1-line block ×3, first 2 shown]
	v_cndmask_b32_e32 v19, 0, v40, vcc
	v_add_f64 v[38:39], v[38:39], v[18:19]
	v_add_f64 v[54:55], v[52:53], -v[54:55]
	v_add_f64 v[30:31], v[30:31], v[48:49]
	v_add_f64 v[62:63], v[50:51], v[38:39]
	;; [unrolled: 1-line block ×3, first 2 shown]
	v_cvt_i32_f64_e32 v19, v[62:63]
	v_add_f64 v[30:31], v[32:33], v[30:31]
	v_cvt_f64_i32_e32 v[56:57], v19
	v_add_f64 v[38:39], v[38:39], -v[56:57]
	v_add_f64 v[30:31], v[34:35], v[30:31]
	v_add_f64 v[32:33], v[50:51], v[38:39]
	;; [unrolled: 1-line block ×3, first 2 shown]
	v_add_f64 v[34:35], v[32:33], -v[38:39]
	v_cmp_le_f64_e32 vcc, 0.5, v[32:33]
	v_add_f64 v[34:35], v[50:51], -v[34:35]
	v_addc_co_u32_e64 v44, s[0:1], 0, v19, vcc
	v_cndmask_b32_e32 v19, 0, v41, vcc
	v_add_f64 v[32:33], v[32:33], -v[18:19]
	v_add_f64 v[30:31], v[30:31], v[34:35]
	v_add_f64 v[34:35], v[32:33], v[30:31]
	v_mul_f64 v[36:37], v[34:35], s[14:15]
	v_add_f64 v[32:33], v[34:35], -v[32:33]
	v_fma_f64 v[38:39], v[34:35], s[14:15], -v[36:37]
	v_add_f64 v[30:31], v[30:31], -v[32:33]
	v_fma_f64 v[32:33], v[34:35], s[24:25], v[38:39]
	v_fma_f64 v[32:33], v[30:31], s[14:15], v[32:33]
	v_add_f64 v[30:31], v[36:37], v[32:33]
	v_add_f64 v[34:35], v[30:31], -v[36:37]
	v_add_f64 v[32:33], v[32:33], -v[34:35]
	s_andn2_saveexec_b64 s[0:1], s[2:3]
	s_cbranch_execnz .LBB253_358
	s_branch .LBB253_359
.LBB253_357:                            ;   in Loop: Header=BB253_233 Depth=1
	s_andn2_saveexec_b64 s[0:1], s[2:3]
	s_cbranch_execz .LBB253_359
.LBB253_358:                            ;   in Loop: Header=BB253_233 Depth=1
	v_mul_f64 v[30:31], |v[12:13]|, s[26:27]
	s_mov_b32 s22, s28
	v_rndne_f64_e32 v[34:35], v[30:31]
	v_fma_f64 v[30:31], v[34:35], s[20:21], |v[12:13]|
	v_mul_f64 v[32:33], v[34:35], s[28:29]
	v_fma_f64 v[44:45], v[34:35], s[28:29], v[30:31]
	v_add_f64 v[36:37], v[30:31], v[32:33]
	v_add_f64 v[38:39], v[30:31], -v[36:37]
	v_add_f64 v[36:37], v[36:37], -v[44:45]
	v_add_f64 v[30:31], v[38:39], v[32:33]
	v_fma_f64 v[32:33], v[34:35], s[22:23], v[32:33]
	v_add_f64 v[30:31], v[36:37], v[30:31]
	v_add_f64 v[30:31], v[30:31], -v[32:33]
	v_fma_f64 v[32:33], v[34:35], s[30:31], v[30:31]
	v_add_f64 v[30:31], v[44:45], v[32:33]
	v_add_f64 v[36:37], v[30:31], -v[44:45]
	v_cvt_i32_f64_e32 v44, v[34:35]
	v_add_f64 v[32:33], v[32:33], -v[36:37]
.LBB253_359:                            ;   in Loop: Header=BB253_233 Depth=1
	s_or_b64 exec, exec, s[0:1]
	s_mov_b32 s0, 0x19ba0da4
	s_mov_b32 s1, 0xc0937be3
	v_add_f64 v[10:11], -v[10:11], s[0:1]
	v_mul_f64 v[49:50], v[30:31], v[30:31]
	v_mov_b32_e32 v51, s72
	v_mov_b32_e32 v52, s73
	v_mov_b32_e32 v47, s62
	v_mov_b32_e32 v48, s63
	s_mov_b32 s55, s53
	s_mov_b32 s83, s57
	v_mul_f64 v[34:35], v[10:11], s[36:37]
	v_mul_f64 v[63:64], v[49:50], 0.5
	v_mul_f64 v[53:54], v[28:29], 0.5
	v_mul_f64 v[61:62], v[32:33], 0.5
	v_mul_f64 v[73:74], v[30:31], -v[49:50]
	s_mov_b32 s92, s56
	v_and_b32_e32 v19, 1, v24
	v_lshlrev_b32_e32 v24, 30, v24
	v_rndne_f64_e32 v[34:35], v[34:35]
	v_add_f64 v[69:70], -v[63:64], 1.0
	v_cmp_eq_u32_e32 vcc, 0, v19
	v_cmp_class_f64_e64 s[0:1], v[12:13], s10
	v_fma_f64 v[36:37], v[34:35], s[38:39], v[10:11]
	v_add_f64 v[75:76], -v[69:70], 1.0
	v_fma_f64 v[36:37], v[34:35], s[40:41], v[36:37]
	v_add_f64 v[63:64], v[75:76], -v[63:64]
	v_fma_f64 v[38:39], v[36:37], s[42:43], v[22:23]
	v_fma_f64 v[45:46], v[36:37], v[38:39], s[44:45]
	v_mul_f64 v[38:39], v[26:27], v[26:27]
	v_fma_f64 v[45:46], v[36:37], v[45:46], s[46:47]
	v_fma_f64 v[55:56], v[38:39], s[74:75], v[51:52]
	;; [unrolled: 1-line block ×4, first 2 shown]
	v_mul_f64 v[59:60], v[38:39], 0.5
	v_fma_f64 v[47:48], v[49:50], s[64:65], v[47:48]
	v_mul_f64 v[67:68], v[26:27], -v[38:39]
	v_fma_f64 v[45:46], v[36:37], v[45:46], s[48:49]
	v_fma_f64 v[55:56], v[38:39], v[55:56], s[76:77]
	;; [unrolled: 1-line block ×4, first 2 shown]
	v_add_f64 v[65:66], -v[59:60], 1.0
	v_fma_f64 v[47:48], v[49:50], v[47:48], s[66:67]
	v_fma_f64 v[45:46], v[36:37], v[45:46], s[50:51]
	;; [unrolled: 1-line block ×5, first 2 shown]
	v_add_f64 v[71:72], -v[65:66], 1.0
	v_fma_f64 v[47:48], v[49:50], v[47:48], s[68:69]
	v_fma_f64 v[45:46], v[36:37], v[45:46], s[54:55]
	v_fma_f64 v[55:56], v[38:39], v[55:56], s[52:53]
	v_fma_f64 v[51:52], v[49:50], v[51:52], s[52:53]
	v_fma_f64 v[57:58], v[38:39], v[57:58], s[70:71]
	v_add_f64 v[59:60], v[71:72], -v[59:60]
	v_fma_f64 v[47:48], v[49:50], v[47:48], s[70:71]
	v_fma_f64 v[45:46], v[36:37], v[45:46], s[82:83]
	;; [unrolled: 1-line block ×4, first 2 shown]
	v_mul_f64 v[55:56], v[38:39], v[38:39]
	v_fma_f64 v[57:58], v[38:39], v[57:58], s[56:57]
	v_fma_f64 v[59:60], v[26:27], -v[28:29], v[59:60]
	v_fma_f64 v[47:48], v[49:50], v[47:48], s[56:57]
	v_fma_f64 v[45:46], v[36:37], v[45:46], s[58:59]
	v_fma_f64 v[28:29], v[38:39], v[53:54], -v[28:29]
	v_mul_f64 v[38:39], v[49:50], v[49:50]
	v_fma_f64 v[53:54], v[30:31], -v[32:33], v[63:64]
	v_fma_f64 v[32:33], v[49:50], v[51:52], -v[32:33]
	v_fma_f64 v[49:50], v[55:56], v[57:58], v[59:60]
	v_and_b32_e32 v51, 1, v44
	v_lshlrev_b32_e32 v52, 30, v44
	v_fma_f64 v[45:46], v[36:37], v[45:46], s[60:61]
	v_fma_f64 v[28:29], v[67:68], s[92:93], v[28:29]
	v_cmp_eq_u32_e64 s[2:3], 0, v51
	v_fma_f64 v[38:39], v[38:39], v[47:48], v[53:54]
	v_fma_f64 v[32:33], v[73:74], s[92:93], v[32:33]
	v_and_b32_e32 v48, 0x80000000, v24
	v_xor_b32_e32 v24, v52, v25
	v_fma_f64 v[44:45], v[36:37], v[45:46], 1.0
	v_add_f64 v[46:47], v[65:66], v[49:50]
	v_add_f64 v[26:27], v[26:27], -v[28:29]
	v_and_b32_e32 v49, 0x80000000, v24
	v_add_f64 v[28:29], v[69:70], v[38:39]
	v_add_f64 v[30:31], v[30:31], -v[32:33]
	v_cvt_i32_f64_e32 v32, v[34:35]
	v_fma_f64 v[24:25], v[36:37], v[44:45], 1.0
	v_cndmask_b32_e32 v19, v26, v46, vcc
	v_xor_b32_e32 v26, 0x80000000, v27
	v_cndmask_b32_e32 v26, v26, v47, vcc
	v_cndmask_b32_e64 v27, v28, v30, s[2:3]
	v_ldexp_f64 v[12:13], v[24:25], v32
	v_cndmask_b32_e64 v25, v29, v31, s[2:3]
	s_mov_b32 s2, 0
	s_mov_b32 s3, 0x40900000
	v_cmp_nlt_f64_e32 vcc, s[2:3], v[10:11]
	s_mov_b32 s2, 0
	s_mov_b32 s3, 0xc090cc00
	v_cmp_ngt_f64_e64 s[2:3], s[2:3], v[10:11]
	v_cndmask_b32_e64 v24, 0, v19, s[0:1]
	v_xor_b32_e32 v19, v25, v49
	v_xor_b32_e32 v25, v26, v48
	v_cndmask_b32_e64 v11, v43, v19, s[0:1]
	v_cndmask_b32_e32 v13, v42, v13, vcc
	v_cndmask_b32_e64 v25, v43, v25, s[0:1]
	v_cndmask_b32_e64 v10, 0, v27, s[0:1]
	;; [unrolled: 1-line block ×3, first 2 shown]
	v_and_b32_e32 v19, 0xfffff, v13
	s_and_b64 vcc, s[2:3], vcc
	v_lshrrev_b32_e32 v26, 20, v13
	v_or_b32_e32 v13, 0x7fe00000, v19
	v_cndmask_b32_e32 v12, 0, v12, vcc
	v_mul_f64 v[24:25], v[12:13], v[24:25]
	v_mul_f64 v[10:11], v[12:13], v[10:11]
	v_add_u32_e32 v26, 0xffffff09, v26
	v_lshrrev_b16_e32 v12, 15, v26
	v_add_u16_e32 v12, v26, v12
	v_ashrrev_i16_e32 v12, 1, v12
	v_bfe_i32 v27, v12, 0, 16
	v_lshl_add_u32 v19, v27, 20, v41
	v_mul_f64 v[12:13], v[24:25], v[18:19]
	v_mul_f64 v[10:11], v[10:11], v[18:19]
	v_sub_u32_e32 v19, v26, v27
	v_mov_b32_e32 v24, v18
	v_lshl_add_u32 v25, v19, 20, v41
	v_mul_f64 v[26:27], v[12:13], v[24:25]
	v_mul_f64 v[24:25], v[10:11], v[24:25]
.LBB253_360:                            ;   in Loop: Header=BB253_233 Depth=1
	s_or_b64 exec, exec, s[90:91]
                                        ; implicit-def: $vgpr28_vgpr29
                                        ; implicit-def: $vgpr10_vgpr11
                                        ; implicit-def: $vgpr19
.LBB253_361:                            ;   in Loop: Header=BB253_233 Depth=1
	s_andn2_saveexec_b64 s[2:3], s[88:89]
	s_cbranch_execz .LBB253_367
; %bb.362:                              ;   in Loop: Header=BB253_233 Depth=1
	v_add_f64 v[24:25], v[12:13], -v[12:13]
	v_cmp_ne_u32_e32 vcc, 0, v10
	v_cmp_ne_u32_e64 s[0:1], s11, v19
	s_or_b64 s[0:1], vcc, s[0:1]
	s_and_saveexec_b64 s[88:89], s[0:1]
	s_xor_b64 s[0:1], exec, s[88:89]
; %bb.363:                              ;   in Loop: Header=BB253_233 Depth=1
                                        ; implicit-def: $vgpr28_vgpr29
                                        ; implicit-def: $vgpr10_vgpr11
; %bb.364:                              ;   in Loop: Header=BB253_233 Depth=1
	s_or_saveexec_b64 s[0:1], s[0:1]
	v_mov_b32_e32 v27, v25
	v_mov_b32_e32 v26, v24
	s_xor_b64 exec, exec, s[0:1]
; %bb.365:                              ;   in Loop: Header=BB253_233 Depth=1
	v_cmp_lt_i64_e32 vcc, -1, v[28:29]
	v_cndmask_b32_e32 v27, 0, v29, vcc
	v_cndmask_b32_e32 v26, 0, v10, vcc
	;; [unrolled: 1-line block ×4, first 2 shown]
; %bb.366:                              ;   in Loop: Header=BB253_233 Depth=1
	s_or_b64 exec, exec, s[0:1]
.LBB253_367:                            ;   in Loop: Header=BB253_233 Depth=1
	s_or_b64 exec, exec, s[2:3]
                                        ; implicit-def: $vgpr12_vgpr13
.LBB253_368:                            ;   in Loop: Header=BB253_233 Depth=1
	s_andn2_saveexec_b64 s[2:3], s[80:81]
	s_cbranch_execz .LBB253_378
; %bb.369:                              ;   in Loop: Header=BB253_233 Depth=1
	s_mov_b32 s0, 0
	s_mov_b32 s1, 0x41d00000
	v_cmp_nlt_f64_e64 s[80:81], |v[12:13]|, s[0:1]
                                        ; implicit-def: $vgpr24
                                        ; implicit-def: $vgpr10_vgpr11
                                        ; implicit-def: $vgpr26_vgpr27
	s_and_saveexec_b64 s[0:1], s[80:81]
	s_xor_b64 s[88:89], exec, s[0:1]
	s_cbranch_execz .LBB253_371
; %bb.370:                              ;   in Loop: Header=BB253_233 Depth=1
	v_trig_preop_f64 v[10:11], |v[12:13]|, 0
	s_mov_b32 s0, 0
	s_mov_b32 s1, 0x7b000000
	v_ldexp_f64 v[28:29], |v[12:13]|, s9
	v_cmp_ge_f64_e64 vcc, |v[12:13]|, s[0:1]
	v_trig_preop_f64 v[26:27], |v[12:13]|, 1
	v_and_b32_e32 v19, 0x7fffffff, v13
	v_trig_preop_f64 v[36:37], |v[12:13]|, 2
	s_mov_b32 s14, s20
	s_mov_b32 s25, s23
	v_cndmask_b32_e32 v29, v19, v29, vcc
	v_cndmask_b32_e32 v28, v12, v28, vcc
	v_mul_f64 v[30:31], v[10:11], v[28:29]
	v_mul_f64 v[32:33], v[26:27], v[28:29]
	;; [unrolled: 1-line block ×3, first 2 shown]
	v_fma_f64 v[10:11], v[10:11], v[28:29], -v[30:31]
	v_fma_f64 v[26:27], v[26:27], v[28:29], -v[32:33]
	;; [unrolled: 1-line block ×3, first 2 shown]
	v_add_f64 v[34:35], v[32:33], v[10:11]
	v_add_f64 v[38:39], v[34:35], -v[32:33]
	v_add_f64 v[48:49], v[30:31], v[34:35]
	v_add_f64 v[44:45], v[34:35], -v[38:39]
	v_add_f64 v[10:11], v[10:11], -v[38:39]
	v_add_f64 v[38:39], v[46:47], v[26:27]
	v_add_f64 v[30:31], v[48:49], -v[30:31]
	v_add_f64 v[32:33], v[32:33], -v[44:45]
	v_ldexp_f64 v[44:45], v[48:49], -2
	v_add_f64 v[50:51], v[38:39], -v[46:47]
	v_add_f64 v[30:31], v[34:35], -v[30:31]
	v_add_f64 v[10:11], v[10:11], v[32:33]
	v_fract_f64_e32 v[32:33], v[44:45]
	v_cmp_neq_f64_e64 vcc, |v[44:45]|, s[12:13]
	v_add_f64 v[26:27], v[26:27], -v[50:51]
	v_add_f64 v[34:35], v[38:39], v[10:11]
	v_ldexp_f64 v[32:33], v[32:33], 2
	v_add_f64 v[44:45], v[30:31], v[34:35]
	v_cndmask_b32_e32 v33, 0, v33, vcc
	v_cndmask_b32_e32 v32, 0, v32, vcc
	v_add_f64 v[52:53], v[34:35], -v[38:39]
	v_add_f64 v[48:49], v[44:45], v[32:33]
	v_add_f64 v[30:31], v[44:45], -v[30:31]
	v_add_f64 v[54:55], v[34:35], -v[52:53]
	;; [unrolled: 1-line block ×3, first 2 shown]
	v_cmp_gt_f64_e32 vcc, 0, v[48:49]
	v_add_f64 v[48:49], v[38:39], -v[50:51]
	v_add_f64 v[30:31], v[34:35], -v[30:31]
	;; [unrolled: 1-line block ×3, first 2 shown]
	v_cndmask_b32_e32 v19, 0, v40, vcc
	v_add_f64 v[32:33], v[32:33], v[18:19]
	v_add_f64 v[48:49], v[46:47], -v[48:49]
	v_add_f64 v[10:11], v[10:11], v[38:39]
	v_add_f64 v[56:57], v[44:45], v[32:33]
	;; [unrolled: 1-line block ×3, first 2 shown]
	v_cvt_i32_f64_e32 v19, v[56:57]
	v_add_f64 v[10:11], v[26:27], v[10:11]
	v_cvt_f64_i32_e32 v[50:51], v19
	v_add_f64 v[32:33], v[32:33], -v[50:51]
	v_add_f64 v[10:11], v[28:29], v[10:11]
	v_add_f64 v[26:27], v[44:45], v[32:33]
	v_add_f64 v[10:11], v[30:31], v[10:11]
	v_add_f64 v[28:29], v[26:27], -v[32:33]
	v_cmp_le_f64_e32 vcc, 0.5, v[26:27]
	v_add_f64 v[28:29], v[44:45], -v[28:29]
	v_addc_co_u32_e64 v24, s[0:1], 0, v19, vcc
	v_cndmask_b32_e32 v19, 0, v41, vcc
	v_add_f64 v[26:27], v[26:27], -v[18:19]
	v_add_f64 v[10:11], v[10:11], v[28:29]
	v_add_f64 v[28:29], v[26:27], v[10:11]
	v_mul_f64 v[30:31], v[28:29], s[14:15]
	v_add_f64 v[26:27], v[28:29], -v[26:27]
	v_fma_f64 v[32:33], v[28:29], s[14:15], -v[30:31]
	v_add_f64 v[10:11], v[10:11], -v[26:27]
	v_fma_f64 v[26:27], v[28:29], s[24:25], v[32:33]
	v_fma_f64 v[26:27], v[10:11], s[14:15], v[26:27]
	v_add_f64 v[10:11], v[30:31], v[26:27]
	v_add_f64 v[28:29], v[10:11], -v[30:31]
	v_add_f64 v[26:27], v[26:27], -v[28:29]
	s_andn2_saveexec_b64 s[0:1], s[88:89]
	s_cbranch_execz .LBB253_373
	s_branch .LBB253_372
.LBB253_371:                            ;   in Loop: Header=BB253_233 Depth=1
	s_andn2_saveexec_b64 s[0:1], s[88:89]
	s_cbranch_execz .LBB253_373
.LBB253_372:                            ;   in Loop: Header=BB253_233 Depth=1
	v_mul_f64 v[10:11], |v[12:13]|, s[26:27]
	s_mov_b32 s22, s28
	v_rndne_f64_e32 v[28:29], v[10:11]
	v_fma_f64 v[10:11], v[28:29], s[20:21], |v[12:13]|
	v_mul_f64 v[26:27], v[28:29], s[28:29]
	v_cvt_i32_f64_e32 v24, v[28:29]
	v_fma_f64 v[34:35], v[28:29], s[28:29], v[10:11]
	v_add_f64 v[30:31], v[10:11], v[26:27]
	v_add_f64 v[32:33], v[10:11], -v[30:31]
	v_add_f64 v[30:31], v[30:31], -v[34:35]
	v_add_f64 v[10:11], v[32:33], v[26:27]
	v_fma_f64 v[26:27], v[28:29], s[22:23], v[26:27]
	v_add_f64 v[10:11], v[30:31], v[10:11]
	v_add_f64 v[10:11], v[10:11], -v[26:27]
	v_fma_f64 v[26:27], v[28:29], s[30:31], v[10:11]
	v_add_f64 v[10:11], v[34:35], v[26:27]
	v_add_f64 v[30:31], v[10:11], -v[34:35]
	v_add_f64 v[26:27], v[26:27], -v[30:31]
.LBB253_373:                            ;   in Loop: Header=BB253_233 Depth=1
	s_or_b64 exec, exec, s[0:1]
                                        ; implicit-def: $vgpr32
                                        ; implicit-def: $vgpr28_vgpr29
                                        ; implicit-def: $vgpr30_vgpr31
	s_and_saveexec_b64 s[0:1], s[80:81]
	s_xor_b64 s[80:81], exec, s[0:1]
	s_cbranch_execz .LBB253_375
; %bb.374:                              ;   in Loop: Header=BB253_233 Depth=1
	v_trig_preop_f64 v[28:29], |v[12:13]|, 0
	s_mov_b32 s0, 0
	s_mov_b32 s1, 0x7b000000
	v_ldexp_f64 v[32:33], |v[12:13]|, s9
	v_cmp_ge_f64_e64 vcc, |v[12:13]|, s[0:1]
	v_trig_preop_f64 v[30:31], |v[12:13]|, 1
	v_and_b32_e32 v19, 0x7fffffff, v13
	v_trig_preop_f64 v[44:45], |v[12:13]|, 2
	s_mov_b32 s14, s20
	s_mov_b32 s25, s23
	v_cndmask_b32_e32 v33, v19, v33, vcc
	v_cndmask_b32_e32 v32, v12, v32, vcc
	v_mul_f64 v[34:35], v[28:29], v[32:33]
	v_mul_f64 v[36:37], v[30:31], v[32:33]
	;; [unrolled: 1-line block ×3, first 2 shown]
	v_fma_f64 v[28:29], v[28:29], v[32:33], -v[34:35]
	v_fma_f64 v[30:31], v[30:31], v[32:33], -v[36:37]
	;; [unrolled: 1-line block ×3, first 2 shown]
	v_add_f64 v[38:39], v[36:37], v[28:29]
	v_add_f64 v[46:47], v[38:39], -v[36:37]
	v_add_f64 v[52:53], v[34:35], v[38:39]
	v_add_f64 v[48:49], v[38:39], -v[46:47]
	v_add_f64 v[28:29], v[28:29], -v[46:47]
	v_add_f64 v[46:47], v[50:51], v[30:31]
	v_add_f64 v[34:35], v[52:53], -v[34:35]
	v_add_f64 v[36:37], v[36:37], -v[48:49]
	v_ldexp_f64 v[48:49], v[52:53], -2
	v_add_f64 v[54:55], v[46:47], -v[50:51]
	v_add_f64 v[34:35], v[38:39], -v[34:35]
	v_add_f64 v[28:29], v[28:29], v[36:37]
	v_fract_f64_e32 v[36:37], v[48:49]
	v_cmp_neq_f64_e64 vcc, |v[48:49]|, s[12:13]
	v_add_f64 v[30:31], v[30:31], -v[54:55]
	v_add_f64 v[38:39], v[46:47], v[28:29]
	v_ldexp_f64 v[36:37], v[36:37], 2
	v_add_f64 v[48:49], v[34:35], v[38:39]
	v_cndmask_b32_e32 v37, 0, v37, vcc
	v_cndmask_b32_e32 v36, 0, v36, vcc
	v_add_f64 v[56:57], v[38:39], -v[46:47]
	v_add_f64 v[52:53], v[48:49], v[36:37]
	v_add_f64 v[34:35], v[48:49], -v[34:35]
	v_add_f64 v[58:59], v[38:39], -v[56:57]
	;; [unrolled: 1-line block ×3, first 2 shown]
	v_cmp_gt_f64_e32 vcc, 0, v[52:53]
	v_add_f64 v[52:53], v[46:47], -v[54:55]
	v_add_f64 v[34:35], v[38:39], -v[34:35]
	;; [unrolled: 1-line block ×3, first 2 shown]
	v_cndmask_b32_e32 v19, 0, v40, vcc
	v_add_f64 v[36:37], v[36:37], v[18:19]
	v_add_f64 v[52:53], v[50:51], -v[52:53]
	v_add_f64 v[28:29], v[28:29], v[46:47]
	v_add_f64 v[60:61], v[48:49], v[36:37]
	;; [unrolled: 1-line block ×3, first 2 shown]
	v_cvt_i32_f64_e32 v19, v[60:61]
	v_add_f64 v[28:29], v[30:31], v[28:29]
	v_cvt_f64_i32_e32 v[54:55], v19
	v_add_f64 v[36:37], v[36:37], -v[54:55]
	v_add_f64 v[28:29], v[32:33], v[28:29]
	v_add_f64 v[30:31], v[48:49], v[36:37]
	;; [unrolled: 1-line block ×3, first 2 shown]
	v_add_f64 v[32:33], v[30:31], -v[36:37]
	v_cmp_le_f64_e32 vcc, 0.5, v[30:31]
	v_add_f64 v[33:34], v[48:49], -v[32:33]
	v_addc_co_u32_e64 v32, s[0:1], 0, v19, vcc
	v_cndmask_b32_e32 v19, 0, v41, vcc
	v_add_f64 v[30:31], v[30:31], -v[18:19]
	v_add_f64 v[28:29], v[28:29], v[33:34]
	v_add_f64 v[33:34], v[30:31], v[28:29]
	v_mul_f64 v[35:36], v[33:34], s[14:15]
	v_add_f64 v[30:31], v[33:34], -v[30:31]
	v_fma_f64 v[37:38], v[33:34], s[14:15], -v[35:36]
	v_add_f64 v[28:29], v[28:29], -v[30:31]
	v_fma_f64 v[30:31], v[33:34], s[24:25], v[37:38]
	v_fma_f64 v[30:31], v[28:29], s[14:15], v[30:31]
	v_add_f64 v[28:29], v[35:36], v[30:31]
	v_add_f64 v[33:34], v[28:29], -v[35:36]
	v_add_f64 v[30:31], v[30:31], -v[33:34]
	s_andn2_saveexec_b64 s[0:1], s[80:81]
	s_cbranch_execnz .LBB253_376
	s_branch .LBB253_377
.LBB253_375:                            ;   in Loop: Header=BB253_233 Depth=1
	s_andn2_saveexec_b64 s[0:1], s[80:81]
	s_cbranch_execz .LBB253_377
.LBB253_376:                            ;   in Loop: Header=BB253_233 Depth=1
	v_mul_f64 v[28:29], |v[12:13]|, s[26:27]
	s_mov_b32 s22, s28
	v_rndne_f64_e32 v[32:33], v[28:29]
	v_fma_f64 v[28:29], v[32:33], s[20:21], |v[12:13]|
	v_mul_f64 v[30:31], v[32:33], s[28:29]
	v_fma_f64 v[38:39], v[32:33], s[28:29], v[28:29]
	v_add_f64 v[34:35], v[28:29], v[30:31]
	v_add_f64 v[36:37], v[28:29], -v[34:35]
	v_add_f64 v[34:35], v[34:35], -v[38:39]
	v_add_f64 v[28:29], v[36:37], v[30:31]
	v_fma_f64 v[30:31], v[32:33], s[22:23], v[30:31]
	v_add_f64 v[28:29], v[34:35], v[28:29]
	v_add_f64 v[28:29], v[28:29], -v[30:31]
	v_fma_f64 v[30:31], v[32:33], s[30:31], v[28:29]
	v_cvt_i32_f64_e32 v32, v[32:33]
	v_add_f64 v[28:29], v[38:39], v[30:31]
	v_add_f64 v[34:35], v[28:29], -v[38:39]
	v_add_f64 v[30:31], v[30:31], -v[34:35]
.LBB253_377:                            ;   in Loop: Header=BB253_233 Depth=1
	s_or_b64 exec, exec, s[0:1]
	v_mul_f64 v[33:34], v[10:11], v[10:11]
	v_mov_b32_e32 v46, s62
	v_mov_b32_e32 v47, s63
	v_mul_f64 v[50:51], v[26:27], 0.5
	s_mov_b32 s92, s56
	v_and_b32_e32 v19, 1, v24
	v_cmp_eq_u32_e32 vcc, 0, v19
	v_lshlrev_b32_e32 v19, 30, v24
	v_mul_f64 v[35:36], v[33:34], 0.5
	v_fma_f64 v[48:49], v[33:34], s[64:65], v[46:47]
	v_and_b32_e32 v19, 0x80000000, v19
	v_add_f64 v[37:38], -v[35:36], 1.0
	v_fma_f64 v[48:49], v[33:34], v[48:49], s[66:67]
	v_add_f64 v[44:45], -v[37:38], 1.0
	v_fma_f64 v[48:49], v[33:34], v[48:49], s[68:69]
	v_add_f64 v[35:36], v[44:45], -v[35:36]
	v_fma_f64 v[48:49], v[33:34], v[48:49], s[70:71]
	v_mul_f64 v[44:45], v[33:34], v[33:34]
	v_fma_f64 v[35:36], v[10:11], -v[26:27], v[35:36]
	v_fma_f64 v[48:49], v[33:34], v[48:49], s[56:57]
	v_fma_f64 v[35:36], v[44:45], v[48:49], v[35:36]
	v_mul_f64 v[48:49], v[10:11], -v[33:34]
	v_add_f64 v[35:36], v[37:38], v[35:36]
	v_mov_b32_e32 v37, s72
	v_mov_b32_e32 v38, s73
	v_fma_f64 v[44:45], v[33:34], s[74:75], v[37:38]
	v_fma_f64 v[44:45], v[33:34], v[44:45], s[76:77]
	;; [unrolled: 1-line block ×5, first 2 shown]
	v_fma_f64 v[26:27], v[33:34], v[44:45], -v[26:27]
	v_fma_f64 v[26:27], v[48:49], s[92:93], v[26:27]
	v_add_f64 v[10:11], v[10:11], -v[26:27]
	v_xor_b32_e32 v11, 0x80000000, v11
	v_cndmask_b32_e32 v10, v10, v35, vcc
	v_cndmask_b32_e32 v11, v11, v36, vcc
	v_cmp_class_f64_e64 vcc, v[12:13], s10
	v_xor_b32_e32 v11, v11, v19
	v_and_b32_e32 v19, 1, v32
	v_cmp_eq_u32_e64 s[0:1], 0, v19
	v_cndmask_b32_e32 v26, 0, v10, vcc
	v_cndmask_b32_e32 v27, v43, v11, vcc
	v_mul_f64 v[10:11], v[28:29], v[28:29]
	v_mul_f64 v[12:13], v[10:11], 0.5
	v_fma_f64 v[44:45], v[10:11], s[64:65], v[46:47]
	v_add_f64 v[33:34], -v[12:13], 1.0
	v_fma_f64 v[44:45], v[10:11], v[44:45], s[66:67]
	v_add_f64 v[35:36], -v[33:34], 1.0
	v_fma_f64 v[44:45], v[10:11], v[44:45], s[68:69]
	v_add_f64 v[12:13], v[35:36], -v[12:13]
	v_fma_f64 v[44:45], v[10:11], v[44:45], s[70:71]
	v_mul_f64 v[35:36], v[10:11], v[10:11]
	v_fma_f64 v[12:13], v[28:29], -v[30:31], v[12:13]
	v_fma_f64 v[44:45], v[10:11], v[44:45], s[56:57]
	v_fma_f64 v[12:13], v[35:36], v[44:45], v[12:13]
	v_mul_f64 v[35:36], v[28:29], -v[10:11]
	v_add_f64 v[12:13], v[33:34], v[12:13]
	v_fma_f64 v[33:34], v[10:11], s[74:75], v[37:38]
	v_mul_f64 v[37:38], v[30:31], 0.5
	v_fma_f64 v[33:34], v[10:11], v[33:34], s[76:77]
	v_fma_f64 v[33:34], v[10:11], v[33:34], s[78:79]
	;; [unrolled: 1-line block ×4, first 2 shown]
	v_fma_f64 v[10:11], v[10:11], v[33:34], -v[30:31]
	v_fma_f64 v[10:11], v[35:36], s[92:93], v[10:11]
	v_add_f64 v[10:11], v[28:29], -v[10:11]
	v_cndmask_b32_e64 v10, v12, v10, s[0:1]
	v_lshlrev_b32_e32 v12, 30, v32
	v_xor_b32_e32 v12, v12, v25
	v_cndmask_b32_e64 v11, v13, v11, s[0:1]
	v_and_b32_e32 v12, 0x80000000, v12
	v_xor_b32_e32 v11, v11, v12
	v_cndmask_b32_e32 v24, 0, v10, vcc
	v_cndmask_b32_e32 v25, v43, v11, vcc
.LBB253_378:                            ;   in Loop: Header=BB253_233 Depth=1
	s_or_b64 exec, exec, s[2:3]
                                        ; implicit-def: $vgpr10_vgpr11
.LBB253_379:                            ;   in Loop: Header=BB253_233 Depth=1
	s_andn2_saveexec_b64 s[2:3], s[94:95]
	s_cbranch_execz .LBB253_381
; %bb.380:                              ;   in Loop: Header=BB253_233 Depth=1
	s_mov_b32 s34, s36
	v_mul_f64 v[12:13], v[10:11], s[34:35]
	s_mov_b32 s55, s53
	s_mov_b32 s83, s57
	v_cmp_ngt_f64_e32 vcc, s[84:85], v[10:11]
	v_cmp_nlt_f64_e64 s[0:1], s[86:87], v[10:11]
	v_rndne_f64_e32 v[12:13], v[12:13]
	v_fma_f64 v[26:27], v[12:13], s[38:39], -v[10:11]
	v_fma_f64 v[26:27], v[12:13], s[40:41], v[26:27]
	v_cvt_i32_f64_e32 v12, v[12:13]
	v_fma_f64 v[28:29], v[26:27], s[42:43], v[22:23]
	v_fma_f64 v[28:29], v[26:27], v[28:29], s[44:45]
	;; [unrolled: 1-line block ×9, first 2 shown]
	v_fma_f64 v[28:29], v[26:27], v[28:29], 1.0
	v_fma_f64 v[26:27], v[26:27], v[28:29], 1.0
	v_ldexp_f64 v[12:13], v[26:27], v12
	v_cndmask_b32_e32 v13, v42, v13, vcc
	s_and_b64 vcc, s[0:1], vcc
	v_cndmask_b32_e64 v27, 0, v13, s[0:1]
	v_cndmask_b32_e32 v26, 0, v12, vcc
.LBB253_381:                            ;   in Loop: Header=BB253_233 Depth=1
	s_or_b64 exec, exec, s[2:3]
	v_add_f64 v[26:27], s[16:17], v[26:27]
	v_add_f64 v[24:25], s[18:19], v[24:25]
	v_cmp_gt_f64_e32 vcc, 0, v[26:27]
	v_xor_b32_e32 v10, 0x80000000, v27
	v_xor_b32_e32 v11, 0x80000000, v25
	v_mov_b32_e32 v28, v26
	v_mov_b32_e32 v30, v24
	v_cndmask_b32_e32 v29, v27, v10, vcc
	v_cmp_gt_f64_e32 vcc, 0, v[24:25]
	v_cndmask_b32_e32 v31, v25, v11, vcc
	v_cmp_ge_f64_e32 vcc, v[28:29], v[30:31]
                                        ; implicit-def: $vgpr12_vgpr13
	s_and_saveexec_b64 s[0:1], vcc
	s_xor_b64 s[2:3], exec, s[0:1]
	s_cbranch_execz .LBB253_387
; %bb.382:                              ;   in Loop: Header=BB253_233 Depth=1
	v_cmp_neq_f64_e32 vcc, 0, v[26:27]
	v_cmp_neq_f64_e64 s[0:1], 0, v[24:25]
                                        ; implicit-def: $vgpr12_vgpr13
	s_or_b64 s[0:1], vcc, s[0:1]
	s_and_saveexec_b64 s[80:81], s[0:1]
	s_xor_b64 s[0:1], exec, s[80:81]
	s_cbranch_execz .LBB253_384
; %bb.383:                              ;   in Loop: Header=BB253_233 Depth=1
	v_div_scale_f64 v[10:11], s[80:81], v[26:27], v[26:27], v[24:25]
	v_rcp_f64_e32 v[12:13], v[10:11]
	v_fma_f64 v[28:29], -v[10:11], v[12:13], 1.0
	v_fma_f64 v[12:13], v[12:13], v[28:29], v[12:13]
	v_div_scale_f64 v[28:29], vcc, v[24:25], v[26:27], v[24:25]
	v_fma_f64 v[30:31], -v[10:11], v[12:13], 1.0
	v_fma_f64 v[12:13], v[12:13], v[30:31], v[12:13]
	v_mul_f64 v[30:31], v[28:29], v[12:13]
	v_fma_f64 v[10:11], -v[10:11], v[30:31], v[28:29]
	v_div_fmas_f64 v[10:11], v[10:11], v[12:13], v[30:31]
	v_div_fixup_f64 v[10:11], v[10:11], v[26:27], v[24:25]
	v_fma_f64 v[12:13], v[24:25], v[10:11], v[26:27]
	v_div_scale_f64 v[24:25], s[80:81], v[12:13], v[12:13], 1.0
	v_rcp_f64_e32 v[26:27], v[24:25]
	v_fma_f64 v[28:29], -v[24:25], v[26:27], 1.0
	v_fma_f64 v[26:27], v[26:27], v[28:29], v[26:27]
	v_div_scale_f64 v[28:29], vcc, 1.0, v[12:13], 1.0
	v_fma_f64 v[30:31], -v[24:25], v[26:27], 1.0
	v_fma_f64 v[26:27], v[26:27], v[30:31], v[26:27]
	v_mul_f64 v[30:31], v[28:29], v[26:27]
	v_fma_f64 v[24:25], -v[24:25], v[30:31], v[28:29]
	v_mov_b32_e32 v29, s19
	v_mov_b32_e32 v28, s18
	v_div_fmas_f64 v[24:25], v[24:25], v[26:27], v[30:31]
	v_mov_b32_e32 v27, s17
	v_mov_b32_e32 v26, s16
	v_fma_f64 v[26:27], s[18:19], v[10:11], v[26:27]
                                        ; implicit-def: $vgpr30_vgpr31
	v_div_fixup_f64 v[12:13], v[24:25], v[12:13], 1.0
	v_fma_f64 v[24:25], -s[16:17], v[10:11], v[28:29]
                                        ; implicit-def: $vgpr28_vgpr29
	v_mul_f64 v[10:11], v[26:27], v[12:13]
	v_mul_f64 v[12:13], v[24:25], v[12:13]
.LBB253_384:                            ;   in Loop: Header=BB253_233 Depth=1
	s_andn2_saveexec_b64 s[80:81], s[0:1]
	s_cbranch_execz .LBB253_386
; %bb.385:                              ;   in Loop: Header=BB253_233 Depth=1
	v_div_scale_f64 v[10:11], s[0:1], v[28:29], v[28:29], s[16:17]
	v_div_scale_f64 v[12:13], s[0:1], v[30:31], v[30:31], s[18:19]
	v_div_scale_f64 v[36:37], s[0:1], s[18:19], v[30:31], s[18:19]
	v_rcp_f64_e32 v[24:25], v[10:11]
	v_rcp_f64_e32 v[26:27], v[12:13]
	v_fma_f64 v[32:33], -v[10:11], v[24:25], 1.0
	v_fma_f64 v[34:35], -v[12:13], v[26:27], 1.0
	v_fma_f64 v[24:25], v[24:25], v[32:33], v[24:25]
	v_div_scale_f64 v[32:33], vcc, s[16:17], v[28:29], s[16:17]
	v_fma_f64 v[26:27], v[26:27], v[34:35], v[26:27]
	v_fma_f64 v[34:35], -v[10:11], v[24:25], 1.0
	v_fma_f64 v[38:39], -v[12:13], v[26:27], 1.0
	v_fma_f64 v[24:25], v[24:25], v[34:35], v[24:25]
	v_fma_f64 v[26:27], v[26:27], v[38:39], v[26:27]
	v_mul_f64 v[34:35], v[32:33], v[24:25]
	v_mul_f64 v[38:39], v[36:37], v[26:27]
	v_fma_f64 v[10:11], -v[10:11], v[34:35], v[32:33]
	v_fma_f64 v[12:13], -v[12:13], v[38:39], v[36:37]
	v_div_fmas_f64 v[10:11], v[10:11], v[24:25], v[34:35]
	s_mov_b64 vcc, s[0:1]
	v_div_fmas_f64 v[12:13], v[12:13], v[26:27], v[38:39]
	v_div_fixup_f64 v[10:11], v[10:11], v[28:29], s[16:17]
	v_div_fixup_f64 v[12:13], v[12:13], v[30:31], s[18:19]
.LBB253_386:                            ;   in Loop: Header=BB253_233 Depth=1
	s_or_b64 exec, exec, s[80:81]
                                        ; implicit-def: $vgpr24_vgpr25
                                        ; implicit-def: $vgpr26_vgpr27
.LBB253_387:                            ;   in Loop: Header=BB253_233 Depth=1
	s_andn2_saveexec_b64 s[0:1], s[2:3]
	s_cbranch_execz .LBB253_389
; %bb.388:                              ;   in Loop: Header=BB253_233 Depth=1
	v_div_scale_f64 v[10:11], s[2:3], v[24:25], v[24:25], v[26:27]
	v_rcp_f64_e32 v[12:13], v[10:11]
	v_fma_f64 v[28:29], -v[10:11], v[12:13], 1.0
	v_fma_f64 v[12:13], v[12:13], v[28:29], v[12:13]
	v_div_scale_f64 v[28:29], vcc, v[26:27], v[24:25], v[26:27]
	v_fma_f64 v[30:31], -v[10:11], v[12:13], 1.0
	v_fma_f64 v[12:13], v[12:13], v[30:31], v[12:13]
	v_mul_f64 v[30:31], v[28:29], v[12:13]
	v_fma_f64 v[10:11], -v[10:11], v[30:31], v[28:29]
	v_div_fmas_f64 v[10:11], v[10:11], v[12:13], v[30:31]
	v_div_fixup_f64 v[10:11], v[10:11], v[24:25], v[26:27]
	v_fma_f64 v[12:13], v[26:27], v[10:11], v[24:25]
	v_div_scale_f64 v[24:25], s[2:3], v[12:13], v[12:13], 1.0
	v_rcp_f64_e32 v[26:27], v[24:25]
	v_fma_f64 v[28:29], -v[24:25], v[26:27], 1.0
	v_fma_f64 v[26:27], v[26:27], v[28:29], v[26:27]
	v_div_scale_f64 v[28:29], vcc, 1.0, v[12:13], 1.0
	v_fma_f64 v[30:31], -v[24:25], v[26:27], 1.0
	v_fma_f64 v[26:27], v[26:27], v[30:31], v[26:27]
	v_mul_f64 v[30:31], v[28:29], v[26:27]
	v_fma_f64 v[24:25], -v[24:25], v[30:31], v[28:29]
	v_mov_b32_e32 v29, s17
	v_mov_b32_e32 v28, s16
	v_div_fmas_f64 v[24:25], v[24:25], v[26:27], v[30:31]
	v_mov_b32_e32 v27, s19
	v_mov_b32_e32 v26, s18
	v_fma_f64 v[26:27], s[16:17], v[10:11], v[26:27]
	v_div_fixup_f64 v[12:13], v[24:25], v[12:13], 1.0
	v_fma_f64 v[24:25], s[18:19], v[10:11], -v[28:29]
	v_mul_f64 v[10:11], v[26:27], v[12:13]
	v_mul_f64 v[12:13], v[24:25], v[12:13]
.LBB253_389:                            ;   in Loop: Header=BB253_233 Depth=1
	s_or_b64 exec, exec, s[0:1]
	v_xor_b32_e32 v25, 0x80000000, v5
	v_and_b32_e32 v30, 0x7fffffff, v25
	v_or_b32_e32 v19, v30, v4
	v_mov_b32_e32 v24, v4
	v_cmp_ne_u32_e32 vcc, 0, v19
                                        ; implicit-def: $vgpr26_vgpr27
	s_and_saveexec_b64 s[0:1], vcc
	s_xor_b64 s[94:95], exec, s[0:1]
	s_cbranch_execz .LBB253_431
; %bb.390:                              ;   in Loop: Header=BB253_233 Depth=1
	v_xor_b32_e32 v29, 0x80000000, v3
	v_and_b32_e32 v19, 0x7fffffff, v29
	v_or_b32_e32 v24, v19, v2
	v_mov_b32_e32 v28, v2
	v_cmp_ne_u32_e32 vcc, 0, v24
                                        ; implicit-def: $vgpr26_vgpr27
	s_and_saveexec_b64 s[0:1], vcc
	s_xor_b64 s[80:81], exec, s[0:1]
	s_cbranch_execz .LBB253_420
; %bb.391:                              ;   in Loop: Header=BB253_233 Depth=1
	v_cmp_gt_u32_e32 vcc, s11, v30
                                        ; implicit-def: $vgpr26_vgpr27
	s_and_saveexec_b64 s[0:1], vcc
	s_xor_b64 s[88:89], exec, s[0:1]
	s_cbranch_execz .LBB253_413
; %bb.392:                              ;   in Loop: Header=BB253_233 Depth=1
	v_add_u32_e32 v19, 0xbf79d1be, v29
	s_mov_b32 s0, 0x108aa2
	v_cmp_lt_u32_e32 vcc, s0, v19
                                        ; implicit-def: $vgpr26_vgpr27
	s_and_saveexec_b64 s[0:1], vcc
	s_xor_b64 s[90:91], exec, s[0:1]
	s_cbranch_execz .LBB253_402
; %bb.393:                              ;   in Loop: Header=BB253_233 Depth=1
	s_mov_b32 s0, 0
	s_mov_b32 s1, 0x41d00000
	v_cmp_nlt_f64_e64 s[0:1], |v[4:5]|, s[0:1]
                                        ; implicit-def: $vgpr24
                                        ; implicit-def: $vgpr26_vgpr27
                                        ; implicit-def: $vgpr28_vgpr29
	s_and_saveexec_b64 s[2:3], s[0:1]
	s_xor_b64 s[2:3], exec, s[2:3]
	s_cbranch_execz .LBB253_395
; %bb.394:                              ;   in Loop: Header=BB253_233 Depth=1
	v_trig_preop_f64 v[26:27], |v[4:5]|, 0
	s_mov_b32 vcc_lo, 0
	s_mov_b32 vcc_hi, 0x7b000000
	v_ldexp_f64 v[28:29], |v[4:5]|, s9
	v_cmp_ge_f64_e64 vcc, |v[4:5]|, vcc
	v_trig_preop_f64 v[30:31], |v[4:5]|, 1
	v_and_b32_e32 v19, 0x7fffffff, v5
	v_trig_preop_f64 v[38:39], |v[4:5]|, 2
	s_mov_b32 s14, s20
	s_mov_b32 s25, s23
	v_cndmask_b32_e32 v29, v19, v29, vcc
	v_cndmask_b32_e32 v28, v4, v28, vcc
	v_mul_f64 v[32:33], v[26:27], v[28:29]
	v_mul_f64 v[34:35], v[30:31], v[28:29]
	;; [unrolled: 1-line block ×3, first 2 shown]
	v_fma_f64 v[26:27], v[26:27], v[28:29], -v[32:33]
	v_fma_f64 v[30:31], v[30:31], v[28:29], -v[34:35]
	;; [unrolled: 1-line block ×3, first 2 shown]
	v_add_f64 v[36:37], v[34:35], v[26:27]
	v_add_f64 v[44:45], v[36:37], -v[34:35]
	v_add_f64 v[50:51], v[32:33], v[36:37]
	v_add_f64 v[46:47], v[36:37], -v[44:45]
	v_add_f64 v[26:27], v[26:27], -v[44:45]
	v_add_f64 v[44:45], v[48:49], v[30:31]
	v_add_f64 v[32:33], v[50:51], -v[32:33]
	v_add_f64 v[34:35], v[34:35], -v[46:47]
	v_ldexp_f64 v[46:47], v[50:51], -2
	v_add_f64 v[52:53], v[44:45], -v[48:49]
	v_add_f64 v[32:33], v[36:37], -v[32:33]
	v_add_f64 v[26:27], v[26:27], v[34:35]
	v_fract_f64_e32 v[34:35], v[46:47]
	v_cmp_neq_f64_e64 vcc, |v[46:47]|, s[12:13]
	v_add_f64 v[30:31], v[30:31], -v[52:53]
	v_add_f64 v[36:37], v[44:45], v[26:27]
	v_ldexp_f64 v[34:35], v[34:35], 2
	v_add_f64 v[46:47], v[32:33], v[36:37]
	v_cndmask_b32_e32 v35, 0, v35, vcc
	v_cndmask_b32_e32 v34, 0, v34, vcc
	v_add_f64 v[54:55], v[36:37], -v[44:45]
	v_add_f64 v[50:51], v[46:47], v[34:35]
	v_add_f64 v[32:33], v[46:47], -v[32:33]
	v_add_f64 v[56:57], v[36:37], -v[54:55]
	v_add_f64 v[26:27], v[26:27], -v[54:55]
	v_cmp_gt_f64_e32 vcc, 0, v[50:51]
	v_add_f64 v[50:51], v[44:45], -v[52:53]
	v_add_f64 v[32:33], v[36:37], -v[32:33]
	;; [unrolled: 1-line block ×3, first 2 shown]
	v_cndmask_b32_e32 v19, 0, v40, vcc
	v_add_f64 v[34:35], v[34:35], v[18:19]
	v_add_f64 v[50:51], v[48:49], -v[50:51]
	v_add_f64 v[26:27], v[26:27], v[44:45]
	v_add_f64 v[58:59], v[46:47], v[34:35]
	;; [unrolled: 1-line block ×3, first 2 shown]
	v_cvt_i32_f64_e32 v24, v[58:59]
	v_add_f64 v[26:27], v[30:31], v[26:27]
	v_cvt_f64_i32_e32 v[52:53], v24
	v_add_f64 v[34:35], v[34:35], -v[52:53]
	v_add_f64 v[26:27], v[28:29], v[26:27]
	v_add_f64 v[30:31], v[46:47], v[34:35]
	;; [unrolled: 1-line block ×3, first 2 shown]
	v_add_f64 v[28:29], v[30:31], -v[34:35]
	v_cmp_le_f64_e32 vcc, 0.5, v[30:31]
	v_add_f64 v[28:29], v[46:47], -v[28:29]
	v_cndmask_b32_e32 v19, 0, v41, vcc
	v_addc_co_u32_e32 v24, vcc, 0, v24, vcc
	v_add_f64 v[26:27], v[26:27], v[28:29]
	v_add_f64 v[28:29], v[30:31], -v[18:19]
	v_add_f64 v[30:31], v[28:29], v[26:27]
	v_mul_f64 v[32:33], v[30:31], s[14:15]
	v_add_f64 v[28:29], v[30:31], -v[28:29]
	v_fma_f64 v[34:35], v[30:31], s[14:15], -v[32:33]
	v_add_f64 v[26:27], v[26:27], -v[28:29]
	v_fma_f64 v[28:29], v[30:31], s[24:25], v[34:35]
	v_fma_f64 v[28:29], v[26:27], s[14:15], v[28:29]
	v_add_f64 v[26:27], v[32:33], v[28:29]
	v_add_f64 v[30:31], v[26:27], -v[32:33]
	v_add_f64 v[28:29], v[28:29], -v[30:31]
	s_andn2_saveexec_b64 s[2:3], s[2:3]
	s_cbranch_execz .LBB253_397
	s_branch .LBB253_396
.LBB253_395:                            ;   in Loop: Header=BB253_233 Depth=1
	s_andn2_saveexec_b64 s[2:3], s[2:3]
	s_cbranch_execz .LBB253_397
.LBB253_396:                            ;   in Loop: Header=BB253_233 Depth=1
	v_mul_f64 v[26:27], |v[4:5]|, s[26:27]
	s_mov_b32 s22, s28
	v_rndne_f64_e32 v[30:31], v[26:27]
	v_fma_f64 v[26:27], v[30:31], s[20:21], |v[4:5]|
	v_mul_f64 v[28:29], v[30:31], s[28:29]
	v_cvt_i32_f64_e32 v24, v[30:31]
	v_fma_f64 v[36:37], v[30:31], s[28:29], v[26:27]
	v_add_f64 v[32:33], v[26:27], v[28:29]
	v_add_f64 v[34:35], v[26:27], -v[32:33]
	v_add_f64 v[32:33], v[32:33], -v[36:37]
	v_add_f64 v[26:27], v[34:35], v[28:29]
	v_fma_f64 v[28:29], v[30:31], s[22:23], v[28:29]
	v_add_f64 v[26:27], v[32:33], v[26:27]
	v_add_f64 v[26:27], v[26:27], -v[28:29]
	v_fma_f64 v[28:29], v[30:31], s[30:31], v[26:27]
	v_add_f64 v[26:27], v[36:37], v[28:29]
	v_add_f64 v[32:33], v[26:27], -v[36:37]
	v_add_f64 v[28:29], v[28:29], -v[32:33]
.LBB253_397:                            ;   in Loop: Header=BB253_233 Depth=1
	s_or_b64 exec, exec, s[2:3]
                                        ; implicit-def: $vgpr44
                                        ; implicit-def: $vgpr30_vgpr31
                                        ; implicit-def: $vgpr34_vgpr35
	s_and_saveexec_b64 s[2:3], s[0:1]
	s_xor_b64 s[2:3], exec, s[2:3]
	s_cbranch_execz .LBB253_399
; %bb.398:                              ;   in Loop: Header=BB253_233 Depth=1
	v_trig_preop_f64 v[30:31], |v[4:5]|, 0
	s_mov_b32 s0, 0
	s_mov_b32 s1, 0x7b000000
	v_ldexp_f64 v[34:35], |v[4:5]|, s9
	v_cmp_ge_f64_e64 vcc, |v[4:5]|, s[0:1]
	v_trig_preop_f64 v[32:33], |v[4:5]|, 1
	v_and_b32_e32 v19, 0x7fffffff, v5
	v_trig_preop_f64 v[46:47], |v[4:5]|, 2
	s_mov_b32 s14, s20
	s_mov_b32 s25, s23
	v_cndmask_b32_e32 v35, v19, v35, vcc
	v_cndmask_b32_e32 v34, v4, v34, vcc
	v_mul_f64 v[36:37], v[30:31], v[34:35]
	v_mul_f64 v[38:39], v[32:33], v[34:35]
	;; [unrolled: 1-line block ×3, first 2 shown]
	v_fma_f64 v[30:31], v[30:31], v[34:35], -v[36:37]
	v_fma_f64 v[32:33], v[32:33], v[34:35], -v[38:39]
	;; [unrolled: 1-line block ×3, first 2 shown]
	v_add_f64 v[44:45], v[38:39], v[30:31]
	v_add_f64 v[48:49], v[44:45], -v[38:39]
	v_add_f64 v[54:55], v[36:37], v[44:45]
	v_add_f64 v[50:51], v[44:45], -v[48:49]
	v_add_f64 v[30:31], v[30:31], -v[48:49]
	v_add_f64 v[48:49], v[52:53], v[32:33]
	v_add_f64 v[36:37], v[54:55], -v[36:37]
	v_add_f64 v[38:39], v[38:39], -v[50:51]
	v_ldexp_f64 v[50:51], v[54:55], -2
	v_add_f64 v[56:57], v[48:49], -v[52:53]
	v_add_f64 v[36:37], v[44:45], -v[36:37]
	v_add_f64 v[30:31], v[30:31], v[38:39]
	v_fract_f64_e32 v[38:39], v[50:51]
	v_cmp_neq_f64_e64 vcc, |v[50:51]|, s[12:13]
	v_add_f64 v[32:33], v[32:33], -v[56:57]
	v_add_f64 v[44:45], v[48:49], v[30:31]
	v_ldexp_f64 v[38:39], v[38:39], 2
	v_add_f64 v[50:51], v[36:37], v[44:45]
	v_cndmask_b32_e32 v39, 0, v39, vcc
	v_cndmask_b32_e32 v38, 0, v38, vcc
	v_add_f64 v[58:59], v[44:45], -v[48:49]
	v_add_f64 v[54:55], v[50:51], v[38:39]
	v_add_f64 v[36:37], v[50:51], -v[36:37]
	v_add_f64 v[60:61], v[44:45], -v[58:59]
	v_add_f64 v[30:31], v[30:31], -v[58:59]
	v_cmp_gt_f64_e32 vcc, 0, v[54:55]
	v_add_f64 v[54:55], v[48:49], -v[56:57]
	v_add_f64 v[36:37], v[44:45], -v[36:37]
	;; [unrolled: 1-line block ×3, first 2 shown]
	v_cndmask_b32_e32 v19, 0, v40, vcc
	v_add_f64 v[38:39], v[38:39], v[18:19]
	v_add_f64 v[54:55], v[52:53], -v[54:55]
	v_add_f64 v[30:31], v[30:31], v[48:49]
	v_add_f64 v[62:63], v[50:51], v[38:39]
	;; [unrolled: 1-line block ×3, first 2 shown]
	v_cvt_i32_f64_e32 v19, v[62:63]
	v_add_f64 v[30:31], v[32:33], v[30:31]
	v_cvt_f64_i32_e32 v[56:57], v19
	v_add_f64 v[38:39], v[38:39], -v[56:57]
	v_add_f64 v[30:31], v[34:35], v[30:31]
	v_add_f64 v[32:33], v[50:51], v[38:39]
	;; [unrolled: 1-line block ×3, first 2 shown]
	v_add_f64 v[34:35], v[32:33], -v[38:39]
	v_cmp_le_f64_e32 vcc, 0.5, v[32:33]
	v_add_f64 v[34:35], v[50:51], -v[34:35]
	v_addc_co_u32_e64 v44, s[0:1], 0, v19, vcc
	v_cndmask_b32_e32 v19, 0, v41, vcc
	v_add_f64 v[32:33], v[32:33], -v[18:19]
	v_add_f64 v[30:31], v[30:31], v[34:35]
	v_add_f64 v[34:35], v[32:33], v[30:31]
	v_mul_f64 v[36:37], v[34:35], s[14:15]
	v_add_f64 v[32:33], v[34:35], -v[32:33]
	v_fma_f64 v[38:39], v[34:35], s[14:15], -v[36:37]
	v_add_f64 v[30:31], v[30:31], -v[32:33]
	v_fma_f64 v[32:33], v[34:35], s[24:25], v[38:39]
	v_fma_f64 v[32:33], v[30:31], s[14:15], v[32:33]
	v_add_f64 v[30:31], v[36:37], v[32:33]
	v_add_f64 v[34:35], v[30:31], -v[36:37]
	v_add_f64 v[34:35], v[32:33], -v[34:35]
	s_andn2_saveexec_b64 s[0:1], s[2:3]
	s_cbranch_execnz .LBB253_400
	s_branch .LBB253_401
.LBB253_399:                            ;   in Loop: Header=BB253_233 Depth=1
	s_andn2_saveexec_b64 s[0:1], s[2:3]
	s_cbranch_execz .LBB253_401
.LBB253_400:                            ;   in Loop: Header=BB253_233 Depth=1
	v_mul_f64 v[30:31], |v[4:5]|, s[26:27]
	s_mov_b32 s22, s28
	v_rndne_f64_e32 v[32:33], v[30:31]
	v_fma_f64 v[30:31], v[32:33], s[20:21], |v[4:5]|
	v_mul_f64 v[34:35], v[32:33], s[28:29]
	v_fma_f64 v[44:45], v[32:33], s[28:29], v[30:31]
	v_add_f64 v[36:37], v[30:31], v[34:35]
	v_add_f64 v[38:39], v[30:31], -v[36:37]
	v_add_f64 v[36:37], v[36:37], -v[44:45]
	v_add_f64 v[30:31], v[38:39], v[34:35]
	v_fma_f64 v[34:35], v[32:33], s[22:23], v[34:35]
	v_add_f64 v[30:31], v[36:37], v[30:31]
	v_add_f64 v[30:31], v[30:31], -v[34:35]
	v_fma_f64 v[34:35], v[32:33], s[30:31], v[30:31]
	v_add_f64 v[30:31], v[44:45], v[34:35]
	v_add_f64 v[36:37], v[30:31], -v[44:45]
	v_cvt_i32_f64_e32 v44, v[32:33]
	v_add_f64 v[34:35], v[34:35], -v[36:37]
.LBB253_401:                            ;   in Loop: Header=BB253_233 Depth=1
	s_or_b64 exec, exec, s[0:1]
	s_mov_b32 s34, s36
	v_mul_f64 v[32:33], v[2:3], s[34:35]
	v_mul_f64 v[47:48], v[30:31], v[30:31]
	v_mov_b32_e32 v49, s72
	v_mov_b32_e32 v50, s73
	;; [unrolled: 1-line block ×4, first 2 shown]
	s_mov_b32 s55, s53
	s_mov_b32 s83, s57
	v_rndne_f64_e32 v[32:33], v[32:33]
	v_mul_f64 v[63:64], v[47:48], 0.5
	v_mul_f64 v[55:56], v[28:29], 0.5
	;; [unrolled: 1-line block ×3, first 2 shown]
	v_mul_f64 v[71:72], v[30:31], -v[47:48]
	s_mov_b32 s92, s56
	v_and_b32_e32 v19, 1, v24
	v_lshlrev_b32_e32 v24, 30, v24
	v_fma_f64 v[36:37], v[32:33], s[38:39], -v[2:3]
	v_add_f64 v[69:70], -v[63:64], 1.0
	v_cmp_eq_u32_e32 vcc, 0, v19
	v_cmp_class_f64_e64 s[0:1], v[4:5], s10
	v_fma_f64 v[36:37], v[32:33], s[40:41], v[36:37]
	v_add_f64 v[75:76], -v[69:70], 1.0
	v_cvt_i32_f64_e32 v32, v[32:33]
	v_fma_f64 v[38:39], v[36:37], s[42:43], v[22:23]
	v_fma_f64 v[45:46], v[36:37], v[38:39], s[44:45]
	v_mul_f64 v[38:39], v[26:27], v[26:27]
	v_fma_f64 v[45:46], v[36:37], v[45:46], s[46:47]
	v_fma_f64 v[51:52], v[38:39], s[74:75], v[49:50]
	;; [unrolled: 1-line block ×4, first 2 shown]
	v_mul_f64 v[61:62], v[38:39], 0.5
	v_fma_f64 v[53:54], v[47:48], s[64:65], v[53:54]
	v_mul_f64 v[65:66], v[26:27], -v[38:39]
	v_mul_f64 v[77:78], v[38:39], v[38:39]
	v_fma_f64 v[45:46], v[36:37], v[45:46], s[48:49]
	v_fma_f64 v[51:52], v[38:39], v[51:52], s[76:77]
	;; [unrolled: 1-line block ×4, first 2 shown]
	v_add_f64 v[67:68], -v[61:62], 1.0
	v_fma_f64 v[53:54], v[47:48], v[53:54], s[66:67]
	v_fma_f64 v[45:46], v[36:37], v[45:46], s[50:51]
	;; [unrolled: 1-line block ×5, first 2 shown]
	v_add_f64 v[73:74], -v[67:68], 1.0
	v_fma_f64 v[53:54], v[47:48], v[53:54], s[68:69]
	v_fma_f64 v[45:46], v[36:37], v[45:46], s[54:55]
	;; [unrolled: 1-line block ×8, first 2 shown]
	v_add_f64 v[59:60], v[73:74], -v[61:62]
	v_add_f64 v[61:62], v[75:76], -v[63:64]
	v_fma_f64 v[49:50], v[71:72], v[49:50], v[57:58]
	v_mul_f64 v[57:58], v[47:48], v[47:48]
	v_fma_f64 v[53:54], v[47:48], v[53:54], s[56:57]
	v_fma_f64 v[45:46], v[36:37], v[45:46], s[58:59]
	v_fma_f64 v[51:52], v[38:39], v[51:52], -v[28:29]
	v_fma_f64 v[38:39], v[38:39], v[55:56], s[56:57]
	v_fma_f64 v[28:29], v[26:27], -v[28:29], v[59:60]
	v_fma_f64 v[55:56], v[30:31], -v[34:35], v[61:62]
	v_fma_f64 v[34:35], v[47:48], v[49:50], -v[34:35]
	v_and_b32_e32 v49, 1, v44
	v_lshlrev_b32_e32 v44, 30, v44
	v_fma_f64 v[45:46], v[36:37], v[45:46], s[60:61]
	v_fma_f64 v[47:48], v[65:66], s[92:93], v[51:52]
	v_and_b32_e32 v50, 0x80000000, v24
	v_fma_f64 v[28:29], v[77:78], v[38:39], v[28:29]
	v_fma_f64 v[38:39], v[57:58], v[53:54], v[55:56]
	;; [unrolled: 1-line block ×3, first 2 shown]
	v_xor_b32_e32 v44, v44, v25
	v_cmp_eq_u32_e64 s[2:3], 0, v49
	v_fma_f64 v[45:46], v[36:37], v[45:46], 1.0
	v_add_f64 v[26:27], v[26:27], -v[47:48]
	v_add_f64 v[24:25], v[67:68], v[28:29]
	v_add_f64 v[28:29], v[69:70], v[38:39]
	v_add_f64 v[30:31], v[30:31], -v[34:35]
	v_and_b32_e32 v34, 0x80000000, v44
	v_fma_f64 v[36:37], v[36:37], v[45:46], 1.0
	v_xor_b32_e32 v27, 0x80000000, v27
	v_cndmask_b32_e32 v19, v26, v24, vcc
	v_cndmask_b32_e32 v24, v27, v25, vcc
	v_cndmask_b32_e64 v4, v28, v30, s[2:3]
	v_cndmask_b32_e64 v5, v29, v31, s[2:3]
	v_cmp_ngt_f64_e32 vcc, s[84:85], v[2:3]
	v_ldexp_f64 v[32:33], v[36:37], v32
	v_cmp_nlt_f64_e64 s[2:3], s[86:87], v[2:3]
	v_xor_b32_e32 v5, v5, v34
	v_xor_b32_e32 v3, v24, v50
	v_cndmask_b32_e64 v2, 0, v19, s[0:1]
	v_cndmask_b32_e64 v3, v43, v3, s[0:1]
	;; [unrolled: 1-line block ×4, first 2 shown]
	v_cndmask_b32_e32 v25, v42, v33, vcc
	s_and_b64 vcc, s[2:3], vcc
	v_cndmask_b32_e64 v25, 0, v25, s[2:3]
	v_cndmask_b32_e32 v24, 0, v32, vcc
	v_mul_f64 v[26:27], v[24:25], v[2:3]
	v_mul_f64 v[24:25], v[24:25], v[4:5]
                                        ; implicit-def: $vgpr4_vgpr5
.LBB253_402:                            ;   in Loop: Header=BB253_233 Depth=1
	s_andn2_saveexec_b64 s[90:91], s[90:91]
	s_cbranch_execz .LBB253_412
; %bb.403:                              ;   in Loop: Header=BB253_233 Depth=1
	s_mov_b32 s0, 0
	s_mov_b32 s1, 0x41d00000
	v_cmp_nlt_f64_e64 s[0:1], |v[4:5]|, s[0:1]
                                        ; implicit-def: $vgpr24
                                        ; implicit-def: $vgpr26_vgpr27
                                        ; implicit-def: $vgpr28_vgpr29
	s_and_saveexec_b64 s[2:3], s[0:1]
	s_xor_b64 s[2:3], exec, s[2:3]
	s_cbranch_execz .LBB253_405
; %bb.404:                              ;   in Loop: Header=BB253_233 Depth=1
	v_trig_preop_f64 v[26:27], |v[4:5]|, 0
	s_mov_b32 vcc_lo, 0
	s_mov_b32 vcc_hi, 0x7b000000
	v_ldexp_f64 v[28:29], |v[4:5]|, s9
	v_cmp_ge_f64_e64 vcc, |v[4:5]|, vcc
	v_trig_preop_f64 v[30:31], |v[4:5]|, 1
	v_and_b32_e32 v19, 0x7fffffff, v5
	v_trig_preop_f64 v[38:39], |v[4:5]|, 2
	s_mov_b32 s14, s20
	s_mov_b32 s25, s23
	v_cndmask_b32_e32 v29, v19, v29, vcc
	v_cndmask_b32_e32 v28, v4, v28, vcc
	v_mul_f64 v[32:33], v[26:27], v[28:29]
	v_mul_f64 v[34:35], v[30:31], v[28:29]
	;; [unrolled: 1-line block ×3, first 2 shown]
	v_fma_f64 v[26:27], v[26:27], v[28:29], -v[32:33]
	v_fma_f64 v[30:31], v[30:31], v[28:29], -v[34:35]
	;; [unrolled: 1-line block ×3, first 2 shown]
	v_add_f64 v[36:37], v[34:35], v[26:27]
	v_add_f64 v[44:45], v[36:37], -v[34:35]
	v_add_f64 v[50:51], v[32:33], v[36:37]
	v_add_f64 v[46:47], v[36:37], -v[44:45]
	v_add_f64 v[26:27], v[26:27], -v[44:45]
	v_add_f64 v[44:45], v[48:49], v[30:31]
	v_add_f64 v[32:33], v[50:51], -v[32:33]
	v_add_f64 v[34:35], v[34:35], -v[46:47]
	v_ldexp_f64 v[46:47], v[50:51], -2
	v_add_f64 v[52:53], v[44:45], -v[48:49]
	v_add_f64 v[32:33], v[36:37], -v[32:33]
	v_add_f64 v[26:27], v[26:27], v[34:35]
	v_fract_f64_e32 v[34:35], v[46:47]
	v_cmp_neq_f64_e64 vcc, |v[46:47]|, s[12:13]
	v_add_f64 v[30:31], v[30:31], -v[52:53]
	v_add_f64 v[36:37], v[44:45], v[26:27]
	v_ldexp_f64 v[34:35], v[34:35], 2
	v_add_f64 v[46:47], v[32:33], v[36:37]
	v_cndmask_b32_e32 v35, 0, v35, vcc
	v_cndmask_b32_e32 v34, 0, v34, vcc
	v_add_f64 v[54:55], v[36:37], -v[44:45]
	v_add_f64 v[50:51], v[46:47], v[34:35]
	v_add_f64 v[32:33], v[46:47], -v[32:33]
	v_add_f64 v[56:57], v[36:37], -v[54:55]
	;; [unrolled: 1-line block ×3, first 2 shown]
	v_cmp_gt_f64_e32 vcc, 0, v[50:51]
	v_add_f64 v[50:51], v[44:45], -v[52:53]
	v_add_f64 v[32:33], v[36:37], -v[32:33]
	;; [unrolled: 1-line block ×3, first 2 shown]
	v_cndmask_b32_e32 v19, 0, v40, vcc
	v_add_f64 v[34:35], v[34:35], v[18:19]
	v_add_f64 v[50:51], v[48:49], -v[50:51]
	v_add_f64 v[26:27], v[26:27], v[44:45]
	v_add_f64 v[58:59], v[46:47], v[34:35]
	v_add_f64 v[30:31], v[30:31], v[50:51]
	v_cvt_i32_f64_e32 v24, v[58:59]
	v_add_f64 v[26:27], v[30:31], v[26:27]
	v_cvt_f64_i32_e32 v[52:53], v24
	v_add_f64 v[34:35], v[34:35], -v[52:53]
	v_add_f64 v[26:27], v[28:29], v[26:27]
	v_add_f64 v[30:31], v[46:47], v[34:35]
	;; [unrolled: 1-line block ×3, first 2 shown]
	v_add_f64 v[28:29], v[30:31], -v[34:35]
	v_cmp_le_f64_e32 vcc, 0.5, v[30:31]
	v_add_f64 v[28:29], v[46:47], -v[28:29]
	v_cndmask_b32_e32 v19, 0, v41, vcc
	v_addc_co_u32_e32 v24, vcc, 0, v24, vcc
	v_add_f64 v[26:27], v[26:27], v[28:29]
	v_add_f64 v[28:29], v[30:31], -v[18:19]
	v_add_f64 v[30:31], v[28:29], v[26:27]
	v_mul_f64 v[32:33], v[30:31], s[14:15]
	v_add_f64 v[28:29], v[30:31], -v[28:29]
	v_fma_f64 v[34:35], v[30:31], s[14:15], -v[32:33]
	v_add_f64 v[26:27], v[26:27], -v[28:29]
	v_fma_f64 v[28:29], v[30:31], s[24:25], v[34:35]
	v_fma_f64 v[28:29], v[26:27], s[14:15], v[28:29]
	v_add_f64 v[26:27], v[32:33], v[28:29]
	v_add_f64 v[30:31], v[26:27], -v[32:33]
	v_add_f64 v[28:29], v[28:29], -v[30:31]
	s_andn2_saveexec_b64 s[2:3], s[2:3]
	s_cbranch_execz .LBB253_407
	s_branch .LBB253_406
.LBB253_405:                            ;   in Loop: Header=BB253_233 Depth=1
	s_andn2_saveexec_b64 s[2:3], s[2:3]
	s_cbranch_execz .LBB253_407
.LBB253_406:                            ;   in Loop: Header=BB253_233 Depth=1
	v_mul_f64 v[26:27], |v[4:5]|, s[26:27]
	s_mov_b32 s22, s28
	v_rndne_f64_e32 v[30:31], v[26:27]
	v_fma_f64 v[26:27], v[30:31], s[20:21], |v[4:5]|
	v_mul_f64 v[28:29], v[30:31], s[28:29]
	v_cvt_i32_f64_e32 v24, v[30:31]
	v_fma_f64 v[36:37], v[30:31], s[28:29], v[26:27]
	v_add_f64 v[32:33], v[26:27], v[28:29]
	v_add_f64 v[34:35], v[26:27], -v[32:33]
	v_add_f64 v[32:33], v[32:33], -v[36:37]
	v_add_f64 v[26:27], v[34:35], v[28:29]
	v_fma_f64 v[28:29], v[30:31], s[22:23], v[28:29]
	v_add_f64 v[26:27], v[32:33], v[26:27]
	v_add_f64 v[26:27], v[26:27], -v[28:29]
	v_fma_f64 v[28:29], v[30:31], s[30:31], v[26:27]
	v_add_f64 v[26:27], v[36:37], v[28:29]
	v_add_f64 v[32:33], v[26:27], -v[36:37]
	v_add_f64 v[28:29], v[28:29], -v[32:33]
.LBB253_407:                            ;   in Loop: Header=BB253_233 Depth=1
	s_or_b64 exec, exec, s[2:3]
                                        ; implicit-def: $vgpr44
                                        ; implicit-def: $vgpr30_vgpr31
                                        ; implicit-def: $vgpr32_vgpr33
	s_and_saveexec_b64 s[2:3], s[0:1]
	s_xor_b64 s[2:3], exec, s[2:3]
	s_cbranch_execz .LBB253_409
; %bb.408:                              ;   in Loop: Header=BB253_233 Depth=1
	v_trig_preop_f64 v[30:31], |v[4:5]|, 0
	s_mov_b32 s0, 0
	s_mov_b32 s1, 0x7b000000
	v_ldexp_f64 v[34:35], |v[4:5]|, s9
	v_cmp_ge_f64_e64 vcc, |v[4:5]|, s[0:1]
	v_trig_preop_f64 v[32:33], |v[4:5]|, 1
	v_and_b32_e32 v19, 0x7fffffff, v5
	v_trig_preop_f64 v[46:47], |v[4:5]|, 2
	s_mov_b32 s14, s20
	s_mov_b32 s25, s23
	v_cndmask_b32_e32 v35, v19, v35, vcc
	v_cndmask_b32_e32 v34, v4, v34, vcc
	v_mul_f64 v[36:37], v[30:31], v[34:35]
	v_mul_f64 v[38:39], v[32:33], v[34:35]
	;; [unrolled: 1-line block ×3, first 2 shown]
	v_fma_f64 v[30:31], v[30:31], v[34:35], -v[36:37]
	v_fma_f64 v[32:33], v[32:33], v[34:35], -v[38:39]
	;; [unrolled: 1-line block ×3, first 2 shown]
	v_add_f64 v[44:45], v[38:39], v[30:31]
	v_add_f64 v[48:49], v[44:45], -v[38:39]
	v_add_f64 v[54:55], v[36:37], v[44:45]
	v_add_f64 v[50:51], v[44:45], -v[48:49]
	v_add_f64 v[30:31], v[30:31], -v[48:49]
	v_add_f64 v[48:49], v[52:53], v[32:33]
	v_add_f64 v[36:37], v[54:55], -v[36:37]
	v_add_f64 v[38:39], v[38:39], -v[50:51]
	v_ldexp_f64 v[50:51], v[54:55], -2
	v_add_f64 v[56:57], v[48:49], -v[52:53]
	v_add_f64 v[36:37], v[44:45], -v[36:37]
	v_add_f64 v[30:31], v[30:31], v[38:39]
	v_fract_f64_e32 v[38:39], v[50:51]
	v_cmp_neq_f64_e64 vcc, |v[50:51]|, s[12:13]
	v_add_f64 v[32:33], v[32:33], -v[56:57]
	v_add_f64 v[44:45], v[48:49], v[30:31]
	v_ldexp_f64 v[38:39], v[38:39], 2
	v_add_f64 v[50:51], v[36:37], v[44:45]
	v_cndmask_b32_e32 v39, 0, v39, vcc
	v_cndmask_b32_e32 v38, 0, v38, vcc
	v_add_f64 v[58:59], v[44:45], -v[48:49]
	v_add_f64 v[54:55], v[50:51], v[38:39]
	v_add_f64 v[36:37], v[50:51], -v[36:37]
	v_add_f64 v[60:61], v[44:45], -v[58:59]
	;; [unrolled: 1-line block ×3, first 2 shown]
	v_cmp_gt_f64_e32 vcc, 0, v[54:55]
	v_add_f64 v[54:55], v[48:49], -v[56:57]
	v_add_f64 v[36:37], v[44:45], -v[36:37]
	;; [unrolled: 1-line block ×3, first 2 shown]
	v_cndmask_b32_e32 v19, 0, v40, vcc
	v_add_f64 v[38:39], v[38:39], v[18:19]
	v_add_f64 v[54:55], v[52:53], -v[54:55]
	v_add_f64 v[30:31], v[30:31], v[48:49]
	v_add_f64 v[62:63], v[50:51], v[38:39]
	;; [unrolled: 1-line block ×3, first 2 shown]
	v_cvt_i32_f64_e32 v19, v[62:63]
	v_add_f64 v[30:31], v[32:33], v[30:31]
	v_cvt_f64_i32_e32 v[56:57], v19
	v_add_f64 v[38:39], v[38:39], -v[56:57]
	v_add_f64 v[30:31], v[34:35], v[30:31]
	v_add_f64 v[32:33], v[50:51], v[38:39]
	;; [unrolled: 1-line block ×3, first 2 shown]
	v_add_f64 v[34:35], v[32:33], -v[38:39]
	v_cmp_le_f64_e32 vcc, 0.5, v[32:33]
	v_add_f64 v[34:35], v[50:51], -v[34:35]
	v_addc_co_u32_e64 v44, s[0:1], 0, v19, vcc
	v_cndmask_b32_e32 v19, 0, v41, vcc
	v_add_f64 v[32:33], v[32:33], -v[18:19]
	v_add_f64 v[30:31], v[30:31], v[34:35]
	v_add_f64 v[34:35], v[32:33], v[30:31]
	v_mul_f64 v[36:37], v[34:35], s[14:15]
	v_add_f64 v[32:33], v[34:35], -v[32:33]
	v_fma_f64 v[38:39], v[34:35], s[14:15], -v[36:37]
	v_add_f64 v[30:31], v[30:31], -v[32:33]
	v_fma_f64 v[32:33], v[34:35], s[24:25], v[38:39]
	v_fma_f64 v[32:33], v[30:31], s[14:15], v[32:33]
	v_add_f64 v[30:31], v[36:37], v[32:33]
	v_add_f64 v[34:35], v[30:31], -v[36:37]
	v_add_f64 v[32:33], v[32:33], -v[34:35]
	s_andn2_saveexec_b64 s[0:1], s[2:3]
	s_cbranch_execnz .LBB253_410
	s_branch .LBB253_411
.LBB253_409:                            ;   in Loop: Header=BB253_233 Depth=1
	s_andn2_saveexec_b64 s[0:1], s[2:3]
	s_cbranch_execz .LBB253_411
.LBB253_410:                            ;   in Loop: Header=BB253_233 Depth=1
	v_mul_f64 v[30:31], |v[4:5]|, s[26:27]
	s_mov_b32 s22, s28
	v_rndne_f64_e32 v[34:35], v[30:31]
	v_fma_f64 v[30:31], v[34:35], s[20:21], |v[4:5]|
	v_mul_f64 v[32:33], v[34:35], s[28:29]
	v_fma_f64 v[44:45], v[34:35], s[28:29], v[30:31]
	v_add_f64 v[36:37], v[30:31], v[32:33]
	v_add_f64 v[38:39], v[30:31], -v[36:37]
	v_add_f64 v[36:37], v[36:37], -v[44:45]
	v_add_f64 v[30:31], v[38:39], v[32:33]
	v_fma_f64 v[32:33], v[34:35], s[22:23], v[32:33]
	v_add_f64 v[30:31], v[36:37], v[30:31]
	v_add_f64 v[30:31], v[30:31], -v[32:33]
	v_fma_f64 v[32:33], v[34:35], s[30:31], v[30:31]
	v_add_f64 v[30:31], v[44:45], v[32:33]
	v_add_f64 v[36:37], v[30:31], -v[44:45]
	v_cvt_i32_f64_e32 v44, v[34:35]
	v_add_f64 v[32:33], v[32:33], -v[36:37]
.LBB253_411:                            ;   in Loop: Header=BB253_233 Depth=1
	s_or_b64 exec, exec, s[0:1]
	s_mov_b32 s0, 0x19ba0da4
	s_mov_b32 s1, 0xc0937be3
	v_add_f64 v[2:3], -v[2:3], s[0:1]
	v_mul_f64 v[49:50], v[30:31], v[30:31]
	v_mov_b32_e32 v51, s72
	v_mov_b32_e32 v52, s73
	;; [unrolled: 1-line block ×4, first 2 shown]
	s_mov_b32 s55, s53
	s_mov_b32 s83, s57
	v_mul_f64 v[34:35], v[2:3], s[36:37]
	v_mul_f64 v[63:64], v[49:50], 0.5
	v_mul_f64 v[53:54], v[28:29], 0.5
	v_mul_f64 v[61:62], v[32:33], 0.5
	v_mul_f64 v[73:74], v[30:31], -v[49:50]
	s_mov_b32 s92, s56
	v_and_b32_e32 v19, 1, v24
	v_lshlrev_b32_e32 v24, 30, v24
	v_rndne_f64_e32 v[34:35], v[34:35]
	v_add_f64 v[69:70], -v[63:64], 1.0
	v_cmp_eq_u32_e32 vcc, 0, v19
	v_cmp_class_f64_e64 s[0:1], v[4:5], s10
	v_fma_f64 v[36:37], v[34:35], s[38:39], v[2:3]
	v_add_f64 v[75:76], -v[69:70], 1.0
	v_fma_f64 v[36:37], v[34:35], s[40:41], v[36:37]
	v_add_f64 v[63:64], v[75:76], -v[63:64]
	v_fma_f64 v[38:39], v[36:37], s[42:43], v[22:23]
	v_fma_f64 v[45:46], v[36:37], v[38:39], s[44:45]
	v_mul_f64 v[38:39], v[26:27], v[26:27]
	v_fma_f64 v[45:46], v[36:37], v[45:46], s[46:47]
	v_fma_f64 v[55:56], v[38:39], s[74:75], v[51:52]
	v_fma_f64 v[51:52], v[49:50], s[74:75], v[51:52]
	v_fma_f64 v[57:58], v[38:39], s[64:65], v[47:48]
	v_mul_f64 v[59:60], v[38:39], 0.5
	v_fma_f64 v[47:48], v[49:50], s[64:65], v[47:48]
	v_mul_f64 v[67:68], v[26:27], -v[38:39]
	v_fma_f64 v[45:46], v[36:37], v[45:46], s[48:49]
	v_fma_f64 v[55:56], v[38:39], v[55:56], s[76:77]
	;; [unrolled: 1-line block ×4, first 2 shown]
	v_add_f64 v[65:66], -v[59:60], 1.0
	v_fma_f64 v[47:48], v[49:50], v[47:48], s[66:67]
	v_fma_f64 v[45:46], v[36:37], v[45:46], s[50:51]
	;; [unrolled: 1-line block ×5, first 2 shown]
	v_add_f64 v[71:72], -v[65:66], 1.0
	v_fma_f64 v[47:48], v[49:50], v[47:48], s[68:69]
	v_fma_f64 v[45:46], v[36:37], v[45:46], s[54:55]
	;; [unrolled: 1-line block ×5, first 2 shown]
	v_add_f64 v[59:60], v[71:72], -v[59:60]
	v_fma_f64 v[47:48], v[49:50], v[47:48], s[70:71]
	v_fma_f64 v[45:46], v[36:37], v[45:46], s[82:83]
	;; [unrolled: 1-line block ×4, first 2 shown]
	v_mul_f64 v[55:56], v[38:39], v[38:39]
	v_fma_f64 v[57:58], v[38:39], v[57:58], s[56:57]
	v_fma_f64 v[59:60], v[26:27], -v[28:29], v[59:60]
	v_fma_f64 v[47:48], v[49:50], v[47:48], s[56:57]
	v_fma_f64 v[45:46], v[36:37], v[45:46], s[58:59]
	v_fma_f64 v[28:29], v[38:39], v[53:54], -v[28:29]
	v_mul_f64 v[38:39], v[49:50], v[49:50]
	v_fma_f64 v[53:54], v[30:31], -v[32:33], v[63:64]
	v_fma_f64 v[32:33], v[49:50], v[51:52], -v[32:33]
	v_fma_f64 v[49:50], v[55:56], v[57:58], v[59:60]
	v_and_b32_e32 v51, 1, v44
	v_lshlrev_b32_e32 v52, 30, v44
	v_fma_f64 v[45:46], v[36:37], v[45:46], s[60:61]
	v_fma_f64 v[28:29], v[67:68], s[92:93], v[28:29]
	v_cmp_eq_u32_e64 s[2:3], 0, v51
	v_fma_f64 v[38:39], v[38:39], v[47:48], v[53:54]
	v_fma_f64 v[32:33], v[73:74], s[92:93], v[32:33]
	v_and_b32_e32 v48, 0x80000000, v24
	v_xor_b32_e32 v24, v52, v25
	v_fma_f64 v[44:45], v[36:37], v[45:46], 1.0
	v_add_f64 v[46:47], v[65:66], v[49:50]
	v_add_f64 v[26:27], v[26:27], -v[28:29]
	v_and_b32_e32 v49, 0x80000000, v24
	v_add_f64 v[28:29], v[69:70], v[38:39]
	v_add_f64 v[30:31], v[30:31], -v[32:33]
	v_cvt_i32_f64_e32 v32, v[34:35]
	v_fma_f64 v[24:25], v[36:37], v[44:45], 1.0
	v_cndmask_b32_e32 v19, v26, v46, vcc
	v_xor_b32_e32 v26, 0x80000000, v27
	v_cndmask_b32_e32 v26, v26, v47, vcc
	v_cndmask_b32_e64 v27, v28, v30, s[2:3]
	v_ldexp_f64 v[4:5], v[24:25], v32
	v_cndmask_b32_e64 v25, v29, v31, s[2:3]
	s_mov_b32 s2, 0
	s_mov_b32 s3, 0x40900000
	v_cmp_nlt_f64_e32 vcc, s[2:3], v[2:3]
	s_mov_b32 s2, 0
	s_mov_b32 s3, 0xc090cc00
	v_cmp_ngt_f64_e64 s[2:3], s[2:3], v[2:3]
	v_cndmask_b32_e64 v24, 0, v19, s[0:1]
	v_xor_b32_e32 v19, v25, v49
	v_xor_b32_e32 v25, v26, v48
	v_cndmask_b32_e64 v3, v43, v19, s[0:1]
	v_cndmask_b32_e32 v5, v42, v5, vcc
	v_cndmask_b32_e64 v25, v43, v25, s[0:1]
	v_cndmask_b32_e64 v2, 0, v27, s[0:1]
	v_cndmask_b32_e64 v5, 0, v5, s[2:3]
	v_and_b32_e32 v19, 0xfffff, v5
	s_and_b64 vcc, s[2:3], vcc
	v_lshrrev_b32_e32 v26, 20, v5
	v_or_b32_e32 v5, 0x7fe00000, v19
	v_cndmask_b32_e32 v4, 0, v4, vcc
	v_mul_f64 v[24:25], v[4:5], v[24:25]
	v_mul_f64 v[2:3], v[4:5], v[2:3]
	v_add_u32_e32 v26, 0xffffff09, v26
	v_lshrrev_b16_e32 v4, 15, v26
	v_add_u16_e32 v4, v26, v4
	v_ashrrev_i16_e32 v4, 1, v4
	v_bfe_i32 v27, v4, 0, 16
	v_lshl_add_u32 v19, v27, 20, v41
	v_mul_f64 v[4:5], v[24:25], v[18:19]
	v_mul_f64 v[2:3], v[2:3], v[18:19]
	v_sub_u32_e32 v19, v26, v27
	v_mov_b32_e32 v24, v18
	v_lshl_add_u32 v25, v19, 20, v41
	v_mul_f64 v[26:27], v[4:5], v[24:25]
	v_mul_f64 v[24:25], v[2:3], v[24:25]
.LBB253_412:                            ;   in Loop: Header=BB253_233 Depth=1
	s_or_b64 exec, exec, s[90:91]
                                        ; implicit-def: $vgpr28_vgpr29
                                        ; implicit-def: $vgpr2_vgpr3
                                        ; implicit-def: $vgpr19
.LBB253_413:                            ;   in Loop: Header=BB253_233 Depth=1
	s_andn2_saveexec_b64 s[2:3], s[88:89]
	s_cbranch_execz .LBB253_419
; %bb.414:                              ;   in Loop: Header=BB253_233 Depth=1
	v_add_f64 v[24:25], v[4:5], -v[4:5]
	v_cmp_ne_u32_e32 vcc, 0, v2
	v_cmp_ne_u32_e64 s[0:1], s11, v19
	s_or_b64 s[0:1], vcc, s[0:1]
	s_and_saveexec_b64 s[88:89], s[0:1]
	s_xor_b64 s[0:1], exec, s[88:89]
; %bb.415:                              ;   in Loop: Header=BB253_233 Depth=1
                                        ; implicit-def: $vgpr28_vgpr29
                                        ; implicit-def: $vgpr2_vgpr3
; %bb.416:                              ;   in Loop: Header=BB253_233 Depth=1
	s_or_saveexec_b64 s[0:1], s[0:1]
	v_mov_b32_e32 v27, v25
	v_mov_b32_e32 v26, v24
	s_xor_b64 exec, exec, s[0:1]
; %bb.417:                              ;   in Loop: Header=BB253_233 Depth=1
	v_cmp_lt_i64_e32 vcc, -1, v[28:29]
	v_cndmask_b32_e32 v27, 0, v29, vcc
	v_cndmask_b32_e32 v26, 0, v2, vcc
	v_cndmask_b32_e32 v25, 0, v25, vcc
	v_cndmask_b32_e32 v24, 0, v24, vcc
; %bb.418:                              ;   in Loop: Header=BB253_233 Depth=1
	s_or_b64 exec, exec, s[0:1]
.LBB253_419:                            ;   in Loop: Header=BB253_233 Depth=1
	s_or_b64 exec, exec, s[2:3]
                                        ; implicit-def: $vgpr4_vgpr5
.LBB253_420:                            ;   in Loop: Header=BB253_233 Depth=1
	s_andn2_saveexec_b64 s[2:3], s[80:81]
	s_cbranch_execz .LBB253_430
; %bb.421:                              ;   in Loop: Header=BB253_233 Depth=1
	s_mov_b32 s0, 0
	s_mov_b32 s1, 0x41d00000
	v_cmp_nlt_f64_e64 s[80:81], |v[4:5]|, s[0:1]
                                        ; implicit-def: $vgpr24
                                        ; implicit-def: $vgpr2_vgpr3
                                        ; implicit-def: $vgpr26_vgpr27
	s_and_saveexec_b64 s[0:1], s[80:81]
	s_xor_b64 s[88:89], exec, s[0:1]
	s_cbranch_execz .LBB253_423
; %bb.422:                              ;   in Loop: Header=BB253_233 Depth=1
	v_trig_preop_f64 v[2:3], |v[4:5]|, 0
	s_mov_b32 s0, 0
	s_mov_b32 s1, 0x7b000000
	v_ldexp_f64 v[28:29], |v[4:5]|, s9
	v_cmp_ge_f64_e64 vcc, |v[4:5]|, s[0:1]
	v_trig_preop_f64 v[26:27], |v[4:5]|, 1
	v_and_b32_e32 v19, 0x7fffffff, v5
	v_trig_preop_f64 v[36:37], |v[4:5]|, 2
	s_mov_b32 s14, s20
	s_mov_b32 s25, s23
	v_cndmask_b32_e32 v29, v19, v29, vcc
	v_cndmask_b32_e32 v28, v4, v28, vcc
	v_mul_f64 v[30:31], v[2:3], v[28:29]
	v_mul_f64 v[32:33], v[26:27], v[28:29]
	v_mul_f64 v[46:47], v[36:37], v[28:29]
	v_fma_f64 v[2:3], v[2:3], v[28:29], -v[30:31]
	v_fma_f64 v[26:27], v[26:27], v[28:29], -v[32:33]
	;; [unrolled: 1-line block ×3, first 2 shown]
	v_add_f64 v[34:35], v[32:33], v[2:3]
	v_add_f64 v[38:39], v[34:35], -v[32:33]
	v_add_f64 v[48:49], v[30:31], v[34:35]
	v_add_f64 v[44:45], v[34:35], -v[38:39]
	v_add_f64 v[2:3], v[2:3], -v[38:39]
	v_add_f64 v[38:39], v[46:47], v[26:27]
	v_add_f64 v[30:31], v[48:49], -v[30:31]
	v_add_f64 v[32:33], v[32:33], -v[44:45]
	v_ldexp_f64 v[44:45], v[48:49], -2
	v_add_f64 v[50:51], v[38:39], -v[46:47]
	v_add_f64 v[30:31], v[34:35], -v[30:31]
	v_add_f64 v[2:3], v[2:3], v[32:33]
	v_fract_f64_e32 v[32:33], v[44:45]
	v_cmp_neq_f64_e64 vcc, |v[44:45]|, s[12:13]
	v_add_f64 v[26:27], v[26:27], -v[50:51]
	v_add_f64 v[34:35], v[38:39], v[2:3]
	v_ldexp_f64 v[32:33], v[32:33], 2
	v_add_f64 v[44:45], v[30:31], v[34:35]
	v_cndmask_b32_e32 v33, 0, v33, vcc
	v_cndmask_b32_e32 v32, 0, v32, vcc
	v_add_f64 v[52:53], v[34:35], -v[38:39]
	v_add_f64 v[48:49], v[44:45], v[32:33]
	v_add_f64 v[30:31], v[44:45], -v[30:31]
	v_add_f64 v[54:55], v[34:35], -v[52:53]
	;; [unrolled: 1-line block ×3, first 2 shown]
	v_cmp_gt_f64_e32 vcc, 0, v[48:49]
	v_add_f64 v[48:49], v[38:39], -v[50:51]
	v_add_f64 v[30:31], v[34:35], -v[30:31]
	;; [unrolled: 1-line block ×3, first 2 shown]
	v_cndmask_b32_e32 v19, 0, v40, vcc
	v_add_f64 v[32:33], v[32:33], v[18:19]
	v_add_f64 v[48:49], v[46:47], -v[48:49]
	v_add_f64 v[2:3], v[2:3], v[38:39]
	v_add_f64 v[56:57], v[44:45], v[32:33]
	;; [unrolled: 1-line block ×3, first 2 shown]
	v_cvt_i32_f64_e32 v19, v[56:57]
	v_add_f64 v[2:3], v[26:27], v[2:3]
	v_cvt_f64_i32_e32 v[50:51], v19
	v_add_f64 v[32:33], v[32:33], -v[50:51]
	v_add_f64 v[2:3], v[28:29], v[2:3]
	v_add_f64 v[26:27], v[44:45], v[32:33]
	;; [unrolled: 1-line block ×3, first 2 shown]
	v_add_f64 v[28:29], v[26:27], -v[32:33]
	v_cmp_le_f64_e32 vcc, 0.5, v[26:27]
	v_add_f64 v[28:29], v[44:45], -v[28:29]
	v_addc_co_u32_e64 v24, s[0:1], 0, v19, vcc
	v_cndmask_b32_e32 v19, 0, v41, vcc
	v_add_f64 v[26:27], v[26:27], -v[18:19]
	v_add_f64 v[2:3], v[2:3], v[28:29]
	v_add_f64 v[28:29], v[26:27], v[2:3]
	v_mul_f64 v[30:31], v[28:29], s[14:15]
	v_add_f64 v[26:27], v[28:29], -v[26:27]
	v_fma_f64 v[32:33], v[28:29], s[14:15], -v[30:31]
	v_add_f64 v[2:3], v[2:3], -v[26:27]
	v_fma_f64 v[26:27], v[28:29], s[24:25], v[32:33]
	v_fma_f64 v[26:27], v[2:3], s[14:15], v[26:27]
	v_add_f64 v[2:3], v[30:31], v[26:27]
	v_add_f64 v[28:29], v[2:3], -v[30:31]
	v_add_f64 v[26:27], v[26:27], -v[28:29]
	s_andn2_saveexec_b64 s[0:1], s[88:89]
	s_cbranch_execz .LBB253_425
	s_branch .LBB253_424
.LBB253_423:                            ;   in Loop: Header=BB253_233 Depth=1
	s_andn2_saveexec_b64 s[0:1], s[88:89]
	s_cbranch_execz .LBB253_425
.LBB253_424:                            ;   in Loop: Header=BB253_233 Depth=1
	v_mul_f64 v[2:3], |v[4:5]|, s[26:27]
	s_mov_b32 s22, s28
	v_rndne_f64_e32 v[28:29], v[2:3]
	v_fma_f64 v[2:3], v[28:29], s[20:21], |v[4:5]|
	v_mul_f64 v[26:27], v[28:29], s[28:29]
	v_cvt_i32_f64_e32 v24, v[28:29]
	v_fma_f64 v[34:35], v[28:29], s[28:29], v[2:3]
	v_add_f64 v[30:31], v[2:3], v[26:27]
	v_add_f64 v[32:33], v[2:3], -v[30:31]
	v_add_f64 v[30:31], v[30:31], -v[34:35]
	v_add_f64 v[2:3], v[32:33], v[26:27]
	v_fma_f64 v[26:27], v[28:29], s[22:23], v[26:27]
	v_add_f64 v[2:3], v[30:31], v[2:3]
	v_add_f64 v[2:3], v[2:3], -v[26:27]
	v_fma_f64 v[26:27], v[28:29], s[30:31], v[2:3]
	v_add_f64 v[2:3], v[34:35], v[26:27]
	v_add_f64 v[30:31], v[2:3], -v[34:35]
	v_add_f64 v[26:27], v[26:27], -v[30:31]
.LBB253_425:                            ;   in Loop: Header=BB253_233 Depth=1
	s_or_b64 exec, exec, s[0:1]
                                        ; implicit-def: $vgpr32
                                        ; implicit-def: $vgpr28_vgpr29
                                        ; implicit-def: $vgpr30_vgpr31
	s_and_saveexec_b64 s[0:1], s[80:81]
	s_xor_b64 s[80:81], exec, s[0:1]
	s_cbranch_execz .LBB253_427
; %bb.426:                              ;   in Loop: Header=BB253_233 Depth=1
	v_trig_preop_f64 v[28:29], |v[4:5]|, 0
	s_mov_b32 s0, 0
	s_mov_b32 s1, 0x7b000000
	v_ldexp_f64 v[32:33], |v[4:5]|, s9
	v_cmp_ge_f64_e64 vcc, |v[4:5]|, s[0:1]
	v_trig_preop_f64 v[30:31], |v[4:5]|, 1
	v_and_b32_e32 v19, 0x7fffffff, v5
	v_trig_preop_f64 v[44:45], |v[4:5]|, 2
	s_mov_b32 s14, s20
	s_mov_b32 s25, s23
	v_cndmask_b32_e32 v33, v19, v33, vcc
	v_cndmask_b32_e32 v32, v4, v32, vcc
	v_mul_f64 v[34:35], v[28:29], v[32:33]
	v_mul_f64 v[36:37], v[30:31], v[32:33]
	;; [unrolled: 1-line block ×3, first 2 shown]
	v_fma_f64 v[28:29], v[28:29], v[32:33], -v[34:35]
	v_fma_f64 v[30:31], v[30:31], v[32:33], -v[36:37]
	;; [unrolled: 1-line block ×3, first 2 shown]
	v_add_f64 v[38:39], v[36:37], v[28:29]
	v_add_f64 v[46:47], v[38:39], -v[36:37]
	v_add_f64 v[52:53], v[34:35], v[38:39]
	v_add_f64 v[48:49], v[38:39], -v[46:47]
	v_add_f64 v[28:29], v[28:29], -v[46:47]
	v_add_f64 v[46:47], v[50:51], v[30:31]
	v_add_f64 v[34:35], v[52:53], -v[34:35]
	v_add_f64 v[36:37], v[36:37], -v[48:49]
	v_ldexp_f64 v[48:49], v[52:53], -2
	v_add_f64 v[54:55], v[46:47], -v[50:51]
	v_add_f64 v[34:35], v[38:39], -v[34:35]
	v_add_f64 v[28:29], v[28:29], v[36:37]
	v_fract_f64_e32 v[36:37], v[48:49]
	v_cmp_neq_f64_e64 vcc, |v[48:49]|, s[12:13]
	v_add_f64 v[30:31], v[30:31], -v[54:55]
	v_add_f64 v[38:39], v[46:47], v[28:29]
	v_ldexp_f64 v[36:37], v[36:37], 2
	v_add_f64 v[48:49], v[34:35], v[38:39]
	v_cndmask_b32_e32 v37, 0, v37, vcc
	v_cndmask_b32_e32 v36, 0, v36, vcc
	v_add_f64 v[56:57], v[38:39], -v[46:47]
	v_add_f64 v[52:53], v[48:49], v[36:37]
	v_add_f64 v[34:35], v[48:49], -v[34:35]
	v_add_f64 v[58:59], v[38:39], -v[56:57]
	;; [unrolled: 1-line block ×3, first 2 shown]
	v_cmp_gt_f64_e32 vcc, 0, v[52:53]
	v_add_f64 v[52:53], v[46:47], -v[54:55]
	v_add_f64 v[34:35], v[38:39], -v[34:35]
	;; [unrolled: 1-line block ×3, first 2 shown]
	v_cndmask_b32_e32 v19, 0, v40, vcc
	v_add_f64 v[36:37], v[36:37], v[18:19]
	v_add_f64 v[52:53], v[50:51], -v[52:53]
	v_add_f64 v[28:29], v[28:29], v[46:47]
	v_add_f64 v[60:61], v[48:49], v[36:37]
	;; [unrolled: 1-line block ×3, first 2 shown]
	v_cvt_i32_f64_e32 v19, v[60:61]
	v_add_f64 v[28:29], v[30:31], v[28:29]
	v_cvt_f64_i32_e32 v[54:55], v19
	v_add_f64 v[36:37], v[36:37], -v[54:55]
	v_add_f64 v[28:29], v[32:33], v[28:29]
	v_add_f64 v[30:31], v[48:49], v[36:37]
	;; [unrolled: 1-line block ×3, first 2 shown]
	v_add_f64 v[32:33], v[30:31], -v[36:37]
	v_cmp_le_f64_e32 vcc, 0.5, v[30:31]
	v_add_f64 v[33:34], v[48:49], -v[32:33]
	v_addc_co_u32_e64 v32, s[0:1], 0, v19, vcc
	v_cndmask_b32_e32 v19, 0, v41, vcc
	v_add_f64 v[30:31], v[30:31], -v[18:19]
	v_add_f64 v[28:29], v[28:29], v[33:34]
	v_add_f64 v[33:34], v[30:31], v[28:29]
	v_mul_f64 v[35:36], v[33:34], s[14:15]
	v_add_f64 v[30:31], v[33:34], -v[30:31]
	v_fma_f64 v[37:38], v[33:34], s[14:15], -v[35:36]
	v_add_f64 v[28:29], v[28:29], -v[30:31]
	v_fma_f64 v[30:31], v[33:34], s[24:25], v[37:38]
	v_fma_f64 v[30:31], v[28:29], s[14:15], v[30:31]
	v_add_f64 v[28:29], v[35:36], v[30:31]
	v_add_f64 v[33:34], v[28:29], -v[35:36]
	v_add_f64 v[30:31], v[30:31], -v[33:34]
	s_andn2_saveexec_b64 s[0:1], s[80:81]
	s_cbranch_execnz .LBB253_428
	s_branch .LBB253_429
.LBB253_427:                            ;   in Loop: Header=BB253_233 Depth=1
	s_andn2_saveexec_b64 s[0:1], s[80:81]
	s_cbranch_execz .LBB253_429
.LBB253_428:                            ;   in Loop: Header=BB253_233 Depth=1
	v_mul_f64 v[28:29], |v[4:5]|, s[26:27]
	s_mov_b32 s22, s28
	v_rndne_f64_e32 v[32:33], v[28:29]
	v_fma_f64 v[28:29], v[32:33], s[20:21], |v[4:5]|
	v_mul_f64 v[30:31], v[32:33], s[28:29]
	v_fma_f64 v[38:39], v[32:33], s[28:29], v[28:29]
	v_add_f64 v[34:35], v[28:29], v[30:31]
	v_add_f64 v[36:37], v[28:29], -v[34:35]
	v_add_f64 v[34:35], v[34:35], -v[38:39]
	v_add_f64 v[28:29], v[36:37], v[30:31]
	v_fma_f64 v[30:31], v[32:33], s[22:23], v[30:31]
	v_add_f64 v[28:29], v[34:35], v[28:29]
	v_add_f64 v[28:29], v[28:29], -v[30:31]
	v_fma_f64 v[30:31], v[32:33], s[30:31], v[28:29]
	v_cvt_i32_f64_e32 v32, v[32:33]
	v_add_f64 v[28:29], v[38:39], v[30:31]
	v_add_f64 v[34:35], v[28:29], -v[38:39]
	v_add_f64 v[30:31], v[30:31], -v[34:35]
.LBB253_429:                            ;   in Loop: Header=BB253_233 Depth=1
	s_or_b64 exec, exec, s[0:1]
	v_mul_f64 v[33:34], v[2:3], v[2:3]
	v_mov_b32_e32 v46, s62
	v_mov_b32_e32 v47, s63
	v_mul_f64 v[50:51], v[26:27], 0.5
	s_mov_b32 s92, s56
	v_and_b32_e32 v19, 1, v24
	v_cmp_eq_u32_e32 vcc, 0, v19
	v_lshlrev_b32_e32 v19, 30, v24
	v_mul_f64 v[35:36], v[33:34], 0.5
	v_fma_f64 v[48:49], v[33:34], s[64:65], v[46:47]
	v_and_b32_e32 v19, 0x80000000, v19
	v_add_f64 v[37:38], -v[35:36], 1.0
	v_fma_f64 v[48:49], v[33:34], v[48:49], s[66:67]
	v_add_f64 v[44:45], -v[37:38], 1.0
	v_fma_f64 v[48:49], v[33:34], v[48:49], s[68:69]
	v_add_f64 v[35:36], v[44:45], -v[35:36]
	v_fma_f64 v[48:49], v[33:34], v[48:49], s[70:71]
	v_mul_f64 v[44:45], v[33:34], v[33:34]
	v_fma_f64 v[35:36], v[2:3], -v[26:27], v[35:36]
	v_fma_f64 v[48:49], v[33:34], v[48:49], s[56:57]
	v_fma_f64 v[35:36], v[44:45], v[48:49], v[35:36]
	v_mul_f64 v[48:49], v[2:3], -v[33:34]
	v_add_f64 v[35:36], v[37:38], v[35:36]
	v_mov_b32_e32 v37, s72
	v_mov_b32_e32 v38, s73
	v_fma_f64 v[44:45], v[33:34], s[74:75], v[37:38]
	v_fma_f64 v[44:45], v[33:34], v[44:45], s[76:77]
	v_fma_f64 v[44:45], v[33:34], v[44:45], s[78:79]
	v_fma_f64 v[44:45], v[33:34], v[44:45], s[52:53]
	v_fma_f64 v[44:45], v[48:49], v[44:45], v[50:51]
	v_fma_f64 v[26:27], v[33:34], v[44:45], -v[26:27]
	v_fma_f64 v[26:27], v[48:49], s[92:93], v[26:27]
	v_add_f64 v[2:3], v[2:3], -v[26:27]
	v_xor_b32_e32 v3, 0x80000000, v3
	v_cndmask_b32_e32 v2, v2, v35, vcc
	v_cndmask_b32_e32 v3, v3, v36, vcc
	v_cmp_class_f64_e64 vcc, v[4:5], s10
	v_xor_b32_e32 v3, v3, v19
	v_and_b32_e32 v19, 1, v32
	v_cmp_eq_u32_e64 s[0:1], 0, v19
	v_cndmask_b32_e32 v26, 0, v2, vcc
	v_cndmask_b32_e32 v27, v43, v3, vcc
	v_mul_f64 v[2:3], v[28:29], v[28:29]
	v_mul_f64 v[4:5], v[2:3], 0.5
	v_fma_f64 v[44:45], v[2:3], s[64:65], v[46:47]
	v_add_f64 v[33:34], -v[4:5], 1.0
	v_fma_f64 v[44:45], v[2:3], v[44:45], s[66:67]
	v_add_f64 v[35:36], -v[33:34], 1.0
	v_fma_f64 v[44:45], v[2:3], v[44:45], s[68:69]
	v_add_f64 v[4:5], v[35:36], -v[4:5]
	v_fma_f64 v[44:45], v[2:3], v[44:45], s[70:71]
	v_mul_f64 v[35:36], v[2:3], v[2:3]
	v_fma_f64 v[4:5], v[28:29], -v[30:31], v[4:5]
	v_fma_f64 v[44:45], v[2:3], v[44:45], s[56:57]
	v_fma_f64 v[4:5], v[35:36], v[44:45], v[4:5]
	v_mul_f64 v[35:36], v[28:29], -v[2:3]
	v_add_f64 v[4:5], v[33:34], v[4:5]
	v_fma_f64 v[33:34], v[2:3], s[74:75], v[37:38]
	v_mul_f64 v[37:38], v[30:31], 0.5
	v_fma_f64 v[33:34], v[2:3], v[33:34], s[76:77]
	v_fma_f64 v[33:34], v[2:3], v[33:34], s[78:79]
	v_fma_f64 v[33:34], v[2:3], v[33:34], s[52:53]
	v_fma_f64 v[33:34], v[35:36], v[33:34], v[37:38]
	v_fma_f64 v[2:3], v[2:3], v[33:34], -v[30:31]
	v_fma_f64 v[2:3], v[35:36], s[92:93], v[2:3]
	v_add_f64 v[2:3], v[28:29], -v[2:3]
	v_cndmask_b32_e64 v2, v4, v2, s[0:1]
	v_lshlrev_b32_e32 v4, 30, v32
	v_xor_b32_e32 v4, v4, v25
	v_cndmask_b32_e64 v3, v5, v3, s[0:1]
	v_and_b32_e32 v4, 0x80000000, v4
	v_xor_b32_e32 v3, v3, v4
	v_cndmask_b32_e32 v24, 0, v2, vcc
	v_cndmask_b32_e32 v25, v43, v3, vcc
.LBB253_430:                            ;   in Loop: Header=BB253_233 Depth=1
	s_or_b64 exec, exec, s[2:3]
                                        ; implicit-def: $vgpr2_vgpr3
.LBB253_431:                            ;   in Loop: Header=BB253_233 Depth=1
	s_andn2_saveexec_b64 s[2:3], s[94:95]
	s_cbranch_execz .LBB253_433
; %bb.432:                              ;   in Loop: Header=BB253_233 Depth=1
	s_mov_b32 s34, s36
	v_mul_f64 v[4:5], v[2:3], s[34:35]
	s_mov_b32 s55, s53
	s_mov_b32 s83, s57
	v_cmp_ngt_f64_e32 vcc, s[84:85], v[2:3]
	v_cmp_nlt_f64_e64 s[0:1], s[86:87], v[2:3]
	v_rndne_f64_e32 v[4:5], v[4:5]
	v_fma_f64 v[26:27], v[4:5], s[38:39], -v[2:3]
	v_fma_f64 v[26:27], v[4:5], s[40:41], v[26:27]
	v_cvt_i32_f64_e32 v4, v[4:5]
	v_fma_f64 v[28:29], v[26:27], s[42:43], v[22:23]
	v_fma_f64 v[28:29], v[26:27], v[28:29], s[44:45]
	;; [unrolled: 1-line block ×9, first 2 shown]
	v_fma_f64 v[28:29], v[26:27], v[28:29], 1.0
	v_fma_f64 v[26:27], v[26:27], v[28:29], 1.0
	v_ldexp_f64 v[4:5], v[26:27], v4
	v_cndmask_b32_e32 v5, v42, v5, vcc
	s_and_b64 vcc, s[0:1], vcc
	v_cndmask_b32_e64 v27, 0, v5, s[0:1]
	v_cndmask_b32_e32 v26, 0, v4, vcc
.LBB253_433:                            ;   in Loop: Header=BB253_233 Depth=1
	s_or_b64 exec, exec, s[2:3]
	v_add_f64 v[26:27], s[16:17], v[26:27]
	v_add_f64 v[24:25], s[18:19], v[24:25]
	v_cmp_gt_f64_e32 vcc, 0, v[26:27]
	v_xor_b32_e32 v2, 0x80000000, v27
	v_xor_b32_e32 v3, 0x80000000, v25
	v_mov_b32_e32 v28, v26
	v_mov_b32_e32 v30, v24
	v_cndmask_b32_e32 v29, v27, v2, vcc
	v_cmp_gt_f64_e32 vcc, 0, v[24:25]
	v_cndmask_b32_e32 v31, v25, v3, vcc
	v_cmp_ge_f64_e32 vcc, v[28:29], v[30:31]
                                        ; implicit-def: $vgpr4_vgpr5
	s_and_saveexec_b64 s[0:1], vcc
	s_xor_b64 s[2:3], exec, s[0:1]
	s_cbranch_execz .LBB253_439
; %bb.434:                              ;   in Loop: Header=BB253_233 Depth=1
	v_cmp_neq_f64_e32 vcc, 0, v[26:27]
	v_cmp_neq_f64_e64 s[0:1], 0, v[24:25]
                                        ; implicit-def: $vgpr4_vgpr5
	s_or_b64 s[0:1], vcc, s[0:1]
	s_and_saveexec_b64 s[80:81], s[0:1]
	s_xor_b64 s[0:1], exec, s[80:81]
	s_cbranch_execz .LBB253_436
; %bb.435:                              ;   in Loop: Header=BB253_233 Depth=1
	v_div_scale_f64 v[2:3], s[80:81], v[26:27], v[26:27], v[24:25]
	v_rcp_f64_e32 v[4:5], v[2:3]
	v_fma_f64 v[28:29], -v[2:3], v[4:5], 1.0
	v_fma_f64 v[4:5], v[4:5], v[28:29], v[4:5]
	v_div_scale_f64 v[28:29], vcc, v[24:25], v[26:27], v[24:25]
	v_fma_f64 v[30:31], -v[2:3], v[4:5], 1.0
	v_fma_f64 v[4:5], v[4:5], v[30:31], v[4:5]
	v_mul_f64 v[30:31], v[28:29], v[4:5]
	v_fma_f64 v[2:3], -v[2:3], v[30:31], v[28:29]
	v_div_fmas_f64 v[2:3], v[2:3], v[4:5], v[30:31]
	v_div_fixup_f64 v[2:3], v[2:3], v[26:27], v[24:25]
	v_fma_f64 v[4:5], v[24:25], v[2:3], v[26:27]
	v_div_scale_f64 v[24:25], s[80:81], v[4:5], v[4:5], 1.0
	v_rcp_f64_e32 v[26:27], v[24:25]
	v_fma_f64 v[28:29], -v[24:25], v[26:27], 1.0
	v_fma_f64 v[26:27], v[26:27], v[28:29], v[26:27]
	v_div_scale_f64 v[28:29], vcc, 1.0, v[4:5], 1.0
	v_fma_f64 v[30:31], -v[24:25], v[26:27], 1.0
	v_fma_f64 v[26:27], v[26:27], v[30:31], v[26:27]
	v_mul_f64 v[30:31], v[28:29], v[26:27]
	v_fma_f64 v[24:25], -v[24:25], v[30:31], v[28:29]
	v_mov_b32_e32 v29, s19
	v_mov_b32_e32 v28, s18
	v_div_fmas_f64 v[24:25], v[24:25], v[26:27], v[30:31]
	v_mov_b32_e32 v27, s17
	v_mov_b32_e32 v26, s16
	v_fma_f64 v[26:27], s[18:19], v[2:3], v[26:27]
                                        ; implicit-def: $vgpr30_vgpr31
	v_div_fixup_f64 v[4:5], v[24:25], v[4:5], 1.0
	v_fma_f64 v[24:25], -s[16:17], v[2:3], v[28:29]
                                        ; implicit-def: $vgpr28_vgpr29
	v_mul_f64 v[2:3], v[26:27], v[4:5]
	v_mul_f64 v[4:5], v[24:25], v[4:5]
.LBB253_436:                            ;   in Loop: Header=BB253_233 Depth=1
	s_andn2_saveexec_b64 s[80:81], s[0:1]
	s_cbranch_execz .LBB253_438
; %bb.437:                              ;   in Loop: Header=BB253_233 Depth=1
	v_div_scale_f64 v[2:3], s[0:1], v[28:29], v[28:29], s[16:17]
	v_div_scale_f64 v[4:5], s[0:1], v[30:31], v[30:31], s[18:19]
	;; [unrolled: 1-line block ×3, first 2 shown]
	v_rcp_f64_e32 v[24:25], v[2:3]
	v_rcp_f64_e32 v[26:27], v[4:5]
	v_fma_f64 v[32:33], -v[2:3], v[24:25], 1.0
	v_fma_f64 v[34:35], -v[4:5], v[26:27], 1.0
	v_fma_f64 v[24:25], v[24:25], v[32:33], v[24:25]
	v_div_scale_f64 v[32:33], vcc, s[16:17], v[28:29], s[16:17]
	v_fma_f64 v[26:27], v[26:27], v[34:35], v[26:27]
	v_fma_f64 v[34:35], -v[2:3], v[24:25], 1.0
	v_fma_f64 v[38:39], -v[4:5], v[26:27], 1.0
	v_fma_f64 v[24:25], v[24:25], v[34:35], v[24:25]
	v_fma_f64 v[26:27], v[26:27], v[38:39], v[26:27]
	v_mul_f64 v[34:35], v[32:33], v[24:25]
	v_mul_f64 v[38:39], v[36:37], v[26:27]
	v_fma_f64 v[2:3], -v[2:3], v[34:35], v[32:33]
	v_fma_f64 v[4:5], -v[4:5], v[38:39], v[36:37]
	v_div_fmas_f64 v[2:3], v[2:3], v[24:25], v[34:35]
	s_mov_b64 vcc, s[0:1]
	v_div_fmas_f64 v[4:5], v[4:5], v[26:27], v[38:39]
	v_div_fixup_f64 v[2:3], v[2:3], v[28:29], s[16:17]
	v_div_fixup_f64 v[4:5], v[4:5], v[30:31], s[18:19]
.LBB253_438:                            ;   in Loop: Header=BB253_233 Depth=1
	s_or_b64 exec, exec, s[80:81]
                                        ; implicit-def: $vgpr24_vgpr25
                                        ; implicit-def: $vgpr26_vgpr27
.LBB253_439:                            ;   in Loop: Header=BB253_233 Depth=1
	s_andn2_saveexec_b64 s[0:1], s[2:3]
	s_cbranch_execz .LBB253_232
; %bb.440:                              ;   in Loop: Header=BB253_233 Depth=1
	v_div_scale_f64 v[2:3], s[2:3], v[24:25], v[24:25], v[26:27]
	v_rcp_f64_e32 v[4:5], v[2:3]
	v_fma_f64 v[28:29], -v[2:3], v[4:5], 1.0
	v_fma_f64 v[4:5], v[4:5], v[28:29], v[4:5]
	v_div_scale_f64 v[28:29], vcc, v[26:27], v[24:25], v[26:27]
	v_fma_f64 v[30:31], -v[2:3], v[4:5], 1.0
	v_fma_f64 v[4:5], v[4:5], v[30:31], v[4:5]
	v_mul_f64 v[30:31], v[28:29], v[4:5]
	v_fma_f64 v[2:3], -v[2:3], v[30:31], v[28:29]
	v_div_fmas_f64 v[2:3], v[2:3], v[4:5], v[30:31]
	v_div_fixup_f64 v[2:3], v[2:3], v[24:25], v[26:27]
	v_fma_f64 v[4:5], v[26:27], v[2:3], v[24:25]
	v_div_scale_f64 v[24:25], s[2:3], v[4:5], v[4:5], 1.0
	v_rcp_f64_e32 v[26:27], v[24:25]
	v_fma_f64 v[28:29], -v[24:25], v[26:27], 1.0
	v_fma_f64 v[26:27], v[26:27], v[28:29], v[26:27]
	v_div_scale_f64 v[28:29], vcc, 1.0, v[4:5], 1.0
	v_fma_f64 v[30:31], -v[24:25], v[26:27], 1.0
	v_fma_f64 v[26:27], v[26:27], v[30:31], v[26:27]
	v_mul_f64 v[30:31], v[28:29], v[26:27]
	v_fma_f64 v[24:25], -v[24:25], v[30:31], v[28:29]
	v_mov_b32_e32 v29, s17
	v_mov_b32_e32 v28, s16
	v_div_fmas_f64 v[24:25], v[24:25], v[26:27], v[30:31]
	v_mov_b32_e32 v27, s19
	v_mov_b32_e32 v26, s18
	v_fma_f64 v[26:27], s[16:17], v[2:3], v[26:27]
	v_div_fixup_f64 v[4:5], v[24:25], v[4:5], 1.0
	v_fma_f64 v[24:25], s[18:19], v[2:3], -v[28:29]
	v_mul_f64 v[2:3], v[26:27], v[4:5]
	v_mul_f64 v[4:5], v[24:25], v[4:5]
	s_branch .LBB253_232
.LBB253_441:
	s_endpgm
	.section	.rodata,"a",@progbits
	.p2align	6, 0x0
	.amdhsa_kernel _ZN2at6native12_GLOBAL__N_125multi_tensor_apply_kernelINS1_18TensorListMetadataILi1EEENS1_14UnaryOpFunctorIN3c107complexIdEELi1ELi1ELi0EEEJNS0_7SigmoidIS8_EEEEEvT_T0_DpT1_
		.amdhsa_group_segment_fixed_size 0
		.amdhsa_private_segment_fixed_size 0
		.amdhsa_kernarg_size 3648
		.amdhsa_user_sgpr_count 6
		.amdhsa_user_sgpr_private_segment_buffer 1
		.amdhsa_user_sgpr_dispatch_ptr 0
		.amdhsa_user_sgpr_queue_ptr 0
		.amdhsa_user_sgpr_kernarg_segment_ptr 1
		.amdhsa_user_sgpr_dispatch_id 0
		.amdhsa_user_sgpr_flat_scratch_init 0
		.amdhsa_user_sgpr_private_segment_size 0
		.amdhsa_uses_dynamic_stack 0
		.amdhsa_system_sgpr_private_segment_wavefront_offset 0
		.amdhsa_system_sgpr_workgroup_id_x 1
		.amdhsa_system_sgpr_workgroup_id_y 0
		.amdhsa_system_sgpr_workgroup_id_z 0
		.amdhsa_system_sgpr_workgroup_info 0
		.amdhsa_system_vgpr_workitem_id 0
		.amdhsa_next_free_vgpr 80
		.amdhsa_next_free_sgpr 96
		.amdhsa_reserve_vcc 1
		.amdhsa_reserve_flat_scratch 0
		.amdhsa_float_round_mode_32 0
		.amdhsa_float_round_mode_16_64 0
		.amdhsa_float_denorm_mode_32 3
		.amdhsa_float_denorm_mode_16_64 3
		.amdhsa_dx10_clamp 1
		.amdhsa_ieee_mode 1
		.amdhsa_fp16_overflow 0
		.amdhsa_exception_fp_ieee_invalid_op 0
		.amdhsa_exception_fp_denorm_src 0
		.amdhsa_exception_fp_ieee_div_zero 0
		.amdhsa_exception_fp_ieee_overflow 0
		.amdhsa_exception_fp_ieee_underflow 0
		.amdhsa_exception_fp_ieee_inexact 0
		.amdhsa_exception_int_div_zero 0
	.end_amdhsa_kernel
	.section	.text._ZN2at6native12_GLOBAL__N_125multi_tensor_apply_kernelINS1_18TensorListMetadataILi1EEENS1_14UnaryOpFunctorIN3c107complexIdEELi1ELi1ELi0EEEJNS0_7SigmoidIS8_EEEEEvT_T0_DpT1_,"axG",@progbits,_ZN2at6native12_GLOBAL__N_125multi_tensor_apply_kernelINS1_18TensorListMetadataILi1EEENS1_14UnaryOpFunctorIN3c107complexIdEELi1ELi1ELi0EEEJNS0_7SigmoidIS8_EEEEEvT_T0_DpT1_,comdat
.Lfunc_end253:
	.size	_ZN2at6native12_GLOBAL__N_125multi_tensor_apply_kernelINS1_18TensorListMetadataILi1EEENS1_14UnaryOpFunctorIN3c107complexIdEELi1ELi1ELi0EEEJNS0_7SigmoidIS8_EEEEEvT_T0_DpT1_, .Lfunc_end253-_ZN2at6native12_GLOBAL__N_125multi_tensor_apply_kernelINS1_18TensorListMetadataILi1EEENS1_14UnaryOpFunctorIN3c107complexIdEELi1ELi1ELi0EEEJNS0_7SigmoidIS8_EEEEEvT_T0_DpT1_
                                        ; -- End function
	.set _ZN2at6native12_GLOBAL__N_125multi_tensor_apply_kernelINS1_18TensorListMetadataILi1EEENS1_14UnaryOpFunctorIN3c107complexIdEELi1ELi1ELi0EEEJNS0_7SigmoidIS8_EEEEEvT_T0_DpT1_.num_vgpr, 80
	.set _ZN2at6native12_GLOBAL__N_125multi_tensor_apply_kernelINS1_18TensorListMetadataILi1EEENS1_14UnaryOpFunctorIN3c107complexIdEELi1ELi1ELi0EEEJNS0_7SigmoidIS8_EEEEEvT_T0_DpT1_.num_agpr, 0
	.set _ZN2at6native12_GLOBAL__N_125multi_tensor_apply_kernelINS1_18TensorListMetadataILi1EEENS1_14UnaryOpFunctorIN3c107complexIdEELi1ELi1ELi0EEEJNS0_7SigmoidIS8_EEEEEvT_T0_DpT1_.numbered_sgpr, 96
	.set _ZN2at6native12_GLOBAL__N_125multi_tensor_apply_kernelINS1_18TensorListMetadataILi1EEENS1_14UnaryOpFunctorIN3c107complexIdEELi1ELi1ELi0EEEJNS0_7SigmoidIS8_EEEEEvT_T0_DpT1_.num_named_barrier, 0
	.set _ZN2at6native12_GLOBAL__N_125multi_tensor_apply_kernelINS1_18TensorListMetadataILi1EEENS1_14UnaryOpFunctorIN3c107complexIdEELi1ELi1ELi0EEEJNS0_7SigmoidIS8_EEEEEvT_T0_DpT1_.private_seg_size, 0
	.set _ZN2at6native12_GLOBAL__N_125multi_tensor_apply_kernelINS1_18TensorListMetadataILi1EEENS1_14UnaryOpFunctorIN3c107complexIdEELi1ELi1ELi0EEEJNS0_7SigmoidIS8_EEEEEvT_T0_DpT1_.uses_vcc, 1
	.set _ZN2at6native12_GLOBAL__N_125multi_tensor_apply_kernelINS1_18TensorListMetadataILi1EEENS1_14UnaryOpFunctorIN3c107complexIdEELi1ELi1ELi0EEEJNS0_7SigmoidIS8_EEEEEvT_T0_DpT1_.uses_flat_scratch, 0
	.set _ZN2at6native12_GLOBAL__N_125multi_tensor_apply_kernelINS1_18TensorListMetadataILi1EEENS1_14UnaryOpFunctorIN3c107complexIdEELi1ELi1ELi0EEEJNS0_7SigmoidIS8_EEEEEvT_T0_DpT1_.has_dyn_sized_stack, 0
	.set _ZN2at6native12_GLOBAL__N_125multi_tensor_apply_kernelINS1_18TensorListMetadataILi1EEENS1_14UnaryOpFunctorIN3c107complexIdEELi1ELi1ELi0EEEJNS0_7SigmoidIS8_EEEEEvT_T0_DpT1_.has_recursion, 0
	.set _ZN2at6native12_GLOBAL__N_125multi_tensor_apply_kernelINS1_18TensorListMetadataILi1EEENS1_14UnaryOpFunctorIN3c107complexIdEELi1ELi1ELi0EEEJNS0_7SigmoidIS8_EEEEEvT_T0_DpT1_.has_indirect_call, 0
	.section	.AMDGPU.csdata,"",@progbits
; Kernel info:
; codeLenInByte = 65196
; TotalNumSgprs: 100
; NumVgprs: 80
; ScratchSize: 0
; MemoryBound: 1
; FloatMode: 240
; IeeeMode: 1
; LDSByteSize: 0 bytes/workgroup (compile time only)
; SGPRBlocks: 12
; VGPRBlocks: 19
; NumSGPRsForWavesPerEU: 100
; NumVGPRsForWavesPerEU: 80
; Occupancy: 3
; WaveLimiterHint : 0
; COMPUTE_PGM_RSRC2:SCRATCH_EN: 0
; COMPUTE_PGM_RSRC2:USER_SGPR: 6
; COMPUTE_PGM_RSRC2:TRAP_HANDLER: 0
; COMPUTE_PGM_RSRC2:TGID_X_EN: 1
; COMPUTE_PGM_RSRC2:TGID_Y_EN: 0
; COMPUTE_PGM_RSRC2:TGID_Z_EN: 0
; COMPUTE_PGM_RSRC2:TIDIG_COMP_CNT: 0
	.section	.text._ZN2at6native12_GLOBAL__N_125multi_tensor_apply_kernelINS1_18TensorListMetadataILi1EEENS1_14UnaryOpFunctorIN3c107complexIfEELi1ELi1ELi0EEEJNS0_7SigmoidIS8_EEEEEvT_T0_DpT1_,"axG",@progbits,_ZN2at6native12_GLOBAL__N_125multi_tensor_apply_kernelINS1_18TensorListMetadataILi1EEENS1_14UnaryOpFunctorIN3c107complexIfEELi1ELi1ELi0EEEJNS0_7SigmoidIS8_EEEEEvT_T0_DpT1_,comdat
	.globl	_ZN2at6native12_GLOBAL__N_125multi_tensor_apply_kernelINS1_18TensorListMetadataILi1EEENS1_14UnaryOpFunctorIN3c107complexIfEELi1ELi1ELi0EEEJNS0_7SigmoidIS8_EEEEEvT_T0_DpT1_ ; -- Begin function _ZN2at6native12_GLOBAL__N_125multi_tensor_apply_kernelINS1_18TensorListMetadataILi1EEENS1_14UnaryOpFunctorIN3c107complexIfEELi1ELi1ELi0EEEJNS0_7SigmoidIS8_EEEEEvT_T0_DpT1_
	.p2align	8
	.type	_ZN2at6native12_GLOBAL__N_125multi_tensor_apply_kernelINS1_18TensorListMetadataILi1EEENS1_14UnaryOpFunctorIN3c107complexIfEELi1ELi1ELi0EEEJNS0_7SigmoidIS8_EEEEEvT_T0_DpT1_,@function
_ZN2at6native12_GLOBAL__N_125multi_tensor_apply_kernelINS1_18TensorListMetadataILi1EEENS1_14UnaryOpFunctorIN3c107complexIfEELi1ELi1ELi0EEEJNS0_7SigmoidIS8_EEEEEvT_T0_DpT1_: ; @_ZN2at6native12_GLOBAL__N_125multi_tensor_apply_kernelINS1_18TensorListMetadataILi1EEENS1_14UnaryOpFunctorIN3c107complexIfEELi1ELi1ELi0EEEJNS0_7SigmoidIS8_EEEEEvT_T0_DpT1_
; %bb.0:
	v_mov_b32_e32 v1, s6
	global_load_ubyte v1, v1, s[4:5] offset:1760
	s_add_u32 s0, s4, s6
	s_mul_hi_u32 s1, s6, 3
	s_mul_i32 s6, s6, 3
	s_addc_u32 s2, s5, 0
	s_add_u32 s0, s0, s6
	s_addc_u32 s1, s2, s1
	s_load_dword s0, s[0:1], 0x820
	s_mov_b32 s7, 0
	s_waitcnt vmcnt(0)
	v_readfirstlane_b32 s1, v1
	s_lshl_b32 s1, s1, 3
	s_load_dwordx2 s[16:17], s[4:5], 0xd30
	s_load_dwordx2 s[18:19], s[4:5], s1 offset:0x0
	s_load_dwordx2 s[2:3], s[4:5], s1 offset:0x370
	s_waitcnt lgkmcnt(0)
	s_ashr_i32 s1, s0, 31
	s_lshl_b64 s[20:21], s[0:1], 19
	s_add_u32 s33, s18, s20
	s_addc_u32 s44, s19, s21
	s_lshl_b64 s[0:1], s[0:1], 16
	s_and_b32 s6, s33, 31
	s_sub_u32 s22, s2, s0
	s_subb_u32 s23, s3, s1
	s_and_b32 s0, s2, 3
	s_mov_b32 s1, s7
	s_or_b64 s[0:1], s[6:7], s[0:1]
	s_cmp_eq_u64 s[0:1], 0
	s_cbranch_scc1 .LBB254_229
; %bb.1:
	v_cmp_lt_i64_e64 s[0:1], s[22:23], 1
	s_and_b64 vcc, exec, s[0:1]
	s_cbranch_vccnz .LBB254_228
; %bb.2:
	v_mov_b32_e32 v3, 0x10000
	s_load_dword s2, s[4:5], 0xd44
	v_mov_b32_e32 v4, 0
	v_cmp_lt_i64_e32 vcc, s[22:23], v[3:4]
	v_mov_b32_e32 v2, 0
	s_and_b64 s[0:1], vcc, exec
	v_cmp_lt_u64_e32 vcc, s[22:23], v[3:4]
	s_cselect_b32 s25, s23, 0
	s_cselect_b32 s24, s22, 0x10000
	s_waitcnt lgkmcnt(0)
	s_and_b32 s2, s2, 0xffff
	s_and_b64 s[0:1], vcc, exec
	s_mul_i32 s6, s2, 3
	v_add_co_u32_e32 v14, vcc, s2, v0
	v_lshlrev_b32_e32 v3, 3, v0
	v_mov_b32_e32 v4, v2
	v_addc_co_u32_e64 v15, s[0:1], 0, 0, vcc
	v_add_co_u32_e32 v16, vcc, s6, v0
	v_mad_u64_u32 v[4:5], s[0:1], s2, 24, v[3:4]
	v_addc_co_u32_e64 v17, s[0:1], 0, 0, vcc
	s_cselect_b32 s27, s23, 0
	s_cselect_b32 s26, s22, 0x10000
	s_lshl_b32 s0, s2, 4
	s_lshl_b32 s3, s2, 1
	v_add_co_u32_e32 v1, vcc, s0, v3
	v_addc_co_u32_e64 v19, s[0:1], 0, 0, vcc
	v_add_co_u32_e32 v21, vcc, s3, v0
	s_lshl_b32 s45, s2, 2
	s_lshl_b32 s46, s2, 5
	v_or_b32_e32 v4, 4, v4
	v_lshlrev_b32_e32 v18, 3, v14
	v_or_b32_e32 v20, 4, v1
	v_addc_co_u32_e64 v22, s[0:1], 0, 0, vcc
	s_mov_b64 s[28:29], 0
	s_brev_b32 s47, 1
	s_mov_b32 s48, 0x7f800000
	s_mov_b32 s49, 0x8e8e5c
	s_brev_b32 s50, 18
	s_mov_b32 s51, 0xfe5163ab
	s_mov_b32 s52, 0x3c439041
	;; [unrolled: 1-line block ×13, first 2 shown]
	v_mov_b32_e32 v23, 0xbe2aaa9d
	v_mov_b32_e32 v24, 0x3d2aabf7
	;; [unrolled: 1-line block ×3, first 2 shown]
	s_movk_i32 s64, 0x1f8
	s_mov_b32 s65, 0x3fb8aa3b
	s_mov_b32 s66, 0xc2ce8ed0
	;; [unrolled: 1-line block ×3, first 2 shown]
	v_not_b32_e32 v26, 63
	v_not_b32_e32 v27, 31
	v_mov_b32_e32 v28, 0x7f800000
	v_mov_b32_e32 v29, 0x7fc00000
	s_branch .LBB254_4
.LBB254_3:                              ;   in Loop: Header=BB254_4 Depth=1
	s_or_b64 exec, exec, s[0:1]
	s_add_u32 s28, s28, s45
	v_mov_b32_e32 v6, s24
	s_addc_u32 s29, s29, 0
	v_mov_b32_e32 v7, s25
	v_cmp_ge_i64_e32 vcc, s[28:29], v[6:7]
	s_add_u32 s33, s33, s46
	s_addc_u32 s44, s44, 0
	s_cbranch_vccnz .LBB254_228
.LBB254_4:                              ; =>This Inner Loop Header: Depth=1
	v_mov_b32_e32 v1, s29
	v_add_co_u32_e32 v6, vcc, s28, v0
	v_addc_co_u32_e32 v7, vcc, 0, v1, vcc
	v_cmp_gt_u64_e64 s[0:1], s[26:27], v[6:7]
	v_mov_b32_e32 v9, 0
	v_mov_b32_e32 v8, 0
	s_and_saveexec_b64 s[2:3], s[0:1]
	s_cbranch_execz .LBB254_6
; %bb.5:                                ;   in Loop: Header=BB254_4 Depth=1
	v_mov_b32_e32 v1, s44
	v_add_co_u32_e32 v6, vcc, s33, v3
	v_addc_co_u32_e32 v7, vcc, 0, v1, vcc
	global_load_dwordx2 v[8:9], v[6:7], off
.LBB254_6:                              ;   in Loop: Header=BB254_4 Depth=1
	s_or_b64 exec, exec, s[2:3]
	v_mov_b32_e32 v1, s29
	v_add_co_u32_e32 v6, vcc, s28, v14
	v_addc_co_u32_e32 v7, vcc, v15, v1, vcc
	v_cmp_gt_u64_e64 s[2:3], s[26:27], v[6:7]
	v_mov_b32_e32 v11, 0
	v_mov_b32_e32 v13, 0
	;; [unrolled: 1-line block ×3, first 2 shown]
	s_and_saveexec_b64 s[6:7], s[2:3]
	s_cbranch_execz .LBB254_8
; %bb.7:                                ;   in Loop: Header=BB254_4 Depth=1
	v_mov_b32_e32 v1, s44
	v_add_co_u32_e32 v6, vcc, s33, v18
	v_addc_co_u32_e32 v7, vcc, 0, v1, vcc
	global_load_dwordx2 v[12:13], v[6:7], off
.LBB254_8:                              ;   in Loop: Header=BB254_4 Depth=1
	s_or_b64 exec, exec, s[6:7]
	v_mov_b32_e32 v1, s29
	v_add_co_u32_e32 v6, vcc, s28, v21
	v_addc_co_u32_e32 v7, vcc, v22, v1, vcc
	v_cmp_gt_u64_e64 s[6:7], s[26:27], v[6:7]
	v_mov_b32_e32 v10, 0
	s_and_saveexec_b64 s[8:9], s[6:7]
	s_cbranch_execz .LBB254_10
; %bb.9:                                ;   in Loop: Header=BB254_4 Depth=1
	v_mov_b32_e32 v1, s44
	v_add_co_u32_e32 v6, vcc, s33, v20
	v_addc_co_u32_e32 v7, vcc, v1, v19, vcc
	global_load_dwordx2 v[10:11], v[6:7], off offset:-4
.LBB254_10:                             ;   in Loop: Header=BB254_4 Depth=1
	s_or_b64 exec, exec, s[8:9]
	v_mov_b32_e32 v1, s29
	v_add_co_u32_e32 v6, vcc, s28, v16
	v_addc_co_u32_e32 v7, vcc, v17, v1, vcc
	v_cmp_gt_u64_e64 s[8:9], s[26:27], v[6:7]
	v_mov_b32_e32 v7, 0
	v_mov_b32_e32 v6, 0
	s_and_saveexec_b64 s[10:11], s[8:9]
	s_cbranch_execz .LBB254_12
; %bb.11:                               ;   in Loop: Header=BB254_4 Depth=1
	v_mov_b32_e32 v1, s44
	v_add_co_u32_e32 v6, vcc, s33, v4
	v_addc_co_u32_e32 v7, vcc, v1, v5, vcc
	global_load_dwordx2 v[6:7], v[6:7], off offset:-4
.LBB254_12:                             ;   in Loop: Header=BB254_4 Depth=1
	s_or_b64 exec, exec, s[10:11]
	s_waitcnt vmcnt(0)
	v_and_b32_e32 v31, 0x7fffffff, v9
	v_xor_b32_e32 v30, 0x80000000, v9
	v_cmp_ne_u32_e32 vcc, 0, v31
                                        ; implicit-def: $vgpr1
	s_and_saveexec_b64 s[10:11], vcc
	s_xor_b64 s[30:31], exec, s[10:11]
	s_cbranch_execz .LBB254_54
; %bb.13:                               ;   in Loop: Header=BB254_4 Depth=1
	v_and_b32_e32 v33, 0x7fffffff, v8
	v_cmp_ne_u32_e32 vcc, 0, v33
                                        ; implicit-def: $vgpr1
	s_and_saveexec_b64 s[10:11], vcc
	s_xor_b64 s[34:35], exec, s[10:11]
	s_cbranch_execz .LBB254_43
; %bb.14:                               ;   in Loop: Header=BB254_4 Depth=1
	v_xor_b32_e32 v32, 0x80000000, v8
	v_cmp_gt_u32_e32 vcc, s48, v31
                                        ; implicit-def: $vgpr1
	s_and_saveexec_b64 s[10:11], vcc
	s_xor_b64 s[36:37], exec, s[10:11]
	s_cbranch_execz .LBB254_36
; %bb.15:                               ;   in Loop: Header=BB254_4 Depth=1
	v_add_u32_e32 v1, 0xbd4e8de8, v32
	v_cmp_lt_u32_e32 vcc, s49, v1
                                        ; implicit-def: $vgpr1
	s_and_saveexec_b64 s[10:11], vcc
	s_xor_b64 s[38:39], exec, s[10:11]
	s_cbranch_execz .LBB254_25
; %bb.16:                               ;   in Loop: Header=BB254_4 Depth=1
	v_cmp_nlt_f32_e64 s[40:41], |v9|, s50
                                        ; implicit-def: $vgpr32
                                        ; implicit-def: $vgpr33
	s_and_saveexec_b64 s[10:11], s[40:41]
	s_xor_b64 s[42:43], exec, s[10:11]
	s_cbranch_execz .LBB254_18
; %bb.17:                               ;   in Loop: Header=BB254_4 Depth=1
	v_and_b32_e32 v1, 0x7fffff, v31
	v_or_b32_e32 v39, 0x800000, v1
	v_mad_u64_u32 v[32:33], s[10:11], v39, s51, 0
	v_mov_b32_e32 v1, v33
	v_mad_u64_u32 v[33:34], s[10:11], v39, s52, v[1:2]
	v_mov_b32_e32 v1, v34
	;; [unrolled: 2-line block ×3, first 2 shown]
	v_mad_u64_u32 v[35:36], s[10:11], v39, s54, v[1:2]
	v_lshrrev_b32_e32 v1, 23, v31
	v_add_u32_e32 v38, 0xffffff88, v1
	v_mov_b32_e32 v1, v36
	v_mad_u64_u32 v[36:37], s[10:11], v39, s55, v[1:2]
	v_cmp_lt_u32_e32 vcc, 63, v38
	v_cndmask_b32_e32 v1, 0, v26, vcc
	v_add_u32_e32 v40, v1, v38
	v_mov_b32_e32 v1, v37
	v_mad_u64_u32 v[37:38], s[10:11], v39, s56, v[1:2]
	v_cmp_lt_u32_e64 s[10:11], 31, v40
	v_cndmask_b32_e64 v1, 0, v27, s[10:11]
	v_add_u32_e32 v40, v1, v40
	v_mov_b32_e32 v1, v38
	v_mad_u64_u32 v[38:39], s[12:13], v39, s57, v[1:2]
	v_cmp_lt_u32_e64 s[12:13], 31, v40
	v_cndmask_b32_e64 v1, 0, v27, s[12:13]
	v_add_u32_e32 v1, v1, v40
	v_cndmask_b32_e32 v40, v37, v35, vcc
	v_cndmask_b32_e32 v38, v38, v36, vcc
	;; [unrolled: 1-line block ×4, first 2 shown]
	v_cndmask_b32_e64 v39, v38, v40, s[10:11]
	v_cndmask_b32_e64 v37, v37, v38, s[10:11]
	;; [unrolled: 1-line block ×3, first 2 shown]
	v_cndmask_b32_e32 v33, v35, v33, vcc
	v_cndmask_b32_e64 v37, v37, v39, s[12:13]
	v_cndmask_b32_e64 v39, v39, v38, s[12:13]
	v_sub_u32_e32 v40, 32, v1
	v_cndmask_b32_e64 v35, v36, v33, s[10:11]
	v_alignbit_b32 v41, v37, v39, v40
	v_cmp_eq_u32_e64 s[14:15], 0, v1
	v_cndmask_b32_e64 v36, v38, v35, s[12:13]
	v_cndmask_b32_e64 v1, v41, v37, s[14:15]
	v_alignbit_b32 v37, v39, v36, v40
	v_cndmask_b32_e32 v32, v34, v32, vcc
	v_cndmask_b32_e64 v37, v37, v39, s[14:15]
	v_bfe_u32 v41, v1, 29, 1
	v_cndmask_b32_e64 v32, v33, v32, s[10:11]
	v_alignbit_b32 v38, v1, v37, 30
	v_sub_u32_e32 v42, 0, v41
	v_cndmask_b32_e64 v32, v35, v32, s[12:13]
	v_xor_b32_e32 v38, v38, v42
	v_alignbit_b32 v33, v36, v32, v40
	v_cndmask_b32_e64 v33, v33, v36, s[14:15]
	v_ffbh_u32_e32 v35, v38
	v_alignbit_b32 v34, v37, v33, 30
	v_min_u32_e32 v35, 32, v35
	v_alignbit_b32 v32, v33, v32, 30
	v_xor_b32_e32 v34, v34, v42
	v_sub_u32_e32 v36, 31, v35
	v_xor_b32_e32 v32, v32, v42
	v_alignbit_b32 v37, v38, v34, v36
	v_alignbit_b32 v32, v34, v32, v36
	;; [unrolled: 1-line block ×3, first 2 shown]
	v_ffbh_u32_e32 v34, v33
	v_min_u32_e32 v34, 32, v34
	v_lshrrev_b32_e32 v39, 29, v1
	v_not_b32_e32 v36, v34
	v_alignbit_b32 v32, v33, v32, v36
	v_lshlrev_b32_e32 v33, 31, v39
	v_or_b32_e32 v36, 0x33000000, v33
	v_add_lshl_u32 v34, v34, v35, 23
	v_lshrrev_b32_e32 v32, 9, v32
	v_sub_u32_e32 v34, v36, v34
	v_or_b32_e32 v33, 0.5, v33
	v_lshlrev_b32_e32 v35, 23, v35
	v_or_b32_e32 v32, v34, v32
	v_lshrrev_b32_e32 v34, 9, v37
	v_sub_u32_e32 v33, v33, v35
	v_or_b32_e32 v33, v34, v33
	v_mul_f32_e32 v34, 0x3fc90fda, v33
	v_fma_f32 v35, v33, s58, -v34
	v_fmac_f32_e32 v35, 0x33a22168, v33
	v_fmac_f32_e32 v35, 0x3fc90fda, v32
	v_lshrrev_b32_e32 v1, 30, v1
	v_add_f32_e32 v33, v34, v35
	v_add_u32_e32 v32, v41, v1
	s_andn2_saveexec_b64 s[10:11], s[42:43]
	s_branch .LBB254_19
.LBB254_18:                             ;   in Loop: Header=BB254_4 Depth=1
	s_andn2_saveexec_b64 s[10:11], s[42:43]
.LBB254_19:                             ;   in Loop: Header=BB254_4 Depth=1
	v_mul_f32_e64 v1, |v9|, s59
	v_rndne_f32_e32 v1, v1
	v_cvt_i32_f32_e32 v32, v1
	v_fma_f32 v33, v1, s60, |v9|
	v_fmac_f32_e32 v33, 0xb3a22168, v1
	v_fmac_f32_e32 v33, 0xa7c234c4, v1
; %bb.20:                               ;   in Loop: Header=BB254_4 Depth=1
	s_or_b64 exec, exec, s[10:11]
                                        ; implicit-def: $vgpr34
                                        ; implicit-def: $vgpr35
	s_and_saveexec_b64 s[10:11], s[40:41]
	s_xor_b64 s[40:41], exec, s[10:11]
	s_cbranch_execz .LBB254_22
; %bb.21:                               ;   in Loop: Header=BB254_4 Depth=1
	v_and_b32_e32 v1, 0x7fffff, v31
	v_or_b32_e32 v41, 0x800000, v1
	v_mad_u64_u32 v[34:35], s[10:11], v41, s51, 0
	v_mov_b32_e32 v1, v35
	v_mad_u64_u32 v[35:36], s[10:11], v41, s52, v[1:2]
	v_mov_b32_e32 v1, v36
	;; [unrolled: 2-line block ×3, first 2 shown]
	v_mad_u64_u32 v[37:38], s[10:11], v41, s54, v[1:2]
	v_lshrrev_b32_e32 v1, 23, v31
	v_add_u32_e32 v40, 0xffffff88, v1
	v_mov_b32_e32 v1, v38
	v_mad_u64_u32 v[38:39], s[10:11], v41, s55, v[1:2]
	v_cmp_lt_u32_e32 vcc, 63, v40
	v_cndmask_b32_e32 v1, 0, v26, vcc
	v_add_u32_e32 v42, v1, v40
	v_mov_b32_e32 v1, v39
	v_mad_u64_u32 v[39:40], s[10:11], v41, s56, v[1:2]
	v_cmp_lt_u32_e64 s[10:11], 31, v42
	v_cndmask_b32_e64 v1, 0, v27, s[10:11]
	v_add_u32_e32 v42, v1, v42
	v_mov_b32_e32 v1, v40
	v_mad_u64_u32 v[40:41], s[12:13], v41, s57, v[1:2]
	v_cmp_lt_u32_e64 s[12:13], 31, v42
	v_cndmask_b32_e64 v1, 0, v27, s[12:13]
	v_add_u32_e32 v1, v1, v42
	v_cndmask_b32_e32 v42, v39, v37, vcc
	v_cndmask_b32_e32 v40, v40, v38, vcc
	;; [unrolled: 1-line block ×4, first 2 shown]
	v_cndmask_b32_e64 v41, v40, v42, s[10:11]
	v_cndmask_b32_e64 v39, v39, v40, s[10:11]
	;; [unrolled: 1-line block ×3, first 2 shown]
	v_cndmask_b32_e32 v35, v37, v35, vcc
	v_cndmask_b32_e64 v39, v39, v41, s[12:13]
	v_cndmask_b32_e64 v41, v41, v40, s[12:13]
	v_sub_u32_e32 v42, 32, v1
	v_cndmask_b32_e64 v37, v38, v35, s[10:11]
	v_alignbit_b32 v43, v39, v41, v42
	v_cmp_eq_u32_e64 s[14:15], 0, v1
	v_cndmask_b32_e64 v38, v40, v37, s[12:13]
	v_cndmask_b32_e64 v1, v43, v39, s[14:15]
	v_alignbit_b32 v39, v41, v38, v42
	v_cndmask_b32_e32 v34, v36, v34, vcc
	v_cndmask_b32_e64 v39, v39, v41, s[14:15]
	v_bfe_u32 v43, v1, 29, 1
	v_cndmask_b32_e64 v34, v35, v34, s[10:11]
	v_alignbit_b32 v40, v1, v39, 30
	v_sub_u32_e32 v44, 0, v43
	v_cndmask_b32_e64 v34, v37, v34, s[12:13]
	v_xor_b32_e32 v40, v40, v44
	v_alignbit_b32 v35, v38, v34, v42
	v_cndmask_b32_e64 v35, v35, v38, s[14:15]
	v_ffbh_u32_e32 v37, v40
	v_alignbit_b32 v36, v39, v35, 30
	v_min_u32_e32 v37, 32, v37
	v_alignbit_b32 v34, v35, v34, 30
	v_xor_b32_e32 v36, v36, v44
	v_sub_u32_e32 v38, 31, v37
	v_xor_b32_e32 v34, v34, v44
	v_alignbit_b32 v39, v40, v36, v38
	v_alignbit_b32 v34, v36, v34, v38
	;; [unrolled: 1-line block ×3, first 2 shown]
	v_ffbh_u32_e32 v36, v35
	v_min_u32_e32 v36, 32, v36
	v_lshrrev_b32_e32 v41, 29, v1
	v_not_b32_e32 v38, v36
	v_alignbit_b32 v34, v35, v34, v38
	v_lshlrev_b32_e32 v35, 31, v41
	v_or_b32_e32 v38, 0x33000000, v35
	v_add_lshl_u32 v36, v36, v37, 23
	v_lshrrev_b32_e32 v34, 9, v34
	v_sub_u32_e32 v36, v38, v36
	v_or_b32_e32 v35, 0.5, v35
	v_lshlrev_b32_e32 v37, 23, v37
	v_or_b32_e32 v34, v36, v34
	v_lshrrev_b32_e32 v36, 9, v39
	v_sub_u32_e32 v35, v35, v37
	v_or_b32_e32 v35, v36, v35
	v_mul_f32_e32 v36, 0x3fc90fda, v35
	v_fma_f32 v37, v35, s58, -v36
	v_fmac_f32_e32 v37, 0x33a22168, v35
	v_fmac_f32_e32 v37, 0x3fc90fda, v34
	v_lshrrev_b32_e32 v1, 30, v1
	v_add_f32_e32 v35, v36, v37
	v_add_u32_e32 v34, v43, v1
	s_andn2_saveexec_b64 s[10:11], s[40:41]
	s_cbranch_execnz .LBB254_23
	s_branch .LBB254_24
.LBB254_22:                             ;   in Loop: Header=BB254_4 Depth=1
	s_andn2_saveexec_b64 s[10:11], s[40:41]
.LBB254_23:                             ;   in Loop: Header=BB254_4 Depth=1
	v_mul_f32_e64 v1, |v9|, s59
	v_rndne_f32_e32 v1, v1
	v_cvt_i32_f32_e32 v34, v1
	v_fma_f32 v35, v1, s60, |v9|
	v_fmac_f32_e32 v35, 0xb3a22168, v1
	v_fmac_f32_e32 v35, 0xa7c234c4, v1
.LBB254_24:                             ;   in Loop: Header=BB254_4 Depth=1
	s_or_b64 exec, exec, s[10:11]
	v_mul_f32_e32 v1, 0xbfb8aa3b, v8
	v_rndne_f32_e32 v36, v1
	v_sub_f32_e32 v37, v1, v36
	v_fma_f32 v1, v8, s61, -v1
	v_fmac_f32_e32 v1, 0xb2a5705f, v8
	v_add_f32_e32 v1, v37, v1
	v_cvt_i32_f32_e32 v36, v36
	v_exp_f32_e32 v1, v1
	v_cmp_nlt_f32_e32 vcc, s62, v8
	v_ldexp_f32 v1, v1, v36
	v_cndmask_b32_e32 v1, 0, v1, vcc
	v_cmp_ngt_f32_e32 vcc, s63, v8
	v_cndmask_b32_e32 v8, v28, v1, vcc
	v_mul_f32_e32 v1, v33, v33
	v_mov_b32_e32 v36, 0x3c0881c4
	v_fmac_f32_e32 v36, 0xb94c1982, v1
	v_fma_f32 v36, v1, v36, v23
	v_mul_f32_e32 v36, v1, v36
	v_fmac_f32_e32 v33, v33, v36
	v_mov_b32_e32 v36, 0xbab64f3b
	v_fmac_f32_e32 v36, 0x37d75334, v1
	v_fma_f32 v36, v1, v36, v24
	v_fma_f32 v36, v1, v36, v25
	v_fma_f32 v1, v1, v36, 1.0
	v_and_b32_e32 v36, 1, v32
	v_cmp_eq_u32_e32 vcc, 0, v36
	v_lshlrev_b32_e32 v32, 30, v32
	v_cndmask_b32_e64 v1, -v33, v1, vcc
	v_and_b32_e32 v32, 0x80000000, v32
	v_xor_b32_e32 v1, v32, v1
	v_cmp_class_f32_e64 vcc, v9, s64
	v_mul_f32_e32 v9, v35, v35
	v_mov_b32_e32 v32, 0x3c0881c4
	v_fmac_f32_e32 v32, 0xb94c1982, v9
	v_fma_f32 v32, v9, v32, v23
	v_mul_f32_e32 v32, v9, v32
	v_fmac_f32_e32 v35, v35, v32
	v_mov_b32_e32 v32, 0xbab64f3b
	v_fmac_f32_e32 v32, 0x37d75334, v9
	v_fma_f32 v32, v9, v32, v24
	v_fma_f32 v32, v9, v32, v25
	v_fma_f32 v9, v9, v32, 1.0
	v_and_b32_e32 v32, 1, v34
	v_cmp_eq_u32_e64 s[10:11], 0, v32
	v_lshlrev_b32_e32 v32, 30, v34
	v_cndmask_b32_e64 v9, v9, v35, s[10:11]
	v_and_or_b32 v31, v32, s47, v31
	v_xor_b32_e32 v9, v31, v9
	v_xor_b32_e32 v9, v9, v30
	v_cndmask_b32_e32 v1, v29, v1, vcc
	v_cndmask_b32_e32 v9, v29, v9, vcc
	v_mul_f32_e32 v1, v8, v1
	v_mul_f32_e32 v30, v8, v9
                                        ; implicit-def: $vgpr9
                                        ; implicit-def: $vgpr31
.LBB254_25:                             ;   in Loop: Header=BB254_4 Depth=1
	s_andn2_saveexec_b64 s[38:39], s[38:39]
	s_cbranch_execz .LBB254_28
; %bb.26:                               ;   in Loop: Header=BB254_4 Depth=1
	v_cmp_nlt_f32_e64 s[40:41], |v9|, s50
                                        ; implicit-def: $vgpr33
                                        ; implicit-def: $vgpr32
	s_and_saveexec_b64 s[10:11], s[40:41]
	s_xor_b64 s[42:43], exec, s[10:11]
	s_cbranch_execz .LBB254_29
; %bb.27:                               ;   in Loop: Header=BB254_4 Depth=1
	v_and_b32_e32 v1, 0x7fffff, v31
	v_or_b32_e32 v39, 0x800000, v1
	v_mad_u64_u32 v[32:33], s[10:11], v39, s51, 0
	v_mov_b32_e32 v1, v33
	v_mad_u64_u32 v[33:34], s[10:11], v39, s52, v[1:2]
	v_mov_b32_e32 v1, v34
	v_mad_u64_u32 v[34:35], s[10:11], v39, s53, v[1:2]
	v_mov_b32_e32 v1, v35
	v_mad_u64_u32 v[35:36], s[10:11], v39, s54, v[1:2]
	v_lshrrev_b32_e32 v1, 23, v31
	v_add_u32_e32 v38, 0xffffff88, v1
	v_mov_b32_e32 v1, v36
	v_mad_u64_u32 v[36:37], s[10:11], v39, s55, v[1:2]
	v_cmp_lt_u32_e32 vcc, 63, v38
	v_cndmask_b32_e32 v1, 0, v26, vcc
	v_add_u32_e32 v40, v1, v38
	v_mov_b32_e32 v1, v37
	v_mad_u64_u32 v[37:38], s[10:11], v39, s56, v[1:2]
	v_cmp_lt_u32_e64 s[10:11], 31, v40
	v_cndmask_b32_e64 v1, 0, v27, s[10:11]
	v_add_u32_e32 v40, v1, v40
	v_mov_b32_e32 v1, v38
	v_mad_u64_u32 v[38:39], s[12:13], v39, s57, v[1:2]
	v_cmp_lt_u32_e64 s[12:13], 31, v40
	v_cndmask_b32_e64 v1, 0, v27, s[12:13]
	v_add_u32_e32 v1, v1, v40
	v_cndmask_b32_e32 v40, v37, v35, vcc
	v_cndmask_b32_e32 v38, v38, v36, vcc
	;; [unrolled: 1-line block ×4, first 2 shown]
	v_cndmask_b32_e64 v39, v38, v40, s[10:11]
	v_cndmask_b32_e64 v37, v37, v38, s[10:11]
	;; [unrolled: 1-line block ×3, first 2 shown]
	v_cndmask_b32_e32 v33, v35, v33, vcc
	v_cndmask_b32_e64 v37, v37, v39, s[12:13]
	v_cndmask_b32_e64 v39, v39, v38, s[12:13]
	v_sub_u32_e32 v40, 32, v1
	v_cndmask_b32_e64 v35, v36, v33, s[10:11]
	v_alignbit_b32 v41, v37, v39, v40
	v_cmp_eq_u32_e64 s[14:15], 0, v1
	v_cndmask_b32_e64 v36, v38, v35, s[12:13]
	v_cndmask_b32_e64 v1, v41, v37, s[14:15]
	v_alignbit_b32 v37, v39, v36, v40
	v_cndmask_b32_e32 v32, v34, v32, vcc
	v_cndmask_b32_e64 v37, v37, v39, s[14:15]
	v_bfe_u32 v41, v1, 29, 1
	v_cndmask_b32_e64 v32, v33, v32, s[10:11]
	v_alignbit_b32 v38, v1, v37, 30
	v_sub_u32_e32 v42, 0, v41
	v_cndmask_b32_e64 v32, v35, v32, s[12:13]
	v_xor_b32_e32 v38, v38, v42
	v_alignbit_b32 v33, v36, v32, v40
	v_cndmask_b32_e64 v33, v33, v36, s[14:15]
	v_ffbh_u32_e32 v35, v38
	v_alignbit_b32 v34, v37, v33, 30
	v_min_u32_e32 v35, 32, v35
	v_alignbit_b32 v32, v33, v32, 30
	v_xor_b32_e32 v34, v34, v42
	v_sub_u32_e32 v36, 31, v35
	v_xor_b32_e32 v32, v32, v42
	v_alignbit_b32 v37, v38, v34, v36
	v_alignbit_b32 v32, v34, v32, v36
	v_alignbit_b32 v33, v37, v32, 9
	v_ffbh_u32_e32 v34, v33
	v_min_u32_e32 v34, 32, v34
	v_lshrrev_b32_e32 v39, 29, v1
	v_not_b32_e32 v36, v34
	v_alignbit_b32 v32, v33, v32, v36
	v_lshlrev_b32_e32 v33, 31, v39
	v_or_b32_e32 v36, 0x33000000, v33
	v_add_lshl_u32 v34, v34, v35, 23
	v_lshrrev_b32_e32 v32, 9, v32
	v_sub_u32_e32 v34, v36, v34
	v_or_b32_e32 v33, 0.5, v33
	v_lshlrev_b32_e32 v35, 23, v35
	v_or_b32_e32 v32, v34, v32
	v_lshrrev_b32_e32 v34, 9, v37
	v_sub_u32_e32 v33, v33, v35
	v_or_b32_e32 v33, v34, v33
	v_mul_f32_e32 v34, 0x3fc90fda, v33
	v_fma_f32 v35, v33, s58, -v34
	v_fmac_f32_e32 v35, 0x33a22168, v33
	v_fmac_f32_e32 v35, 0x3fc90fda, v32
	v_lshrrev_b32_e32 v1, 30, v1
	v_add_f32_e32 v32, v34, v35
	v_add_u32_e32 v33, v41, v1
	s_andn2_saveexec_b64 s[10:11], s[42:43]
	s_branch .LBB254_30
.LBB254_28:                             ;   in Loop: Header=BB254_4 Depth=1
	s_or_b64 exec, exec, s[38:39]
                                        ; implicit-def: $vgpr32
                                        ; implicit-def: $vgpr8
                                        ; implicit-def: $vgpr33
	s_andn2_saveexec_b64 s[10:11], s[36:37]
	s_cbranch_execnz .LBB254_37
	s_branch .LBB254_42
.LBB254_29:                             ;   in Loop: Header=BB254_4 Depth=1
	s_andn2_saveexec_b64 s[10:11], s[42:43]
.LBB254_30:                             ;   in Loop: Header=BB254_4 Depth=1
	v_mul_f32_e64 v1, |v9|, s59
	v_rndne_f32_e32 v1, v1
	v_cvt_i32_f32_e32 v33, v1
	v_fma_f32 v32, v1, s60, |v9|
	v_fmac_f32_e32 v32, 0xb3a22168, v1
	v_fmac_f32_e32 v32, 0xa7c234c4, v1
; %bb.31:                               ;   in Loop: Header=BB254_4 Depth=1
	s_or_b64 exec, exec, s[10:11]
                                        ; implicit-def: $vgpr34
                                        ; implicit-def: $vgpr35
	s_and_saveexec_b64 s[10:11], s[40:41]
	s_xor_b64 s[40:41], exec, s[10:11]
	s_cbranch_execz .LBB254_33
; %bb.32:                               ;   in Loop: Header=BB254_4 Depth=1
	v_and_b32_e32 v1, 0x7fffff, v31
	v_or_b32_e32 v41, 0x800000, v1
	v_mad_u64_u32 v[34:35], s[10:11], v41, s51, 0
	v_mov_b32_e32 v1, v35
	v_mad_u64_u32 v[35:36], s[10:11], v41, s52, v[1:2]
	v_mov_b32_e32 v1, v36
	;; [unrolled: 2-line block ×3, first 2 shown]
	v_mad_u64_u32 v[37:38], s[10:11], v41, s54, v[1:2]
	v_lshrrev_b32_e32 v1, 23, v31
	v_add_u32_e32 v40, 0xffffff88, v1
	v_mov_b32_e32 v1, v38
	v_mad_u64_u32 v[38:39], s[10:11], v41, s55, v[1:2]
	v_cmp_lt_u32_e32 vcc, 63, v40
	v_cndmask_b32_e32 v1, 0, v26, vcc
	v_add_u32_e32 v42, v1, v40
	v_mov_b32_e32 v1, v39
	v_mad_u64_u32 v[39:40], s[10:11], v41, s56, v[1:2]
	v_cmp_lt_u32_e64 s[10:11], 31, v42
	v_cndmask_b32_e64 v1, 0, v27, s[10:11]
	v_add_u32_e32 v42, v1, v42
	v_mov_b32_e32 v1, v40
	v_mad_u64_u32 v[40:41], s[12:13], v41, s57, v[1:2]
	v_cmp_lt_u32_e64 s[12:13], 31, v42
	v_cndmask_b32_e64 v1, 0, v27, s[12:13]
	v_add_u32_e32 v1, v1, v42
	v_cndmask_b32_e32 v42, v39, v37, vcc
	v_cndmask_b32_e32 v40, v40, v38, vcc
	;; [unrolled: 1-line block ×4, first 2 shown]
	v_cndmask_b32_e64 v41, v40, v42, s[10:11]
	v_cndmask_b32_e64 v39, v39, v40, s[10:11]
	;; [unrolled: 1-line block ×3, first 2 shown]
	v_cndmask_b32_e32 v35, v37, v35, vcc
	v_cndmask_b32_e64 v39, v39, v41, s[12:13]
	v_cndmask_b32_e64 v41, v41, v40, s[12:13]
	v_sub_u32_e32 v42, 32, v1
	v_cndmask_b32_e64 v37, v38, v35, s[10:11]
	v_alignbit_b32 v43, v39, v41, v42
	v_cmp_eq_u32_e64 s[14:15], 0, v1
	v_cndmask_b32_e64 v38, v40, v37, s[12:13]
	v_cndmask_b32_e64 v1, v43, v39, s[14:15]
	v_alignbit_b32 v39, v41, v38, v42
	v_cndmask_b32_e32 v34, v36, v34, vcc
	v_cndmask_b32_e64 v39, v39, v41, s[14:15]
	v_bfe_u32 v43, v1, 29, 1
	v_cndmask_b32_e64 v34, v35, v34, s[10:11]
	v_alignbit_b32 v40, v1, v39, 30
	v_sub_u32_e32 v44, 0, v43
	v_cndmask_b32_e64 v34, v37, v34, s[12:13]
	v_xor_b32_e32 v40, v40, v44
	v_alignbit_b32 v35, v38, v34, v42
	v_cndmask_b32_e64 v35, v35, v38, s[14:15]
	v_ffbh_u32_e32 v37, v40
	v_alignbit_b32 v36, v39, v35, 30
	v_min_u32_e32 v37, 32, v37
	v_alignbit_b32 v34, v35, v34, 30
	v_xor_b32_e32 v36, v36, v44
	v_sub_u32_e32 v38, 31, v37
	v_xor_b32_e32 v34, v34, v44
	v_alignbit_b32 v39, v40, v36, v38
	v_alignbit_b32 v34, v36, v34, v38
	;; [unrolled: 1-line block ×3, first 2 shown]
	v_ffbh_u32_e32 v36, v35
	v_min_u32_e32 v36, 32, v36
	v_lshrrev_b32_e32 v41, 29, v1
	v_not_b32_e32 v38, v36
	v_alignbit_b32 v34, v35, v34, v38
	v_lshlrev_b32_e32 v35, 31, v41
	v_or_b32_e32 v38, 0x33000000, v35
	v_add_lshl_u32 v36, v36, v37, 23
	v_lshrrev_b32_e32 v34, 9, v34
	v_sub_u32_e32 v36, v38, v36
	v_or_b32_e32 v35, 0.5, v35
	v_lshlrev_b32_e32 v37, 23, v37
	v_or_b32_e32 v34, v36, v34
	v_lshrrev_b32_e32 v36, 9, v39
	v_sub_u32_e32 v35, v35, v37
	v_or_b32_e32 v35, v36, v35
	v_mul_f32_e32 v36, 0x3fc90fda, v35
	v_fma_f32 v37, v35, s58, -v36
	v_fmac_f32_e32 v37, 0x33a22168, v35
	v_fmac_f32_e32 v37, 0x3fc90fda, v34
	v_lshrrev_b32_e32 v1, 30, v1
	v_add_f32_e32 v35, v36, v37
	v_add_u32_e32 v34, v43, v1
	s_andn2_saveexec_b64 s[10:11], s[40:41]
	s_cbranch_execnz .LBB254_34
	s_branch .LBB254_35
.LBB254_33:                             ;   in Loop: Header=BB254_4 Depth=1
	s_andn2_saveexec_b64 s[10:11], s[40:41]
.LBB254_34:                             ;   in Loop: Header=BB254_4 Depth=1
	v_mul_f32_e64 v1, |v9|, s59
	v_rndne_f32_e32 v1, v1
	v_cvt_i32_f32_e32 v34, v1
	v_fma_f32 v35, v1, s60, |v9|
	v_fmac_f32_e32 v35, 0xb3a22168, v1
	v_fmac_f32_e32 v35, 0xa7c234c4, v1
.LBB254_35:                             ;   in Loop: Header=BB254_4 Depth=1
	s_or_b64 exec, exec, s[10:11]
	v_mul_f32_e32 v36, v32, v32
	v_mov_b32_e32 v37, 0xbab64f3b
	v_fmac_f32_e32 v37, 0x37d75334, v36
	v_mov_b32_e32 v38, 0x3c0881c4
	v_fma_f32 v37, v36, v37, v24
	v_fmac_f32_e32 v38, 0xb94c1982, v36
	v_fma_f32 v37, v36, v37, v25
	v_fma_f32 v38, v36, v38, v23
	v_lshlrev_b32_e32 v1, 30, v33
	v_and_b32_e32 v33, 1, v33
	v_fma_f32 v37, v36, v37, 1.0
	v_mul_f32_e32 v36, v36, v38
	v_sub_f32_e32 v8, 0xc322e3bc, v8
	v_fmac_f32_e32 v32, v32, v36
	v_cmp_eq_u32_e32 vcc, 0, v33
	v_mul_f32_e32 v33, 0x3fb8aa3b, v8
	v_cndmask_b32_e64 v32, -v32, v37, vcc
	v_fma_f32 v36, v8, s65, -v33
	v_rndne_f32_e32 v37, v33
	v_fmac_f32_e32 v36, 0x32a5705f, v8
	v_sub_f32_e32 v33, v33, v37
	v_add_f32_e32 v33, v33, v36
	v_exp_f32_e32 v33, v33
	v_cvt_i32_f32_e32 v36, v37
	v_cmp_class_f32_e64 vcc, v9, s64
	v_cmp_ngt_f32_e64 s[10:11], s66, v8
	v_and_b32_e32 v1, 0x80000000, v1
	v_ldexp_f32 v9, v33, v36
	v_cndmask_b32_e64 v9, 0, v9, s[10:11]
	v_cmp_nlt_f32_e64 s[10:11], s67, v8
	v_cndmask_b32_e64 v8, v28, v9, s[10:11]
	v_and_b32_e32 v9, 0x7fffff, v8
	v_lshrrev_b32_e32 v8, 23, v8
	v_subrev_u32_e32 v8, 19, v8
	v_xor_b32_e32 v1, v1, v32
	v_lshrrev_b16_e32 v32, 15, v8
	v_add_u16_e32 v32, v8, v32
	v_ashrrev_i16_e32 v32, 1, v32
	v_bfe_i32 v32, v32, 0, 16
	v_lshl_add_u32 v33, v32, 23, 1.0
	v_sub_u32_e32 v8, v8, v32
	v_mul_f32_e32 v32, v35, v35
	v_mov_b32_e32 v36, 0x3c0881c4
	v_fmac_f32_e32 v36, 0xb94c1982, v32
	v_fma_f32 v36, v32, v36, v23
	v_mul_f32_e32 v36, v32, v36
	v_fmac_f32_e32 v35, v35, v36
	v_mov_b32_e32 v36, 0xbab64f3b
	v_fmac_f32_e32 v36, 0x37d75334, v32
	v_fma_f32 v36, v32, v36, v24
	v_fma_f32 v36, v32, v36, v25
	v_fma_f32 v32, v32, v36, 1.0
	v_and_b32_e32 v36, 1, v34
	v_cmp_eq_u32_e64 s[10:11], 0, v36
	v_lshlrev_b32_e32 v34, 30, v34
	v_cndmask_b32_e64 v32, v32, v35, s[10:11]
	v_and_or_b32 v31, v34, s47, v31
	v_xor_b32_e32 v31, v31, v32
	v_xor_b32_e32 v30, v31, v30
	v_cndmask_b32_e32 v1, v29, v1, vcc
	v_or_b32_e32 v9, 0x7f000000, v9
	v_cndmask_b32_e32 v30, v29, v30, vcc
	v_mul_f32_e32 v1, v1, v9
	v_mul_f32_e32 v9, v30, v9
	;; [unrolled: 1-line block ×3, first 2 shown]
	v_lshl_add_u32 v8, v8, 23, 1.0
	v_mul_f32_e32 v9, v9, v33
	v_mul_f32_e32 v1, v1, v8
	;; [unrolled: 1-line block ×3, first 2 shown]
	s_or_b64 exec, exec, s[38:39]
                                        ; implicit-def: $vgpr32
                                        ; implicit-def: $vgpr8
                                        ; implicit-def: $vgpr33
.LBB254_36:                             ;   in Loop: Header=BB254_4 Depth=1
	s_andn2_saveexec_b64 s[10:11], s[36:37]
	s_cbranch_execz .LBB254_42
.LBB254_37:                             ;   in Loop: Header=BB254_4 Depth=1
	v_cmp_ne_u32_e32 vcc, s48, v33
	v_sub_f32_e32 v30, v9, v9
	s_and_saveexec_b64 s[12:13], vcc
	s_xor_b64 s[12:13], exec, s[12:13]
; %bb.38:                               ;   in Loop: Header=BB254_4 Depth=1
                                        ; implicit-def: $vgpr32
                                        ; implicit-def: $vgpr8
; %bb.39:                               ;   in Loop: Header=BB254_4 Depth=1
	s_or_saveexec_b64 s[12:13], s[12:13]
	v_mov_b32_e32 v1, v30
	s_xor_b64 exec, exec, s[12:13]
; %bb.40:                               ;   in Loop: Header=BB254_4 Depth=1
	v_cmp_lt_i32_e32 vcc, -1, v32
	v_cndmask_b32_e64 v1, 0, -v8, vcc
	v_cndmask_b32_e32 v30, 0, v30, vcc
; %bb.41:                               ;   in Loop: Header=BB254_4 Depth=1
	s_or_b64 exec, exec, s[12:13]
.LBB254_42:                             ;   in Loop: Header=BB254_4 Depth=1
	s_or_b64 exec, exec, s[10:11]
                                        ; implicit-def: $vgpr9
                                        ; implicit-def: $vgpr31
.LBB254_43:                             ;   in Loop: Header=BB254_4 Depth=1
	s_andn2_saveexec_b64 s[34:35], s[34:35]
	s_cbranch_execz .LBB254_53
; %bb.44:                               ;   in Loop: Header=BB254_4 Depth=1
	v_lshrrev_b32_e32 v1, 23, v31
	v_and_b32_e32 v8, 0x7fffff, v31
	v_cmp_nlt_f32_e64 s[36:37], |v9|, s50
	v_add_u32_e32 v34, 0xffffff88, v1
	v_or_b32_e32 v33, 0x800000, v8
                                        ; implicit-def: $vgpr8
                                        ; implicit-def: $vgpr32
	s_and_saveexec_b64 s[10:11], s[36:37]
	s_xor_b64 s[38:39], exec, s[10:11]
	s_cbranch_execz .LBB254_46
; %bb.45:                               ;   in Loop: Header=BB254_4 Depth=1
	v_mad_u64_u32 v[35:36], s[10:11], v33, s51, 0
	v_cmp_lt_u32_e32 vcc, 63, v34
	v_mov_b32_e32 v1, v36
	v_mad_u64_u32 v[36:37], s[10:11], v33, s52, v[1:2]
	v_mov_b32_e32 v1, v37
	v_mad_u64_u32 v[37:38], s[10:11], v33, s53, v[1:2]
	;; [unrolled: 2-line block ×3, first 2 shown]
	v_cndmask_b32_e32 v1, 0, v26, vcc
	v_add_u32_e32 v8, v1, v34
	v_mov_b32_e32 v1, v39
	v_mad_u64_u32 v[39:40], s[10:11], v33, s55, v[1:2]
	v_cmp_lt_u32_e64 s[10:11], 31, v8
	v_cndmask_b32_e64 v1, 0, v27, s[10:11]
	v_add_u32_e32 v8, v1, v8
	v_mov_b32_e32 v1, v40
	v_mad_u64_u32 v[40:41], s[12:13], v33, s56, v[1:2]
	v_cmp_lt_u32_e64 s[12:13], 31, v8
	v_cndmask_b32_e64 v1, 0, v27, s[12:13]
	v_add_u32_e32 v8, v1, v8
	v_mov_b32_e32 v1, v41
	v_mad_u64_u32 v[41:42], s[14:15], v33, s57, v[1:2]
	v_cndmask_b32_e32 v1, v39, v37, vcc
	v_cndmask_b32_e32 v32, v40, v38, vcc
	;; [unrolled: 1-line block ×4, first 2 shown]
	v_cndmask_b32_e64 v43, v32, v1, s[10:11]
	v_cndmask_b32_e64 v32, v39, v32, s[10:11]
	v_cndmask_b32_e64 v39, v40, v39, s[10:11]
	v_cndmask_b32_e32 v36, v38, v36, vcc
	v_cndmask_b32_e64 v39, v39, v32, s[12:13]
	v_cndmask_b32_e64 v32, v32, v43, s[12:13]
	v_sub_u32_e32 v40, 32, v8
	v_cndmask_b32_e64 v1, v1, v36, s[10:11]
	v_alignbit_b32 v41, v39, v32, v40
	v_cmp_eq_u32_e64 s[14:15], 0, v8
	v_cndmask_b32_e64 v38, v43, v1, s[12:13]
	v_cndmask_b32_e64 v8, v41, v39, s[14:15]
	v_alignbit_b32 v39, v32, v38, v40
	v_cndmask_b32_e32 v35, v37, v35, vcc
	v_cndmask_b32_e64 v32, v39, v32, s[14:15]
	v_bfe_u32 v42, v8, 29, 1
	v_cndmask_b32_e64 v35, v36, v35, s[10:11]
	v_alignbit_b32 v39, v8, v32, 30
	v_sub_u32_e32 v43, 0, v42
	v_cndmask_b32_e64 v1, v1, v35, s[12:13]
	v_xor_b32_e32 v39, v39, v43
	v_alignbit_b32 v35, v38, v1, v40
	v_cndmask_b32_e64 v35, v35, v38, s[14:15]
	v_ffbh_u32_e32 v36, v39
	v_alignbit_b32 v32, v32, v35, 30
	v_min_u32_e32 v36, 32, v36
	v_alignbit_b32 v1, v35, v1, 30
	v_xor_b32_e32 v32, v32, v43
	v_sub_u32_e32 v37, 31, v36
	v_xor_b32_e32 v1, v1, v43
	v_alignbit_b32 v38, v39, v32, v37
	v_alignbit_b32 v1, v32, v1, v37
	;; [unrolled: 1-line block ×3, first 2 shown]
	v_ffbh_u32_e32 v35, v32
	v_min_u32_e32 v35, 32, v35
	v_lshrrev_b32_e32 v41, 29, v8
	v_not_b32_e32 v37, v35
	v_alignbit_b32 v1, v32, v1, v37
	v_lshlrev_b32_e32 v32, 31, v41
	v_or_b32_e32 v37, 0x33000000, v32
	v_add_lshl_u32 v35, v35, v36, 23
	v_lshrrev_b32_e32 v1, 9, v1
	v_sub_u32_e32 v35, v37, v35
	v_or_b32_e32 v32, 0.5, v32
	v_lshlrev_b32_e32 v36, 23, v36
	v_or_b32_e32 v1, v35, v1
	v_lshrrev_b32_e32 v35, 9, v38
	v_sub_u32_e32 v32, v32, v36
	v_or_b32_e32 v32, v35, v32
	v_mul_f32_e32 v35, 0x3fc90fda, v32
	v_fma_f32 v36, v32, s58, -v35
	v_fmac_f32_e32 v36, 0x33a22168, v32
	v_fmac_f32_e32 v36, 0x3fc90fda, v1
	v_lshrrev_b32_e32 v1, 30, v8
	v_add_f32_e32 v32, v35, v36
	v_add_u32_e32 v8, v42, v1
.LBB254_46:                             ;   in Loop: Header=BB254_4 Depth=1
	s_or_saveexec_b64 s[10:11], s[38:39]
	v_mul_f32_e64 v1, |v9|, s59
	v_rndne_f32_e32 v1, v1
	s_xor_b64 exec, exec, s[10:11]
; %bb.47:                               ;   in Loop: Header=BB254_4 Depth=1
	v_cvt_i32_f32_e32 v8, v1
	v_fma_f32 v32, v1, s60, |v9|
	v_fmac_f32_e32 v32, 0xb3a22168, v1
	v_fmac_f32_e32 v32, 0xa7c234c4, v1
; %bb.48:                               ;   in Loop: Header=BB254_4 Depth=1
	s_or_b64 exec, exec, s[10:11]
                                        ; implicit-def: $vgpr35
                                        ; implicit-def: $vgpr36
	s_and_saveexec_b64 s[10:11], s[36:37]
	s_xor_b64 s[36:37], exec, s[10:11]
	s_cbranch_execz .LBB254_50
; %bb.49:                               ;   in Loop: Header=BB254_4 Depth=1
	v_mad_u64_u32 v[35:36], s[10:11], v33, s51, 0
	v_cmp_lt_u32_e32 vcc, 63, v34
	v_mov_b32_e32 v1, v36
	v_mad_u64_u32 v[36:37], s[10:11], v33, s52, v[1:2]
	v_mov_b32_e32 v1, v37
	v_mad_u64_u32 v[37:38], s[10:11], v33, s53, v[1:2]
	;; [unrolled: 2-line block ×3, first 2 shown]
	v_cndmask_b32_e32 v1, 0, v26, vcc
	v_add_u32_e32 v34, v1, v34
	v_mov_b32_e32 v1, v39
	v_mad_u64_u32 v[39:40], s[10:11], v33, s55, v[1:2]
	v_cmp_lt_u32_e64 s[10:11], 31, v34
	v_cndmask_b32_e64 v1, 0, v27, s[10:11]
	v_add_u32_e32 v34, v1, v34
	v_mov_b32_e32 v1, v40
	v_mad_u64_u32 v[40:41], s[12:13], v33, s56, v[1:2]
	v_cmp_lt_u32_e64 s[12:13], 31, v34
	v_cndmask_b32_e64 v1, 0, v27, s[12:13]
	v_add_u32_e32 v42, v1, v34
	v_mov_b32_e32 v1, v41
	v_mad_u64_u32 v[33:34], s[14:15], v33, s57, v[1:2]
	v_cndmask_b32_e32 v1, v39, v37, vcc
	v_cndmask_b32_e32 v41, v40, v38, vcc
	;; [unrolled: 1-line block ×4, first 2 shown]
	v_cndmask_b32_e64 v43, v41, v1, s[10:11]
	v_cndmask_b32_e64 v39, v33, v41, s[10:11]
	;; [unrolled: 1-line block ×3, first 2 shown]
	v_cndmask_b32_e32 v36, v38, v36, vcc
	v_cndmask_b32_e64 v33, v33, v39, s[12:13]
	v_cndmask_b32_e64 v34, v39, v43, s[12:13]
	v_sub_u32_e32 v39, 32, v42
	v_cndmask_b32_e64 v1, v1, v36, s[10:11]
	v_alignbit_b32 v40, v33, v34, v39
	v_cmp_eq_u32_e64 s[14:15], 0, v42
	v_cndmask_b32_e64 v38, v43, v1, s[12:13]
	v_cndmask_b32_e64 v33, v40, v33, s[14:15]
	v_alignbit_b32 v40, v34, v38, v39
	v_cndmask_b32_e32 v35, v37, v35, vcc
	v_cndmask_b32_e64 v34, v40, v34, s[14:15]
	v_bfe_u32 v42, v33, 29, 1
	v_cndmask_b32_e64 v35, v36, v35, s[10:11]
	v_alignbit_b32 v40, v33, v34, 30
	v_sub_u32_e32 v43, 0, v42
	v_cndmask_b32_e64 v1, v1, v35, s[12:13]
	v_xor_b32_e32 v40, v40, v43
	v_alignbit_b32 v35, v38, v1, v39
	v_cndmask_b32_e64 v35, v35, v38, s[14:15]
	v_ffbh_u32_e32 v36, v40
	v_alignbit_b32 v34, v34, v35, 30
	v_min_u32_e32 v36, 32, v36
	v_alignbit_b32 v1, v35, v1, 30
	v_xor_b32_e32 v34, v34, v43
	v_sub_u32_e32 v37, 31, v36
	v_xor_b32_e32 v1, v1, v43
	v_alignbit_b32 v38, v40, v34, v37
	v_alignbit_b32 v1, v34, v1, v37
	;; [unrolled: 1-line block ×3, first 2 shown]
	v_ffbh_u32_e32 v35, v34
	v_min_u32_e32 v35, 32, v35
	v_lshrrev_b32_e32 v41, 29, v33
	v_not_b32_e32 v37, v35
	v_alignbit_b32 v1, v34, v1, v37
	v_lshlrev_b32_e32 v34, 31, v41
	v_or_b32_e32 v37, 0x33000000, v34
	v_add_lshl_u32 v35, v35, v36, 23
	v_lshrrev_b32_e32 v1, 9, v1
	v_sub_u32_e32 v35, v37, v35
	v_or_b32_e32 v34, 0.5, v34
	v_lshlrev_b32_e32 v36, 23, v36
	v_or_b32_e32 v1, v35, v1
	v_lshrrev_b32_e32 v35, 9, v38
	v_sub_u32_e32 v34, v34, v36
	v_or_b32_e32 v34, v35, v34
	v_mul_f32_e32 v35, 0x3fc90fda, v34
	v_fma_f32 v36, v34, s58, -v35
	v_fmac_f32_e32 v36, 0x33a22168, v34
	v_fmac_f32_e32 v36, 0x3fc90fda, v1
	v_lshrrev_b32_e32 v1, 30, v33
	v_add_f32_e32 v36, v35, v36
	v_add_u32_e32 v35, v42, v1
                                        ; implicit-def: $vgpr1
	s_andn2_saveexec_b64 s[10:11], s[36:37]
	s_cbranch_execnz .LBB254_51
	s_branch .LBB254_52
.LBB254_50:                             ;   in Loop: Header=BB254_4 Depth=1
	s_andn2_saveexec_b64 s[10:11], s[36:37]
.LBB254_51:                             ;   in Loop: Header=BB254_4 Depth=1
	v_cvt_i32_f32_e32 v35, v1
	v_fma_f32 v36, v1, s60, |v9|
	v_fmac_f32_e32 v36, 0xb3a22168, v1
	v_fmac_f32_e32 v36, 0xa7c234c4, v1
.LBB254_52:                             ;   in Loop: Header=BB254_4 Depth=1
	s_or_b64 exec, exec, s[10:11]
	v_mul_f32_e32 v1, v32, v32
	v_mov_b32_e32 v33, 0x3c0881c4
	v_fmac_f32_e32 v33, 0xb94c1982, v1
	v_fma_f32 v33, v1, v33, v23
	v_mul_f32_e32 v33, v1, v33
	v_fmac_f32_e32 v32, v32, v33
	v_mov_b32_e32 v33, 0xbab64f3b
	v_fmac_f32_e32 v33, 0x37d75334, v1
	v_fma_f32 v33, v1, v33, v24
	v_fma_f32 v33, v1, v33, v25
	v_fma_f32 v1, v1, v33, 1.0
	v_and_b32_e32 v33, 1, v8
	v_cmp_eq_u32_e32 vcc, 0, v33
	v_lshlrev_b32_e32 v8, 30, v8
	v_cndmask_b32_e64 v1, -v32, v1, vcc
	v_and_b32_e32 v8, 0x80000000, v8
	v_xor_b32_e32 v1, v8, v1
	v_cmp_class_f32_e64 vcc, v9, s64
	v_mul_f32_e32 v8, v36, v36
	v_mov_b32_e32 v9, 0x3c0881c4
	v_fmac_f32_e32 v9, 0xb94c1982, v8
	v_fma_f32 v9, v8, v9, v23
	v_mul_f32_e32 v9, v8, v9
	v_fmac_f32_e32 v36, v36, v9
	v_mov_b32_e32 v9, 0xbab64f3b
	v_fmac_f32_e32 v9, 0x37d75334, v8
	v_fma_f32 v9, v8, v9, v24
	v_fma_f32 v9, v8, v9, v25
	v_fma_f32 v8, v8, v9, 1.0
	v_and_b32_e32 v9, 1, v35
	v_cmp_eq_u32_e64 s[10:11], 0, v9
	v_lshlrev_b32_e32 v9, 30, v35
	v_cndmask_b32_e64 v8, v8, v36, s[10:11]
	v_and_or_b32 v9, v9, s47, v31
	v_xor_b32_e32 v8, v9, v8
	v_xor_b32_e32 v8, v8, v30
	v_cndmask_b32_e32 v1, v29, v1, vcc
	v_cndmask_b32_e32 v30, v29, v8, vcc
.LBB254_53:                             ;   in Loop: Header=BB254_4 Depth=1
	s_or_b64 exec, exec, s[34:35]
                                        ; implicit-def: $vgpr8
.LBB254_54:                             ;   in Loop: Header=BB254_4 Depth=1
	s_andn2_saveexec_b64 s[10:11], s[30:31]
	s_cbranch_execz .LBB254_56
; %bb.55:                               ;   in Loop: Header=BB254_4 Depth=1
	v_mul_f32_e32 v1, 0xbfb8aa3b, v8
	v_rndne_f32_e32 v9, v1
	v_sub_f32_e32 v31, v1, v9
	v_fma_f32 v1, v8, s61, -v1
	v_fmac_f32_e32 v1, 0xb2a5705f, v8
	v_add_f32_e32 v1, v31, v1
	v_cvt_i32_f32_e32 v9, v9
	v_exp_f32_e32 v1, v1
	v_cmp_nlt_f32_e32 vcc, s62, v8
	v_ldexp_f32 v1, v1, v9
	v_cndmask_b32_e32 v1, 0, v1, vcc
	v_cmp_ngt_f32_e32 vcc, s63, v8
	v_cndmask_b32_e32 v1, v28, v1, vcc
.LBB254_56:                             ;   in Loop: Header=BB254_4 Depth=1
	s_or_b64 exec, exec, s[10:11]
	v_add_f32_e32 v31, s16, v1
	v_add_f32_e32 v1, s17, v30
	v_cmp_gt_f32_e32 vcc, 0, v31
	v_cndmask_b32_e64 v30, v31, -v31, vcc
	v_cmp_gt_f32_e32 vcc, 0, v1
	v_cndmask_b32_e64 v32, v1, -v1, vcc
	v_cmp_ge_f32_e32 vcc, v30, v32
                                        ; implicit-def: $vgpr9
	s_and_saveexec_b64 s[10:11], vcc
	s_xor_b64 s[12:13], exec, s[10:11]
	s_cbranch_execz .LBB254_62
; %bb.57:                               ;   in Loop: Header=BB254_4 Depth=1
	v_cmp_neq_f32_e32 vcc, 0, v31
	v_cmp_neq_f32_e64 s[10:11], 0, v1
	s_or_b64 s[10:11], vcc, s[10:11]
                                        ; implicit-def: $vgpr9
	s_and_saveexec_b64 s[14:15], s[10:11]
	s_xor_b64 s[10:11], exec, s[14:15]
	s_cbranch_execz .LBB254_59
; %bb.58:                               ;   in Loop: Header=BB254_4 Depth=1
	v_div_scale_f32 v8, s[14:15], v31, v31, v1
	v_div_scale_f32 v9, vcc, v1, v31, v1
	v_rcp_f32_e32 v30, v8
	v_fma_f32 v32, -v8, v30, 1.0
	v_fmac_f32_e32 v30, v32, v30
	v_mul_f32_e32 v32, v9, v30
	v_fma_f32 v33, -v8, v32, v9
	v_fmac_f32_e32 v32, v33, v30
	v_fma_f32 v8, -v8, v32, v9
	v_div_fmas_f32 v8, v8, v30, v32
	v_div_fixup_f32 v8, v8, v31, v1
	v_fmac_f32_e32 v31, v1, v8
	v_div_scale_f32 v1, s[14:15], v31, v31, 1.0
	v_div_scale_f32 v9, vcc, 1.0, v31, 1.0
	v_rcp_f32_e32 v30, v1
	v_fma_f32 v32, -v1, v30, 1.0
	v_fmac_f32_e32 v30, v32, v30
	v_mul_f32_e32 v32, v9, v30
	v_fma_f32 v33, -v1, v32, v9
	v_fmac_f32_e32 v32, v33, v30
	v_fma_f32 v1, -v1, v32, v9
	v_div_fmas_f32 v1, v1, v30, v32
	v_mov_b32_e32 v9, s16
	v_mov_b32_e32 v30, s17
	v_fma_f32 v9, s17, v8, v9
	v_fma_f32 v30, -v8, s16, v30
                                        ; implicit-def: $vgpr32
	v_div_fixup_f32 v1, v1, v31, 1.0
	v_mul_f32_e32 v8, v9, v1
	v_mul_f32_e32 v9, v30, v1
                                        ; implicit-def: $vgpr30
.LBB254_59:                             ;   in Loop: Header=BB254_4 Depth=1
	s_andn2_saveexec_b64 s[14:15], s[10:11]
	s_cbranch_execz .LBB254_61
; %bb.60:                               ;   in Loop: Header=BB254_4 Depth=1
	v_div_scale_f32 v1, s[10:11], v30, v30, s16
	v_div_scale_f32 v8, s[10:11], v32, v32, s17
	v_div_scale_f32 v9, vcc, s16, v30, s16
	v_div_scale_f32 v31, s[10:11], s17, v32, s17
	v_rcp_f32_e32 v33, v1
	v_rcp_f32_e32 v34, v8
	v_fma_f32 v35, -v1, v33, 1.0
	v_fmac_f32_e32 v33, v35, v33
	v_fma_f32 v36, -v8, v34, 1.0
	v_fmac_f32_e32 v34, v36, v34
	v_mul_f32_e32 v35, v9, v33
	v_mul_f32_e32 v36, v31, v34
	v_fma_f32 v37, -v1, v35, v9
	v_fma_f32 v38, -v8, v36, v31
	v_fmac_f32_e32 v35, v37, v33
	v_fmac_f32_e32 v36, v38, v34
	v_fma_f32 v1, -v1, v35, v9
	v_fma_f32 v8, -v8, v36, v31
	v_div_fmas_f32 v1, v1, v33, v35
	s_mov_b64 vcc, s[10:11]
	v_div_fmas_f32 v9, v8, v34, v36
	v_div_fixup_f32 v8, v1, v30, s16
	v_div_fixup_f32 v9, v9, v32, s17
.LBB254_61:                             ;   in Loop: Header=BB254_4 Depth=1
	s_or_b64 exec, exec, s[14:15]
                                        ; implicit-def: $vgpr1
                                        ; implicit-def: $vgpr31
.LBB254_62:                             ;   in Loop: Header=BB254_4 Depth=1
	s_andn2_saveexec_b64 s[10:11], s[12:13]
	s_cbranch_execz .LBB254_64
; %bb.63:                               ;   in Loop: Header=BB254_4 Depth=1
	v_div_scale_f32 v8, s[12:13], v1, v1, v31
	v_div_scale_f32 v9, vcc, v31, v1, v31
	v_rcp_f32_e32 v30, v8
	v_fma_f32 v32, -v8, v30, 1.0
	v_fmac_f32_e32 v30, v32, v30
	v_mul_f32_e32 v32, v9, v30
	v_fma_f32 v33, -v8, v32, v9
	v_fmac_f32_e32 v32, v33, v30
	v_fma_f32 v8, -v8, v32, v9
	v_div_fmas_f32 v8, v8, v30, v32
	v_div_fixup_f32 v8, v8, v1, v31
	v_fmac_f32_e32 v1, v31, v8
	v_div_scale_f32 v9, s[12:13], v1, v1, 1.0
	v_div_scale_f32 v30, vcc, 1.0, v1, 1.0
	v_rcp_f32_e32 v31, v9
	v_fma_f32 v32, -v9, v31, 1.0
	v_fmac_f32_e32 v31, v32, v31
	v_mul_f32_e32 v32, v30, v31
	v_fma_f32 v33, -v9, v32, v30
	v_fmac_f32_e32 v32, v33, v31
	v_fma_f32 v9, -v9, v32, v30
	v_div_fmas_f32 v9, v9, v31, v32
	v_mov_b32_e32 v30, s17
	v_mov_b32_e32 v31, s16
	v_fma_f32 v30, s16, v8, v30
	v_fma_f32 v31, v8, s17, -v31
	v_div_fixup_f32 v1, v9, v1, 1.0
	v_mul_f32_e32 v8, v30, v1
	v_mul_f32_e32 v9, v31, v1
.LBB254_64:                             ;   in Loop: Header=BB254_4 Depth=1
	s_or_b64 exec, exec, s[10:11]
	v_and_b32_e32 v31, 0x7fffffff, v13
	v_xor_b32_e32 v30, 0x80000000, v13
	v_cmp_ne_u32_e32 vcc, 0, v31
                                        ; implicit-def: $vgpr1
	s_and_saveexec_b64 s[10:11], vcc
	s_xor_b64 s[30:31], exec, s[10:11]
	s_cbranch_execz .LBB254_106
; %bb.65:                               ;   in Loop: Header=BB254_4 Depth=1
	v_and_b32_e32 v33, 0x7fffffff, v12
	v_cmp_ne_u32_e32 vcc, 0, v33
                                        ; implicit-def: $vgpr1
	s_and_saveexec_b64 s[10:11], vcc
	s_xor_b64 s[34:35], exec, s[10:11]
	s_cbranch_execz .LBB254_95
; %bb.66:                               ;   in Loop: Header=BB254_4 Depth=1
	v_xor_b32_e32 v32, 0x80000000, v12
	v_cmp_gt_u32_e32 vcc, s48, v31
                                        ; implicit-def: $vgpr1
	s_and_saveexec_b64 s[10:11], vcc
	s_xor_b64 s[36:37], exec, s[10:11]
	s_cbranch_execz .LBB254_88
; %bb.67:                               ;   in Loop: Header=BB254_4 Depth=1
	v_add_u32_e32 v1, 0xbd4e8de8, v32
	v_cmp_lt_u32_e32 vcc, s49, v1
                                        ; implicit-def: $vgpr1
	s_and_saveexec_b64 s[10:11], vcc
	s_xor_b64 s[38:39], exec, s[10:11]
	s_cbranch_execz .LBB254_77
; %bb.68:                               ;   in Loop: Header=BB254_4 Depth=1
	v_cmp_nlt_f32_e64 s[40:41], |v13|, s50
                                        ; implicit-def: $vgpr32
                                        ; implicit-def: $vgpr33
	s_and_saveexec_b64 s[10:11], s[40:41]
	s_xor_b64 s[42:43], exec, s[10:11]
	s_cbranch_execz .LBB254_70
; %bb.69:                               ;   in Loop: Header=BB254_4 Depth=1
	v_and_b32_e32 v1, 0x7fffff, v31
	v_or_b32_e32 v39, 0x800000, v1
	v_mad_u64_u32 v[32:33], s[10:11], v39, s51, 0
	v_mov_b32_e32 v1, v33
	v_mad_u64_u32 v[33:34], s[10:11], v39, s52, v[1:2]
	v_mov_b32_e32 v1, v34
	;; [unrolled: 2-line block ×3, first 2 shown]
	v_mad_u64_u32 v[35:36], s[10:11], v39, s54, v[1:2]
	v_lshrrev_b32_e32 v1, 23, v31
	v_add_u32_e32 v38, 0xffffff88, v1
	v_mov_b32_e32 v1, v36
	v_mad_u64_u32 v[36:37], s[10:11], v39, s55, v[1:2]
	v_cmp_lt_u32_e32 vcc, 63, v38
	v_cndmask_b32_e32 v1, 0, v26, vcc
	v_add_u32_e32 v40, v1, v38
	v_mov_b32_e32 v1, v37
	v_mad_u64_u32 v[37:38], s[10:11], v39, s56, v[1:2]
	v_cmp_lt_u32_e64 s[10:11], 31, v40
	v_cndmask_b32_e64 v1, 0, v27, s[10:11]
	v_add_u32_e32 v40, v1, v40
	v_mov_b32_e32 v1, v38
	v_mad_u64_u32 v[38:39], s[12:13], v39, s57, v[1:2]
	v_cmp_lt_u32_e64 s[12:13], 31, v40
	v_cndmask_b32_e64 v1, 0, v27, s[12:13]
	v_add_u32_e32 v1, v1, v40
	v_cndmask_b32_e32 v40, v37, v35, vcc
	v_cndmask_b32_e32 v38, v38, v36, vcc
	;; [unrolled: 1-line block ×4, first 2 shown]
	v_cndmask_b32_e64 v39, v38, v40, s[10:11]
	v_cndmask_b32_e64 v37, v37, v38, s[10:11]
	;; [unrolled: 1-line block ×3, first 2 shown]
	v_cndmask_b32_e32 v33, v35, v33, vcc
	v_cndmask_b32_e64 v37, v37, v39, s[12:13]
	v_cndmask_b32_e64 v39, v39, v38, s[12:13]
	v_sub_u32_e32 v40, 32, v1
	v_cndmask_b32_e64 v35, v36, v33, s[10:11]
	v_alignbit_b32 v41, v37, v39, v40
	v_cmp_eq_u32_e64 s[14:15], 0, v1
	v_cndmask_b32_e64 v36, v38, v35, s[12:13]
	v_cndmask_b32_e64 v1, v41, v37, s[14:15]
	v_alignbit_b32 v37, v39, v36, v40
	v_cndmask_b32_e32 v32, v34, v32, vcc
	v_cndmask_b32_e64 v37, v37, v39, s[14:15]
	v_bfe_u32 v41, v1, 29, 1
	v_cndmask_b32_e64 v32, v33, v32, s[10:11]
	v_alignbit_b32 v38, v1, v37, 30
	v_sub_u32_e32 v42, 0, v41
	v_cndmask_b32_e64 v32, v35, v32, s[12:13]
	v_xor_b32_e32 v38, v38, v42
	v_alignbit_b32 v33, v36, v32, v40
	v_cndmask_b32_e64 v33, v33, v36, s[14:15]
	v_ffbh_u32_e32 v35, v38
	v_alignbit_b32 v34, v37, v33, 30
	v_min_u32_e32 v35, 32, v35
	v_alignbit_b32 v32, v33, v32, 30
	v_xor_b32_e32 v34, v34, v42
	v_sub_u32_e32 v36, 31, v35
	v_xor_b32_e32 v32, v32, v42
	v_alignbit_b32 v37, v38, v34, v36
	v_alignbit_b32 v32, v34, v32, v36
	;; [unrolled: 1-line block ×3, first 2 shown]
	v_ffbh_u32_e32 v34, v33
	v_min_u32_e32 v34, 32, v34
	v_lshrrev_b32_e32 v39, 29, v1
	v_not_b32_e32 v36, v34
	v_alignbit_b32 v32, v33, v32, v36
	v_lshlrev_b32_e32 v33, 31, v39
	v_or_b32_e32 v36, 0x33000000, v33
	v_add_lshl_u32 v34, v34, v35, 23
	v_lshrrev_b32_e32 v32, 9, v32
	v_sub_u32_e32 v34, v36, v34
	v_or_b32_e32 v33, 0.5, v33
	v_lshlrev_b32_e32 v35, 23, v35
	v_or_b32_e32 v32, v34, v32
	v_lshrrev_b32_e32 v34, 9, v37
	v_sub_u32_e32 v33, v33, v35
	v_or_b32_e32 v33, v34, v33
	v_mul_f32_e32 v34, 0x3fc90fda, v33
	v_fma_f32 v35, v33, s58, -v34
	v_fmac_f32_e32 v35, 0x33a22168, v33
	v_fmac_f32_e32 v35, 0x3fc90fda, v32
	v_lshrrev_b32_e32 v1, 30, v1
	v_add_f32_e32 v33, v34, v35
	v_add_u32_e32 v32, v41, v1
	s_andn2_saveexec_b64 s[10:11], s[42:43]
	s_branch .LBB254_71
.LBB254_70:                             ;   in Loop: Header=BB254_4 Depth=1
	s_andn2_saveexec_b64 s[10:11], s[42:43]
.LBB254_71:                             ;   in Loop: Header=BB254_4 Depth=1
	v_mul_f32_e64 v1, |v13|, s59
	v_rndne_f32_e32 v1, v1
	v_cvt_i32_f32_e32 v32, v1
	v_fma_f32 v33, v1, s60, |v13|
	v_fmac_f32_e32 v33, 0xb3a22168, v1
	v_fmac_f32_e32 v33, 0xa7c234c4, v1
; %bb.72:                               ;   in Loop: Header=BB254_4 Depth=1
	s_or_b64 exec, exec, s[10:11]
                                        ; implicit-def: $vgpr34
                                        ; implicit-def: $vgpr35
	s_and_saveexec_b64 s[10:11], s[40:41]
	s_xor_b64 s[40:41], exec, s[10:11]
	s_cbranch_execz .LBB254_74
; %bb.73:                               ;   in Loop: Header=BB254_4 Depth=1
	v_and_b32_e32 v1, 0x7fffff, v31
	v_or_b32_e32 v41, 0x800000, v1
	v_mad_u64_u32 v[34:35], s[10:11], v41, s51, 0
	v_mov_b32_e32 v1, v35
	v_mad_u64_u32 v[35:36], s[10:11], v41, s52, v[1:2]
	v_mov_b32_e32 v1, v36
	;; [unrolled: 2-line block ×3, first 2 shown]
	v_mad_u64_u32 v[37:38], s[10:11], v41, s54, v[1:2]
	v_lshrrev_b32_e32 v1, 23, v31
	v_add_u32_e32 v40, 0xffffff88, v1
	v_mov_b32_e32 v1, v38
	v_mad_u64_u32 v[38:39], s[10:11], v41, s55, v[1:2]
	v_cmp_lt_u32_e32 vcc, 63, v40
	v_cndmask_b32_e32 v1, 0, v26, vcc
	v_add_u32_e32 v42, v1, v40
	v_mov_b32_e32 v1, v39
	v_mad_u64_u32 v[39:40], s[10:11], v41, s56, v[1:2]
	v_cmp_lt_u32_e64 s[10:11], 31, v42
	v_cndmask_b32_e64 v1, 0, v27, s[10:11]
	v_add_u32_e32 v42, v1, v42
	v_mov_b32_e32 v1, v40
	v_mad_u64_u32 v[40:41], s[12:13], v41, s57, v[1:2]
	v_cmp_lt_u32_e64 s[12:13], 31, v42
	v_cndmask_b32_e64 v1, 0, v27, s[12:13]
	v_add_u32_e32 v1, v1, v42
	v_cndmask_b32_e32 v42, v39, v37, vcc
	v_cndmask_b32_e32 v40, v40, v38, vcc
	;; [unrolled: 1-line block ×4, first 2 shown]
	v_cndmask_b32_e64 v41, v40, v42, s[10:11]
	v_cndmask_b32_e64 v39, v39, v40, s[10:11]
	;; [unrolled: 1-line block ×3, first 2 shown]
	v_cndmask_b32_e32 v35, v37, v35, vcc
	v_cndmask_b32_e64 v39, v39, v41, s[12:13]
	v_cndmask_b32_e64 v41, v41, v40, s[12:13]
	v_sub_u32_e32 v42, 32, v1
	v_cndmask_b32_e64 v37, v38, v35, s[10:11]
	v_alignbit_b32 v43, v39, v41, v42
	v_cmp_eq_u32_e64 s[14:15], 0, v1
	v_cndmask_b32_e64 v38, v40, v37, s[12:13]
	v_cndmask_b32_e64 v1, v43, v39, s[14:15]
	v_alignbit_b32 v39, v41, v38, v42
	v_cndmask_b32_e32 v34, v36, v34, vcc
	v_cndmask_b32_e64 v39, v39, v41, s[14:15]
	v_bfe_u32 v43, v1, 29, 1
	v_cndmask_b32_e64 v34, v35, v34, s[10:11]
	v_alignbit_b32 v40, v1, v39, 30
	v_sub_u32_e32 v44, 0, v43
	v_cndmask_b32_e64 v34, v37, v34, s[12:13]
	v_xor_b32_e32 v40, v40, v44
	v_alignbit_b32 v35, v38, v34, v42
	v_cndmask_b32_e64 v35, v35, v38, s[14:15]
	v_ffbh_u32_e32 v37, v40
	v_alignbit_b32 v36, v39, v35, 30
	v_min_u32_e32 v37, 32, v37
	v_alignbit_b32 v34, v35, v34, 30
	v_xor_b32_e32 v36, v36, v44
	v_sub_u32_e32 v38, 31, v37
	v_xor_b32_e32 v34, v34, v44
	v_alignbit_b32 v39, v40, v36, v38
	v_alignbit_b32 v34, v36, v34, v38
	;; [unrolled: 1-line block ×3, first 2 shown]
	v_ffbh_u32_e32 v36, v35
	v_min_u32_e32 v36, 32, v36
	v_lshrrev_b32_e32 v41, 29, v1
	v_not_b32_e32 v38, v36
	v_alignbit_b32 v34, v35, v34, v38
	v_lshlrev_b32_e32 v35, 31, v41
	v_or_b32_e32 v38, 0x33000000, v35
	v_add_lshl_u32 v36, v36, v37, 23
	v_lshrrev_b32_e32 v34, 9, v34
	v_sub_u32_e32 v36, v38, v36
	v_or_b32_e32 v35, 0.5, v35
	v_lshlrev_b32_e32 v37, 23, v37
	v_or_b32_e32 v34, v36, v34
	v_lshrrev_b32_e32 v36, 9, v39
	v_sub_u32_e32 v35, v35, v37
	v_or_b32_e32 v35, v36, v35
	v_mul_f32_e32 v36, 0x3fc90fda, v35
	v_fma_f32 v37, v35, s58, -v36
	v_fmac_f32_e32 v37, 0x33a22168, v35
	v_fmac_f32_e32 v37, 0x3fc90fda, v34
	v_lshrrev_b32_e32 v1, 30, v1
	v_add_f32_e32 v35, v36, v37
	v_add_u32_e32 v34, v43, v1
	s_andn2_saveexec_b64 s[10:11], s[40:41]
	s_cbranch_execnz .LBB254_75
	s_branch .LBB254_76
.LBB254_74:                             ;   in Loop: Header=BB254_4 Depth=1
	s_andn2_saveexec_b64 s[10:11], s[40:41]
.LBB254_75:                             ;   in Loop: Header=BB254_4 Depth=1
	v_mul_f32_e64 v1, |v13|, s59
	v_rndne_f32_e32 v1, v1
	v_cvt_i32_f32_e32 v34, v1
	v_fma_f32 v35, v1, s60, |v13|
	v_fmac_f32_e32 v35, 0xb3a22168, v1
	v_fmac_f32_e32 v35, 0xa7c234c4, v1
.LBB254_76:                             ;   in Loop: Header=BB254_4 Depth=1
	s_or_b64 exec, exec, s[10:11]
	v_mul_f32_e32 v1, 0xbfb8aa3b, v12
	v_rndne_f32_e32 v36, v1
	v_sub_f32_e32 v37, v1, v36
	v_fma_f32 v1, v12, s61, -v1
	v_fmac_f32_e32 v1, 0xb2a5705f, v12
	v_add_f32_e32 v1, v37, v1
	v_cvt_i32_f32_e32 v36, v36
	v_exp_f32_e32 v1, v1
	v_cmp_nlt_f32_e32 vcc, s62, v12
	v_ldexp_f32 v1, v1, v36
	v_cndmask_b32_e32 v1, 0, v1, vcc
	v_cmp_ngt_f32_e32 vcc, s63, v12
	v_cndmask_b32_e32 v12, v28, v1, vcc
	v_mul_f32_e32 v1, v33, v33
	v_mov_b32_e32 v36, 0x3c0881c4
	v_fmac_f32_e32 v36, 0xb94c1982, v1
	v_fma_f32 v36, v1, v36, v23
	v_mul_f32_e32 v36, v1, v36
	v_fmac_f32_e32 v33, v33, v36
	v_mov_b32_e32 v36, 0xbab64f3b
	v_fmac_f32_e32 v36, 0x37d75334, v1
	v_fma_f32 v36, v1, v36, v24
	v_fma_f32 v36, v1, v36, v25
	v_fma_f32 v1, v1, v36, 1.0
	v_and_b32_e32 v36, 1, v32
	v_cmp_eq_u32_e32 vcc, 0, v36
	v_lshlrev_b32_e32 v32, 30, v32
	v_cndmask_b32_e64 v1, -v33, v1, vcc
	v_and_b32_e32 v32, 0x80000000, v32
	v_xor_b32_e32 v1, v32, v1
	v_cmp_class_f32_e64 vcc, v13, s64
	v_mul_f32_e32 v13, v35, v35
	v_mov_b32_e32 v32, 0x3c0881c4
	v_fmac_f32_e32 v32, 0xb94c1982, v13
	v_fma_f32 v32, v13, v32, v23
	v_mul_f32_e32 v32, v13, v32
	v_fmac_f32_e32 v35, v35, v32
	v_mov_b32_e32 v32, 0xbab64f3b
	v_fmac_f32_e32 v32, 0x37d75334, v13
	v_fma_f32 v32, v13, v32, v24
	v_fma_f32 v32, v13, v32, v25
	v_fma_f32 v13, v13, v32, 1.0
	v_and_b32_e32 v32, 1, v34
	v_cmp_eq_u32_e64 s[10:11], 0, v32
	v_lshlrev_b32_e32 v32, 30, v34
	v_cndmask_b32_e64 v13, v13, v35, s[10:11]
	v_and_or_b32 v31, v32, s47, v31
	v_xor_b32_e32 v13, v31, v13
	v_xor_b32_e32 v13, v13, v30
	v_cndmask_b32_e32 v1, v29, v1, vcc
	v_cndmask_b32_e32 v13, v29, v13, vcc
	v_mul_f32_e32 v1, v12, v1
	v_mul_f32_e32 v30, v12, v13
                                        ; implicit-def: $vgpr13
                                        ; implicit-def: $vgpr31
.LBB254_77:                             ;   in Loop: Header=BB254_4 Depth=1
	s_andn2_saveexec_b64 s[38:39], s[38:39]
	s_cbranch_execz .LBB254_87
; %bb.78:                               ;   in Loop: Header=BB254_4 Depth=1
	v_cmp_nlt_f32_e64 s[40:41], |v13|, s50
                                        ; implicit-def: $vgpr33
                                        ; implicit-def: $vgpr32
	s_and_saveexec_b64 s[10:11], s[40:41]
	s_xor_b64 s[42:43], exec, s[10:11]
	s_cbranch_execz .LBB254_80
; %bb.79:                               ;   in Loop: Header=BB254_4 Depth=1
	v_and_b32_e32 v1, 0x7fffff, v31
	v_or_b32_e32 v39, 0x800000, v1
	v_mad_u64_u32 v[32:33], s[10:11], v39, s51, 0
	v_mov_b32_e32 v1, v33
	v_mad_u64_u32 v[33:34], s[10:11], v39, s52, v[1:2]
	v_mov_b32_e32 v1, v34
	;; [unrolled: 2-line block ×3, first 2 shown]
	v_mad_u64_u32 v[35:36], s[10:11], v39, s54, v[1:2]
	v_lshrrev_b32_e32 v1, 23, v31
	v_add_u32_e32 v38, 0xffffff88, v1
	v_mov_b32_e32 v1, v36
	v_mad_u64_u32 v[36:37], s[10:11], v39, s55, v[1:2]
	v_cmp_lt_u32_e32 vcc, 63, v38
	v_cndmask_b32_e32 v1, 0, v26, vcc
	v_add_u32_e32 v40, v1, v38
	v_mov_b32_e32 v1, v37
	v_mad_u64_u32 v[37:38], s[10:11], v39, s56, v[1:2]
	v_cmp_lt_u32_e64 s[10:11], 31, v40
	v_cndmask_b32_e64 v1, 0, v27, s[10:11]
	v_add_u32_e32 v40, v1, v40
	v_mov_b32_e32 v1, v38
	v_mad_u64_u32 v[38:39], s[12:13], v39, s57, v[1:2]
	v_cmp_lt_u32_e64 s[12:13], 31, v40
	v_cndmask_b32_e64 v1, 0, v27, s[12:13]
	v_add_u32_e32 v1, v1, v40
	v_cndmask_b32_e32 v40, v37, v35, vcc
	v_cndmask_b32_e32 v38, v38, v36, vcc
	v_cndmask_b32_e32 v37, v39, v37, vcc
	v_cndmask_b32_e32 v36, v36, v34, vcc
	v_cndmask_b32_e64 v39, v38, v40, s[10:11]
	v_cndmask_b32_e64 v37, v37, v38, s[10:11]
	;; [unrolled: 1-line block ×3, first 2 shown]
	v_cndmask_b32_e32 v33, v35, v33, vcc
	v_cndmask_b32_e64 v37, v37, v39, s[12:13]
	v_cndmask_b32_e64 v39, v39, v38, s[12:13]
	v_sub_u32_e32 v40, 32, v1
	v_cndmask_b32_e64 v35, v36, v33, s[10:11]
	v_alignbit_b32 v41, v37, v39, v40
	v_cmp_eq_u32_e64 s[14:15], 0, v1
	v_cndmask_b32_e64 v36, v38, v35, s[12:13]
	v_cndmask_b32_e64 v1, v41, v37, s[14:15]
	v_alignbit_b32 v37, v39, v36, v40
	v_cndmask_b32_e32 v32, v34, v32, vcc
	v_cndmask_b32_e64 v37, v37, v39, s[14:15]
	v_bfe_u32 v41, v1, 29, 1
	v_cndmask_b32_e64 v32, v33, v32, s[10:11]
	v_alignbit_b32 v38, v1, v37, 30
	v_sub_u32_e32 v42, 0, v41
	v_cndmask_b32_e64 v32, v35, v32, s[12:13]
	v_xor_b32_e32 v38, v38, v42
	v_alignbit_b32 v33, v36, v32, v40
	v_cndmask_b32_e64 v33, v33, v36, s[14:15]
	v_ffbh_u32_e32 v35, v38
	v_alignbit_b32 v34, v37, v33, 30
	v_min_u32_e32 v35, 32, v35
	v_alignbit_b32 v32, v33, v32, 30
	v_xor_b32_e32 v34, v34, v42
	v_sub_u32_e32 v36, 31, v35
	v_xor_b32_e32 v32, v32, v42
	v_alignbit_b32 v37, v38, v34, v36
	v_alignbit_b32 v32, v34, v32, v36
	;; [unrolled: 1-line block ×3, first 2 shown]
	v_ffbh_u32_e32 v34, v33
	v_min_u32_e32 v34, 32, v34
	v_lshrrev_b32_e32 v39, 29, v1
	v_not_b32_e32 v36, v34
	v_alignbit_b32 v32, v33, v32, v36
	v_lshlrev_b32_e32 v33, 31, v39
	v_or_b32_e32 v36, 0x33000000, v33
	v_add_lshl_u32 v34, v34, v35, 23
	v_lshrrev_b32_e32 v32, 9, v32
	v_sub_u32_e32 v34, v36, v34
	v_or_b32_e32 v33, 0.5, v33
	v_lshlrev_b32_e32 v35, 23, v35
	v_or_b32_e32 v32, v34, v32
	v_lshrrev_b32_e32 v34, 9, v37
	v_sub_u32_e32 v33, v33, v35
	v_or_b32_e32 v33, v34, v33
	v_mul_f32_e32 v34, 0x3fc90fda, v33
	v_fma_f32 v35, v33, s58, -v34
	v_fmac_f32_e32 v35, 0x33a22168, v33
	v_fmac_f32_e32 v35, 0x3fc90fda, v32
	v_lshrrev_b32_e32 v1, 30, v1
	v_add_f32_e32 v32, v34, v35
	v_add_u32_e32 v33, v41, v1
	s_andn2_saveexec_b64 s[10:11], s[42:43]
	s_branch .LBB254_81
.LBB254_80:                             ;   in Loop: Header=BB254_4 Depth=1
	s_andn2_saveexec_b64 s[10:11], s[42:43]
.LBB254_81:                             ;   in Loop: Header=BB254_4 Depth=1
	v_mul_f32_e64 v1, |v13|, s59
	v_rndne_f32_e32 v1, v1
	v_cvt_i32_f32_e32 v33, v1
	v_fma_f32 v32, v1, s60, |v13|
	v_fmac_f32_e32 v32, 0xb3a22168, v1
	v_fmac_f32_e32 v32, 0xa7c234c4, v1
; %bb.82:                               ;   in Loop: Header=BB254_4 Depth=1
	s_or_b64 exec, exec, s[10:11]
                                        ; implicit-def: $vgpr34
                                        ; implicit-def: $vgpr35
	s_and_saveexec_b64 s[10:11], s[40:41]
	s_xor_b64 s[40:41], exec, s[10:11]
	s_cbranch_execz .LBB254_84
; %bb.83:                               ;   in Loop: Header=BB254_4 Depth=1
	v_and_b32_e32 v1, 0x7fffff, v31
	v_or_b32_e32 v41, 0x800000, v1
	v_mad_u64_u32 v[34:35], s[10:11], v41, s51, 0
	v_mov_b32_e32 v1, v35
	v_mad_u64_u32 v[35:36], s[10:11], v41, s52, v[1:2]
	v_mov_b32_e32 v1, v36
	;; [unrolled: 2-line block ×3, first 2 shown]
	v_mad_u64_u32 v[37:38], s[10:11], v41, s54, v[1:2]
	v_lshrrev_b32_e32 v1, 23, v31
	v_add_u32_e32 v40, 0xffffff88, v1
	v_mov_b32_e32 v1, v38
	v_mad_u64_u32 v[38:39], s[10:11], v41, s55, v[1:2]
	v_cmp_lt_u32_e32 vcc, 63, v40
	v_cndmask_b32_e32 v1, 0, v26, vcc
	v_add_u32_e32 v42, v1, v40
	v_mov_b32_e32 v1, v39
	v_mad_u64_u32 v[39:40], s[10:11], v41, s56, v[1:2]
	v_cmp_lt_u32_e64 s[10:11], 31, v42
	v_cndmask_b32_e64 v1, 0, v27, s[10:11]
	v_add_u32_e32 v42, v1, v42
	v_mov_b32_e32 v1, v40
	v_mad_u64_u32 v[40:41], s[12:13], v41, s57, v[1:2]
	v_cmp_lt_u32_e64 s[12:13], 31, v42
	v_cndmask_b32_e64 v1, 0, v27, s[12:13]
	v_add_u32_e32 v1, v1, v42
	v_cndmask_b32_e32 v42, v39, v37, vcc
	v_cndmask_b32_e32 v40, v40, v38, vcc
	;; [unrolled: 1-line block ×4, first 2 shown]
	v_cndmask_b32_e64 v41, v40, v42, s[10:11]
	v_cndmask_b32_e64 v39, v39, v40, s[10:11]
	;; [unrolled: 1-line block ×3, first 2 shown]
	v_cndmask_b32_e32 v35, v37, v35, vcc
	v_cndmask_b32_e64 v39, v39, v41, s[12:13]
	v_cndmask_b32_e64 v41, v41, v40, s[12:13]
	v_sub_u32_e32 v42, 32, v1
	v_cndmask_b32_e64 v37, v38, v35, s[10:11]
	v_alignbit_b32 v43, v39, v41, v42
	v_cmp_eq_u32_e64 s[14:15], 0, v1
	v_cndmask_b32_e64 v38, v40, v37, s[12:13]
	v_cndmask_b32_e64 v1, v43, v39, s[14:15]
	v_alignbit_b32 v39, v41, v38, v42
	v_cndmask_b32_e32 v34, v36, v34, vcc
	v_cndmask_b32_e64 v39, v39, v41, s[14:15]
	v_bfe_u32 v43, v1, 29, 1
	v_cndmask_b32_e64 v34, v35, v34, s[10:11]
	v_alignbit_b32 v40, v1, v39, 30
	v_sub_u32_e32 v44, 0, v43
	v_cndmask_b32_e64 v34, v37, v34, s[12:13]
	v_xor_b32_e32 v40, v40, v44
	v_alignbit_b32 v35, v38, v34, v42
	v_cndmask_b32_e64 v35, v35, v38, s[14:15]
	v_ffbh_u32_e32 v37, v40
	v_alignbit_b32 v36, v39, v35, 30
	v_min_u32_e32 v37, 32, v37
	v_alignbit_b32 v34, v35, v34, 30
	v_xor_b32_e32 v36, v36, v44
	v_sub_u32_e32 v38, 31, v37
	v_xor_b32_e32 v34, v34, v44
	v_alignbit_b32 v39, v40, v36, v38
	v_alignbit_b32 v34, v36, v34, v38
	;; [unrolled: 1-line block ×3, first 2 shown]
	v_ffbh_u32_e32 v36, v35
	v_min_u32_e32 v36, 32, v36
	v_lshrrev_b32_e32 v41, 29, v1
	v_not_b32_e32 v38, v36
	v_alignbit_b32 v34, v35, v34, v38
	v_lshlrev_b32_e32 v35, 31, v41
	v_or_b32_e32 v38, 0x33000000, v35
	v_add_lshl_u32 v36, v36, v37, 23
	v_lshrrev_b32_e32 v34, 9, v34
	v_sub_u32_e32 v36, v38, v36
	v_or_b32_e32 v35, 0.5, v35
	v_lshlrev_b32_e32 v37, 23, v37
	v_or_b32_e32 v34, v36, v34
	v_lshrrev_b32_e32 v36, 9, v39
	v_sub_u32_e32 v35, v35, v37
	v_or_b32_e32 v35, v36, v35
	v_mul_f32_e32 v36, 0x3fc90fda, v35
	v_fma_f32 v37, v35, s58, -v36
	v_fmac_f32_e32 v37, 0x33a22168, v35
	v_fmac_f32_e32 v37, 0x3fc90fda, v34
	v_lshrrev_b32_e32 v1, 30, v1
	v_add_f32_e32 v35, v36, v37
	v_add_u32_e32 v34, v43, v1
	s_andn2_saveexec_b64 s[10:11], s[40:41]
	s_cbranch_execnz .LBB254_85
	s_branch .LBB254_86
.LBB254_84:                             ;   in Loop: Header=BB254_4 Depth=1
	s_andn2_saveexec_b64 s[10:11], s[40:41]
.LBB254_85:                             ;   in Loop: Header=BB254_4 Depth=1
	v_mul_f32_e64 v1, |v13|, s59
	v_rndne_f32_e32 v1, v1
	v_cvt_i32_f32_e32 v34, v1
	v_fma_f32 v35, v1, s60, |v13|
	v_fmac_f32_e32 v35, 0xb3a22168, v1
	v_fmac_f32_e32 v35, 0xa7c234c4, v1
.LBB254_86:                             ;   in Loop: Header=BB254_4 Depth=1
	s_or_b64 exec, exec, s[10:11]
	v_mul_f32_e32 v36, v32, v32
	v_mov_b32_e32 v37, 0xbab64f3b
	v_fmac_f32_e32 v37, 0x37d75334, v36
	v_mov_b32_e32 v38, 0x3c0881c4
	v_fma_f32 v37, v36, v37, v24
	v_fmac_f32_e32 v38, 0xb94c1982, v36
	v_fma_f32 v37, v36, v37, v25
	v_fma_f32 v38, v36, v38, v23
	v_lshlrev_b32_e32 v1, 30, v33
	v_and_b32_e32 v33, 1, v33
	v_fma_f32 v37, v36, v37, 1.0
	v_mul_f32_e32 v36, v36, v38
	v_sub_f32_e32 v12, 0xc322e3bc, v12
	v_fmac_f32_e32 v32, v32, v36
	v_cmp_eq_u32_e32 vcc, 0, v33
	v_mul_f32_e32 v33, 0x3fb8aa3b, v12
	v_cndmask_b32_e64 v32, -v32, v37, vcc
	v_fma_f32 v36, v12, s65, -v33
	v_rndne_f32_e32 v37, v33
	v_fmac_f32_e32 v36, 0x32a5705f, v12
	v_sub_f32_e32 v33, v33, v37
	v_add_f32_e32 v33, v33, v36
	v_exp_f32_e32 v33, v33
	v_cvt_i32_f32_e32 v36, v37
	v_cmp_class_f32_e64 vcc, v13, s64
	v_cmp_ngt_f32_e64 s[10:11], s66, v12
	v_and_b32_e32 v1, 0x80000000, v1
	v_ldexp_f32 v13, v33, v36
	v_cndmask_b32_e64 v13, 0, v13, s[10:11]
	v_cmp_nlt_f32_e64 s[10:11], s67, v12
	v_cndmask_b32_e64 v12, v28, v13, s[10:11]
	v_and_b32_e32 v13, 0x7fffff, v12
	v_lshrrev_b32_e32 v12, 23, v12
	v_subrev_u32_e32 v12, 19, v12
	v_xor_b32_e32 v1, v1, v32
	v_lshrrev_b16_e32 v32, 15, v12
	v_add_u16_e32 v32, v12, v32
	v_ashrrev_i16_e32 v32, 1, v32
	v_bfe_i32 v32, v32, 0, 16
	v_lshl_add_u32 v33, v32, 23, 1.0
	v_sub_u32_e32 v12, v12, v32
	v_mul_f32_e32 v32, v35, v35
	v_mov_b32_e32 v36, 0x3c0881c4
	v_fmac_f32_e32 v36, 0xb94c1982, v32
	v_fma_f32 v36, v32, v36, v23
	v_mul_f32_e32 v36, v32, v36
	v_fmac_f32_e32 v35, v35, v36
	v_mov_b32_e32 v36, 0xbab64f3b
	v_fmac_f32_e32 v36, 0x37d75334, v32
	v_fma_f32 v36, v32, v36, v24
	v_fma_f32 v36, v32, v36, v25
	v_fma_f32 v32, v32, v36, 1.0
	v_and_b32_e32 v36, 1, v34
	v_cmp_eq_u32_e64 s[10:11], 0, v36
	v_lshlrev_b32_e32 v34, 30, v34
	v_cndmask_b32_e64 v32, v32, v35, s[10:11]
	v_and_or_b32 v31, v34, s47, v31
	v_xor_b32_e32 v31, v31, v32
	v_xor_b32_e32 v30, v31, v30
	v_cndmask_b32_e32 v1, v29, v1, vcc
	v_or_b32_e32 v13, 0x7f000000, v13
	v_cndmask_b32_e32 v30, v29, v30, vcc
	v_mul_f32_e32 v1, v1, v13
	v_mul_f32_e32 v13, v30, v13
	;; [unrolled: 1-line block ×3, first 2 shown]
	v_lshl_add_u32 v12, v12, 23, 1.0
	v_mul_f32_e32 v13, v13, v33
	v_mul_f32_e32 v1, v1, v12
	;; [unrolled: 1-line block ×3, first 2 shown]
.LBB254_87:                             ;   in Loop: Header=BB254_4 Depth=1
	s_or_b64 exec, exec, s[38:39]
                                        ; implicit-def: $vgpr32
                                        ; implicit-def: $vgpr12
                                        ; implicit-def: $vgpr33
.LBB254_88:                             ;   in Loop: Header=BB254_4 Depth=1
	s_andn2_saveexec_b64 s[10:11], s[36:37]
	s_cbranch_execz .LBB254_94
; %bb.89:                               ;   in Loop: Header=BB254_4 Depth=1
	v_cmp_ne_u32_e32 vcc, s48, v33
	v_sub_f32_e32 v30, v13, v13
	s_and_saveexec_b64 s[12:13], vcc
	s_xor_b64 s[12:13], exec, s[12:13]
; %bb.90:                               ;   in Loop: Header=BB254_4 Depth=1
                                        ; implicit-def: $vgpr32
                                        ; implicit-def: $vgpr12
; %bb.91:                               ;   in Loop: Header=BB254_4 Depth=1
	s_or_saveexec_b64 s[12:13], s[12:13]
	v_mov_b32_e32 v1, v30
	s_xor_b64 exec, exec, s[12:13]
; %bb.92:                               ;   in Loop: Header=BB254_4 Depth=1
	v_cmp_lt_i32_e32 vcc, -1, v32
	v_cndmask_b32_e64 v1, 0, -v12, vcc
	v_cndmask_b32_e32 v30, 0, v30, vcc
; %bb.93:                               ;   in Loop: Header=BB254_4 Depth=1
	s_or_b64 exec, exec, s[12:13]
.LBB254_94:                             ;   in Loop: Header=BB254_4 Depth=1
	s_or_b64 exec, exec, s[10:11]
                                        ; implicit-def: $vgpr13
                                        ; implicit-def: $vgpr31
.LBB254_95:                             ;   in Loop: Header=BB254_4 Depth=1
	s_andn2_saveexec_b64 s[34:35], s[34:35]
	s_cbranch_execz .LBB254_105
; %bb.96:                               ;   in Loop: Header=BB254_4 Depth=1
	v_lshrrev_b32_e32 v1, 23, v31
	v_and_b32_e32 v12, 0x7fffff, v31
	v_cmp_nlt_f32_e64 s[36:37], |v13|, s50
	v_add_u32_e32 v34, 0xffffff88, v1
	v_or_b32_e32 v12, 0x800000, v12
                                        ; implicit-def: $vgpr32
                                        ; implicit-def: $vgpr33
	s_and_saveexec_b64 s[10:11], s[36:37]
	s_xor_b64 s[38:39], exec, s[10:11]
	s_cbranch_execz .LBB254_98
; %bb.97:                               ;   in Loop: Header=BB254_4 Depth=1
	v_mad_u64_u32 v[32:33], s[10:11], v12, s51, 0
	v_cmp_lt_u32_e32 vcc, 63, v34
	v_mov_b32_e32 v1, v33
	v_mad_u64_u32 v[35:36], s[10:11], v12, s52, v[1:2]
	v_mov_b32_e32 v1, v36
	v_mad_u64_u32 v[36:37], s[10:11], v12, s53, v[1:2]
	;; [unrolled: 2-line block ×3, first 2 shown]
	v_cndmask_b32_e32 v1, 0, v26, vcc
	v_add_u32_e32 v33, v1, v34
	v_mov_b32_e32 v1, v38
	v_mad_u64_u32 v[38:39], s[10:11], v12, s55, v[1:2]
	v_cmp_lt_u32_e64 s[10:11], 31, v33
	v_cndmask_b32_e64 v1, 0, v27, s[10:11]
	v_add_u32_e32 v33, v1, v33
	v_mov_b32_e32 v1, v39
	v_mad_u64_u32 v[39:40], s[12:13], v12, s56, v[1:2]
	v_cmp_lt_u32_e64 s[12:13], 31, v33
	v_cndmask_b32_e64 v1, 0, v27, s[12:13]
	v_add_u32_e32 v33, v1, v33
	v_mov_b32_e32 v1, v40
	v_mad_u64_u32 v[40:41], s[14:15], v12, s57, v[1:2]
	v_cndmask_b32_e32 v1, v38, v36, vcc
	v_cndmask_b32_e32 v42, v39, v37, vcc
	;; [unrolled: 1-line block ×4, first 2 shown]
	v_cndmask_b32_e64 v43, v42, v1, s[10:11]
	v_cndmask_b32_e64 v40, v38, v42, s[10:11]
	;; [unrolled: 1-line block ×5, first 2 shown]
	v_sub_u32_e32 v40, 32, v33
	v_cmp_eq_u32_e64 s[14:15], 0, v33
	v_cndmask_b32_e32 v33, v37, v35, vcc
	v_cndmask_b32_e64 v1, v1, v33, s[10:11]
	v_alignbit_b32 v41, v38, v39, v40
	v_cndmask_b32_e64 v35, v43, v1, s[12:13]
	v_cndmask_b32_e64 v38, v41, v38, s[14:15]
	v_alignbit_b32 v37, v39, v35, v40
	v_cndmask_b32_e32 v32, v36, v32, vcc
	v_cndmask_b32_e64 v37, v37, v39, s[14:15]
	v_bfe_u32 v42, v38, 29, 1
	v_cndmask_b32_e64 v32, v33, v32, s[10:11]
	v_alignbit_b32 v39, v38, v37, 30
	v_sub_u32_e32 v43, 0, v42
	v_cndmask_b32_e64 v1, v1, v32, s[12:13]
	v_xor_b32_e32 v39, v39, v43
	v_alignbit_b32 v32, v35, v1, v40
	v_cndmask_b32_e64 v32, v32, v35, s[14:15]
	v_ffbh_u32_e32 v35, v39
	v_alignbit_b32 v33, v37, v32, 30
	v_min_u32_e32 v35, 32, v35
	v_alignbit_b32 v1, v32, v1, 30
	v_xor_b32_e32 v33, v33, v43
	v_sub_u32_e32 v36, 31, v35
	v_xor_b32_e32 v1, v1, v43
	v_alignbit_b32 v37, v39, v33, v36
	v_alignbit_b32 v1, v33, v1, v36
	;; [unrolled: 1-line block ×3, first 2 shown]
	v_ffbh_u32_e32 v33, v32
	v_min_u32_e32 v33, 32, v33
	v_lshrrev_b32_e32 v41, 29, v38
	v_not_b32_e32 v36, v33
	v_alignbit_b32 v1, v32, v1, v36
	v_lshlrev_b32_e32 v32, 31, v41
	v_or_b32_e32 v36, 0x33000000, v32
	v_add_lshl_u32 v33, v33, v35, 23
	v_lshrrev_b32_e32 v1, 9, v1
	v_sub_u32_e32 v33, v36, v33
	v_or_b32_e32 v32, 0.5, v32
	v_lshlrev_b32_e32 v35, 23, v35
	v_or_b32_e32 v1, v33, v1
	v_lshrrev_b32_e32 v33, 9, v37
	v_sub_u32_e32 v32, v32, v35
	v_or_b32_e32 v32, v33, v32
	v_mul_f32_e32 v33, 0x3fc90fda, v32
	v_fma_f32 v35, v32, s58, -v33
	v_fmac_f32_e32 v35, 0x33a22168, v32
	v_fmac_f32_e32 v35, 0x3fc90fda, v1
	v_lshrrev_b32_e32 v1, 30, v38
	v_add_f32_e32 v33, v33, v35
	v_add_u32_e32 v32, v42, v1
.LBB254_98:                             ;   in Loop: Header=BB254_4 Depth=1
	s_or_saveexec_b64 s[10:11], s[38:39]
	v_mul_f32_e64 v1, |v13|, s59
	v_rndne_f32_e32 v1, v1
	s_xor_b64 exec, exec, s[10:11]
; %bb.99:                               ;   in Loop: Header=BB254_4 Depth=1
	v_cvt_i32_f32_e32 v32, v1
	v_fma_f32 v33, v1, s60, |v13|
	v_fmac_f32_e32 v33, 0xb3a22168, v1
	v_fmac_f32_e32 v33, 0xa7c234c4, v1
; %bb.100:                              ;   in Loop: Header=BB254_4 Depth=1
	s_or_b64 exec, exec, s[10:11]
                                        ; implicit-def: $vgpr35
                                        ; implicit-def: $vgpr36
	s_and_saveexec_b64 s[10:11], s[36:37]
	s_xor_b64 s[36:37], exec, s[10:11]
	s_cbranch_execz .LBB254_102
; %bb.101:                              ;   in Loop: Header=BB254_4 Depth=1
	v_mad_u64_u32 v[35:36], s[10:11], v12, s51, 0
	v_cmp_lt_u32_e32 vcc, 63, v34
	v_mov_b32_e32 v1, v36
	v_mad_u64_u32 v[36:37], s[10:11], v12, s52, v[1:2]
	v_mov_b32_e32 v1, v37
	v_mad_u64_u32 v[37:38], s[10:11], v12, s53, v[1:2]
	;; [unrolled: 2-line block ×3, first 2 shown]
	v_cndmask_b32_e32 v1, 0, v26, vcc
	v_add_u32_e32 v34, v1, v34
	v_mov_b32_e32 v1, v39
	v_mad_u64_u32 v[39:40], s[10:11], v12, s55, v[1:2]
	v_cmp_lt_u32_e64 s[10:11], 31, v34
	v_cndmask_b32_e64 v1, 0, v27, s[10:11]
	v_add_u32_e32 v34, v1, v34
	v_mov_b32_e32 v1, v40
	v_mad_u64_u32 v[40:41], s[12:13], v12, s56, v[1:2]
	v_cmp_lt_u32_e64 s[12:13], 31, v34
	v_cndmask_b32_e64 v1, 0, v27, s[12:13]
	v_add_u32_e32 v34, v1, v34
	v_mov_b32_e32 v1, v41
	v_mad_u64_u32 v[41:42], s[14:15], v12, s57, v[1:2]
	v_cndmask_b32_e32 v1, v39, v37, vcc
	v_cndmask_b32_e32 v12, v40, v38, vcc
	;; [unrolled: 1-line block ×4, first 2 shown]
	v_cndmask_b32_e64 v43, v12, v1, s[10:11]
	v_cndmask_b32_e64 v12, v39, v12, s[10:11]
	;; [unrolled: 1-line block ×3, first 2 shown]
	v_cndmask_b32_e32 v36, v38, v36, vcc
	v_cndmask_b32_e64 v39, v39, v12, s[12:13]
	v_cndmask_b32_e64 v12, v12, v43, s[12:13]
	v_sub_u32_e32 v40, 32, v34
	v_cndmask_b32_e64 v1, v1, v36, s[10:11]
	v_alignbit_b32 v41, v39, v12, v40
	v_cmp_eq_u32_e64 s[14:15], 0, v34
	v_cndmask_b32_e64 v38, v43, v1, s[12:13]
	v_cndmask_b32_e64 v34, v41, v39, s[14:15]
	v_alignbit_b32 v39, v12, v38, v40
	v_cndmask_b32_e32 v35, v37, v35, vcc
	v_cndmask_b32_e64 v12, v39, v12, s[14:15]
	v_bfe_u32 v42, v34, 29, 1
	v_cndmask_b32_e64 v35, v36, v35, s[10:11]
	v_alignbit_b32 v39, v34, v12, 30
	v_sub_u32_e32 v43, 0, v42
	v_cndmask_b32_e64 v1, v1, v35, s[12:13]
	v_xor_b32_e32 v39, v39, v43
	v_alignbit_b32 v35, v38, v1, v40
	v_cndmask_b32_e64 v35, v35, v38, s[14:15]
	v_ffbh_u32_e32 v36, v39
	v_alignbit_b32 v12, v12, v35, 30
	v_min_u32_e32 v36, 32, v36
	v_alignbit_b32 v1, v35, v1, 30
	v_xor_b32_e32 v12, v12, v43
	v_sub_u32_e32 v37, 31, v36
	v_xor_b32_e32 v1, v1, v43
	v_alignbit_b32 v38, v39, v12, v37
	v_alignbit_b32 v1, v12, v1, v37
	;; [unrolled: 1-line block ×3, first 2 shown]
	v_ffbh_u32_e32 v35, v12
	v_min_u32_e32 v35, 32, v35
	v_lshrrev_b32_e32 v41, 29, v34
	v_not_b32_e32 v37, v35
	v_alignbit_b32 v1, v12, v1, v37
	v_lshlrev_b32_e32 v12, 31, v41
	v_or_b32_e32 v37, 0x33000000, v12
	v_add_lshl_u32 v35, v35, v36, 23
	v_lshrrev_b32_e32 v1, 9, v1
	v_sub_u32_e32 v35, v37, v35
	v_or_b32_e32 v12, 0.5, v12
	v_lshlrev_b32_e32 v36, 23, v36
	v_or_b32_e32 v1, v35, v1
	v_lshrrev_b32_e32 v35, 9, v38
	v_sub_u32_e32 v12, v12, v36
	v_or_b32_e32 v12, v35, v12
	v_mul_f32_e32 v35, 0x3fc90fda, v12
	v_fma_f32 v36, v12, s58, -v35
	v_fmac_f32_e32 v36, 0x33a22168, v12
	v_fmac_f32_e32 v36, 0x3fc90fda, v1
	v_lshrrev_b32_e32 v1, 30, v34
	v_add_f32_e32 v36, v35, v36
	v_add_u32_e32 v35, v42, v1
                                        ; implicit-def: $vgpr1
	s_andn2_saveexec_b64 s[10:11], s[36:37]
	s_cbranch_execnz .LBB254_103
	s_branch .LBB254_104
.LBB254_102:                            ;   in Loop: Header=BB254_4 Depth=1
	s_andn2_saveexec_b64 s[10:11], s[36:37]
.LBB254_103:                            ;   in Loop: Header=BB254_4 Depth=1
	v_cvt_i32_f32_e32 v35, v1
	v_fma_f32 v36, v1, s60, |v13|
	v_fmac_f32_e32 v36, 0xb3a22168, v1
	v_fmac_f32_e32 v36, 0xa7c234c4, v1
.LBB254_104:                            ;   in Loop: Header=BB254_4 Depth=1
	s_or_b64 exec, exec, s[10:11]
	v_mul_f32_e32 v1, v33, v33
	v_mov_b32_e32 v12, 0x3c0881c4
	v_fmac_f32_e32 v12, 0xb94c1982, v1
	v_fma_f32 v12, v1, v12, v23
	v_mul_f32_e32 v12, v1, v12
	v_fmac_f32_e32 v33, v33, v12
	v_mov_b32_e32 v12, 0xbab64f3b
	v_fmac_f32_e32 v12, 0x37d75334, v1
	v_fma_f32 v12, v1, v12, v24
	v_fma_f32 v12, v1, v12, v25
	v_fma_f32 v1, v1, v12, 1.0
	v_and_b32_e32 v12, 1, v32
	v_cmp_eq_u32_e32 vcc, 0, v12
	v_lshlrev_b32_e32 v12, 30, v32
	v_cndmask_b32_e64 v1, -v33, v1, vcc
	v_and_b32_e32 v12, 0x80000000, v12
	v_xor_b32_e32 v1, v12, v1
	v_cmp_class_f32_e64 vcc, v13, s64
	v_mul_f32_e32 v12, v36, v36
	v_mov_b32_e32 v13, 0x3c0881c4
	v_fmac_f32_e32 v13, 0xb94c1982, v12
	v_fma_f32 v13, v12, v13, v23
	v_mul_f32_e32 v13, v12, v13
	v_fmac_f32_e32 v36, v36, v13
	v_mov_b32_e32 v13, 0xbab64f3b
	v_fmac_f32_e32 v13, 0x37d75334, v12
	v_fma_f32 v13, v12, v13, v24
	v_fma_f32 v13, v12, v13, v25
	v_fma_f32 v12, v12, v13, 1.0
	v_and_b32_e32 v13, 1, v35
	v_cmp_eq_u32_e64 s[10:11], 0, v13
	v_lshlrev_b32_e32 v13, 30, v35
	v_cndmask_b32_e64 v12, v12, v36, s[10:11]
	v_and_or_b32 v13, v13, s47, v31
	v_xor_b32_e32 v12, v13, v12
	v_xor_b32_e32 v12, v12, v30
	v_cndmask_b32_e32 v1, v29, v1, vcc
	v_cndmask_b32_e32 v30, v29, v12, vcc
.LBB254_105:                            ;   in Loop: Header=BB254_4 Depth=1
	s_or_b64 exec, exec, s[34:35]
                                        ; implicit-def: $vgpr12
.LBB254_106:                            ;   in Loop: Header=BB254_4 Depth=1
	s_andn2_saveexec_b64 s[10:11], s[30:31]
	s_cbranch_execz .LBB254_108
; %bb.107:                              ;   in Loop: Header=BB254_4 Depth=1
	v_mul_f32_e32 v1, 0xbfb8aa3b, v12
	v_rndne_f32_e32 v13, v1
	v_sub_f32_e32 v31, v1, v13
	v_fma_f32 v1, v12, s61, -v1
	v_fmac_f32_e32 v1, 0xb2a5705f, v12
	v_add_f32_e32 v1, v31, v1
	v_cvt_i32_f32_e32 v13, v13
	v_exp_f32_e32 v1, v1
	v_cmp_nlt_f32_e32 vcc, s62, v12
	v_ldexp_f32 v1, v1, v13
	v_cndmask_b32_e32 v1, 0, v1, vcc
	v_cmp_ngt_f32_e32 vcc, s63, v12
	v_cndmask_b32_e32 v1, v28, v1, vcc
.LBB254_108:                            ;   in Loop: Header=BB254_4 Depth=1
	s_or_b64 exec, exec, s[10:11]
	v_add_f32_e32 v31, s16, v1
	v_add_f32_e32 v1, s17, v30
	v_cmp_gt_f32_e32 vcc, 0, v31
	v_cndmask_b32_e64 v30, v31, -v31, vcc
	v_cmp_gt_f32_e32 vcc, 0, v1
	v_cndmask_b32_e64 v32, v1, -v1, vcc
	v_cmp_ge_f32_e32 vcc, v30, v32
                                        ; implicit-def: $vgpr13
	s_and_saveexec_b64 s[10:11], vcc
	s_xor_b64 s[12:13], exec, s[10:11]
	s_cbranch_execz .LBB254_114
; %bb.109:                              ;   in Loop: Header=BB254_4 Depth=1
	v_cmp_neq_f32_e32 vcc, 0, v31
	v_cmp_neq_f32_e64 s[10:11], 0, v1
	s_or_b64 s[10:11], vcc, s[10:11]
                                        ; implicit-def: $vgpr13
	s_and_saveexec_b64 s[14:15], s[10:11]
	s_xor_b64 s[10:11], exec, s[14:15]
	s_cbranch_execz .LBB254_111
; %bb.110:                              ;   in Loop: Header=BB254_4 Depth=1
	v_div_scale_f32 v12, s[14:15], v31, v31, v1
	v_div_scale_f32 v13, vcc, v1, v31, v1
	v_rcp_f32_e32 v30, v12
	v_fma_f32 v32, -v12, v30, 1.0
	v_fmac_f32_e32 v30, v32, v30
	v_mul_f32_e32 v32, v13, v30
	v_fma_f32 v33, -v12, v32, v13
	v_fmac_f32_e32 v32, v33, v30
	v_fma_f32 v12, -v12, v32, v13
	v_div_fmas_f32 v12, v12, v30, v32
	v_div_fixup_f32 v12, v12, v31, v1
	v_fmac_f32_e32 v31, v1, v12
	v_div_scale_f32 v1, s[14:15], v31, v31, 1.0
	v_div_scale_f32 v13, vcc, 1.0, v31, 1.0
	v_rcp_f32_e32 v30, v1
	v_fma_f32 v32, -v1, v30, 1.0
	v_fmac_f32_e32 v30, v32, v30
	v_mul_f32_e32 v32, v13, v30
	v_fma_f32 v33, -v1, v32, v13
	v_fmac_f32_e32 v32, v33, v30
	v_fma_f32 v1, -v1, v32, v13
	v_div_fmas_f32 v1, v1, v30, v32
	v_mov_b32_e32 v13, s16
	v_mov_b32_e32 v30, s17
	v_fma_f32 v13, s17, v12, v13
	v_fma_f32 v30, -v12, s16, v30
                                        ; implicit-def: $vgpr32
	v_div_fixup_f32 v1, v1, v31, 1.0
	v_mul_f32_e32 v12, v13, v1
	v_mul_f32_e32 v13, v30, v1
                                        ; implicit-def: $vgpr30
.LBB254_111:                            ;   in Loop: Header=BB254_4 Depth=1
	s_andn2_saveexec_b64 s[14:15], s[10:11]
	s_cbranch_execz .LBB254_113
; %bb.112:                              ;   in Loop: Header=BB254_4 Depth=1
	v_div_scale_f32 v1, s[10:11], v30, v30, s16
	v_div_scale_f32 v12, s[10:11], v32, v32, s17
	v_div_scale_f32 v13, vcc, s16, v30, s16
	v_div_scale_f32 v31, s[10:11], s17, v32, s17
	v_rcp_f32_e32 v33, v1
	v_rcp_f32_e32 v34, v12
	v_fma_f32 v35, -v1, v33, 1.0
	v_fmac_f32_e32 v33, v35, v33
	v_fma_f32 v36, -v12, v34, 1.0
	v_fmac_f32_e32 v34, v36, v34
	v_mul_f32_e32 v35, v13, v33
	v_mul_f32_e32 v36, v31, v34
	v_fma_f32 v37, -v1, v35, v13
	v_fma_f32 v38, -v12, v36, v31
	v_fmac_f32_e32 v35, v37, v33
	v_fmac_f32_e32 v36, v38, v34
	v_fma_f32 v1, -v1, v35, v13
	v_fma_f32 v12, -v12, v36, v31
	v_div_fmas_f32 v1, v1, v33, v35
	s_mov_b64 vcc, s[10:11]
	v_div_fmas_f32 v13, v12, v34, v36
	v_div_fixup_f32 v12, v1, v30, s16
	v_div_fixup_f32 v13, v13, v32, s17
.LBB254_113:                            ;   in Loop: Header=BB254_4 Depth=1
	s_or_b64 exec, exec, s[14:15]
                                        ; implicit-def: $vgpr1
                                        ; implicit-def: $vgpr31
.LBB254_114:                            ;   in Loop: Header=BB254_4 Depth=1
	s_andn2_saveexec_b64 s[10:11], s[12:13]
	s_cbranch_execz .LBB254_116
; %bb.115:                              ;   in Loop: Header=BB254_4 Depth=1
	v_div_scale_f32 v12, s[12:13], v1, v1, v31
	v_div_scale_f32 v13, vcc, v31, v1, v31
	v_rcp_f32_e32 v30, v12
	v_fma_f32 v32, -v12, v30, 1.0
	v_fmac_f32_e32 v30, v32, v30
	v_mul_f32_e32 v32, v13, v30
	v_fma_f32 v33, -v12, v32, v13
	v_fmac_f32_e32 v32, v33, v30
	v_fma_f32 v12, -v12, v32, v13
	v_div_fmas_f32 v12, v12, v30, v32
	v_div_fixup_f32 v12, v12, v1, v31
	v_fmac_f32_e32 v1, v31, v12
	v_div_scale_f32 v13, s[12:13], v1, v1, 1.0
	v_div_scale_f32 v30, vcc, 1.0, v1, 1.0
	v_rcp_f32_e32 v31, v13
	v_fma_f32 v32, -v13, v31, 1.0
	v_fmac_f32_e32 v31, v32, v31
	v_mul_f32_e32 v32, v30, v31
	v_fma_f32 v33, -v13, v32, v30
	v_fmac_f32_e32 v32, v33, v31
	v_fma_f32 v13, -v13, v32, v30
	v_div_fmas_f32 v13, v13, v31, v32
	v_mov_b32_e32 v30, s17
	v_mov_b32_e32 v31, s16
	v_fma_f32 v30, s16, v12, v30
	v_fma_f32 v31, v12, s17, -v31
	v_div_fixup_f32 v1, v13, v1, 1.0
	v_mul_f32_e32 v12, v30, v1
	v_mul_f32_e32 v13, v31, v1
.LBB254_116:                            ;   in Loop: Header=BB254_4 Depth=1
	s_or_b64 exec, exec, s[10:11]
	v_and_b32_e32 v31, 0x7fffffff, v11
	v_xor_b32_e32 v30, 0x80000000, v11
	v_cmp_ne_u32_e32 vcc, 0, v31
                                        ; implicit-def: $vgpr1
	s_and_saveexec_b64 s[10:11], vcc
	s_xor_b64 s[30:31], exec, s[10:11]
	s_cbranch_execz .LBB254_158
; %bb.117:                              ;   in Loop: Header=BB254_4 Depth=1
	v_and_b32_e32 v33, 0x7fffffff, v10
	v_cmp_ne_u32_e32 vcc, 0, v33
                                        ; implicit-def: $vgpr1
	s_and_saveexec_b64 s[10:11], vcc
	s_xor_b64 s[34:35], exec, s[10:11]
	s_cbranch_execz .LBB254_147
; %bb.118:                              ;   in Loop: Header=BB254_4 Depth=1
	v_xor_b32_e32 v32, 0x80000000, v10
	v_cmp_gt_u32_e32 vcc, s48, v31
                                        ; implicit-def: $vgpr1
	s_and_saveexec_b64 s[10:11], vcc
	s_xor_b64 s[36:37], exec, s[10:11]
	s_cbranch_execz .LBB254_140
; %bb.119:                              ;   in Loop: Header=BB254_4 Depth=1
	v_add_u32_e32 v1, 0xbd4e8de8, v32
	v_cmp_lt_u32_e32 vcc, s49, v1
                                        ; implicit-def: $vgpr1
	s_and_saveexec_b64 s[10:11], vcc
	s_xor_b64 s[38:39], exec, s[10:11]
	s_cbranch_execz .LBB254_129
; %bb.120:                              ;   in Loop: Header=BB254_4 Depth=1
	v_cmp_nlt_f32_e64 s[40:41], |v11|, s50
                                        ; implicit-def: $vgpr32
                                        ; implicit-def: $vgpr33
	s_and_saveexec_b64 s[10:11], s[40:41]
	s_xor_b64 s[42:43], exec, s[10:11]
	s_cbranch_execz .LBB254_122
; %bb.121:                              ;   in Loop: Header=BB254_4 Depth=1
	v_and_b32_e32 v1, 0x7fffff, v31
	v_or_b32_e32 v39, 0x800000, v1
	v_mad_u64_u32 v[32:33], s[10:11], v39, s51, 0
	v_mov_b32_e32 v1, v33
	v_mad_u64_u32 v[33:34], s[10:11], v39, s52, v[1:2]
	v_mov_b32_e32 v1, v34
	;; [unrolled: 2-line block ×3, first 2 shown]
	v_mad_u64_u32 v[35:36], s[10:11], v39, s54, v[1:2]
	v_lshrrev_b32_e32 v1, 23, v31
	v_add_u32_e32 v38, 0xffffff88, v1
	v_mov_b32_e32 v1, v36
	v_mad_u64_u32 v[36:37], s[10:11], v39, s55, v[1:2]
	v_cmp_lt_u32_e32 vcc, 63, v38
	v_cndmask_b32_e32 v1, 0, v26, vcc
	v_add_u32_e32 v40, v1, v38
	v_mov_b32_e32 v1, v37
	v_mad_u64_u32 v[37:38], s[10:11], v39, s56, v[1:2]
	v_cmp_lt_u32_e64 s[10:11], 31, v40
	v_cndmask_b32_e64 v1, 0, v27, s[10:11]
	v_add_u32_e32 v40, v1, v40
	v_mov_b32_e32 v1, v38
	v_mad_u64_u32 v[38:39], s[12:13], v39, s57, v[1:2]
	v_cmp_lt_u32_e64 s[12:13], 31, v40
	v_cndmask_b32_e64 v1, 0, v27, s[12:13]
	v_add_u32_e32 v1, v1, v40
	v_cndmask_b32_e32 v40, v37, v35, vcc
	v_cndmask_b32_e32 v38, v38, v36, vcc
	;; [unrolled: 1-line block ×4, first 2 shown]
	v_cndmask_b32_e64 v39, v38, v40, s[10:11]
	v_cndmask_b32_e64 v37, v37, v38, s[10:11]
	;; [unrolled: 1-line block ×3, first 2 shown]
	v_cndmask_b32_e32 v33, v35, v33, vcc
	v_cndmask_b32_e64 v37, v37, v39, s[12:13]
	v_cndmask_b32_e64 v39, v39, v38, s[12:13]
	v_sub_u32_e32 v40, 32, v1
	v_cndmask_b32_e64 v35, v36, v33, s[10:11]
	v_alignbit_b32 v41, v37, v39, v40
	v_cmp_eq_u32_e64 s[14:15], 0, v1
	v_cndmask_b32_e64 v36, v38, v35, s[12:13]
	v_cndmask_b32_e64 v1, v41, v37, s[14:15]
	v_alignbit_b32 v37, v39, v36, v40
	v_cndmask_b32_e32 v32, v34, v32, vcc
	v_cndmask_b32_e64 v37, v37, v39, s[14:15]
	v_bfe_u32 v41, v1, 29, 1
	v_cndmask_b32_e64 v32, v33, v32, s[10:11]
	v_alignbit_b32 v38, v1, v37, 30
	v_sub_u32_e32 v42, 0, v41
	v_cndmask_b32_e64 v32, v35, v32, s[12:13]
	v_xor_b32_e32 v38, v38, v42
	v_alignbit_b32 v33, v36, v32, v40
	v_cndmask_b32_e64 v33, v33, v36, s[14:15]
	v_ffbh_u32_e32 v35, v38
	v_alignbit_b32 v34, v37, v33, 30
	v_min_u32_e32 v35, 32, v35
	v_alignbit_b32 v32, v33, v32, 30
	v_xor_b32_e32 v34, v34, v42
	v_sub_u32_e32 v36, 31, v35
	v_xor_b32_e32 v32, v32, v42
	v_alignbit_b32 v37, v38, v34, v36
	v_alignbit_b32 v32, v34, v32, v36
	;; [unrolled: 1-line block ×3, first 2 shown]
	v_ffbh_u32_e32 v34, v33
	v_min_u32_e32 v34, 32, v34
	v_lshrrev_b32_e32 v39, 29, v1
	v_not_b32_e32 v36, v34
	v_alignbit_b32 v32, v33, v32, v36
	v_lshlrev_b32_e32 v33, 31, v39
	v_or_b32_e32 v36, 0x33000000, v33
	v_add_lshl_u32 v34, v34, v35, 23
	v_lshrrev_b32_e32 v32, 9, v32
	v_sub_u32_e32 v34, v36, v34
	v_or_b32_e32 v33, 0.5, v33
	v_lshlrev_b32_e32 v35, 23, v35
	v_or_b32_e32 v32, v34, v32
	v_lshrrev_b32_e32 v34, 9, v37
	v_sub_u32_e32 v33, v33, v35
	v_or_b32_e32 v33, v34, v33
	v_mul_f32_e32 v34, 0x3fc90fda, v33
	v_fma_f32 v35, v33, s58, -v34
	v_fmac_f32_e32 v35, 0x33a22168, v33
	v_fmac_f32_e32 v35, 0x3fc90fda, v32
	v_lshrrev_b32_e32 v1, 30, v1
	v_add_f32_e32 v33, v34, v35
	v_add_u32_e32 v32, v41, v1
	s_andn2_saveexec_b64 s[10:11], s[42:43]
	s_branch .LBB254_123
.LBB254_122:                            ;   in Loop: Header=BB254_4 Depth=1
	s_andn2_saveexec_b64 s[10:11], s[42:43]
.LBB254_123:                            ;   in Loop: Header=BB254_4 Depth=1
	v_mul_f32_e64 v1, |v11|, s59
	v_rndne_f32_e32 v1, v1
	v_cvt_i32_f32_e32 v32, v1
	v_fma_f32 v33, v1, s60, |v11|
	v_fmac_f32_e32 v33, 0xb3a22168, v1
	v_fmac_f32_e32 v33, 0xa7c234c4, v1
; %bb.124:                              ;   in Loop: Header=BB254_4 Depth=1
	s_or_b64 exec, exec, s[10:11]
                                        ; implicit-def: $vgpr34
                                        ; implicit-def: $vgpr35
	s_and_saveexec_b64 s[10:11], s[40:41]
	s_xor_b64 s[40:41], exec, s[10:11]
	s_cbranch_execz .LBB254_126
; %bb.125:                              ;   in Loop: Header=BB254_4 Depth=1
	v_and_b32_e32 v1, 0x7fffff, v31
	v_or_b32_e32 v41, 0x800000, v1
	v_mad_u64_u32 v[34:35], s[10:11], v41, s51, 0
	v_mov_b32_e32 v1, v35
	v_mad_u64_u32 v[35:36], s[10:11], v41, s52, v[1:2]
	v_mov_b32_e32 v1, v36
	;; [unrolled: 2-line block ×3, first 2 shown]
	v_mad_u64_u32 v[37:38], s[10:11], v41, s54, v[1:2]
	v_lshrrev_b32_e32 v1, 23, v31
	v_add_u32_e32 v40, 0xffffff88, v1
	v_mov_b32_e32 v1, v38
	v_mad_u64_u32 v[38:39], s[10:11], v41, s55, v[1:2]
	v_cmp_lt_u32_e32 vcc, 63, v40
	v_cndmask_b32_e32 v1, 0, v26, vcc
	v_add_u32_e32 v42, v1, v40
	v_mov_b32_e32 v1, v39
	v_mad_u64_u32 v[39:40], s[10:11], v41, s56, v[1:2]
	v_cmp_lt_u32_e64 s[10:11], 31, v42
	v_cndmask_b32_e64 v1, 0, v27, s[10:11]
	v_add_u32_e32 v42, v1, v42
	v_mov_b32_e32 v1, v40
	v_mad_u64_u32 v[40:41], s[12:13], v41, s57, v[1:2]
	v_cmp_lt_u32_e64 s[12:13], 31, v42
	v_cndmask_b32_e64 v1, 0, v27, s[12:13]
	v_add_u32_e32 v1, v1, v42
	v_cndmask_b32_e32 v42, v39, v37, vcc
	v_cndmask_b32_e32 v40, v40, v38, vcc
	;; [unrolled: 1-line block ×4, first 2 shown]
	v_cndmask_b32_e64 v41, v40, v42, s[10:11]
	v_cndmask_b32_e64 v39, v39, v40, s[10:11]
	;; [unrolled: 1-line block ×3, first 2 shown]
	v_cndmask_b32_e32 v35, v37, v35, vcc
	v_cndmask_b32_e64 v39, v39, v41, s[12:13]
	v_cndmask_b32_e64 v41, v41, v40, s[12:13]
	v_sub_u32_e32 v42, 32, v1
	v_cndmask_b32_e64 v37, v38, v35, s[10:11]
	v_alignbit_b32 v43, v39, v41, v42
	v_cmp_eq_u32_e64 s[14:15], 0, v1
	v_cndmask_b32_e64 v38, v40, v37, s[12:13]
	v_cndmask_b32_e64 v1, v43, v39, s[14:15]
	v_alignbit_b32 v39, v41, v38, v42
	v_cndmask_b32_e32 v34, v36, v34, vcc
	v_cndmask_b32_e64 v39, v39, v41, s[14:15]
	v_bfe_u32 v43, v1, 29, 1
	v_cndmask_b32_e64 v34, v35, v34, s[10:11]
	v_alignbit_b32 v40, v1, v39, 30
	v_sub_u32_e32 v44, 0, v43
	v_cndmask_b32_e64 v34, v37, v34, s[12:13]
	v_xor_b32_e32 v40, v40, v44
	v_alignbit_b32 v35, v38, v34, v42
	v_cndmask_b32_e64 v35, v35, v38, s[14:15]
	v_ffbh_u32_e32 v37, v40
	v_alignbit_b32 v36, v39, v35, 30
	v_min_u32_e32 v37, 32, v37
	v_alignbit_b32 v34, v35, v34, 30
	v_xor_b32_e32 v36, v36, v44
	v_sub_u32_e32 v38, 31, v37
	v_xor_b32_e32 v34, v34, v44
	v_alignbit_b32 v39, v40, v36, v38
	v_alignbit_b32 v34, v36, v34, v38
	;; [unrolled: 1-line block ×3, first 2 shown]
	v_ffbh_u32_e32 v36, v35
	v_min_u32_e32 v36, 32, v36
	v_lshrrev_b32_e32 v41, 29, v1
	v_not_b32_e32 v38, v36
	v_alignbit_b32 v34, v35, v34, v38
	v_lshlrev_b32_e32 v35, 31, v41
	v_or_b32_e32 v38, 0x33000000, v35
	v_add_lshl_u32 v36, v36, v37, 23
	v_lshrrev_b32_e32 v34, 9, v34
	v_sub_u32_e32 v36, v38, v36
	v_or_b32_e32 v35, 0.5, v35
	v_lshlrev_b32_e32 v37, 23, v37
	v_or_b32_e32 v34, v36, v34
	v_lshrrev_b32_e32 v36, 9, v39
	v_sub_u32_e32 v35, v35, v37
	v_or_b32_e32 v35, v36, v35
	v_mul_f32_e32 v36, 0x3fc90fda, v35
	v_fma_f32 v37, v35, s58, -v36
	v_fmac_f32_e32 v37, 0x33a22168, v35
	v_fmac_f32_e32 v37, 0x3fc90fda, v34
	v_lshrrev_b32_e32 v1, 30, v1
	v_add_f32_e32 v35, v36, v37
	v_add_u32_e32 v34, v43, v1
	s_andn2_saveexec_b64 s[10:11], s[40:41]
	s_cbranch_execnz .LBB254_127
	s_branch .LBB254_128
.LBB254_126:                            ;   in Loop: Header=BB254_4 Depth=1
	s_andn2_saveexec_b64 s[10:11], s[40:41]
.LBB254_127:                            ;   in Loop: Header=BB254_4 Depth=1
	v_mul_f32_e64 v1, |v11|, s59
	v_rndne_f32_e32 v1, v1
	v_cvt_i32_f32_e32 v34, v1
	v_fma_f32 v35, v1, s60, |v11|
	v_fmac_f32_e32 v35, 0xb3a22168, v1
	v_fmac_f32_e32 v35, 0xa7c234c4, v1
.LBB254_128:                            ;   in Loop: Header=BB254_4 Depth=1
	s_or_b64 exec, exec, s[10:11]
	v_mul_f32_e32 v1, 0xbfb8aa3b, v10
	v_rndne_f32_e32 v36, v1
	v_sub_f32_e32 v37, v1, v36
	v_fma_f32 v1, v10, s61, -v1
	v_fmac_f32_e32 v1, 0xb2a5705f, v10
	v_add_f32_e32 v1, v37, v1
	v_cvt_i32_f32_e32 v36, v36
	v_exp_f32_e32 v1, v1
	v_cmp_nlt_f32_e32 vcc, s62, v10
	v_ldexp_f32 v1, v1, v36
	v_cndmask_b32_e32 v1, 0, v1, vcc
	v_cmp_ngt_f32_e32 vcc, s63, v10
	v_cndmask_b32_e32 v10, v28, v1, vcc
	v_mul_f32_e32 v1, v33, v33
	v_mov_b32_e32 v36, 0x3c0881c4
	v_fmac_f32_e32 v36, 0xb94c1982, v1
	v_fma_f32 v36, v1, v36, v23
	v_mul_f32_e32 v36, v1, v36
	v_fmac_f32_e32 v33, v33, v36
	v_mov_b32_e32 v36, 0xbab64f3b
	v_fmac_f32_e32 v36, 0x37d75334, v1
	v_fma_f32 v36, v1, v36, v24
	v_fma_f32 v36, v1, v36, v25
	v_fma_f32 v1, v1, v36, 1.0
	v_and_b32_e32 v36, 1, v32
	v_cmp_eq_u32_e32 vcc, 0, v36
	v_lshlrev_b32_e32 v32, 30, v32
	v_cndmask_b32_e64 v1, -v33, v1, vcc
	v_and_b32_e32 v32, 0x80000000, v32
	v_xor_b32_e32 v1, v32, v1
	v_cmp_class_f32_e64 vcc, v11, s64
	v_mul_f32_e32 v11, v35, v35
	v_mov_b32_e32 v32, 0x3c0881c4
	v_fmac_f32_e32 v32, 0xb94c1982, v11
	v_fma_f32 v32, v11, v32, v23
	v_mul_f32_e32 v32, v11, v32
	v_fmac_f32_e32 v35, v35, v32
	v_mov_b32_e32 v32, 0xbab64f3b
	v_fmac_f32_e32 v32, 0x37d75334, v11
	v_fma_f32 v32, v11, v32, v24
	v_fma_f32 v32, v11, v32, v25
	v_fma_f32 v11, v11, v32, 1.0
	v_and_b32_e32 v32, 1, v34
	v_cmp_eq_u32_e64 s[10:11], 0, v32
	v_lshlrev_b32_e32 v32, 30, v34
	v_cndmask_b32_e64 v11, v11, v35, s[10:11]
	v_and_or_b32 v31, v32, s47, v31
	v_xor_b32_e32 v11, v31, v11
	v_xor_b32_e32 v11, v11, v30
	v_cndmask_b32_e32 v1, v29, v1, vcc
	v_cndmask_b32_e32 v11, v29, v11, vcc
	v_mul_f32_e32 v1, v10, v1
	v_mul_f32_e32 v30, v10, v11
                                        ; implicit-def: $vgpr11
                                        ; implicit-def: $vgpr31
.LBB254_129:                            ;   in Loop: Header=BB254_4 Depth=1
	s_andn2_saveexec_b64 s[38:39], s[38:39]
	s_cbranch_execz .LBB254_139
; %bb.130:                              ;   in Loop: Header=BB254_4 Depth=1
	v_cmp_nlt_f32_e64 s[40:41], |v11|, s50
                                        ; implicit-def: $vgpr33
                                        ; implicit-def: $vgpr32
	s_and_saveexec_b64 s[10:11], s[40:41]
	s_xor_b64 s[42:43], exec, s[10:11]
	s_cbranch_execz .LBB254_132
; %bb.131:                              ;   in Loop: Header=BB254_4 Depth=1
	v_and_b32_e32 v1, 0x7fffff, v31
	v_or_b32_e32 v39, 0x800000, v1
	v_mad_u64_u32 v[32:33], s[10:11], v39, s51, 0
	v_mov_b32_e32 v1, v33
	v_mad_u64_u32 v[33:34], s[10:11], v39, s52, v[1:2]
	v_mov_b32_e32 v1, v34
	;; [unrolled: 2-line block ×3, first 2 shown]
	v_mad_u64_u32 v[35:36], s[10:11], v39, s54, v[1:2]
	v_lshrrev_b32_e32 v1, 23, v31
	v_add_u32_e32 v38, 0xffffff88, v1
	v_mov_b32_e32 v1, v36
	v_mad_u64_u32 v[36:37], s[10:11], v39, s55, v[1:2]
	v_cmp_lt_u32_e32 vcc, 63, v38
	v_cndmask_b32_e32 v1, 0, v26, vcc
	v_add_u32_e32 v40, v1, v38
	v_mov_b32_e32 v1, v37
	v_mad_u64_u32 v[37:38], s[10:11], v39, s56, v[1:2]
	v_cmp_lt_u32_e64 s[10:11], 31, v40
	v_cndmask_b32_e64 v1, 0, v27, s[10:11]
	v_add_u32_e32 v40, v1, v40
	v_mov_b32_e32 v1, v38
	v_mad_u64_u32 v[38:39], s[12:13], v39, s57, v[1:2]
	v_cmp_lt_u32_e64 s[12:13], 31, v40
	v_cndmask_b32_e64 v1, 0, v27, s[12:13]
	v_add_u32_e32 v1, v1, v40
	v_cndmask_b32_e32 v40, v37, v35, vcc
	v_cndmask_b32_e32 v38, v38, v36, vcc
	;; [unrolled: 1-line block ×4, first 2 shown]
	v_cndmask_b32_e64 v39, v38, v40, s[10:11]
	v_cndmask_b32_e64 v37, v37, v38, s[10:11]
	v_cndmask_b32_e64 v38, v40, v36, s[10:11]
	v_cndmask_b32_e32 v33, v35, v33, vcc
	v_cndmask_b32_e64 v37, v37, v39, s[12:13]
	v_cndmask_b32_e64 v39, v39, v38, s[12:13]
	v_sub_u32_e32 v40, 32, v1
	v_cndmask_b32_e64 v35, v36, v33, s[10:11]
	v_alignbit_b32 v41, v37, v39, v40
	v_cmp_eq_u32_e64 s[14:15], 0, v1
	v_cndmask_b32_e64 v36, v38, v35, s[12:13]
	v_cndmask_b32_e64 v1, v41, v37, s[14:15]
	v_alignbit_b32 v37, v39, v36, v40
	v_cndmask_b32_e32 v32, v34, v32, vcc
	v_cndmask_b32_e64 v37, v37, v39, s[14:15]
	v_bfe_u32 v41, v1, 29, 1
	v_cndmask_b32_e64 v32, v33, v32, s[10:11]
	v_alignbit_b32 v38, v1, v37, 30
	v_sub_u32_e32 v42, 0, v41
	v_cndmask_b32_e64 v32, v35, v32, s[12:13]
	v_xor_b32_e32 v38, v38, v42
	v_alignbit_b32 v33, v36, v32, v40
	v_cndmask_b32_e64 v33, v33, v36, s[14:15]
	v_ffbh_u32_e32 v35, v38
	v_alignbit_b32 v34, v37, v33, 30
	v_min_u32_e32 v35, 32, v35
	v_alignbit_b32 v32, v33, v32, 30
	v_xor_b32_e32 v34, v34, v42
	v_sub_u32_e32 v36, 31, v35
	v_xor_b32_e32 v32, v32, v42
	v_alignbit_b32 v37, v38, v34, v36
	v_alignbit_b32 v32, v34, v32, v36
	;; [unrolled: 1-line block ×3, first 2 shown]
	v_ffbh_u32_e32 v34, v33
	v_min_u32_e32 v34, 32, v34
	v_lshrrev_b32_e32 v39, 29, v1
	v_not_b32_e32 v36, v34
	v_alignbit_b32 v32, v33, v32, v36
	v_lshlrev_b32_e32 v33, 31, v39
	v_or_b32_e32 v36, 0x33000000, v33
	v_add_lshl_u32 v34, v34, v35, 23
	v_lshrrev_b32_e32 v32, 9, v32
	v_sub_u32_e32 v34, v36, v34
	v_or_b32_e32 v33, 0.5, v33
	v_lshlrev_b32_e32 v35, 23, v35
	v_or_b32_e32 v32, v34, v32
	v_lshrrev_b32_e32 v34, 9, v37
	v_sub_u32_e32 v33, v33, v35
	v_or_b32_e32 v33, v34, v33
	v_mul_f32_e32 v34, 0x3fc90fda, v33
	v_fma_f32 v35, v33, s58, -v34
	v_fmac_f32_e32 v35, 0x33a22168, v33
	v_fmac_f32_e32 v35, 0x3fc90fda, v32
	v_lshrrev_b32_e32 v1, 30, v1
	v_add_f32_e32 v32, v34, v35
	v_add_u32_e32 v33, v41, v1
	s_andn2_saveexec_b64 s[10:11], s[42:43]
	s_branch .LBB254_133
.LBB254_132:                            ;   in Loop: Header=BB254_4 Depth=1
	s_andn2_saveexec_b64 s[10:11], s[42:43]
.LBB254_133:                            ;   in Loop: Header=BB254_4 Depth=1
	v_mul_f32_e64 v1, |v11|, s59
	v_rndne_f32_e32 v1, v1
	v_cvt_i32_f32_e32 v33, v1
	v_fma_f32 v32, v1, s60, |v11|
	v_fmac_f32_e32 v32, 0xb3a22168, v1
	v_fmac_f32_e32 v32, 0xa7c234c4, v1
; %bb.134:                              ;   in Loop: Header=BB254_4 Depth=1
	s_or_b64 exec, exec, s[10:11]
                                        ; implicit-def: $vgpr34
                                        ; implicit-def: $vgpr35
	s_and_saveexec_b64 s[10:11], s[40:41]
	s_xor_b64 s[40:41], exec, s[10:11]
	s_cbranch_execz .LBB254_136
; %bb.135:                              ;   in Loop: Header=BB254_4 Depth=1
	v_and_b32_e32 v1, 0x7fffff, v31
	v_or_b32_e32 v41, 0x800000, v1
	v_mad_u64_u32 v[34:35], s[10:11], v41, s51, 0
	v_mov_b32_e32 v1, v35
	v_mad_u64_u32 v[35:36], s[10:11], v41, s52, v[1:2]
	v_mov_b32_e32 v1, v36
	;; [unrolled: 2-line block ×3, first 2 shown]
	v_mad_u64_u32 v[37:38], s[10:11], v41, s54, v[1:2]
	v_lshrrev_b32_e32 v1, 23, v31
	v_add_u32_e32 v40, 0xffffff88, v1
	v_mov_b32_e32 v1, v38
	v_mad_u64_u32 v[38:39], s[10:11], v41, s55, v[1:2]
	v_cmp_lt_u32_e32 vcc, 63, v40
	v_cndmask_b32_e32 v1, 0, v26, vcc
	v_add_u32_e32 v42, v1, v40
	v_mov_b32_e32 v1, v39
	v_mad_u64_u32 v[39:40], s[10:11], v41, s56, v[1:2]
	v_cmp_lt_u32_e64 s[10:11], 31, v42
	v_cndmask_b32_e64 v1, 0, v27, s[10:11]
	v_add_u32_e32 v42, v1, v42
	v_mov_b32_e32 v1, v40
	v_mad_u64_u32 v[40:41], s[12:13], v41, s57, v[1:2]
	v_cmp_lt_u32_e64 s[12:13], 31, v42
	v_cndmask_b32_e64 v1, 0, v27, s[12:13]
	v_add_u32_e32 v1, v1, v42
	v_cndmask_b32_e32 v42, v39, v37, vcc
	v_cndmask_b32_e32 v40, v40, v38, vcc
	;; [unrolled: 1-line block ×4, first 2 shown]
	v_cndmask_b32_e64 v41, v40, v42, s[10:11]
	v_cndmask_b32_e64 v39, v39, v40, s[10:11]
	;; [unrolled: 1-line block ×3, first 2 shown]
	v_cndmask_b32_e32 v35, v37, v35, vcc
	v_cndmask_b32_e64 v39, v39, v41, s[12:13]
	v_cndmask_b32_e64 v41, v41, v40, s[12:13]
	v_sub_u32_e32 v42, 32, v1
	v_cndmask_b32_e64 v37, v38, v35, s[10:11]
	v_alignbit_b32 v43, v39, v41, v42
	v_cmp_eq_u32_e64 s[14:15], 0, v1
	v_cndmask_b32_e64 v38, v40, v37, s[12:13]
	v_cndmask_b32_e64 v1, v43, v39, s[14:15]
	v_alignbit_b32 v39, v41, v38, v42
	v_cndmask_b32_e32 v34, v36, v34, vcc
	v_cndmask_b32_e64 v39, v39, v41, s[14:15]
	v_bfe_u32 v43, v1, 29, 1
	v_cndmask_b32_e64 v34, v35, v34, s[10:11]
	v_alignbit_b32 v40, v1, v39, 30
	v_sub_u32_e32 v44, 0, v43
	v_cndmask_b32_e64 v34, v37, v34, s[12:13]
	v_xor_b32_e32 v40, v40, v44
	v_alignbit_b32 v35, v38, v34, v42
	v_cndmask_b32_e64 v35, v35, v38, s[14:15]
	v_ffbh_u32_e32 v37, v40
	v_alignbit_b32 v36, v39, v35, 30
	v_min_u32_e32 v37, 32, v37
	v_alignbit_b32 v34, v35, v34, 30
	v_xor_b32_e32 v36, v36, v44
	v_sub_u32_e32 v38, 31, v37
	v_xor_b32_e32 v34, v34, v44
	v_alignbit_b32 v39, v40, v36, v38
	v_alignbit_b32 v34, v36, v34, v38
	;; [unrolled: 1-line block ×3, first 2 shown]
	v_ffbh_u32_e32 v36, v35
	v_min_u32_e32 v36, 32, v36
	v_lshrrev_b32_e32 v41, 29, v1
	v_not_b32_e32 v38, v36
	v_alignbit_b32 v34, v35, v34, v38
	v_lshlrev_b32_e32 v35, 31, v41
	v_or_b32_e32 v38, 0x33000000, v35
	v_add_lshl_u32 v36, v36, v37, 23
	v_lshrrev_b32_e32 v34, 9, v34
	v_sub_u32_e32 v36, v38, v36
	v_or_b32_e32 v35, 0.5, v35
	v_lshlrev_b32_e32 v37, 23, v37
	v_or_b32_e32 v34, v36, v34
	v_lshrrev_b32_e32 v36, 9, v39
	v_sub_u32_e32 v35, v35, v37
	v_or_b32_e32 v35, v36, v35
	v_mul_f32_e32 v36, 0x3fc90fda, v35
	v_fma_f32 v37, v35, s58, -v36
	v_fmac_f32_e32 v37, 0x33a22168, v35
	v_fmac_f32_e32 v37, 0x3fc90fda, v34
	v_lshrrev_b32_e32 v1, 30, v1
	v_add_f32_e32 v35, v36, v37
	v_add_u32_e32 v34, v43, v1
	s_andn2_saveexec_b64 s[10:11], s[40:41]
	s_cbranch_execnz .LBB254_137
	s_branch .LBB254_138
.LBB254_136:                            ;   in Loop: Header=BB254_4 Depth=1
	s_andn2_saveexec_b64 s[10:11], s[40:41]
.LBB254_137:                            ;   in Loop: Header=BB254_4 Depth=1
	v_mul_f32_e64 v1, |v11|, s59
	v_rndne_f32_e32 v1, v1
	v_cvt_i32_f32_e32 v34, v1
	v_fma_f32 v35, v1, s60, |v11|
	v_fmac_f32_e32 v35, 0xb3a22168, v1
	v_fmac_f32_e32 v35, 0xa7c234c4, v1
.LBB254_138:                            ;   in Loop: Header=BB254_4 Depth=1
	s_or_b64 exec, exec, s[10:11]
	v_mul_f32_e32 v36, v32, v32
	v_mov_b32_e32 v37, 0xbab64f3b
	v_fmac_f32_e32 v37, 0x37d75334, v36
	v_mov_b32_e32 v38, 0x3c0881c4
	v_fma_f32 v37, v36, v37, v24
	v_fmac_f32_e32 v38, 0xb94c1982, v36
	v_fma_f32 v37, v36, v37, v25
	v_fma_f32 v38, v36, v38, v23
	v_lshlrev_b32_e32 v1, 30, v33
	v_and_b32_e32 v33, 1, v33
	v_fma_f32 v37, v36, v37, 1.0
	v_mul_f32_e32 v36, v36, v38
	v_sub_f32_e32 v10, 0xc322e3bc, v10
	v_fmac_f32_e32 v32, v32, v36
	v_cmp_eq_u32_e32 vcc, 0, v33
	v_mul_f32_e32 v33, 0x3fb8aa3b, v10
	v_cndmask_b32_e64 v32, -v32, v37, vcc
	v_fma_f32 v36, v10, s65, -v33
	v_rndne_f32_e32 v37, v33
	v_fmac_f32_e32 v36, 0x32a5705f, v10
	v_sub_f32_e32 v33, v33, v37
	v_add_f32_e32 v33, v33, v36
	v_exp_f32_e32 v33, v33
	v_cvt_i32_f32_e32 v36, v37
	v_cmp_class_f32_e64 vcc, v11, s64
	v_cmp_ngt_f32_e64 s[10:11], s66, v10
	v_and_b32_e32 v1, 0x80000000, v1
	v_ldexp_f32 v11, v33, v36
	v_cndmask_b32_e64 v11, 0, v11, s[10:11]
	v_cmp_nlt_f32_e64 s[10:11], s67, v10
	v_cndmask_b32_e64 v10, v28, v11, s[10:11]
	v_and_b32_e32 v11, 0x7fffff, v10
	v_lshrrev_b32_e32 v10, 23, v10
	v_subrev_u32_e32 v10, 19, v10
	v_xor_b32_e32 v1, v1, v32
	v_lshrrev_b16_e32 v32, 15, v10
	v_add_u16_e32 v32, v10, v32
	v_ashrrev_i16_e32 v32, 1, v32
	v_bfe_i32 v32, v32, 0, 16
	v_lshl_add_u32 v33, v32, 23, 1.0
	v_sub_u32_e32 v10, v10, v32
	v_mul_f32_e32 v32, v35, v35
	v_mov_b32_e32 v36, 0x3c0881c4
	v_fmac_f32_e32 v36, 0xb94c1982, v32
	v_fma_f32 v36, v32, v36, v23
	v_mul_f32_e32 v36, v32, v36
	v_fmac_f32_e32 v35, v35, v36
	v_mov_b32_e32 v36, 0xbab64f3b
	v_fmac_f32_e32 v36, 0x37d75334, v32
	v_fma_f32 v36, v32, v36, v24
	v_fma_f32 v36, v32, v36, v25
	v_fma_f32 v32, v32, v36, 1.0
	v_and_b32_e32 v36, 1, v34
	v_cmp_eq_u32_e64 s[10:11], 0, v36
	v_lshlrev_b32_e32 v34, 30, v34
	v_cndmask_b32_e64 v32, v32, v35, s[10:11]
	v_and_or_b32 v31, v34, s47, v31
	v_xor_b32_e32 v31, v31, v32
	v_xor_b32_e32 v30, v31, v30
	v_cndmask_b32_e32 v1, v29, v1, vcc
	v_or_b32_e32 v11, 0x7f000000, v11
	v_cndmask_b32_e32 v30, v29, v30, vcc
	v_mul_f32_e32 v1, v1, v11
	v_mul_f32_e32 v11, v30, v11
	;; [unrolled: 1-line block ×3, first 2 shown]
	v_lshl_add_u32 v10, v10, 23, 1.0
	v_mul_f32_e32 v11, v11, v33
	v_mul_f32_e32 v1, v1, v10
	v_mul_f32_e32 v30, v11, v10
.LBB254_139:                            ;   in Loop: Header=BB254_4 Depth=1
	s_or_b64 exec, exec, s[38:39]
                                        ; implicit-def: $vgpr32
                                        ; implicit-def: $vgpr10
                                        ; implicit-def: $vgpr33
.LBB254_140:                            ;   in Loop: Header=BB254_4 Depth=1
	s_andn2_saveexec_b64 s[10:11], s[36:37]
	s_cbranch_execz .LBB254_146
; %bb.141:                              ;   in Loop: Header=BB254_4 Depth=1
	v_cmp_ne_u32_e32 vcc, s48, v33
	v_sub_f32_e32 v30, v11, v11
	s_and_saveexec_b64 s[12:13], vcc
	s_xor_b64 s[12:13], exec, s[12:13]
; %bb.142:                              ;   in Loop: Header=BB254_4 Depth=1
                                        ; implicit-def: $vgpr32
                                        ; implicit-def: $vgpr10
; %bb.143:                              ;   in Loop: Header=BB254_4 Depth=1
	s_or_saveexec_b64 s[12:13], s[12:13]
	v_mov_b32_e32 v1, v30
	s_xor_b64 exec, exec, s[12:13]
; %bb.144:                              ;   in Loop: Header=BB254_4 Depth=1
	v_cmp_lt_i32_e32 vcc, -1, v32
	v_cndmask_b32_e64 v1, 0, -v10, vcc
	v_cndmask_b32_e32 v30, 0, v30, vcc
; %bb.145:                              ;   in Loop: Header=BB254_4 Depth=1
	s_or_b64 exec, exec, s[12:13]
.LBB254_146:                            ;   in Loop: Header=BB254_4 Depth=1
	s_or_b64 exec, exec, s[10:11]
                                        ; implicit-def: $vgpr11
                                        ; implicit-def: $vgpr31
.LBB254_147:                            ;   in Loop: Header=BB254_4 Depth=1
	s_andn2_saveexec_b64 s[34:35], s[34:35]
	s_cbranch_execz .LBB254_157
; %bb.148:                              ;   in Loop: Header=BB254_4 Depth=1
	v_lshrrev_b32_e32 v1, 23, v31
	v_and_b32_e32 v10, 0x7fffff, v31
	v_cmp_nlt_f32_e64 s[36:37], |v11|, s50
	v_add_u32_e32 v34, 0xffffff88, v1
	v_or_b32_e32 v10, 0x800000, v10
                                        ; implicit-def: $vgpr32
                                        ; implicit-def: $vgpr33
	s_and_saveexec_b64 s[10:11], s[36:37]
	s_xor_b64 s[38:39], exec, s[10:11]
	s_cbranch_execz .LBB254_150
; %bb.149:                              ;   in Loop: Header=BB254_4 Depth=1
	v_mad_u64_u32 v[32:33], s[10:11], v10, s51, 0
	v_cmp_lt_u32_e32 vcc, 63, v34
	v_mov_b32_e32 v1, v33
	v_mad_u64_u32 v[35:36], s[10:11], v10, s52, v[1:2]
	v_mov_b32_e32 v1, v36
	v_mad_u64_u32 v[36:37], s[10:11], v10, s53, v[1:2]
	v_mov_b32_e32 v1, v37
	v_mad_u64_u32 v[37:38], s[10:11], v10, s54, v[1:2]
	v_cndmask_b32_e32 v1, 0, v26, vcc
	v_add_u32_e32 v33, v1, v34
	v_mov_b32_e32 v1, v38
	v_mad_u64_u32 v[38:39], s[10:11], v10, s55, v[1:2]
	v_cmp_lt_u32_e64 s[10:11], 31, v33
	v_cndmask_b32_e64 v1, 0, v27, s[10:11]
	v_add_u32_e32 v33, v1, v33
	v_mov_b32_e32 v1, v39
	v_mad_u64_u32 v[39:40], s[12:13], v10, s56, v[1:2]
	v_cmp_lt_u32_e64 s[12:13], 31, v33
	v_cndmask_b32_e64 v1, 0, v27, s[12:13]
	v_add_u32_e32 v33, v1, v33
	v_mov_b32_e32 v1, v40
	v_mad_u64_u32 v[40:41], s[14:15], v10, s57, v[1:2]
	v_cndmask_b32_e32 v1, v38, v36, vcc
	v_cndmask_b32_e32 v42, v39, v37, vcc
	;; [unrolled: 1-line block ×4, first 2 shown]
	v_cndmask_b32_e64 v43, v42, v1, s[10:11]
	v_cndmask_b32_e64 v40, v38, v42, s[10:11]
	;; [unrolled: 1-line block ×5, first 2 shown]
	v_sub_u32_e32 v40, 32, v33
	v_cmp_eq_u32_e64 s[14:15], 0, v33
	v_cndmask_b32_e32 v33, v37, v35, vcc
	v_cndmask_b32_e64 v1, v1, v33, s[10:11]
	v_alignbit_b32 v41, v38, v39, v40
	v_cndmask_b32_e64 v35, v43, v1, s[12:13]
	v_cndmask_b32_e64 v38, v41, v38, s[14:15]
	v_alignbit_b32 v37, v39, v35, v40
	v_cndmask_b32_e32 v32, v36, v32, vcc
	v_cndmask_b32_e64 v37, v37, v39, s[14:15]
	v_bfe_u32 v42, v38, 29, 1
	v_cndmask_b32_e64 v32, v33, v32, s[10:11]
	v_alignbit_b32 v39, v38, v37, 30
	v_sub_u32_e32 v43, 0, v42
	v_cndmask_b32_e64 v1, v1, v32, s[12:13]
	v_xor_b32_e32 v39, v39, v43
	v_alignbit_b32 v32, v35, v1, v40
	v_cndmask_b32_e64 v32, v32, v35, s[14:15]
	v_ffbh_u32_e32 v35, v39
	v_alignbit_b32 v33, v37, v32, 30
	v_min_u32_e32 v35, 32, v35
	v_alignbit_b32 v1, v32, v1, 30
	v_xor_b32_e32 v33, v33, v43
	v_sub_u32_e32 v36, 31, v35
	v_xor_b32_e32 v1, v1, v43
	v_alignbit_b32 v37, v39, v33, v36
	v_alignbit_b32 v1, v33, v1, v36
	v_alignbit_b32 v32, v37, v1, 9
	v_ffbh_u32_e32 v33, v32
	v_min_u32_e32 v33, 32, v33
	v_lshrrev_b32_e32 v41, 29, v38
	v_not_b32_e32 v36, v33
	v_alignbit_b32 v1, v32, v1, v36
	v_lshlrev_b32_e32 v32, 31, v41
	v_or_b32_e32 v36, 0x33000000, v32
	v_add_lshl_u32 v33, v33, v35, 23
	v_lshrrev_b32_e32 v1, 9, v1
	v_sub_u32_e32 v33, v36, v33
	v_or_b32_e32 v32, 0.5, v32
	v_lshlrev_b32_e32 v35, 23, v35
	v_or_b32_e32 v1, v33, v1
	v_lshrrev_b32_e32 v33, 9, v37
	v_sub_u32_e32 v32, v32, v35
	v_or_b32_e32 v32, v33, v32
	v_mul_f32_e32 v33, 0x3fc90fda, v32
	v_fma_f32 v35, v32, s58, -v33
	v_fmac_f32_e32 v35, 0x33a22168, v32
	v_fmac_f32_e32 v35, 0x3fc90fda, v1
	v_lshrrev_b32_e32 v1, 30, v38
	v_add_f32_e32 v33, v33, v35
	v_add_u32_e32 v32, v42, v1
.LBB254_150:                            ;   in Loop: Header=BB254_4 Depth=1
	s_or_saveexec_b64 s[10:11], s[38:39]
	v_mul_f32_e64 v1, |v11|, s59
	v_rndne_f32_e32 v1, v1
	s_xor_b64 exec, exec, s[10:11]
; %bb.151:                              ;   in Loop: Header=BB254_4 Depth=1
	v_cvt_i32_f32_e32 v32, v1
	v_fma_f32 v33, v1, s60, |v11|
	v_fmac_f32_e32 v33, 0xb3a22168, v1
	v_fmac_f32_e32 v33, 0xa7c234c4, v1
; %bb.152:                              ;   in Loop: Header=BB254_4 Depth=1
	s_or_b64 exec, exec, s[10:11]
                                        ; implicit-def: $vgpr35
                                        ; implicit-def: $vgpr36
	s_and_saveexec_b64 s[10:11], s[36:37]
	s_xor_b64 s[36:37], exec, s[10:11]
	s_cbranch_execz .LBB254_154
; %bb.153:                              ;   in Loop: Header=BB254_4 Depth=1
	v_mad_u64_u32 v[35:36], s[10:11], v10, s51, 0
	v_cmp_lt_u32_e32 vcc, 63, v34
	v_mov_b32_e32 v1, v36
	v_mad_u64_u32 v[36:37], s[10:11], v10, s52, v[1:2]
	v_mov_b32_e32 v1, v37
	v_mad_u64_u32 v[37:38], s[10:11], v10, s53, v[1:2]
	;; [unrolled: 2-line block ×3, first 2 shown]
	v_cndmask_b32_e32 v1, 0, v26, vcc
	v_add_u32_e32 v34, v1, v34
	v_mov_b32_e32 v1, v39
	v_mad_u64_u32 v[39:40], s[10:11], v10, s55, v[1:2]
	v_cmp_lt_u32_e64 s[10:11], 31, v34
	v_cndmask_b32_e64 v1, 0, v27, s[10:11]
	v_add_u32_e32 v34, v1, v34
	v_mov_b32_e32 v1, v40
	v_mad_u64_u32 v[40:41], s[12:13], v10, s56, v[1:2]
	v_cmp_lt_u32_e64 s[12:13], 31, v34
	v_cndmask_b32_e64 v1, 0, v27, s[12:13]
	v_add_u32_e32 v34, v1, v34
	v_mov_b32_e32 v1, v41
	v_mad_u64_u32 v[41:42], s[14:15], v10, s57, v[1:2]
	v_cndmask_b32_e32 v1, v39, v37, vcc
	v_cndmask_b32_e32 v10, v40, v38, vcc
	;; [unrolled: 1-line block ×4, first 2 shown]
	v_cndmask_b32_e64 v43, v10, v1, s[10:11]
	v_cndmask_b32_e64 v10, v39, v10, s[10:11]
	;; [unrolled: 1-line block ×3, first 2 shown]
	v_cndmask_b32_e32 v36, v38, v36, vcc
	v_cndmask_b32_e64 v39, v39, v10, s[12:13]
	v_cndmask_b32_e64 v10, v10, v43, s[12:13]
	v_sub_u32_e32 v40, 32, v34
	v_cndmask_b32_e64 v1, v1, v36, s[10:11]
	v_alignbit_b32 v41, v39, v10, v40
	v_cmp_eq_u32_e64 s[14:15], 0, v34
	v_cndmask_b32_e64 v38, v43, v1, s[12:13]
	v_cndmask_b32_e64 v34, v41, v39, s[14:15]
	v_alignbit_b32 v39, v10, v38, v40
	v_cndmask_b32_e32 v35, v37, v35, vcc
	v_cndmask_b32_e64 v10, v39, v10, s[14:15]
	v_bfe_u32 v42, v34, 29, 1
	v_cndmask_b32_e64 v35, v36, v35, s[10:11]
	v_alignbit_b32 v39, v34, v10, 30
	v_sub_u32_e32 v43, 0, v42
	v_cndmask_b32_e64 v1, v1, v35, s[12:13]
	v_xor_b32_e32 v39, v39, v43
	v_alignbit_b32 v35, v38, v1, v40
	v_cndmask_b32_e64 v35, v35, v38, s[14:15]
	v_ffbh_u32_e32 v36, v39
	v_alignbit_b32 v10, v10, v35, 30
	v_min_u32_e32 v36, 32, v36
	v_alignbit_b32 v1, v35, v1, 30
	v_xor_b32_e32 v10, v10, v43
	v_sub_u32_e32 v37, 31, v36
	v_xor_b32_e32 v1, v1, v43
	v_alignbit_b32 v38, v39, v10, v37
	v_alignbit_b32 v1, v10, v1, v37
	;; [unrolled: 1-line block ×3, first 2 shown]
	v_ffbh_u32_e32 v35, v10
	v_min_u32_e32 v35, 32, v35
	v_lshrrev_b32_e32 v41, 29, v34
	v_not_b32_e32 v37, v35
	v_alignbit_b32 v1, v10, v1, v37
	v_lshlrev_b32_e32 v10, 31, v41
	v_or_b32_e32 v37, 0x33000000, v10
	v_add_lshl_u32 v35, v35, v36, 23
	v_lshrrev_b32_e32 v1, 9, v1
	v_sub_u32_e32 v35, v37, v35
	v_or_b32_e32 v10, 0.5, v10
	v_lshlrev_b32_e32 v36, 23, v36
	v_or_b32_e32 v1, v35, v1
	v_lshrrev_b32_e32 v35, 9, v38
	v_sub_u32_e32 v10, v10, v36
	v_or_b32_e32 v10, v35, v10
	v_mul_f32_e32 v35, 0x3fc90fda, v10
	v_fma_f32 v36, v10, s58, -v35
	v_fmac_f32_e32 v36, 0x33a22168, v10
	v_fmac_f32_e32 v36, 0x3fc90fda, v1
	v_lshrrev_b32_e32 v1, 30, v34
	v_add_f32_e32 v36, v35, v36
	v_add_u32_e32 v35, v42, v1
                                        ; implicit-def: $vgpr1
	s_andn2_saveexec_b64 s[10:11], s[36:37]
	s_cbranch_execnz .LBB254_155
	s_branch .LBB254_156
.LBB254_154:                            ;   in Loop: Header=BB254_4 Depth=1
	s_andn2_saveexec_b64 s[10:11], s[36:37]
.LBB254_155:                            ;   in Loop: Header=BB254_4 Depth=1
	v_cvt_i32_f32_e32 v35, v1
	v_fma_f32 v36, v1, s60, |v11|
	v_fmac_f32_e32 v36, 0xb3a22168, v1
	v_fmac_f32_e32 v36, 0xa7c234c4, v1
.LBB254_156:                            ;   in Loop: Header=BB254_4 Depth=1
	s_or_b64 exec, exec, s[10:11]
	v_mul_f32_e32 v1, v33, v33
	v_mov_b32_e32 v10, 0x3c0881c4
	v_fmac_f32_e32 v10, 0xb94c1982, v1
	v_fma_f32 v10, v1, v10, v23
	v_mul_f32_e32 v10, v1, v10
	v_fmac_f32_e32 v33, v33, v10
	v_mov_b32_e32 v10, 0xbab64f3b
	v_fmac_f32_e32 v10, 0x37d75334, v1
	v_fma_f32 v10, v1, v10, v24
	v_fma_f32 v10, v1, v10, v25
	v_fma_f32 v1, v1, v10, 1.0
	v_and_b32_e32 v10, 1, v32
	v_cmp_eq_u32_e32 vcc, 0, v10
	v_lshlrev_b32_e32 v10, 30, v32
	v_cndmask_b32_e64 v1, -v33, v1, vcc
	v_and_b32_e32 v10, 0x80000000, v10
	v_xor_b32_e32 v1, v10, v1
	v_cmp_class_f32_e64 vcc, v11, s64
	v_mul_f32_e32 v10, v36, v36
	v_mov_b32_e32 v11, 0x3c0881c4
	v_fmac_f32_e32 v11, 0xb94c1982, v10
	v_fma_f32 v11, v10, v11, v23
	v_mul_f32_e32 v11, v10, v11
	v_fmac_f32_e32 v36, v36, v11
	v_mov_b32_e32 v11, 0xbab64f3b
	v_fmac_f32_e32 v11, 0x37d75334, v10
	v_fma_f32 v11, v10, v11, v24
	v_fma_f32 v11, v10, v11, v25
	v_fma_f32 v10, v10, v11, 1.0
	v_and_b32_e32 v11, 1, v35
	v_cmp_eq_u32_e64 s[10:11], 0, v11
	v_lshlrev_b32_e32 v11, 30, v35
	v_cndmask_b32_e64 v10, v10, v36, s[10:11]
	v_and_or_b32 v11, v11, s47, v31
	v_xor_b32_e32 v10, v11, v10
	v_xor_b32_e32 v10, v10, v30
	v_cndmask_b32_e32 v1, v29, v1, vcc
	v_cndmask_b32_e32 v30, v29, v10, vcc
.LBB254_157:                            ;   in Loop: Header=BB254_4 Depth=1
	s_or_b64 exec, exec, s[34:35]
                                        ; implicit-def: $vgpr10
.LBB254_158:                            ;   in Loop: Header=BB254_4 Depth=1
	s_andn2_saveexec_b64 s[10:11], s[30:31]
	s_cbranch_execz .LBB254_160
; %bb.159:                              ;   in Loop: Header=BB254_4 Depth=1
	v_mul_f32_e32 v1, 0xbfb8aa3b, v10
	v_rndne_f32_e32 v11, v1
	v_sub_f32_e32 v31, v1, v11
	v_fma_f32 v1, v10, s61, -v1
	v_fmac_f32_e32 v1, 0xb2a5705f, v10
	v_add_f32_e32 v1, v31, v1
	v_cvt_i32_f32_e32 v11, v11
	v_exp_f32_e32 v1, v1
	v_cmp_nlt_f32_e32 vcc, s62, v10
	v_ldexp_f32 v1, v1, v11
	v_cndmask_b32_e32 v1, 0, v1, vcc
	v_cmp_ngt_f32_e32 vcc, s63, v10
	v_cndmask_b32_e32 v1, v28, v1, vcc
.LBB254_160:                            ;   in Loop: Header=BB254_4 Depth=1
	s_or_b64 exec, exec, s[10:11]
	v_add_f32_e32 v31, s16, v1
	v_add_f32_e32 v1, s17, v30
	v_cmp_gt_f32_e32 vcc, 0, v31
	v_cndmask_b32_e64 v30, v31, -v31, vcc
	v_cmp_gt_f32_e32 vcc, 0, v1
	v_cndmask_b32_e64 v32, v1, -v1, vcc
	v_cmp_ge_f32_e32 vcc, v30, v32
                                        ; implicit-def: $vgpr11
	s_and_saveexec_b64 s[10:11], vcc
	s_xor_b64 s[12:13], exec, s[10:11]
	s_cbranch_execz .LBB254_166
; %bb.161:                              ;   in Loop: Header=BB254_4 Depth=1
	v_cmp_neq_f32_e32 vcc, 0, v31
	v_cmp_neq_f32_e64 s[10:11], 0, v1
	s_or_b64 s[10:11], vcc, s[10:11]
                                        ; implicit-def: $vgpr11
	s_and_saveexec_b64 s[14:15], s[10:11]
	s_xor_b64 s[10:11], exec, s[14:15]
	s_cbranch_execz .LBB254_163
; %bb.162:                              ;   in Loop: Header=BB254_4 Depth=1
	v_div_scale_f32 v10, s[14:15], v31, v31, v1
	v_div_scale_f32 v11, vcc, v1, v31, v1
	v_rcp_f32_e32 v30, v10
	v_fma_f32 v32, -v10, v30, 1.0
	v_fmac_f32_e32 v30, v32, v30
	v_mul_f32_e32 v32, v11, v30
	v_fma_f32 v33, -v10, v32, v11
	v_fmac_f32_e32 v32, v33, v30
	v_fma_f32 v10, -v10, v32, v11
	v_div_fmas_f32 v10, v10, v30, v32
	v_div_fixup_f32 v10, v10, v31, v1
	v_fmac_f32_e32 v31, v1, v10
	v_div_scale_f32 v1, s[14:15], v31, v31, 1.0
	v_div_scale_f32 v11, vcc, 1.0, v31, 1.0
	v_rcp_f32_e32 v30, v1
	v_fma_f32 v32, -v1, v30, 1.0
	v_fmac_f32_e32 v30, v32, v30
	v_mul_f32_e32 v32, v11, v30
	v_fma_f32 v33, -v1, v32, v11
	v_fmac_f32_e32 v32, v33, v30
	v_fma_f32 v1, -v1, v32, v11
	v_div_fmas_f32 v1, v1, v30, v32
	v_mov_b32_e32 v11, s16
	v_mov_b32_e32 v30, s17
	v_fma_f32 v11, s17, v10, v11
	v_fma_f32 v30, -v10, s16, v30
                                        ; implicit-def: $vgpr32
	v_div_fixup_f32 v1, v1, v31, 1.0
	v_mul_f32_e32 v10, v11, v1
	v_mul_f32_e32 v11, v30, v1
                                        ; implicit-def: $vgpr30
.LBB254_163:                            ;   in Loop: Header=BB254_4 Depth=1
	s_andn2_saveexec_b64 s[14:15], s[10:11]
	s_cbranch_execz .LBB254_165
; %bb.164:                              ;   in Loop: Header=BB254_4 Depth=1
	v_div_scale_f32 v1, s[10:11], v30, v30, s16
	v_div_scale_f32 v10, s[10:11], v32, v32, s17
	v_div_scale_f32 v11, vcc, s16, v30, s16
	v_div_scale_f32 v31, s[10:11], s17, v32, s17
	v_rcp_f32_e32 v33, v1
	v_rcp_f32_e32 v34, v10
	v_fma_f32 v35, -v1, v33, 1.0
	v_fmac_f32_e32 v33, v35, v33
	v_fma_f32 v36, -v10, v34, 1.0
	v_fmac_f32_e32 v34, v36, v34
	v_mul_f32_e32 v35, v11, v33
	v_mul_f32_e32 v36, v31, v34
	v_fma_f32 v37, -v1, v35, v11
	v_fma_f32 v38, -v10, v36, v31
	v_fmac_f32_e32 v35, v37, v33
	v_fmac_f32_e32 v36, v38, v34
	v_fma_f32 v1, -v1, v35, v11
	v_fma_f32 v10, -v10, v36, v31
	v_div_fmas_f32 v1, v1, v33, v35
	s_mov_b64 vcc, s[10:11]
	v_div_fmas_f32 v11, v10, v34, v36
	v_div_fixup_f32 v10, v1, v30, s16
	v_div_fixup_f32 v11, v11, v32, s17
.LBB254_165:                            ;   in Loop: Header=BB254_4 Depth=1
	s_or_b64 exec, exec, s[14:15]
                                        ; implicit-def: $vgpr1
                                        ; implicit-def: $vgpr31
.LBB254_166:                            ;   in Loop: Header=BB254_4 Depth=1
	s_andn2_saveexec_b64 s[10:11], s[12:13]
	s_cbranch_execz .LBB254_168
; %bb.167:                              ;   in Loop: Header=BB254_4 Depth=1
	v_div_scale_f32 v10, s[12:13], v1, v1, v31
	v_div_scale_f32 v11, vcc, v31, v1, v31
	v_rcp_f32_e32 v30, v10
	v_fma_f32 v32, -v10, v30, 1.0
	v_fmac_f32_e32 v30, v32, v30
	v_mul_f32_e32 v32, v11, v30
	v_fma_f32 v33, -v10, v32, v11
	v_fmac_f32_e32 v32, v33, v30
	v_fma_f32 v10, -v10, v32, v11
	v_div_fmas_f32 v10, v10, v30, v32
	v_div_fixup_f32 v10, v10, v1, v31
	v_fmac_f32_e32 v1, v31, v10
	v_div_scale_f32 v11, s[12:13], v1, v1, 1.0
	v_div_scale_f32 v30, vcc, 1.0, v1, 1.0
	v_rcp_f32_e32 v31, v11
	v_fma_f32 v32, -v11, v31, 1.0
	v_fmac_f32_e32 v31, v32, v31
	v_mul_f32_e32 v32, v30, v31
	v_fma_f32 v33, -v11, v32, v30
	v_fmac_f32_e32 v32, v33, v31
	v_fma_f32 v11, -v11, v32, v30
	v_div_fmas_f32 v11, v11, v31, v32
	v_mov_b32_e32 v30, s17
	v_mov_b32_e32 v31, s16
	v_fma_f32 v30, s16, v10, v30
	v_fma_f32 v31, v10, s17, -v31
	v_div_fixup_f32 v1, v11, v1, 1.0
	v_mul_f32_e32 v10, v30, v1
	v_mul_f32_e32 v11, v31, v1
.LBB254_168:                            ;   in Loop: Header=BB254_4 Depth=1
	s_or_b64 exec, exec, s[10:11]
	v_and_b32_e32 v31, 0x7fffffff, v7
	v_xor_b32_e32 v30, 0x80000000, v7
	v_cmp_ne_u32_e32 vcc, 0, v31
                                        ; implicit-def: $vgpr1
	s_and_saveexec_b64 s[10:11], vcc
	s_xor_b64 s[30:31], exec, s[10:11]
	s_cbranch_execz .LBB254_210
; %bb.169:                              ;   in Loop: Header=BB254_4 Depth=1
	v_and_b32_e32 v33, 0x7fffffff, v6
	v_cmp_ne_u32_e32 vcc, 0, v33
                                        ; implicit-def: $vgpr1
	s_and_saveexec_b64 s[10:11], vcc
	s_xor_b64 s[34:35], exec, s[10:11]
	s_cbranch_execz .LBB254_199
; %bb.170:                              ;   in Loop: Header=BB254_4 Depth=1
	v_xor_b32_e32 v32, 0x80000000, v6
	v_cmp_gt_u32_e32 vcc, s48, v31
                                        ; implicit-def: $vgpr1
	s_and_saveexec_b64 s[10:11], vcc
	s_xor_b64 s[36:37], exec, s[10:11]
	s_cbranch_execz .LBB254_192
; %bb.171:                              ;   in Loop: Header=BB254_4 Depth=1
	v_add_u32_e32 v1, 0xbd4e8de8, v32
	v_cmp_lt_u32_e32 vcc, s49, v1
                                        ; implicit-def: $vgpr1
	s_and_saveexec_b64 s[10:11], vcc
	s_xor_b64 s[38:39], exec, s[10:11]
	s_cbranch_execz .LBB254_181
; %bb.172:                              ;   in Loop: Header=BB254_4 Depth=1
	v_cmp_nlt_f32_e64 s[40:41], |v7|, s50
                                        ; implicit-def: $vgpr32
                                        ; implicit-def: $vgpr33
	s_and_saveexec_b64 s[10:11], s[40:41]
	s_xor_b64 s[42:43], exec, s[10:11]
	s_cbranch_execz .LBB254_174
; %bb.173:                              ;   in Loop: Header=BB254_4 Depth=1
	v_and_b32_e32 v1, 0x7fffff, v31
	v_or_b32_e32 v39, 0x800000, v1
	v_mad_u64_u32 v[32:33], s[10:11], v39, s51, 0
	v_mov_b32_e32 v1, v33
	v_mad_u64_u32 v[33:34], s[10:11], v39, s52, v[1:2]
	v_mov_b32_e32 v1, v34
	;; [unrolled: 2-line block ×3, first 2 shown]
	v_mad_u64_u32 v[35:36], s[10:11], v39, s54, v[1:2]
	v_lshrrev_b32_e32 v1, 23, v31
	v_add_u32_e32 v38, 0xffffff88, v1
	v_mov_b32_e32 v1, v36
	v_mad_u64_u32 v[36:37], s[10:11], v39, s55, v[1:2]
	v_cmp_lt_u32_e32 vcc, 63, v38
	v_cndmask_b32_e32 v1, 0, v26, vcc
	v_add_u32_e32 v40, v1, v38
	v_mov_b32_e32 v1, v37
	v_mad_u64_u32 v[37:38], s[10:11], v39, s56, v[1:2]
	v_cmp_lt_u32_e64 s[10:11], 31, v40
	v_cndmask_b32_e64 v1, 0, v27, s[10:11]
	v_add_u32_e32 v40, v1, v40
	v_mov_b32_e32 v1, v38
	v_mad_u64_u32 v[38:39], s[12:13], v39, s57, v[1:2]
	v_cmp_lt_u32_e64 s[12:13], 31, v40
	v_cndmask_b32_e64 v1, 0, v27, s[12:13]
	v_add_u32_e32 v1, v1, v40
	v_cndmask_b32_e32 v40, v37, v35, vcc
	v_cndmask_b32_e32 v38, v38, v36, vcc
	;; [unrolled: 1-line block ×4, first 2 shown]
	v_cndmask_b32_e64 v39, v38, v40, s[10:11]
	v_cndmask_b32_e64 v37, v37, v38, s[10:11]
	;; [unrolled: 1-line block ×3, first 2 shown]
	v_cndmask_b32_e32 v33, v35, v33, vcc
	v_cndmask_b32_e64 v37, v37, v39, s[12:13]
	v_cndmask_b32_e64 v39, v39, v38, s[12:13]
	v_sub_u32_e32 v40, 32, v1
	v_cndmask_b32_e64 v35, v36, v33, s[10:11]
	v_alignbit_b32 v41, v37, v39, v40
	v_cmp_eq_u32_e64 s[14:15], 0, v1
	v_cndmask_b32_e64 v36, v38, v35, s[12:13]
	v_cndmask_b32_e64 v1, v41, v37, s[14:15]
	v_alignbit_b32 v37, v39, v36, v40
	v_cndmask_b32_e32 v32, v34, v32, vcc
	v_cndmask_b32_e64 v37, v37, v39, s[14:15]
	v_bfe_u32 v41, v1, 29, 1
	v_cndmask_b32_e64 v32, v33, v32, s[10:11]
	v_alignbit_b32 v38, v1, v37, 30
	v_sub_u32_e32 v42, 0, v41
	v_cndmask_b32_e64 v32, v35, v32, s[12:13]
	v_xor_b32_e32 v38, v38, v42
	v_alignbit_b32 v33, v36, v32, v40
	v_cndmask_b32_e64 v33, v33, v36, s[14:15]
	v_ffbh_u32_e32 v35, v38
	v_alignbit_b32 v34, v37, v33, 30
	v_min_u32_e32 v35, 32, v35
	v_alignbit_b32 v32, v33, v32, 30
	v_xor_b32_e32 v34, v34, v42
	v_sub_u32_e32 v36, 31, v35
	v_xor_b32_e32 v32, v32, v42
	v_alignbit_b32 v37, v38, v34, v36
	v_alignbit_b32 v32, v34, v32, v36
	;; [unrolled: 1-line block ×3, first 2 shown]
	v_ffbh_u32_e32 v34, v33
	v_min_u32_e32 v34, 32, v34
	v_lshrrev_b32_e32 v39, 29, v1
	v_not_b32_e32 v36, v34
	v_alignbit_b32 v32, v33, v32, v36
	v_lshlrev_b32_e32 v33, 31, v39
	v_or_b32_e32 v36, 0x33000000, v33
	v_add_lshl_u32 v34, v34, v35, 23
	v_lshrrev_b32_e32 v32, 9, v32
	v_sub_u32_e32 v34, v36, v34
	v_or_b32_e32 v33, 0.5, v33
	v_lshlrev_b32_e32 v35, 23, v35
	v_or_b32_e32 v32, v34, v32
	v_lshrrev_b32_e32 v34, 9, v37
	v_sub_u32_e32 v33, v33, v35
	v_or_b32_e32 v33, v34, v33
	v_mul_f32_e32 v34, 0x3fc90fda, v33
	v_fma_f32 v35, v33, s58, -v34
	v_fmac_f32_e32 v35, 0x33a22168, v33
	v_fmac_f32_e32 v35, 0x3fc90fda, v32
	v_lshrrev_b32_e32 v1, 30, v1
	v_add_f32_e32 v33, v34, v35
	v_add_u32_e32 v32, v41, v1
	s_andn2_saveexec_b64 s[10:11], s[42:43]
	s_branch .LBB254_175
.LBB254_174:                            ;   in Loop: Header=BB254_4 Depth=1
	s_andn2_saveexec_b64 s[10:11], s[42:43]
.LBB254_175:                            ;   in Loop: Header=BB254_4 Depth=1
	v_mul_f32_e64 v1, |v7|, s59
	v_rndne_f32_e32 v1, v1
	v_cvt_i32_f32_e32 v32, v1
	v_fma_f32 v33, v1, s60, |v7|
	v_fmac_f32_e32 v33, 0xb3a22168, v1
	v_fmac_f32_e32 v33, 0xa7c234c4, v1
; %bb.176:                              ;   in Loop: Header=BB254_4 Depth=1
	s_or_b64 exec, exec, s[10:11]
                                        ; implicit-def: $vgpr34
                                        ; implicit-def: $vgpr35
	s_and_saveexec_b64 s[10:11], s[40:41]
	s_xor_b64 s[40:41], exec, s[10:11]
	s_cbranch_execz .LBB254_178
; %bb.177:                              ;   in Loop: Header=BB254_4 Depth=1
	v_and_b32_e32 v1, 0x7fffff, v31
	v_or_b32_e32 v41, 0x800000, v1
	v_mad_u64_u32 v[34:35], s[10:11], v41, s51, 0
	v_mov_b32_e32 v1, v35
	v_mad_u64_u32 v[35:36], s[10:11], v41, s52, v[1:2]
	v_mov_b32_e32 v1, v36
	;; [unrolled: 2-line block ×3, first 2 shown]
	v_mad_u64_u32 v[37:38], s[10:11], v41, s54, v[1:2]
	v_lshrrev_b32_e32 v1, 23, v31
	v_add_u32_e32 v40, 0xffffff88, v1
	v_mov_b32_e32 v1, v38
	v_mad_u64_u32 v[38:39], s[10:11], v41, s55, v[1:2]
	v_cmp_lt_u32_e32 vcc, 63, v40
	v_cndmask_b32_e32 v1, 0, v26, vcc
	v_add_u32_e32 v42, v1, v40
	v_mov_b32_e32 v1, v39
	v_mad_u64_u32 v[39:40], s[10:11], v41, s56, v[1:2]
	v_cmp_lt_u32_e64 s[10:11], 31, v42
	v_cndmask_b32_e64 v1, 0, v27, s[10:11]
	v_add_u32_e32 v42, v1, v42
	v_mov_b32_e32 v1, v40
	v_mad_u64_u32 v[40:41], s[12:13], v41, s57, v[1:2]
	v_cmp_lt_u32_e64 s[12:13], 31, v42
	v_cndmask_b32_e64 v1, 0, v27, s[12:13]
	v_add_u32_e32 v1, v1, v42
	v_cndmask_b32_e32 v42, v39, v37, vcc
	v_cndmask_b32_e32 v40, v40, v38, vcc
	;; [unrolled: 1-line block ×4, first 2 shown]
	v_cndmask_b32_e64 v41, v40, v42, s[10:11]
	v_cndmask_b32_e64 v39, v39, v40, s[10:11]
	;; [unrolled: 1-line block ×3, first 2 shown]
	v_cndmask_b32_e32 v35, v37, v35, vcc
	v_cndmask_b32_e64 v39, v39, v41, s[12:13]
	v_cndmask_b32_e64 v41, v41, v40, s[12:13]
	v_sub_u32_e32 v42, 32, v1
	v_cndmask_b32_e64 v37, v38, v35, s[10:11]
	v_alignbit_b32 v43, v39, v41, v42
	v_cmp_eq_u32_e64 s[14:15], 0, v1
	v_cndmask_b32_e64 v38, v40, v37, s[12:13]
	v_cndmask_b32_e64 v1, v43, v39, s[14:15]
	v_alignbit_b32 v39, v41, v38, v42
	v_cndmask_b32_e32 v34, v36, v34, vcc
	v_cndmask_b32_e64 v39, v39, v41, s[14:15]
	v_bfe_u32 v43, v1, 29, 1
	v_cndmask_b32_e64 v34, v35, v34, s[10:11]
	v_alignbit_b32 v40, v1, v39, 30
	v_sub_u32_e32 v44, 0, v43
	v_cndmask_b32_e64 v34, v37, v34, s[12:13]
	v_xor_b32_e32 v40, v40, v44
	v_alignbit_b32 v35, v38, v34, v42
	v_cndmask_b32_e64 v35, v35, v38, s[14:15]
	v_ffbh_u32_e32 v37, v40
	v_alignbit_b32 v36, v39, v35, 30
	v_min_u32_e32 v37, 32, v37
	v_alignbit_b32 v34, v35, v34, 30
	v_xor_b32_e32 v36, v36, v44
	v_sub_u32_e32 v38, 31, v37
	v_xor_b32_e32 v34, v34, v44
	v_alignbit_b32 v39, v40, v36, v38
	v_alignbit_b32 v34, v36, v34, v38
	;; [unrolled: 1-line block ×3, first 2 shown]
	v_ffbh_u32_e32 v36, v35
	v_min_u32_e32 v36, 32, v36
	v_lshrrev_b32_e32 v41, 29, v1
	v_not_b32_e32 v38, v36
	v_alignbit_b32 v34, v35, v34, v38
	v_lshlrev_b32_e32 v35, 31, v41
	v_or_b32_e32 v38, 0x33000000, v35
	v_add_lshl_u32 v36, v36, v37, 23
	v_lshrrev_b32_e32 v34, 9, v34
	v_sub_u32_e32 v36, v38, v36
	v_or_b32_e32 v35, 0.5, v35
	v_lshlrev_b32_e32 v37, 23, v37
	v_or_b32_e32 v34, v36, v34
	v_lshrrev_b32_e32 v36, 9, v39
	v_sub_u32_e32 v35, v35, v37
	v_or_b32_e32 v35, v36, v35
	v_mul_f32_e32 v36, 0x3fc90fda, v35
	v_fma_f32 v37, v35, s58, -v36
	v_fmac_f32_e32 v37, 0x33a22168, v35
	v_fmac_f32_e32 v37, 0x3fc90fda, v34
	v_lshrrev_b32_e32 v1, 30, v1
	v_add_f32_e32 v35, v36, v37
	v_add_u32_e32 v34, v43, v1
	s_andn2_saveexec_b64 s[10:11], s[40:41]
	s_cbranch_execnz .LBB254_179
	s_branch .LBB254_180
.LBB254_178:                            ;   in Loop: Header=BB254_4 Depth=1
	s_andn2_saveexec_b64 s[10:11], s[40:41]
.LBB254_179:                            ;   in Loop: Header=BB254_4 Depth=1
	v_mul_f32_e64 v1, |v7|, s59
	v_rndne_f32_e32 v1, v1
	v_cvt_i32_f32_e32 v34, v1
	v_fma_f32 v35, v1, s60, |v7|
	v_fmac_f32_e32 v35, 0xb3a22168, v1
	v_fmac_f32_e32 v35, 0xa7c234c4, v1
.LBB254_180:                            ;   in Loop: Header=BB254_4 Depth=1
	s_or_b64 exec, exec, s[10:11]
	v_mul_f32_e32 v1, 0xbfb8aa3b, v6
	v_rndne_f32_e32 v36, v1
	v_sub_f32_e32 v37, v1, v36
	v_fma_f32 v1, v6, s61, -v1
	v_fmac_f32_e32 v1, 0xb2a5705f, v6
	v_add_f32_e32 v1, v37, v1
	v_cvt_i32_f32_e32 v36, v36
	v_exp_f32_e32 v1, v1
	v_cmp_nlt_f32_e32 vcc, s62, v6
	v_ldexp_f32 v1, v1, v36
	v_cndmask_b32_e32 v1, 0, v1, vcc
	v_cmp_ngt_f32_e32 vcc, s63, v6
	v_cndmask_b32_e32 v6, v28, v1, vcc
	v_mul_f32_e32 v1, v33, v33
	v_mov_b32_e32 v36, 0x3c0881c4
	v_fmac_f32_e32 v36, 0xb94c1982, v1
	v_fma_f32 v36, v1, v36, v23
	v_mul_f32_e32 v36, v1, v36
	v_fmac_f32_e32 v33, v33, v36
	v_mov_b32_e32 v36, 0xbab64f3b
	v_fmac_f32_e32 v36, 0x37d75334, v1
	v_fma_f32 v36, v1, v36, v24
	v_fma_f32 v36, v1, v36, v25
	v_fma_f32 v1, v1, v36, 1.0
	v_and_b32_e32 v36, 1, v32
	v_cmp_eq_u32_e32 vcc, 0, v36
	v_lshlrev_b32_e32 v32, 30, v32
	v_cndmask_b32_e64 v1, -v33, v1, vcc
	v_and_b32_e32 v32, 0x80000000, v32
	v_xor_b32_e32 v1, v32, v1
	v_cmp_class_f32_e64 vcc, v7, s64
	v_mul_f32_e32 v7, v35, v35
	v_mov_b32_e32 v32, 0x3c0881c4
	v_fmac_f32_e32 v32, 0xb94c1982, v7
	v_fma_f32 v32, v7, v32, v23
	v_mul_f32_e32 v32, v7, v32
	v_fmac_f32_e32 v35, v35, v32
	v_mov_b32_e32 v32, 0xbab64f3b
	v_fmac_f32_e32 v32, 0x37d75334, v7
	v_fma_f32 v32, v7, v32, v24
	v_fma_f32 v32, v7, v32, v25
	v_fma_f32 v7, v7, v32, 1.0
	v_and_b32_e32 v32, 1, v34
	v_cmp_eq_u32_e64 s[10:11], 0, v32
	v_lshlrev_b32_e32 v32, 30, v34
	v_cndmask_b32_e64 v7, v7, v35, s[10:11]
	v_and_or_b32 v31, v32, s47, v31
	v_xor_b32_e32 v7, v31, v7
	v_xor_b32_e32 v7, v7, v30
	v_cndmask_b32_e32 v1, v29, v1, vcc
	v_cndmask_b32_e32 v7, v29, v7, vcc
	v_mul_f32_e32 v1, v6, v1
	v_mul_f32_e32 v30, v6, v7
                                        ; implicit-def: $vgpr7
                                        ; implicit-def: $vgpr31
.LBB254_181:                            ;   in Loop: Header=BB254_4 Depth=1
	s_andn2_saveexec_b64 s[38:39], s[38:39]
	s_cbranch_execz .LBB254_191
; %bb.182:                              ;   in Loop: Header=BB254_4 Depth=1
	v_cmp_nlt_f32_e64 s[40:41], |v7|, s50
                                        ; implicit-def: $vgpr33
                                        ; implicit-def: $vgpr32
	s_and_saveexec_b64 s[10:11], s[40:41]
	s_xor_b64 s[42:43], exec, s[10:11]
	s_cbranch_execz .LBB254_184
; %bb.183:                              ;   in Loop: Header=BB254_4 Depth=1
	v_and_b32_e32 v1, 0x7fffff, v31
	v_or_b32_e32 v39, 0x800000, v1
	v_mad_u64_u32 v[32:33], s[10:11], v39, s51, 0
	v_mov_b32_e32 v1, v33
	v_mad_u64_u32 v[33:34], s[10:11], v39, s52, v[1:2]
	v_mov_b32_e32 v1, v34
	;; [unrolled: 2-line block ×3, first 2 shown]
	v_mad_u64_u32 v[35:36], s[10:11], v39, s54, v[1:2]
	v_lshrrev_b32_e32 v1, 23, v31
	v_add_u32_e32 v38, 0xffffff88, v1
	v_mov_b32_e32 v1, v36
	v_mad_u64_u32 v[36:37], s[10:11], v39, s55, v[1:2]
	v_cmp_lt_u32_e32 vcc, 63, v38
	v_cndmask_b32_e32 v1, 0, v26, vcc
	v_add_u32_e32 v40, v1, v38
	v_mov_b32_e32 v1, v37
	v_mad_u64_u32 v[37:38], s[10:11], v39, s56, v[1:2]
	v_cmp_lt_u32_e64 s[10:11], 31, v40
	v_cndmask_b32_e64 v1, 0, v27, s[10:11]
	v_add_u32_e32 v40, v1, v40
	v_mov_b32_e32 v1, v38
	v_mad_u64_u32 v[38:39], s[12:13], v39, s57, v[1:2]
	v_cmp_lt_u32_e64 s[12:13], 31, v40
	v_cndmask_b32_e64 v1, 0, v27, s[12:13]
	v_add_u32_e32 v1, v1, v40
	v_cndmask_b32_e32 v40, v37, v35, vcc
	v_cndmask_b32_e32 v38, v38, v36, vcc
	;; [unrolled: 1-line block ×4, first 2 shown]
	v_cndmask_b32_e64 v39, v38, v40, s[10:11]
	v_cndmask_b32_e64 v37, v37, v38, s[10:11]
	;; [unrolled: 1-line block ×3, first 2 shown]
	v_cndmask_b32_e32 v33, v35, v33, vcc
	v_cndmask_b32_e64 v37, v37, v39, s[12:13]
	v_cndmask_b32_e64 v39, v39, v38, s[12:13]
	v_sub_u32_e32 v40, 32, v1
	v_cndmask_b32_e64 v35, v36, v33, s[10:11]
	v_alignbit_b32 v41, v37, v39, v40
	v_cmp_eq_u32_e64 s[14:15], 0, v1
	v_cndmask_b32_e64 v36, v38, v35, s[12:13]
	v_cndmask_b32_e64 v1, v41, v37, s[14:15]
	v_alignbit_b32 v37, v39, v36, v40
	v_cndmask_b32_e32 v32, v34, v32, vcc
	v_cndmask_b32_e64 v37, v37, v39, s[14:15]
	v_bfe_u32 v41, v1, 29, 1
	v_cndmask_b32_e64 v32, v33, v32, s[10:11]
	v_alignbit_b32 v38, v1, v37, 30
	v_sub_u32_e32 v42, 0, v41
	v_cndmask_b32_e64 v32, v35, v32, s[12:13]
	v_xor_b32_e32 v38, v38, v42
	v_alignbit_b32 v33, v36, v32, v40
	v_cndmask_b32_e64 v33, v33, v36, s[14:15]
	v_ffbh_u32_e32 v35, v38
	v_alignbit_b32 v34, v37, v33, 30
	v_min_u32_e32 v35, 32, v35
	v_alignbit_b32 v32, v33, v32, 30
	v_xor_b32_e32 v34, v34, v42
	v_sub_u32_e32 v36, 31, v35
	v_xor_b32_e32 v32, v32, v42
	v_alignbit_b32 v37, v38, v34, v36
	v_alignbit_b32 v32, v34, v32, v36
	;; [unrolled: 1-line block ×3, first 2 shown]
	v_ffbh_u32_e32 v34, v33
	v_min_u32_e32 v34, 32, v34
	v_lshrrev_b32_e32 v39, 29, v1
	v_not_b32_e32 v36, v34
	v_alignbit_b32 v32, v33, v32, v36
	v_lshlrev_b32_e32 v33, 31, v39
	v_or_b32_e32 v36, 0x33000000, v33
	v_add_lshl_u32 v34, v34, v35, 23
	v_lshrrev_b32_e32 v32, 9, v32
	v_sub_u32_e32 v34, v36, v34
	v_or_b32_e32 v33, 0.5, v33
	v_lshlrev_b32_e32 v35, 23, v35
	v_or_b32_e32 v32, v34, v32
	v_lshrrev_b32_e32 v34, 9, v37
	v_sub_u32_e32 v33, v33, v35
	v_or_b32_e32 v33, v34, v33
	v_mul_f32_e32 v34, 0x3fc90fda, v33
	v_fma_f32 v35, v33, s58, -v34
	v_fmac_f32_e32 v35, 0x33a22168, v33
	v_fmac_f32_e32 v35, 0x3fc90fda, v32
	v_lshrrev_b32_e32 v1, 30, v1
	v_add_f32_e32 v32, v34, v35
	v_add_u32_e32 v33, v41, v1
	s_andn2_saveexec_b64 s[10:11], s[42:43]
	s_branch .LBB254_185
.LBB254_184:                            ;   in Loop: Header=BB254_4 Depth=1
	s_andn2_saveexec_b64 s[10:11], s[42:43]
.LBB254_185:                            ;   in Loop: Header=BB254_4 Depth=1
	v_mul_f32_e64 v1, |v7|, s59
	v_rndne_f32_e32 v1, v1
	v_cvt_i32_f32_e32 v33, v1
	v_fma_f32 v32, v1, s60, |v7|
	v_fmac_f32_e32 v32, 0xb3a22168, v1
	v_fmac_f32_e32 v32, 0xa7c234c4, v1
; %bb.186:                              ;   in Loop: Header=BB254_4 Depth=1
	s_or_b64 exec, exec, s[10:11]
                                        ; implicit-def: $vgpr34
                                        ; implicit-def: $vgpr35
	s_and_saveexec_b64 s[10:11], s[40:41]
	s_xor_b64 s[40:41], exec, s[10:11]
	s_cbranch_execz .LBB254_188
; %bb.187:                              ;   in Loop: Header=BB254_4 Depth=1
	v_and_b32_e32 v1, 0x7fffff, v31
	v_or_b32_e32 v41, 0x800000, v1
	v_mad_u64_u32 v[34:35], s[10:11], v41, s51, 0
	v_mov_b32_e32 v1, v35
	v_mad_u64_u32 v[35:36], s[10:11], v41, s52, v[1:2]
	v_mov_b32_e32 v1, v36
	;; [unrolled: 2-line block ×3, first 2 shown]
	v_mad_u64_u32 v[37:38], s[10:11], v41, s54, v[1:2]
	v_lshrrev_b32_e32 v1, 23, v31
	v_add_u32_e32 v40, 0xffffff88, v1
	v_mov_b32_e32 v1, v38
	v_mad_u64_u32 v[38:39], s[10:11], v41, s55, v[1:2]
	v_cmp_lt_u32_e32 vcc, 63, v40
	v_cndmask_b32_e32 v1, 0, v26, vcc
	v_add_u32_e32 v42, v1, v40
	v_mov_b32_e32 v1, v39
	v_mad_u64_u32 v[39:40], s[10:11], v41, s56, v[1:2]
	v_cmp_lt_u32_e64 s[10:11], 31, v42
	v_cndmask_b32_e64 v1, 0, v27, s[10:11]
	v_add_u32_e32 v42, v1, v42
	v_mov_b32_e32 v1, v40
	v_mad_u64_u32 v[40:41], s[12:13], v41, s57, v[1:2]
	v_cmp_lt_u32_e64 s[12:13], 31, v42
	v_cndmask_b32_e64 v1, 0, v27, s[12:13]
	v_add_u32_e32 v1, v1, v42
	v_cndmask_b32_e32 v42, v39, v37, vcc
	v_cndmask_b32_e32 v40, v40, v38, vcc
	;; [unrolled: 1-line block ×4, first 2 shown]
	v_cndmask_b32_e64 v41, v40, v42, s[10:11]
	v_cndmask_b32_e64 v39, v39, v40, s[10:11]
	;; [unrolled: 1-line block ×3, first 2 shown]
	v_cndmask_b32_e32 v35, v37, v35, vcc
	v_cndmask_b32_e64 v39, v39, v41, s[12:13]
	v_cndmask_b32_e64 v41, v41, v40, s[12:13]
	v_sub_u32_e32 v42, 32, v1
	v_cndmask_b32_e64 v37, v38, v35, s[10:11]
	v_alignbit_b32 v43, v39, v41, v42
	v_cmp_eq_u32_e64 s[14:15], 0, v1
	v_cndmask_b32_e64 v38, v40, v37, s[12:13]
	v_cndmask_b32_e64 v1, v43, v39, s[14:15]
	v_alignbit_b32 v39, v41, v38, v42
	v_cndmask_b32_e32 v34, v36, v34, vcc
	v_cndmask_b32_e64 v39, v39, v41, s[14:15]
	v_bfe_u32 v43, v1, 29, 1
	v_cndmask_b32_e64 v34, v35, v34, s[10:11]
	v_alignbit_b32 v40, v1, v39, 30
	v_sub_u32_e32 v44, 0, v43
	v_cndmask_b32_e64 v34, v37, v34, s[12:13]
	v_xor_b32_e32 v40, v40, v44
	v_alignbit_b32 v35, v38, v34, v42
	v_cndmask_b32_e64 v35, v35, v38, s[14:15]
	v_ffbh_u32_e32 v37, v40
	v_alignbit_b32 v36, v39, v35, 30
	v_min_u32_e32 v37, 32, v37
	v_alignbit_b32 v34, v35, v34, 30
	v_xor_b32_e32 v36, v36, v44
	v_sub_u32_e32 v38, 31, v37
	v_xor_b32_e32 v34, v34, v44
	v_alignbit_b32 v39, v40, v36, v38
	v_alignbit_b32 v34, v36, v34, v38
	;; [unrolled: 1-line block ×3, first 2 shown]
	v_ffbh_u32_e32 v36, v35
	v_min_u32_e32 v36, 32, v36
	v_lshrrev_b32_e32 v41, 29, v1
	v_not_b32_e32 v38, v36
	v_alignbit_b32 v34, v35, v34, v38
	v_lshlrev_b32_e32 v35, 31, v41
	v_or_b32_e32 v38, 0x33000000, v35
	v_add_lshl_u32 v36, v36, v37, 23
	v_lshrrev_b32_e32 v34, 9, v34
	v_sub_u32_e32 v36, v38, v36
	v_or_b32_e32 v35, 0.5, v35
	v_lshlrev_b32_e32 v37, 23, v37
	v_or_b32_e32 v34, v36, v34
	v_lshrrev_b32_e32 v36, 9, v39
	v_sub_u32_e32 v35, v35, v37
	v_or_b32_e32 v35, v36, v35
	v_mul_f32_e32 v36, 0x3fc90fda, v35
	v_fma_f32 v37, v35, s58, -v36
	v_fmac_f32_e32 v37, 0x33a22168, v35
	v_fmac_f32_e32 v37, 0x3fc90fda, v34
	v_lshrrev_b32_e32 v1, 30, v1
	v_add_f32_e32 v35, v36, v37
	v_add_u32_e32 v34, v43, v1
	s_andn2_saveexec_b64 s[10:11], s[40:41]
	s_cbranch_execnz .LBB254_189
	s_branch .LBB254_190
.LBB254_188:                            ;   in Loop: Header=BB254_4 Depth=1
	s_andn2_saveexec_b64 s[10:11], s[40:41]
.LBB254_189:                            ;   in Loop: Header=BB254_4 Depth=1
	v_mul_f32_e64 v1, |v7|, s59
	v_rndne_f32_e32 v1, v1
	v_cvt_i32_f32_e32 v34, v1
	v_fma_f32 v35, v1, s60, |v7|
	v_fmac_f32_e32 v35, 0xb3a22168, v1
	v_fmac_f32_e32 v35, 0xa7c234c4, v1
.LBB254_190:                            ;   in Loop: Header=BB254_4 Depth=1
	s_or_b64 exec, exec, s[10:11]
	v_mul_f32_e32 v36, v32, v32
	v_mov_b32_e32 v37, 0xbab64f3b
	v_fmac_f32_e32 v37, 0x37d75334, v36
	v_mov_b32_e32 v38, 0x3c0881c4
	v_fma_f32 v37, v36, v37, v24
	v_fmac_f32_e32 v38, 0xb94c1982, v36
	v_fma_f32 v37, v36, v37, v25
	v_fma_f32 v38, v36, v38, v23
	v_lshlrev_b32_e32 v1, 30, v33
	v_and_b32_e32 v33, 1, v33
	v_fma_f32 v37, v36, v37, 1.0
	v_mul_f32_e32 v36, v36, v38
	v_sub_f32_e32 v6, 0xc322e3bc, v6
	v_fmac_f32_e32 v32, v32, v36
	v_cmp_eq_u32_e32 vcc, 0, v33
	v_mul_f32_e32 v33, 0x3fb8aa3b, v6
	v_cndmask_b32_e64 v32, -v32, v37, vcc
	v_fma_f32 v36, v6, s65, -v33
	v_rndne_f32_e32 v37, v33
	v_fmac_f32_e32 v36, 0x32a5705f, v6
	v_sub_f32_e32 v33, v33, v37
	v_add_f32_e32 v33, v33, v36
	v_exp_f32_e32 v33, v33
	v_cvt_i32_f32_e32 v36, v37
	v_cmp_class_f32_e64 vcc, v7, s64
	v_cmp_ngt_f32_e64 s[10:11], s66, v6
	v_and_b32_e32 v1, 0x80000000, v1
	v_ldexp_f32 v7, v33, v36
	v_cndmask_b32_e64 v7, 0, v7, s[10:11]
	v_cmp_nlt_f32_e64 s[10:11], s67, v6
	v_cndmask_b32_e64 v6, v28, v7, s[10:11]
	v_and_b32_e32 v7, 0x7fffff, v6
	v_lshrrev_b32_e32 v6, 23, v6
	v_subrev_u32_e32 v6, 19, v6
	v_xor_b32_e32 v1, v1, v32
	v_lshrrev_b16_e32 v32, 15, v6
	v_add_u16_e32 v32, v6, v32
	v_ashrrev_i16_e32 v32, 1, v32
	v_bfe_i32 v32, v32, 0, 16
	v_lshl_add_u32 v33, v32, 23, 1.0
	v_sub_u32_e32 v6, v6, v32
	v_mul_f32_e32 v32, v35, v35
	v_mov_b32_e32 v36, 0x3c0881c4
	v_fmac_f32_e32 v36, 0xb94c1982, v32
	v_fma_f32 v36, v32, v36, v23
	v_mul_f32_e32 v36, v32, v36
	v_fmac_f32_e32 v35, v35, v36
	v_mov_b32_e32 v36, 0xbab64f3b
	v_fmac_f32_e32 v36, 0x37d75334, v32
	v_fma_f32 v36, v32, v36, v24
	v_fma_f32 v36, v32, v36, v25
	v_fma_f32 v32, v32, v36, 1.0
	v_and_b32_e32 v36, 1, v34
	v_cmp_eq_u32_e64 s[10:11], 0, v36
	v_lshlrev_b32_e32 v34, 30, v34
	v_cndmask_b32_e64 v32, v32, v35, s[10:11]
	v_and_or_b32 v31, v34, s47, v31
	v_xor_b32_e32 v31, v31, v32
	v_xor_b32_e32 v30, v31, v30
	v_cndmask_b32_e32 v1, v29, v1, vcc
	v_or_b32_e32 v7, 0x7f000000, v7
	v_cndmask_b32_e32 v30, v29, v30, vcc
	v_mul_f32_e32 v1, v1, v7
	v_mul_f32_e32 v7, v30, v7
	;; [unrolled: 1-line block ×3, first 2 shown]
	v_lshl_add_u32 v6, v6, 23, 1.0
	v_mul_f32_e32 v7, v7, v33
	v_mul_f32_e32 v1, v1, v6
	;; [unrolled: 1-line block ×3, first 2 shown]
.LBB254_191:                            ;   in Loop: Header=BB254_4 Depth=1
	s_or_b64 exec, exec, s[38:39]
                                        ; implicit-def: $vgpr32
                                        ; implicit-def: $vgpr6
                                        ; implicit-def: $vgpr33
.LBB254_192:                            ;   in Loop: Header=BB254_4 Depth=1
	s_andn2_saveexec_b64 s[10:11], s[36:37]
	s_cbranch_execz .LBB254_198
; %bb.193:                              ;   in Loop: Header=BB254_4 Depth=1
	v_cmp_ne_u32_e32 vcc, s48, v33
	v_sub_f32_e32 v30, v7, v7
	s_and_saveexec_b64 s[12:13], vcc
	s_xor_b64 s[12:13], exec, s[12:13]
; %bb.194:                              ;   in Loop: Header=BB254_4 Depth=1
                                        ; implicit-def: $vgpr32
                                        ; implicit-def: $vgpr6
; %bb.195:                              ;   in Loop: Header=BB254_4 Depth=1
	s_or_saveexec_b64 s[12:13], s[12:13]
	v_mov_b32_e32 v1, v30
	s_xor_b64 exec, exec, s[12:13]
; %bb.196:                              ;   in Loop: Header=BB254_4 Depth=1
	v_cmp_lt_i32_e32 vcc, -1, v32
	v_cndmask_b32_e64 v1, 0, -v6, vcc
	v_cndmask_b32_e32 v30, 0, v30, vcc
; %bb.197:                              ;   in Loop: Header=BB254_4 Depth=1
	s_or_b64 exec, exec, s[12:13]
.LBB254_198:                            ;   in Loop: Header=BB254_4 Depth=1
	s_or_b64 exec, exec, s[10:11]
                                        ; implicit-def: $vgpr7
                                        ; implicit-def: $vgpr31
.LBB254_199:                            ;   in Loop: Header=BB254_4 Depth=1
	s_andn2_saveexec_b64 s[34:35], s[34:35]
	s_cbranch_execz .LBB254_209
; %bb.200:                              ;   in Loop: Header=BB254_4 Depth=1
	v_lshrrev_b32_e32 v1, 23, v31
	v_and_b32_e32 v6, 0x7fffff, v31
	v_cmp_nlt_f32_e64 s[36:37], |v7|, s50
	v_add_u32_e32 v34, 0xffffff88, v1
	v_or_b32_e32 v6, 0x800000, v6
                                        ; implicit-def: $vgpr32
                                        ; implicit-def: $vgpr33
	s_and_saveexec_b64 s[10:11], s[36:37]
	s_xor_b64 s[38:39], exec, s[10:11]
	s_cbranch_execz .LBB254_202
; %bb.201:                              ;   in Loop: Header=BB254_4 Depth=1
	v_mad_u64_u32 v[32:33], s[10:11], v6, s51, 0
	v_cmp_lt_u32_e32 vcc, 63, v34
	v_mov_b32_e32 v1, v33
	v_mad_u64_u32 v[35:36], s[10:11], v6, s52, v[1:2]
	v_mov_b32_e32 v1, v36
	v_mad_u64_u32 v[36:37], s[10:11], v6, s53, v[1:2]
	v_mov_b32_e32 v1, v37
	v_mad_u64_u32 v[37:38], s[10:11], v6, s54, v[1:2]
	v_cndmask_b32_e32 v1, 0, v26, vcc
	v_add_u32_e32 v33, v1, v34
	v_mov_b32_e32 v1, v38
	v_mad_u64_u32 v[38:39], s[10:11], v6, s55, v[1:2]
	v_cmp_lt_u32_e64 s[10:11], 31, v33
	v_cndmask_b32_e64 v1, 0, v27, s[10:11]
	v_add_u32_e32 v33, v1, v33
	v_mov_b32_e32 v1, v39
	v_mad_u64_u32 v[39:40], s[12:13], v6, s56, v[1:2]
	v_cmp_lt_u32_e64 s[12:13], 31, v33
	v_cndmask_b32_e64 v1, 0, v27, s[12:13]
	v_add_u32_e32 v33, v1, v33
	v_mov_b32_e32 v1, v40
	v_mad_u64_u32 v[40:41], s[14:15], v6, s57, v[1:2]
	v_cndmask_b32_e32 v1, v38, v36, vcc
	v_cndmask_b32_e32 v42, v39, v37, vcc
	;; [unrolled: 1-line block ×4, first 2 shown]
	v_cndmask_b32_e64 v43, v42, v1, s[10:11]
	v_cndmask_b32_e64 v40, v38, v42, s[10:11]
	v_cndmask_b32_e64 v38, v39, v38, s[10:11]
	v_cndmask_b32_e64 v38, v38, v40, s[12:13]
	v_cndmask_b32_e64 v39, v40, v43, s[12:13]
	v_sub_u32_e32 v40, 32, v33
	v_cmp_eq_u32_e64 s[14:15], 0, v33
	v_cndmask_b32_e32 v33, v37, v35, vcc
	v_cndmask_b32_e64 v1, v1, v33, s[10:11]
	v_alignbit_b32 v41, v38, v39, v40
	v_cndmask_b32_e64 v35, v43, v1, s[12:13]
	v_cndmask_b32_e64 v38, v41, v38, s[14:15]
	v_alignbit_b32 v37, v39, v35, v40
	v_cndmask_b32_e32 v32, v36, v32, vcc
	v_cndmask_b32_e64 v37, v37, v39, s[14:15]
	v_bfe_u32 v42, v38, 29, 1
	v_cndmask_b32_e64 v32, v33, v32, s[10:11]
	v_alignbit_b32 v39, v38, v37, 30
	v_sub_u32_e32 v43, 0, v42
	v_cndmask_b32_e64 v1, v1, v32, s[12:13]
	v_xor_b32_e32 v39, v39, v43
	v_alignbit_b32 v32, v35, v1, v40
	v_cndmask_b32_e64 v32, v32, v35, s[14:15]
	v_ffbh_u32_e32 v35, v39
	v_alignbit_b32 v33, v37, v32, 30
	v_min_u32_e32 v35, 32, v35
	v_alignbit_b32 v1, v32, v1, 30
	v_xor_b32_e32 v33, v33, v43
	v_sub_u32_e32 v36, 31, v35
	v_xor_b32_e32 v1, v1, v43
	v_alignbit_b32 v37, v39, v33, v36
	v_alignbit_b32 v1, v33, v1, v36
	;; [unrolled: 1-line block ×3, first 2 shown]
	v_ffbh_u32_e32 v33, v32
	v_min_u32_e32 v33, 32, v33
	v_lshrrev_b32_e32 v41, 29, v38
	v_not_b32_e32 v36, v33
	v_alignbit_b32 v1, v32, v1, v36
	v_lshlrev_b32_e32 v32, 31, v41
	v_or_b32_e32 v36, 0x33000000, v32
	v_add_lshl_u32 v33, v33, v35, 23
	v_lshrrev_b32_e32 v1, 9, v1
	v_sub_u32_e32 v33, v36, v33
	v_or_b32_e32 v32, 0.5, v32
	v_lshlrev_b32_e32 v35, 23, v35
	v_or_b32_e32 v1, v33, v1
	v_lshrrev_b32_e32 v33, 9, v37
	v_sub_u32_e32 v32, v32, v35
	v_or_b32_e32 v32, v33, v32
	v_mul_f32_e32 v33, 0x3fc90fda, v32
	v_fma_f32 v35, v32, s58, -v33
	v_fmac_f32_e32 v35, 0x33a22168, v32
	v_fmac_f32_e32 v35, 0x3fc90fda, v1
	v_lshrrev_b32_e32 v1, 30, v38
	v_add_f32_e32 v33, v33, v35
	v_add_u32_e32 v32, v42, v1
.LBB254_202:                            ;   in Loop: Header=BB254_4 Depth=1
	s_or_saveexec_b64 s[10:11], s[38:39]
	v_mul_f32_e64 v1, |v7|, s59
	v_rndne_f32_e32 v1, v1
	s_xor_b64 exec, exec, s[10:11]
; %bb.203:                              ;   in Loop: Header=BB254_4 Depth=1
	v_cvt_i32_f32_e32 v32, v1
	v_fma_f32 v33, v1, s60, |v7|
	v_fmac_f32_e32 v33, 0xb3a22168, v1
	v_fmac_f32_e32 v33, 0xa7c234c4, v1
; %bb.204:                              ;   in Loop: Header=BB254_4 Depth=1
	s_or_b64 exec, exec, s[10:11]
                                        ; implicit-def: $vgpr35
                                        ; implicit-def: $vgpr36
	s_and_saveexec_b64 s[10:11], s[36:37]
	s_xor_b64 s[36:37], exec, s[10:11]
	s_cbranch_execz .LBB254_206
; %bb.205:                              ;   in Loop: Header=BB254_4 Depth=1
	v_mad_u64_u32 v[35:36], s[10:11], v6, s51, 0
	v_cmp_lt_u32_e32 vcc, 63, v34
	v_mov_b32_e32 v1, v36
	v_mad_u64_u32 v[36:37], s[10:11], v6, s52, v[1:2]
	v_mov_b32_e32 v1, v37
	v_mad_u64_u32 v[37:38], s[10:11], v6, s53, v[1:2]
	;; [unrolled: 2-line block ×3, first 2 shown]
	v_cndmask_b32_e32 v1, 0, v26, vcc
	v_add_u32_e32 v34, v1, v34
	v_mov_b32_e32 v1, v39
	v_mad_u64_u32 v[39:40], s[10:11], v6, s55, v[1:2]
	v_cmp_lt_u32_e64 s[10:11], 31, v34
	v_cndmask_b32_e64 v1, 0, v27, s[10:11]
	v_add_u32_e32 v34, v1, v34
	v_mov_b32_e32 v1, v40
	v_mad_u64_u32 v[40:41], s[12:13], v6, s56, v[1:2]
	v_cmp_lt_u32_e64 s[12:13], 31, v34
	v_cndmask_b32_e64 v1, 0, v27, s[12:13]
	v_add_u32_e32 v34, v1, v34
	v_mov_b32_e32 v1, v41
	v_mad_u64_u32 v[41:42], s[14:15], v6, s57, v[1:2]
	v_cndmask_b32_e32 v1, v39, v37, vcc
	v_cndmask_b32_e32 v6, v40, v38, vcc
	;; [unrolled: 1-line block ×4, first 2 shown]
	v_cndmask_b32_e64 v43, v6, v1, s[10:11]
	v_cndmask_b32_e64 v6, v39, v6, s[10:11]
	;; [unrolled: 1-line block ×3, first 2 shown]
	v_cndmask_b32_e32 v36, v38, v36, vcc
	v_cndmask_b32_e64 v39, v39, v6, s[12:13]
	v_cndmask_b32_e64 v6, v6, v43, s[12:13]
	v_sub_u32_e32 v40, 32, v34
	v_cndmask_b32_e64 v1, v1, v36, s[10:11]
	v_alignbit_b32 v41, v39, v6, v40
	v_cmp_eq_u32_e64 s[14:15], 0, v34
	v_cndmask_b32_e64 v38, v43, v1, s[12:13]
	v_cndmask_b32_e64 v34, v41, v39, s[14:15]
	v_alignbit_b32 v39, v6, v38, v40
	v_cndmask_b32_e32 v35, v37, v35, vcc
	v_cndmask_b32_e64 v6, v39, v6, s[14:15]
	v_bfe_u32 v42, v34, 29, 1
	v_cndmask_b32_e64 v35, v36, v35, s[10:11]
	v_alignbit_b32 v39, v34, v6, 30
	v_sub_u32_e32 v43, 0, v42
	v_cndmask_b32_e64 v1, v1, v35, s[12:13]
	v_xor_b32_e32 v39, v39, v43
	v_alignbit_b32 v35, v38, v1, v40
	v_cndmask_b32_e64 v35, v35, v38, s[14:15]
	v_ffbh_u32_e32 v36, v39
	v_alignbit_b32 v6, v6, v35, 30
	v_min_u32_e32 v36, 32, v36
	v_alignbit_b32 v1, v35, v1, 30
	v_xor_b32_e32 v6, v6, v43
	v_sub_u32_e32 v37, 31, v36
	v_xor_b32_e32 v1, v1, v43
	v_alignbit_b32 v38, v39, v6, v37
	v_alignbit_b32 v1, v6, v1, v37
	;; [unrolled: 1-line block ×3, first 2 shown]
	v_ffbh_u32_e32 v35, v6
	v_min_u32_e32 v35, 32, v35
	v_lshrrev_b32_e32 v41, 29, v34
	v_not_b32_e32 v37, v35
	v_alignbit_b32 v1, v6, v1, v37
	v_lshlrev_b32_e32 v6, 31, v41
	v_or_b32_e32 v37, 0x33000000, v6
	v_add_lshl_u32 v35, v35, v36, 23
	v_lshrrev_b32_e32 v1, 9, v1
	v_sub_u32_e32 v35, v37, v35
	v_or_b32_e32 v6, 0.5, v6
	v_lshlrev_b32_e32 v36, 23, v36
	v_or_b32_e32 v1, v35, v1
	v_lshrrev_b32_e32 v35, 9, v38
	v_sub_u32_e32 v6, v6, v36
	v_or_b32_e32 v6, v35, v6
	v_mul_f32_e32 v35, 0x3fc90fda, v6
	v_fma_f32 v36, v6, s58, -v35
	v_fmac_f32_e32 v36, 0x33a22168, v6
	v_fmac_f32_e32 v36, 0x3fc90fda, v1
	v_lshrrev_b32_e32 v1, 30, v34
	v_add_f32_e32 v36, v35, v36
	v_add_u32_e32 v35, v42, v1
                                        ; implicit-def: $vgpr1
	s_andn2_saveexec_b64 s[10:11], s[36:37]
	s_cbranch_execnz .LBB254_207
	s_branch .LBB254_208
.LBB254_206:                            ;   in Loop: Header=BB254_4 Depth=1
	s_andn2_saveexec_b64 s[10:11], s[36:37]
.LBB254_207:                            ;   in Loop: Header=BB254_4 Depth=1
	v_cvt_i32_f32_e32 v35, v1
	v_fma_f32 v36, v1, s60, |v7|
	v_fmac_f32_e32 v36, 0xb3a22168, v1
	v_fmac_f32_e32 v36, 0xa7c234c4, v1
.LBB254_208:                            ;   in Loop: Header=BB254_4 Depth=1
	s_or_b64 exec, exec, s[10:11]
	v_mul_f32_e32 v1, v33, v33
	v_mov_b32_e32 v6, 0x3c0881c4
	v_fmac_f32_e32 v6, 0xb94c1982, v1
	v_fma_f32 v6, v1, v6, v23
	v_mul_f32_e32 v6, v1, v6
	v_fmac_f32_e32 v33, v33, v6
	v_mov_b32_e32 v6, 0xbab64f3b
	v_fmac_f32_e32 v6, 0x37d75334, v1
	v_fma_f32 v6, v1, v6, v24
	v_fma_f32 v6, v1, v6, v25
	v_fma_f32 v1, v1, v6, 1.0
	v_and_b32_e32 v6, 1, v32
	v_cmp_eq_u32_e32 vcc, 0, v6
	v_lshlrev_b32_e32 v6, 30, v32
	v_cndmask_b32_e64 v1, -v33, v1, vcc
	v_and_b32_e32 v6, 0x80000000, v6
	v_xor_b32_e32 v1, v6, v1
	v_cmp_class_f32_e64 vcc, v7, s64
	v_mul_f32_e32 v6, v36, v36
	v_mov_b32_e32 v7, 0x3c0881c4
	v_fmac_f32_e32 v7, 0xb94c1982, v6
	v_fma_f32 v7, v6, v7, v23
	v_mul_f32_e32 v7, v6, v7
	v_fmac_f32_e32 v36, v36, v7
	v_mov_b32_e32 v7, 0xbab64f3b
	v_fmac_f32_e32 v7, 0x37d75334, v6
	v_fma_f32 v7, v6, v7, v24
	v_fma_f32 v7, v6, v7, v25
	v_fma_f32 v6, v6, v7, 1.0
	v_and_b32_e32 v7, 1, v35
	v_cmp_eq_u32_e64 s[10:11], 0, v7
	v_lshlrev_b32_e32 v7, 30, v35
	v_cndmask_b32_e64 v6, v6, v36, s[10:11]
	v_and_or_b32 v7, v7, s47, v31
	v_xor_b32_e32 v6, v7, v6
	v_xor_b32_e32 v6, v6, v30
	v_cndmask_b32_e32 v1, v29, v1, vcc
	v_cndmask_b32_e32 v30, v29, v6, vcc
.LBB254_209:                            ;   in Loop: Header=BB254_4 Depth=1
	s_or_b64 exec, exec, s[34:35]
                                        ; implicit-def: $vgpr6
.LBB254_210:                            ;   in Loop: Header=BB254_4 Depth=1
	s_andn2_saveexec_b64 s[10:11], s[30:31]
	s_cbranch_execz .LBB254_212
; %bb.211:                              ;   in Loop: Header=BB254_4 Depth=1
	v_mul_f32_e32 v1, 0xbfb8aa3b, v6
	v_rndne_f32_e32 v7, v1
	v_sub_f32_e32 v31, v1, v7
	v_fma_f32 v1, v6, s61, -v1
	v_fmac_f32_e32 v1, 0xb2a5705f, v6
	v_add_f32_e32 v1, v31, v1
	v_cvt_i32_f32_e32 v7, v7
	v_exp_f32_e32 v1, v1
	v_cmp_nlt_f32_e32 vcc, s62, v6
	v_ldexp_f32 v1, v1, v7
	v_cndmask_b32_e32 v1, 0, v1, vcc
	v_cmp_ngt_f32_e32 vcc, s63, v6
	v_cndmask_b32_e32 v1, v28, v1, vcc
.LBB254_212:                            ;   in Loop: Header=BB254_4 Depth=1
	s_or_b64 exec, exec, s[10:11]
	v_add_f32_e32 v31, s16, v1
	v_add_f32_e32 v1, s17, v30
	v_cmp_gt_f32_e32 vcc, 0, v31
	v_cndmask_b32_e64 v30, v31, -v31, vcc
	v_cmp_gt_f32_e32 vcc, 0, v1
	v_cndmask_b32_e64 v32, v1, -v1, vcc
	v_cmp_ge_f32_e32 vcc, v30, v32
                                        ; implicit-def: $vgpr7
	s_and_saveexec_b64 s[10:11], vcc
	s_xor_b64 s[12:13], exec, s[10:11]
	s_cbranch_execz .LBB254_222
; %bb.213:                              ;   in Loop: Header=BB254_4 Depth=1
	v_cmp_neq_f32_e32 vcc, 0, v31
	v_cmp_neq_f32_e64 s[10:11], 0, v1
	s_or_b64 s[10:11], vcc, s[10:11]
                                        ; implicit-def: $vgpr7
	s_and_saveexec_b64 s[14:15], s[10:11]
	s_xor_b64 s[10:11], exec, s[14:15]
	s_cbranch_execz .LBB254_215
; %bb.214:                              ;   in Loop: Header=BB254_4 Depth=1
	v_div_scale_f32 v6, s[14:15], v31, v31, v1
	v_div_scale_f32 v7, vcc, v1, v31, v1
	v_rcp_f32_e32 v30, v6
	v_fma_f32 v32, -v6, v30, 1.0
	v_fmac_f32_e32 v30, v32, v30
	v_mul_f32_e32 v32, v7, v30
	v_fma_f32 v33, -v6, v32, v7
	v_fmac_f32_e32 v32, v33, v30
	v_fma_f32 v6, -v6, v32, v7
	v_div_fmas_f32 v6, v6, v30, v32
	v_div_fixup_f32 v6, v6, v31, v1
	v_fmac_f32_e32 v31, v1, v6
	v_div_scale_f32 v1, s[14:15], v31, v31, 1.0
	v_div_scale_f32 v7, vcc, 1.0, v31, 1.0
	v_rcp_f32_e32 v30, v1
	v_fma_f32 v32, -v1, v30, 1.0
	v_fmac_f32_e32 v30, v32, v30
	v_mul_f32_e32 v32, v7, v30
	v_fma_f32 v33, -v1, v32, v7
	v_fmac_f32_e32 v32, v33, v30
	v_fma_f32 v1, -v1, v32, v7
	v_div_fmas_f32 v1, v1, v30, v32
	v_mov_b32_e32 v7, s16
	v_mov_b32_e32 v30, s17
	v_fma_f32 v7, s17, v6, v7
	v_fma_f32 v30, -v6, s16, v30
                                        ; implicit-def: $vgpr32
	v_div_fixup_f32 v1, v1, v31, 1.0
	v_mul_f32_e32 v6, v7, v1
	v_mul_f32_e32 v7, v30, v1
                                        ; implicit-def: $vgpr30
.LBB254_215:                            ;   in Loop: Header=BB254_4 Depth=1
	s_andn2_saveexec_b64 s[14:15], s[10:11]
	s_cbranch_execz .LBB254_217
; %bb.216:                              ;   in Loop: Header=BB254_4 Depth=1
	v_div_scale_f32 v1, s[10:11], v30, v30, s16
	v_div_scale_f32 v6, s[10:11], v32, v32, s17
	v_div_scale_f32 v7, vcc, s16, v30, s16
	v_div_scale_f32 v31, s[10:11], s17, v32, s17
	v_rcp_f32_e32 v33, v1
	v_rcp_f32_e32 v34, v6
	v_fma_f32 v35, -v1, v33, 1.0
	v_fmac_f32_e32 v33, v35, v33
	v_fma_f32 v36, -v6, v34, 1.0
	v_fmac_f32_e32 v34, v36, v34
	v_mul_f32_e32 v35, v7, v33
	v_mul_f32_e32 v36, v31, v34
	v_fma_f32 v37, -v1, v35, v7
	v_fma_f32 v38, -v6, v36, v31
	v_fmac_f32_e32 v35, v37, v33
	v_fmac_f32_e32 v36, v38, v34
	v_fma_f32 v1, -v1, v35, v7
	v_fma_f32 v6, -v6, v36, v31
	v_div_fmas_f32 v1, v1, v33, v35
	s_mov_b64 vcc, s[10:11]
	v_div_fmas_f32 v7, v6, v34, v36
	v_div_fixup_f32 v6, v1, v30, s16
	v_div_fixup_f32 v7, v7, v32, s17
.LBB254_217:                            ;   in Loop: Header=BB254_4 Depth=1
	s_or_b64 exec, exec, s[14:15]
                                        ; implicit-def: $vgpr1
                                        ; implicit-def: $vgpr31
	s_andn2_saveexec_b64 s[10:11], s[12:13]
	s_cbranch_execnz .LBB254_223
.LBB254_218:                            ;   in Loop: Header=BB254_4 Depth=1
	s_or_b64 exec, exec, s[10:11]
	s_and_saveexec_b64 s[10:11], s[0:1]
	s_xor_b64 s[0:1], exec, s[10:11]
	s_cbranch_execz .LBB254_224
.LBB254_219:                            ;   in Loop: Header=BB254_4 Depth=1
	v_mov_b32_e32 v1, s44
	v_add_co_u32_e32 v30, vcc, s33, v3
	v_addc_co_u32_e32 v31, vcc, 0, v1, vcc
	global_store_dwordx2 v[30:31], v[8:9], off
	s_or_b64 exec, exec, s[0:1]
	s_and_saveexec_b64 s[0:1], s[2:3]
	s_cbranch_execnz .LBB254_225
.LBB254_220:                            ;   in Loop: Header=BB254_4 Depth=1
	s_or_b64 exec, exec, s[0:1]
	s_and_saveexec_b64 s[0:1], s[6:7]
	s_cbranch_execz .LBB254_226
.LBB254_221:                            ;   in Loop: Header=BB254_4 Depth=1
	v_mov_b32_e32 v1, s44
	v_add_co_u32_e32 v8, vcc, s33, v20
	v_addc_co_u32_e32 v9, vcc, v1, v19, vcc
	global_store_dwordx2 v[8:9], v[10:11], off offset:-4
	s_or_b64 exec, exec, s[0:1]
	s_and_saveexec_b64 s[0:1], s[8:9]
	s_cbranch_execz .LBB254_3
	s_branch .LBB254_227
.LBB254_222:                            ;   in Loop: Header=BB254_4 Depth=1
	s_andn2_saveexec_b64 s[10:11], s[12:13]
	s_cbranch_execz .LBB254_218
.LBB254_223:                            ;   in Loop: Header=BB254_4 Depth=1
	v_div_scale_f32 v6, s[12:13], v1, v1, v31
	v_div_scale_f32 v7, vcc, v31, v1, v31
	v_rcp_f32_e32 v30, v6
	v_fma_f32 v32, -v6, v30, 1.0
	v_fmac_f32_e32 v30, v32, v30
	v_mul_f32_e32 v32, v7, v30
	v_fma_f32 v33, -v6, v32, v7
	v_fmac_f32_e32 v32, v33, v30
	v_fma_f32 v6, -v6, v32, v7
	v_div_fmas_f32 v6, v6, v30, v32
	v_div_fixup_f32 v6, v6, v1, v31
	v_fmac_f32_e32 v1, v31, v6
	v_div_scale_f32 v7, s[12:13], v1, v1, 1.0
	v_div_scale_f32 v30, vcc, 1.0, v1, 1.0
	v_rcp_f32_e32 v31, v7
	v_fma_f32 v32, -v7, v31, 1.0
	v_fmac_f32_e32 v31, v32, v31
	v_mul_f32_e32 v32, v30, v31
	v_fma_f32 v33, -v7, v32, v30
	v_fmac_f32_e32 v32, v33, v31
	v_fma_f32 v7, -v7, v32, v30
	v_div_fmas_f32 v7, v7, v31, v32
	v_mov_b32_e32 v30, s17
	v_mov_b32_e32 v31, s16
	v_fma_f32 v30, s16, v6, v30
	v_fma_f32 v31, v6, s17, -v31
	v_div_fixup_f32 v1, v7, v1, 1.0
	v_mul_f32_e32 v6, v30, v1
	v_mul_f32_e32 v7, v31, v1
	s_or_b64 exec, exec, s[10:11]
	s_and_saveexec_b64 s[10:11], s[0:1]
	s_xor_b64 s[0:1], exec, s[10:11]
	s_cbranch_execnz .LBB254_219
.LBB254_224:                            ;   in Loop: Header=BB254_4 Depth=1
	s_or_b64 exec, exec, s[0:1]
	s_and_saveexec_b64 s[0:1], s[2:3]
	s_cbranch_execz .LBB254_220
.LBB254_225:                            ;   in Loop: Header=BB254_4 Depth=1
	v_mov_b32_e32 v1, s44
	v_add_co_u32_e32 v8, vcc, s33, v18
	v_addc_co_u32_e32 v9, vcc, 0, v1, vcc
	global_store_dwordx2 v[8:9], v[12:13], off
	s_or_b64 exec, exec, s[0:1]
	s_and_saveexec_b64 s[0:1], s[6:7]
	s_cbranch_execnz .LBB254_221
.LBB254_226:                            ;   in Loop: Header=BB254_4 Depth=1
	s_or_b64 exec, exec, s[0:1]
	s_and_saveexec_b64 s[0:1], s[8:9]
	s_cbranch_execz .LBB254_3
.LBB254_227:                            ;   in Loop: Header=BB254_4 Depth=1
	v_mov_b32_e32 v1, s44
	v_add_co_u32_e32 v8, vcc, s33, v4
	v_addc_co_u32_e32 v9, vcc, v1, v5, vcc
	global_store_dwordx2 v[8:9], v[6:7], off offset:-4
	s_branch .LBB254_3
.LBB254_228:
	s_cbranch_execz .LBB254_230
	s_branch .LBB254_441
.LBB254_229:
.LBB254_230:
	v_mov_b32_e32 v1, 0x10000
	v_mov_b32_e32 v2, 0
	v_cmp_lt_i64_e32 vcc, s[22:23], v[1:2]
	v_mov_b32_e32 v14, 0
	s_and_b64 s[0:1], vcc, exec
	s_cselect_b32 s7, s23, 0
	s_cselect_b32 s6, s22, 0x10000
	v_lshlrev_b32_e32 v13, 2, v0
	v_cmp_gt_i64_e32 vcc, s[6:7], v[13:14]
	s_and_saveexec_b64 s[0:1], vcc
	s_cbranch_execz .LBB254_441
; %bb.231:
	s_load_dword s0, s[4:5], 0xd44
	v_lshlrev_b32_e32 v2, 5, v0
	v_mov_b32_e32 v1, v14
	s_mov_b64 s[8:9], 0
	s_brev_b32 s26, 1
	s_waitcnt lgkmcnt(0)
	s_and_b32 s24, s0, 0xffff
	s_add_u32 s0, s18, s20
	s_addc_u32 s1, s19, s21
	v_mov_b32_e32 v3, s1
	v_add_co_u32_e32 v15, vcc, s0, v2
	v_addc_co_u32_e32 v16, vcc, 0, v3, vcc
	s_lshl_b32 s25, s24, 5
	s_mov_b32 s27, 0x7f800000
	s_mov_b32 s28, 0x8e8e5c
	s_brev_b32 s29, 18
	s_mov_b32 s30, 0xfe5163ab
	s_mov_b32 s31, 0x3c439041
	;; [unrolled: 1-line block ×13, first 2 shown]
	v_mov_b32_e32 v17, 0xbe2aaa9d
	v_mov_b32_e32 v18, 0x3d2aabf7
	;; [unrolled: 1-line block ×3, first 2 shown]
	s_movk_i32 s44, 0x1f8
	s_mov_b32 s45, 0x3fb8aa3b
	s_mov_b32 s46, 0xc2ce8ed0
	;; [unrolled: 1-line block ×3, first 2 shown]
	v_not_b32_e32 v20, 63
	v_not_b32_e32 v21, 31
	v_mov_b32_e32 v22, 0x7f800000
	v_mov_b32_e32 v23, 0x7fc00000
	s_branch .LBB254_233
.LBB254_232:                            ;   in Loop: Header=BB254_233 Depth=1
	s_or_b64 exec, exec, s[0:1]
	v_add_co_u32_e32 v0, vcc, s24, v0
	v_addc_co_u32_e32 v1, vcc, 0, v1, vcc
	v_lshlrev_b64 v[2:3], 2, v[0:1]
	global_store_dwordx4 v[15:16], v[6:9], off
	v_cmp_le_i64_e32 vcc, s[6:7], v[2:3]
	global_store_dwordx4 v[15:16], v[10:13], off offset:16
	s_or_b64 s[8:9], vcc, s[8:9]
	v_add_co_u32_e32 v15, vcc, s25, v15
	v_addc_co_u32_e32 v16, vcc, 0, v16, vcc
	s_andn2_b64 exec, exec, s[8:9]
	s_cbranch_execz .LBB254_441
.LBB254_233:                            ; =>This Inner Loop Header: Depth=1
	global_load_dwordx4 v[8:11], v[15:16], off
	global_load_dwordx4 v[2:5], v[15:16], off offset:16
                                        ; implicit-def: $vgpr12
	s_waitcnt vmcnt(1)
	v_and_b32_e32 v7, 0x7fffffff, v9
	v_xor_b32_e32 v6, 0x80000000, v9
	v_cmp_ne_u32_e32 vcc, 0, v7
	s_and_saveexec_b64 s[0:1], vcc
	s_xor_b64 s[10:11], exec, s[0:1]
	s_cbranch_execz .LBB254_275
; %bb.234:                              ;   in Loop: Header=BB254_233 Depth=1
	v_and_b32_e32 v24, 0x7fffffff, v8
	v_cmp_ne_u32_e32 vcc, 0, v24
                                        ; implicit-def: $vgpr12
	s_and_saveexec_b64 s[0:1], vcc
	s_xor_b64 s[12:13], exec, s[0:1]
	s_cbranch_execz .LBB254_264
; %bb.235:                              ;   in Loop: Header=BB254_233 Depth=1
	v_xor_b32_e32 v13, 0x80000000, v8
	v_cmp_gt_u32_e32 vcc, s27, v7
                                        ; implicit-def: $vgpr12
	s_and_saveexec_b64 s[0:1], vcc
	s_xor_b64 s[14:15], exec, s[0:1]
	s_cbranch_execz .LBB254_257
; %bb.236:                              ;   in Loop: Header=BB254_233 Depth=1
	v_add_u32_e32 v12, 0xbd4e8de8, v13
	v_cmp_lt_u32_e32 vcc, s28, v12
                                        ; implicit-def: $vgpr12
	s_and_saveexec_b64 s[0:1], vcc
	s_xor_b64 s[18:19], exec, s[0:1]
	s_cbranch_execz .LBB254_246
; %bb.237:                              ;   in Loop: Header=BB254_233 Depth=1
	v_cmp_nlt_f32_e64 s[20:21], |v9|, s29
                                        ; implicit-def: $vgpr12
                                        ; implicit-def: $vgpr24
	s_and_saveexec_b64 s[0:1], s[20:21]
	s_xor_b64 s[22:23], exec, s[0:1]
	s_cbranch_execz .LBB254_239
; %bb.238:                              ;   in Loop: Header=BB254_233 Depth=1
	v_and_b32_e32 v12, 0x7fffff, v7
	v_or_b32_e32 v30, 0x800000, v12
	v_mad_u64_u32 v[12:13], s[0:1], v30, s30, 0
	v_mad_u64_u32 v[24:25], s[0:1], v30, s31, v[13:14]
	v_mov_b32_e32 v13, v25
	v_mad_u64_u32 v[25:26], s[0:1], v30, s33, v[13:14]
	v_mov_b32_e32 v13, v26
	v_mad_u64_u32 v[26:27], s[0:1], v30, s34, v[13:14]
	v_lshrrev_b32_e32 v13, 23, v7
	v_add_u32_e32 v29, 0xffffff88, v13
	v_mov_b32_e32 v13, v27
	v_mad_u64_u32 v[27:28], s[0:1], v30, s35, v[13:14]
	v_cmp_lt_u32_e32 vcc, 63, v29
	v_cndmask_b32_e32 v13, 0, v20, vcc
	v_add_u32_e32 v31, v13, v29
	v_mov_b32_e32 v13, v28
	v_mad_u64_u32 v[28:29], s[0:1], v30, s36, v[13:14]
	v_cmp_lt_u32_e64 s[0:1], 31, v31
	v_cndmask_b32_e64 v13, 0, v21, s[0:1]
	v_add_u32_e32 v31, v13, v31
	v_mov_b32_e32 v13, v29
	v_mad_u64_u32 v[29:30], s[2:3], v30, s37, v[13:14]
	v_cmp_lt_u32_e64 s[2:3], 31, v31
	v_cndmask_b32_e64 v13, 0, v21, s[2:3]
	v_add_u32_e32 v13, v13, v31
	v_cndmask_b32_e32 v31, v28, v26, vcc
	v_cndmask_b32_e32 v29, v29, v27, vcc
	;; [unrolled: 1-line block ×4, first 2 shown]
	v_cndmask_b32_e64 v30, v29, v31, s[0:1]
	v_cndmask_b32_e64 v28, v28, v29, s[0:1]
	v_cndmask_b32_e64 v29, v31, v27, s[0:1]
	v_cndmask_b32_e32 v24, v26, v24, vcc
	v_cndmask_b32_e64 v28, v28, v30, s[2:3]
	v_cndmask_b32_e64 v30, v30, v29, s[2:3]
	v_sub_u32_e32 v31, 32, v13
	v_cndmask_b32_e64 v26, v27, v24, s[0:1]
	v_alignbit_b32 v32, v28, v30, v31
	v_cmp_eq_u32_e64 s[4:5], 0, v13
	v_cndmask_b32_e64 v27, v29, v26, s[2:3]
	v_cndmask_b32_e64 v13, v32, v28, s[4:5]
	v_alignbit_b32 v28, v30, v27, v31
	v_cndmask_b32_e32 v12, v25, v12, vcc
	v_cndmask_b32_e64 v28, v28, v30, s[4:5]
	v_bfe_u32 v32, v13, 29, 1
	v_cndmask_b32_e64 v12, v24, v12, s[0:1]
	v_alignbit_b32 v29, v13, v28, 30
	v_sub_u32_e32 v33, 0, v32
	v_cndmask_b32_e64 v12, v26, v12, s[2:3]
	v_xor_b32_e32 v29, v29, v33
	v_alignbit_b32 v24, v27, v12, v31
	v_cndmask_b32_e64 v24, v24, v27, s[4:5]
	v_ffbh_u32_e32 v26, v29
	v_alignbit_b32 v25, v28, v24, 30
	v_min_u32_e32 v26, 32, v26
	v_alignbit_b32 v12, v24, v12, 30
	v_xor_b32_e32 v25, v25, v33
	v_sub_u32_e32 v27, 31, v26
	v_xor_b32_e32 v12, v12, v33
	v_alignbit_b32 v28, v29, v25, v27
	v_alignbit_b32 v12, v25, v12, v27
	;; [unrolled: 1-line block ×3, first 2 shown]
	v_ffbh_u32_e32 v25, v24
	v_min_u32_e32 v25, 32, v25
	v_lshrrev_b32_e32 v30, 29, v13
	v_not_b32_e32 v27, v25
	v_alignbit_b32 v12, v24, v12, v27
	v_lshlrev_b32_e32 v24, 31, v30
	v_or_b32_e32 v27, 0x33000000, v24
	v_add_lshl_u32 v25, v25, v26, 23
	v_lshrrev_b32_e32 v12, 9, v12
	v_sub_u32_e32 v25, v27, v25
	v_or_b32_e32 v24, 0.5, v24
	v_lshlrev_b32_e32 v26, 23, v26
	v_or_b32_e32 v12, v25, v12
	v_lshrrev_b32_e32 v25, 9, v28
	v_sub_u32_e32 v24, v24, v26
	v_or_b32_e32 v24, v25, v24
	v_mul_f32_e32 v25, 0x3fc90fda, v24
	v_fma_f32 v26, v24, s38, -v25
	v_fmac_f32_e32 v26, 0x33a22168, v24
	v_fmac_f32_e32 v26, 0x3fc90fda, v12
	v_lshrrev_b32_e32 v12, 30, v13
	v_add_f32_e32 v24, v25, v26
	v_add_u32_e32 v12, v32, v12
	s_andn2_saveexec_b64 s[0:1], s[22:23]
	s_branch .LBB254_240
.LBB254_239:                            ;   in Loop: Header=BB254_233 Depth=1
	s_andn2_saveexec_b64 s[0:1], s[22:23]
.LBB254_240:                            ;   in Loop: Header=BB254_233 Depth=1
	v_mul_f32_e64 v12, |v9|, s39
	v_rndne_f32_e32 v13, v12
	v_cvt_i32_f32_e32 v12, v13
	v_fma_f32 v24, v13, s40, |v9|
	v_fmac_f32_e32 v24, 0xb3a22168, v13
	v_fmac_f32_e32 v24, 0xa7c234c4, v13
; %bb.241:                              ;   in Loop: Header=BB254_233 Depth=1
	s_or_b64 exec, exec, s[0:1]
                                        ; implicit-def: $vgpr13
                                        ; implicit-def: $vgpr25
	s_and_saveexec_b64 s[0:1], s[20:21]
	s_xor_b64 s[20:21], exec, s[0:1]
	s_cbranch_execz .LBB254_243
; %bb.242:                              ;   in Loop: Header=BB254_233 Depth=1
	v_and_b32_e32 v13, 0x7fffff, v7
	v_or_b32_e32 v32, 0x800000, v13
	v_mad_u64_u32 v[25:26], s[0:1], v32, s30, 0
	v_mov_b32_e32 v13, v26
	v_mad_u64_u32 v[26:27], s[0:1], v32, s31, v[13:14]
	v_mov_b32_e32 v13, v27
	;; [unrolled: 2-line block ×3, first 2 shown]
	v_mad_u64_u32 v[28:29], s[0:1], v32, s34, v[13:14]
	v_lshrrev_b32_e32 v13, 23, v7
	v_add_u32_e32 v31, 0xffffff88, v13
	v_mov_b32_e32 v13, v29
	v_mad_u64_u32 v[29:30], s[0:1], v32, s35, v[13:14]
	v_cmp_lt_u32_e32 vcc, 63, v31
	v_cndmask_b32_e32 v13, 0, v20, vcc
	v_add_u32_e32 v33, v13, v31
	v_mov_b32_e32 v13, v30
	v_mad_u64_u32 v[30:31], s[0:1], v32, s36, v[13:14]
	v_cmp_lt_u32_e64 s[0:1], 31, v33
	v_cndmask_b32_e64 v13, 0, v21, s[0:1]
	v_add_u32_e32 v33, v13, v33
	v_mov_b32_e32 v13, v31
	v_mad_u64_u32 v[31:32], s[2:3], v32, s37, v[13:14]
	v_cmp_lt_u32_e64 s[2:3], 31, v33
	v_cndmask_b32_e64 v13, 0, v21, s[2:3]
	v_add_u32_e32 v13, v13, v33
	v_cndmask_b32_e32 v33, v30, v28, vcc
	v_cndmask_b32_e32 v31, v31, v29, vcc
	;; [unrolled: 1-line block ×4, first 2 shown]
	v_cndmask_b32_e64 v32, v31, v33, s[0:1]
	v_cndmask_b32_e64 v30, v30, v31, s[0:1]
	v_cndmask_b32_e64 v31, v33, v29, s[0:1]
	v_cndmask_b32_e32 v26, v28, v26, vcc
	v_cndmask_b32_e64 v30, v30, v32, s[2:3]
	v_cndmask_b32_e64 v32, v32, v31, s[2:3]
	v_sub_u32_e32 v33, 32, v13
	v_cndmask_b32_e64 v28, v29, v26, s[0:1]
	v_alignbit_b32 v34, v30, v32, v33
	v_cmp_eq_u32_e64 s[4:5], 0, v13
	v_cndmask_b32_e64 v29, v31, v28, s[2:3]
	v_cndmask_b32_e64 v13, v34, v30, s[4:5]
	v_alignbit_b32 v30, v32, v29, v33
	v_cndmask_b32_e32 v25, v27, v25, vcc
	v_cndmask_b32_e64 v30, v30, v32, s[4:5]
	v_bfe_u32 v34, v13, 29, 1
	v_cndmask_b32_e64 v25, v26, v25, s[0:1]
	v_alignbit_b32 v31, v13, v30, 30
	v_sub_u32_e32 v35, 0, v34
	v_cndmask_b32_e64 v25, v28, v25, s[2:3]
	v_xor_b32_e32 v31, v31, v35
	v_alignbit_b32 v26, v29, v25, v33
	v_cndmask_b32_e64 v26, v26, v29, s[4:5]
	v_ffbh_u32_e32 v28, v31
	v_alignbit_b32 v27, v30, v26, 30
	v_min_u32_e32 v28, 32, v28
	v_alignbit_b32 v25, v26, v25, 30
	v_xor_b32_e32 v27, v27, v35
	v_sub_u32_e32 v29, 31, v28
	v_xor_b32_e32 v25, v25, v35
	v_alignbit_b32 v30, v31, v27, v29
	v_alignbit_b32 v25, v27, v25, v29
	;; [unrolled: 1-line block ×3, first 2 shown]
	v_ffbh_u32_e32 v27, v26
	v_min_u32_e32 v27, 32, v27
	v_lshrrev_b32_e32 v32, 29, v13
	v_not_b32_e32 v29, v27
	v_alignbit_b32 v25, v26, v25, v29
	v_lshlrev_b32_e32 v26, 31, v32
	v_or_b32_e32 v29, 0x33000000, v26
	v_add_lshl_u32 v27, v27, v28, 23
	v_lshrrev_b32_e32 v25, 9, v25
	v_sub_u32_e32 v27, v29, v27
	v_or_b32_e32 v26, 0.5, v26
	v_lshlrev_b32_e32 v28, 23, v28
	v_or_b32_e32 v25, v27, v25
	v_lshrrev_b32_e32 v27, 9, v30
	v_sub_u32_e32 v26, v26, v28
	v_or_b32_e32 v26, v27, v26
	v_mul_f32_e32 v27, 0x3fc90fda, v26
	v_fma_f32 v28, v26, s38, -v27
	v_fmac_f32_e32 v28, 0x33a22168, v26
	v_fmac_f32_e32 v28, 0x3fc90fda, v25
	v_lshrrev_b32_e32 v13, 30, v13
	v_add_f32_e32 v25, v27, v28
	v_add_u32_e32 v13, v34, v13
	s_andn2_saveexec_b64 s[0:1], s[20:21]
	s_cbranch_execnz .LBB254_244
	s_branch .LBB254_245
.LBB254_243:                            ;   in Loop: Header=BB254_233 Depth=1
	s_andn2_saveexec_b64 s[0:1], s[20:21]
.LBB254_244:                            ;   in Loop: Header=BB254_233 Depth=1
	v_mul_f32_e64 v13, |v9|, s39
	v_rndne_f32_e32 v26, v13
	v_cvt_i32_f32_e32 v13, v26
	v_fma_f32 v25, v26, s40, |v9|
	v_fmac_f32_e32 v25, 0xb3a22168, v26
	v_fmac_f32_e32 v25, 0xa7c234c4, v26
.LBB254_245:                            ;   in Loop: Header=BB254_233 Depth=1
	s_or_b64 exec, exec, s[0:1]
	v_mul_f32_e32 v26, 0xbfb8aa3b, v8
	v_rndne_f32_e32 v27, v26
	v_sub_f32_e32 v28, v26, v27
	v_fma_f32 v26, v8, s41, -v26
	v_fmac_f32_e32 v26, 0xb2a5705f, v8
	v_add_f32_e32 v26, v28, v26
	v_cvt_i32_f32_e32 v27, v27
	v_exp_f32_e32 v26, v26
	v_mov_b32_e32 v28, 0x3c0881c4
	v_cmp_nlt_f32_e32 vcc, s42, v8
	v_ldexp_f32 v26, v26, v27
	v_mul_f32_e32 v27, v24, v24
	v_fmac_f32_e32 v28, 0xb94c1982, v27
	v_fma_f32 v28, v27, v28, v17
	v_mul_f32_e32 v28, v27, v28
	v_fmac_f32_e32 v24, v24, v28
	v_mov_b32_e32 v28, 0xbab64f3b
	v_fmac_f32_e32 v28, 0x37d75334, v27
	v_fma_f32 v28, v27, v28, v18
	v_fma_f32 v28, v27, v28, v19
	v_cndmask_b32_e32 v26, 0, v26, vcc
	v_cmp_ngt_f32_e32 vcc, s43, v8
	v_fma_f32 v27, v27, v28, 1.0
	v_and_b32_e32 v28, 1, v12
	v_cndmask_b32_e32 v26, v22, v26, vcc
	v_cmp_eq_u32_e32 vcc, 0, v28
	v_lshlrev_b32_e32 v12, 30, v12
	v_cndmask_b32_e64 v24, -v24, v27, vcc
	v_and_b32_e32 v12, 0x80000000, v12
	v_xor_b32_e32 v12, v12, v24
	v_mul_f32_e32 v24, v25, v25
	v_mov_b32_e32 v27, 0x3c0881c4
	v_fmac_f32_e32 v27, 0xb94c1982, v24
	v_fma_f32 v27, v24, v27, v17
	v_mul_f32_e32 v27, v24, v27
	v_fmac_f32_e32 v25, v25, v27
	v_mov_b32_e32 v27, 0xbab64f3b
	v_fmac_f32_e32 v27, 0x37d75334, v24
	v_fma_f32 v27, v24, v27, v18
	v_fma_f32 v27, v24, v27, v19
	v_fma_f32 v24, v24, v27, 1.0
	v_and_b32_e32 v27, 1, v13
	v_cmp_eq_u32_e64 s[0:1], 0, v27
	v_lshlrev_b32_e32 v13, 30, v13
	v_cndmask_b32_e64 v24, v24, v25, s[0:1]
	v_and_or_b32 v7, v13, s26, v7
	v_xor_b32_e32 v7, v7, v24
	v_cmp_class_f32_e64 vcc, v9, s44
	v_xor_b32_e32 v6, v7, v6
	v_cndmask_b32_e32 v12, v23, v12, vcc
	v_cndmask_b32_e32 v6, v23, v6, vcc
	v_mul_f32_e32 v12, v26, v12
	v_mul_f32_e32 v6, v26, v6
                                        ; implicit-def: $vgpr7
.LBB254_246:                            ;   in Loop: Header=BB254_233 Depth=1
	s_andn2_saveexec_b64 s[18:19], s[18:19]
	s_cbranch_execz .LBB254_249
; %bb.247:                              ;   in Loop: Header=BB254_233 Depth=1
	v_cmp_nlt_f32_e64 s[20:21], |v9|, s29
                                        ; implicit-def: $vgpr24
                                        ; implicit-def: $vgpr12
	s_and_saveexec_b64 s[0:1], s[20:21]
	s_xor_b64 s[22:23], exec, s[0:1]
	s_cbranch_execz .LBB254_250
; %bb.248:                              ;   in Loop: Header=BB254_233 Depth=1
	v_and_b32_e32 v12, 0x7fffff, v7
	v_or_b32_e32 v30, 0x800000, v12
	v_mad_u64_u32 v[12:13], s[0:1], v30, s30, 0
	v_mad_u64_u32 v[24:25], s[0:1], v30, s31, v[13:14]
	v_mov_b32_e32 v13, v25
	v_mad_u64_u32 v[25:26], s[0:1], v30, s33, v[13:14]
	v_mov_b32_e32 v13, v26
	v_mad_u64_u32 v[26:27], s[0:1], v30, s34, v[13:14]
	v_lshrrev_b32_e32 v13, 23, v7
	v_add_u32_e32 v29, 0xffffff88, v13
	v_mov_b32_e32 v13, v27
	v_mad_u64_u32 v[27:28], s[0:1], v30, s35, v[13:14]
	v_cmp_lt_u32_e32 vcc, 63, v29
	v_cndmask_b32_e32 v13, 0, v20, vcc
	v_add_u32_e32 v31, v13, v29
	v_mov_b32_e32 v13, v28
	v_mad_u64_u32 v[28:29], s[0:1], v30, s36, v[13:14]
	v_cmp_lt_u32_e64 s[0:1], 31, v31
	v_cndmask_b32_e64 v13, 0, v21, s[0:1]
	v_add_u32_e32 v31, v13, v31
	v_mov_b32_e32 v13, v29
	v_mad_u64_u32 v[29:30], s[2:3], v30, s37, v[13:14]
	v_cmp_lt_u32_e64 s[2:3], 31, v31
	v_cndmask_b32_e64 v13, 0, v21, s[2:3]
	v_add_u32_e32 v13, v13, v31
	v_cndmask_b32_e32 v31, v28, v26, vcc
	v_cndmask_b32_e32 v29, v29, v27, vcc
	;; [unrolled: 1-line block ×4, first 2 shown]
	v_cndmask_b32_e64 v30, v29, v31, s[0:1]
	v_cndmask_b32_e64 v28, v28, v29, s[0:1]
	v_cndmask_b32_e64 v29, v31, v27, s[0:1]
	v_cndmask_b32_e32 v24, v26, v24, vcc
	v_cndmask_b32_e64 v28, v28, v30, s[2:3]
	v_cndmask_b32_e64 v30, v30, v29, s[2:3]
	v_sub_u32_e32 v31, 32, v13
	v_cndmask_b32_e64 v26, v27, v24, s[0:1]
	v_alignbit_b32 v32, v28, v30, v31
	v_cmp_eq_u32_e64 s[4:5], 0, v13
	v_cndmask_b32_e64 v27, v29, v26, s[2:3]
	v_cndmask_b32_e64 v13, v32, v28, s[4:5]
	v_alignbit_b32 v28, v30, v27, v31
	v_cndmask_b32_e32 v12, v25, v12, vcc
	v_cndmask_b32_e64 v28, v28, v30, s[4:5]
	v_bfe_u32 v32, v13, 29, 1
	v_cndmask_b32_e64 v12, v24, v12, s[0:1]
	v_alignbit_b32 v29, v13, v28, 30
	v_sub_u32_e32 v33, 0, v32
	v_cndmask_b32_e64 v12, v26, v12, s[2:3]
	v_xor_b32_e32 v29, v29, v33
	v_alignbit_b32 v24, v27, v12, v31
	v_cndmask_b32_e64 v24, v24, v27, s[4:5]
	v_ffbh_u32_e32 v26, v29
	v_alignbit_b32 v25, v28, v24, 30
	v_min_u32_e32 v26, 32, v26
	v_alignbit_b32 v12, v24, v12, 30
	v_xor_b32_e32 v25, v25, v33
	v_sub_u32_e32 v27, 31, v26
	v_xor_b32_e32 v12, v12, v33
	v_alignbit_b32 v28, v29, v25, v27
	v_alignbit_b32 v12, v25, v12, v27
	;; [unrolled: 1-line block ×3, first 2 shown]
	v_ffbh_u32_e32 v25, v24
	v_min_u32_e32 v25, 32, v25
	v_lshrrev_b32_e32 v30, 29, v13
	v_not_b32_e32 v27, v25
	v_alignbit_b32 v12, v24, v12, v27
	v_lshlrev_b32_e32 v24, 31, v30
	v_or_b32_e32 v27, 0x33000000, v24
	v_add_lshl_u32 v25, v25, v26, 23
	v_lshrrev_b32_e32 v12, 9, v12
	v_sub_u32_e32 v25, v27, v25
	v_or_b32_e32 v24, 0.5, v24
	v_lshlrev_b32_e32 v26, 23, v26
	v_or_b32_e32 v12, v25, v12
	v_lshrrev_b32_e32 v25, 9, v28
	v_sub_u32_e32 v24, v24, v26
	v_or_b32_e32 v24, v25, v24
	v_mul_f32_e32 v25, 0x3fc90fda, v24
	v_fma_f32 v26, v24, s38, -v25
	v_fmac_f32_e32 v26, 0x33a22168, v24
	v_fmac_f32_e32 v26, 0x3fc90fda, v12
	v_lshrrev_b32_e32 v13, 30, v13
	v_add_f32_e32 v12, v25, v26
	v_add_u32_e32 v24, v32, v13
	s_andn2_saveexec_b64 s[0:1], s[22:23]
	s_branch .LBB254_251
.LBB254_249:                            ;   in Loop: Header=BB254_233 Depth=1
	s_or_b64 exec, exec, s[18:19]
                                        ; implicit-def: $vgpr13
                                        ; implicit-def: $vgpr24
	s_andn2_saveexec_b64 s[0:1], s[14:15]
	s_cbranch_execnz .LBB254_258
	s_branch .LBB254_263
.LBB254_250:                            ;   in Loop: Header=BB254_233 Depth=1
	s_andn2_saveexec_b64 s[0:1], s[22:23]
.LBB254_251:                            ;   in Loop: Header=BB254_233 Depth=1
	v_mul_f32_e64 v12, |v9|, s39
	v_rndne_f32_e32 v13, v12
	v_cvt_i32_f32_e32 v24, v13
	v_fma_f32 v12, v13, s40, |v9|
	v_fmac_f32_e32 v12, 0xb3a22168, v13
	v_fmac_f32_e32 v12, 0xa7c234c4, v13
; %bb.252:                              ;   in Loop: Header=BB254_233 Depth=1
	s_or_b64 exec, exec, s[0:1]
                                        ; implicit-def: $vgpr13
                                        ; implicit-def: $vgpr25
	s_and_saveexec_b64 s[0:1], s[20:21]
	s_xor_b64 s[20:21], exec, s[0:1]
	s_cbranch_execz .LBB254_254
; %bb.253:                              ;   in Loop: Header=BB254_233 Depth=1
	v_and_b32_e32 v13, 0x7fffff, v7
	v_or_b32_e32 v32, 0x800000, v13
	v_mad_u64_u32 v[25:26], s[0:1], v32, s30, 0
	v_mov_b32_e32 v13, v26
	v_mad_u64_u32 v[26:27], s[0:1], v32, s31, v[13:14]
	v_mov_b32_e32 v13, v27
	;; [unrolled: 2-line block ×3, first 2 shown]
	v_mad_u64_u32 v[28:29], s[0:1], v32, s34, v[13:14]
	v_lshrrev_b32_e32 v13, 23, v7
	v_add_u32_e32 v31, 0xffffff88, v13
	v_mov_b32_e32 v13, v29
	v_mad_u64_u32 v[29:30], s[0:1], v32, s35, v[13:14]
	v_cmp_lt_u32_e32 vcc, 63, v31
	v_cndmask_b32_e32 v13, 0, v20, vcc
	v_add_u32_e32 v33, v13, v31
	v_mov_b32_e32 v13, v30
	v_mad_u64_u32 v[30:31], s[0:1], v32, s36, v[13:14]
	v_cmp_lt_u32_e64 s[0:1], 31, v33
	v_cndmask_b32_e64 v13, 0, v21, s[0:1]
	v_add_u32_e32 v33, v13, v33
	v_mov_b32_e32 v13, v31
	v_mad_u64_u32 v[31:32], s[2:3], v32, s37, v[13:14]
	v_cmp_lt_u32_e64 s[2:3], 31, v33
	v_cndmask_b32_e64 v13, 0, v21, s[2:3]
	v_add_u32_e32 v13, v13, v33
	v_cndmask_b32_e32 v33, v30, v28, vcc
	v_cndmask_b32_e32 v31, v31, v29, vcc
	;; [unrolled: 1-line block ×4, first 2 shown]
	v_cndmask_b32_e64 v32, v31, v33, s[0:1]
	v_cndmask_b32_e64 v30, v30, v31, s[0:1]
	;; [unrolled: 1-line block ×3, first 2 shown]
	v_cndmask_b32_e32 v26, v28, v26, vcc
	v_cndmask_b32_e64 v30, v30, v32, s[2:3]
	v_cndmask_b32_e64 v32, v32, v31, s[2:3]
	v_sub_u32_e32 v33, 32, v13
	v_cndmask_b32_e64 v28, v29, v26, s[0:1]
	v_alignbit_b32 v34, v30, v32, v33
	v_cmp_eq_u32_e64 s[4:5], 0, v13
	v_cndmask_b32_e64 v29, v31, v28, s[2:3]
	v_cndmask_b32_e64 v13, v34, v30, s[4:5]
	v_alignbit_b32 v30, v32, v29, v33
	v_cndmask_b32_e32 v25, v27, v25, vcc
	v_cndmask_b32_e64 v30, v30, v32, s[4:5]
	v_bfe_u32 v34, v13, 29, 1
	v_cndmask_b32_e64 v25, v26, v25, s[0:1]
	v_alignbit_b32 v31, v13, v30, 30
	v_sub_u32_e32 v35, 0, v34
	v_cndmask_b32_e64 v25, v28, v25, s[2:3]
	v_xor_b32_e32 v31, v31, v35
	v_alignbit_b32 v26, v29, v25, v33
	v_cndmask_b32_e64 v26, v26, v29, s[4:5]
	v_ffbh_u32_e32 v28, v31
	v_alignbit_b32 v27, v30, v26, 30
	v_min_u32_e32 v28, 32, v28
	v_alignbit_b32 v25, v26, v25, 30
	v_xor_b32_e32 v27, v27, v35
	v_sub_u32_e32 v29, 31, v28
	v_xor_b32_e32 v25, v25, v35
	v_alignbit_b32 v30, v31, v27, v29
	v_alignbit_b32 v25, v27, v25, v29
	v_alignbit_b32 v26, v30, v25, 9
	v_ffbh_u32_e32 v27, v26
	v_min_u32_e32 v27, 32, v27
	v_lshrrev_b32_e32 v32, 29, v13
	v_not_b32_e32 v29, v27
	v_alignbit_b32 v25, v26, v25, v29
	v_lshlrev_b32_e32 v26, 31, v32
	v_or_b32_e32 v29, 0x33000000, v26
	v_add_lshl_u32 v27, v27, v28, 23
	v_lshrrev_b32_e32 v25, 9, v25
	v_sub_u32_e32 v27, v29, v27
	v_or_b32_e32 v26, 0.5, v26
	v_lshlrev_b32_e32 v28, 23, v28
	v_or_b32_e32 v25, v27, v25
	v_lshrrev_b32_e32 v27, 9, v30
	v_sub_u32_e32 v26, v26, v28
	v_or_b32_e32 v26, v27, v26
	v_mul_f32_e32 v27, 0x3fc90fda, v26
	v_fma_f32 v28, v26, s38, -v27
	v_fmac_f32_e32 v28, 0x33a22168, v26
	v_fmac_f32_e32 v28, 0x3fc90fda, v25
	v_lshrrev_b32_e32 v13, 30, v13
	v_add_f32_e32 v25, v27, v28
	v_add_u32_e32 v13, v34, v13
	s_andn2_saveexec_b64 s[0:1], s[20:21]
	s_cbranch_execnz .LBB254_255
	s_branch .LBB254_256
.LBB254_254:                            ;   in Loop: Header=BB254_233 Depth=1
	s_andn2_saveexec_b64 s[0:1], s[20:21]
.LBB254_255:                            ;   in Loop: Header=BB254_233 Depth=1
	v_mul_f32_e64 v13, |v9|, s39
	v_rndne_f32_e32 v26, v13
	v_cvt_i32_f32_e32 v13, v26
	v_fma_f32 v25, v26, s40, |v9|
	v_fmac_f32_e32 v25, 0xb3a22168, v26
	v_fmac_f32_e32 v25, 0xa7c234c4, v26
.LBB254_256:                            ;   in Loop: Header=BB254_233 Depth=1
	s_or_b64 exec, exec, s[0:1]
	v_mul_f32_e32 v27, v12, v12
	v_mov_b32_e32 v28, 0xbab64f3b
	v_fmac_f32_e32 v28, 0x37d75334, v27
	v_mov_b32_e32 v29, 0x3c0881c4
	v_fma_f32 v28, v27, v28, v18
	v_fmac_f32_e32 v29, 0xb94c1982, v27
	v_lshlrev_b32_e32 v26, 30, v24
	v_and_b32_e32 v24, 1, v24
	v_fma_f32 v28, v27, v28, v19
	v_fma_f32 v29, v27, v29, v17
	v_fma_f32 v28, v27, v28, 1.0
	v_mul_f32_e32 v27, v27, v29
	v_cmp_eq_u32_e32 vcc, 0, v24
	v_sub_f32_e32 v24, 0xc322e3bc, v8
	v_fmac_f32_e32 v12, v12, v27
	v_mul_f32_e32 v27, 0x3fb8aa3b, v24
	v_cndmask_b32_e64 v12, -v12, v28, vcc
	v_fma_f32 v28, v24, s45, -v27
	v_rndne_f32_e32 v29, v27
	v_fmac_f32_e32 v28, 0x32a5705f, v24
	v_sub_f32_e32 v27, v27, v29
	v_add_f32_e32 v27, v27, v28
	v_exp_f32_e32 v27, v27
	v_cvt_i32_f32_e32 v28, v29
	v_and_b32_e32 v26, 0x80000000, v26
	v_xor_b32_e32 v12, v26, v12
	v_cmp_ngt_f32_e64 s[0:1], s46, v24
	v_ldexp_f32 v26, v27, v28
	v_cndmask_b32_e64 v26, 0, v26, s[0:1]
	v_cmp_nlt_f32_e64 s[0:1], s47, v24
	v_cndmask_b32_e64 v24, v22, v26, s[0:1]
	v_and_b32_e32 v26, 0x7fffff, v24
	v_lshrrev_b32_e32 v24, 23, v24
	v_subrev_u32_e32 v24, 19, v24
	v_lshrrev_b16_e32 v27, 15, v24
	v_add_u16_e32 v27, v24, v27
	v_ashrrev_i16_e32 v27, 1, v27
	v_bfe_i32 v27, v27, 0, 16
	v_lshl_add_u32 v28, v27, 23, 1.0
	v_sub_u32_e32 v24, v24, v27
	v_mul_f32_e32 v27, v25, v25
	v_mov_b32_e32 v29, 0x3c0881c4
	v_fmac_f32_e32 v29, 0xb94c1982, v27
	v_fma_f32 v29, v27, v29, v17
	v_mul_f32_e32 v29, v27, v29
	v_fmac_f32_e32 v25, v25, v29
	v_mov_b32_e32 v29, 0xbab64f3b
	v_fmac_f32_e32 v29, 0x37d75334, v27
	v_fma_f32 v29, v27, v29, v18
	v_fma_f32 v29, v27, v29, v19
	v_fma_f32 v27, v27, v29, 1.0
	v_and_b32_e32 v29, 1, v13
	v_cmp_eq_u32_e64 s[0:1], 0, v29
	v_lshlrev_b32_e32 v13, 30, v13
	v_cndmask_b32_e64 v25, v27, v25, s[0:1]
	v_and_or_b32 v7, v13, s26, v7
	v_xor_b32_e32 v7, v7, v25
	v_cmp_class_f32_e64 vcc, v9, s44
	v_xor_b32_e32 v6, v7, v6
	v_cndmask_b32_e32 v12, v23, v12, vcc
	v_or_b32_e32 v26, 0x7f000000, v26
	v_cndmask_b32_e32 v6, v23, v6, vcc
	v_mul_f32_e32 v12, v12, v26
	v_mul_f32_e32 v6, v6, v26
	;; [unrolled: 1-line block ×3, first 2 shown]
	v_lshl_add_u32 v24, v24, 23, 1.0
	v_mul_f32_e32 v6, v6, v28
	v_mul_f32_e32 v12, v12, v24
	;; [unrolled: 1-line block ×3, first 2 shown]
	s_or_b64 exec, exec, s[18:19]
                                        ; implicit-def: $vgpr13
                                        ; implicit-def: $vgpr24
.LBB254_257:                            ;   in Loop: Header=BB254_233 Depth=1
	s_andn2_saveexec_b64 s[0:1], s[14:15]
	s_cbranch_execz .LBB254_263
.LBB254_258:                            ;   in Loop: Header=BB254_233 Depth=1
	v_cmp_ne_u32_e32 vcc, s27, v24
	v_sub_f32_e32 v6, v9, v9
	s_and_saveexec_b64 s[2:3], vcc
	s_xor_b64 s[2:3], exec, s[2:3]
; %bb.259:                              ;   in Loop: Header=BB254_233 Depth=1
                                        ; implicit-def: $vgpr13
; %bb.260:                              ;   in Loop: Header=BB254_233 Depth=1
	s_or_saveexec_b64 s[2:3], s[2:3]
	v_mov_b32_e32 v12, v6
	s_xor_b64 exec, exec, s[2:3]
; %bb.261:                              ;   in Loop: Header=BB254_233 Depth=1
	v_cmp_lt_i32_e32 vcc, -1, v13
	v_cndmask_b32_e64 v12, 0, -v8, vcc
	v_cndmask_b32_e32 v6, 0, v6, vcc
; %bb.262:                              ;   in Loop: Header=BB254_233 Depth=1
	s_or_b64 exec, exec, s[2:3]
.LBB254_263:                            ;   in Loop: Header=BB254_233 Depth=1
	s_or_b64 exec, exec, s[0:1]
                                        ; implicit-def: $vgpr7
.LBB254_264:                            ;   in Loop: Header=BB254_233 Depth=1
	s_andn2_saveexec_b64 s[12:13], s[12:13]
	s_cbranch_execz .LBB254_274
; %bb.265:                              ;   in Loop: Header=BB254_233 Depth=1
	v_cmp_nlt_f32_e64 s[14:15], |v9|, s29
                                        ; implicit-def: $vgpr12
                                        ; implicit-def: $vgpr24
	s_and_saveexec_b64 s[0:1], s[14:15]
	s_xor_b64 s[18:19], exec, s[0:1]
	s_cbranch_execz .LBB254_267
; %bb.266:                              ;   in Loop: Header=BB254_233 Depth=1
	v_and_b32_e32 v12, 0x7fffff, v7
	v_or_b32_e32 v30, 0x800000, v12
	v_mad_u64_u32 v[12:13], s[0:1], v30, s30, 0
	v_mad_u64_u32 v[24:25], s[0:1], v30, s31, v[13:14]
	v_mov_b32_e32 v13, v25
	v_mad_u64_u32 v[25:26], s[0:1], v30, s33, v[13:14]
	v_mov_b32_e32 v13, v26
	v_mad_u64_u32 v[26:27], s[0:1], v30, s34, v[13:14]
	v_lshrrev_b32_e32 v13, 23, v7
	v_add_u32_e32 v29, 0xffffff88, v13
	v_mov_b32_e32 v13, v27
	v_mad_u64_u32 v[27:28], s[0:1], v30, s35, v[13:14]
	v_cmp_lt_u32_e32 vcc, 63, v29
	v_cndmask_b32_e32 v13, 0, v20, vcc
	v_add_u32_e32 v31, v13, v29
	v_mov_b32_e32 v13, v28
	v_mad_u64_u32 v[28:29], s[0:1], v30, s36, v[13:14]
	v_cmp_lt_u32_e64 s[0:1], 31, v31
	v_cndmask_b32_e64 v13, 0, v21, s[0:1]
	v_add_u32_e32 v31, v13, v31
	v_mov_b32_e32 v13, v29
	v_mad_u64_u32 v[29:30], s[2:3], v30, s37, v[13:14]
	v_cmp_lt_u32_e64 s[2:3], 31, v31
	v_cndmask_b32_e64 v13, 0, v21, s[2:3]
	v_add_u32_e32 v13, v13, v31
	v_cndmask_b32_e32 v31, v28, v26, vcc
	v_cndmask_b32_e32 v29, v29, v27, vcc
	v_cndmask_b32_e32 v28, v30, v28, vcc
	v_cndmask_b32_e32 v27, v27, v25, vcc
	v_cndmask_b32_e64 v30, v29, v31, s[0:1]
	v_cndmask_b32_e64 v28, v28, v29, s[0:1]
	;; [unrolled: 1-line block ×3, first 2 shown]
	v_cndmask_b32_e32 v24, v26, v24, vcc
	v_cndmask_b32_e64 v28, v28, v30, s[2:3]
	v_cndmask_b32_e64 v30, v30, v29, s[2:3]
	v_sub_u32_e32 v31, 32, v13
	v_cndmask_b32_e64 v26, v27, v24, s[0:1]
	v_alignbit_b32 v32, v28, v30, v31
	v_cmp_eq_u32_e64 s[4:5], 0, v13
	v_cndmask_b32_e64 v27, v29, v26, s[2:3]
	v_cndmask_b32_e64 v13, v32, v28, s[4:5]
	v_alignbit_b32 v28, v30, v27, v31
	v_cndmask_b32_e32 v12, v25, v12, vcc
	v_cndmask_b32_e64 v28, v28, v30, s[4:5]
	v_bfe_u32 v32, v13, 29, 1
	v_cndmask_b32_e64 v12, v24, v12, s[0:1]
	v_alignbit_b32 v29, v13, v28, 30
	v_sub_u32_e32 v33, 0, v32
	v_cndmask_b32_e64 v12, v26, v12, s[2:3]
	v_xor_b32_e32 v29, v29, v33
	v_alignbit_b32 v24, v27, v12, v31
	v_cndmask_b32_e64 v24, v24, v27, s[4:5]
	v_ffbh_u32_e32 v26, v29
	v_alignbit_b32 v25, v28, v24, 30
	v_min_u32_e32 v26, 32, v26
	v_alignbit_b32 v12, v24, v12, 30
	v_xor_b32_e32 v25, v25, v33
	v_sub_u32_e32 v27, 31, v26
	v_xor_b32_e32 v12, v12, v33
	v_alignbit_b32 v28, v29, v25, v27
	v_alignbit_b32 v12, v25, v12, v27
	;; [unrolled: 1-line block ×3, first 2 shown]
	v_ffbh_u32_e32 v25, v24
	v_min_u32_e32 v25, 32, v25
	v_lshrrev_b32_e32 v30, 29, v13
	v_not_b32_e32 v27, v25
	v_alignbit_b32 v12, v24, v12, v27
	v_lshlrev_b32_e32 v24, 31, v30
	v_or_b32_e32 v27, 0x33000000, v24
	v_add_lshl_u32 v25, v25, v26, 23
	v_lshrrev_b32_e32 v12, 9, v12
	v_sub_u32_e32 v25, v27, v25
	v_or_b32_e32 v24, 0.5, v24
	v_lshlrev_b32_e32 v26, 23, v26
	v_or_b32_e32 v12, v25, v12
	v_lshrrev_b32_e32 v25, 9, v28
	v_sub_u32_e32 v24, v24, v26
	v_or_b32_e32 v24, v25, v24
	v_mul_f32_e32 v25, 0x3fc90fda, v24
	v_fma_f32 v26, v24, s38, -v25
	v_fmac_f32_e32 v26, 0x33a22168, v24
	v_fmac_f32_e32 v26, 0x3fc90fda, v12
	v_lshrrev_b32_e32 v12, 30, v13
	v_add_f32_e32 v24, v25, v26
	v_add_u32_e32 v12, v32, v12
	s_andn2_saveexec_b64 s[0:1], s[18:19]
	s_branch .LBB254_268
.LBB254_267:                            ;   in Loop: Header=BB254_233 Depth=1
	s_andn2_saveexec_b64 s[0:1], s[18:19]
.LBB254_268:                            ;   in Loop: Header=BB254_233 Depth=1
	v_mul_f32_e64 v12, |v9|, s39
	v_rndne_f32_e32 v13, v12
	v_cvt_i32_f32_e32 v12, v13
	v_fma_f32 v24, v13, s40, |v9|
	v_fmac_f32_e32 v24, 0xb3a22168, v13
	v_fmac_f32_e32 v24, 0xa7c234c4, v13
; %bb.269:                              ;   in Loop: Header=BB254_233 Depth=1
	s_or_b64 exec, exec, s[0:1]
                                        ; implicit-def: $vgpr13
                                        ; implicit-def: $vgpr25
	s_and_saveexec_b64 s[0:1], s[14:15]
	s_xor_b64 s[14:15], exec, s[0:1]
	s_cbranch_execz .LBB254_271
; %bb.270:                              ;   in Loop: Header=BB254_233 Depth=1
	v_and_b32_e32 v13, 0x7fffff, v7
	v_or_b32_e32 v32, 0x800000, v13
	v_mad_u64_u32 v[25:26], s[0:1], v32, s30, 0
	v_mov_b32_e32 v13, v26
	v_mad_u64_u32 v[26:27], s[0:1], v32, s31, v[13:14]
	v_mov_b32_e32 v13, v27
	;; [unrolled: 2-line block ×3, first 2 shown]
	v_mad_u64_u32 v[28:29], s[0:1], v32, s34, v[13:14]
	v_lshrrev_b32_e32 v13, 23, v7
	v_add_u32_e32 v31, 0xffffff88, v13
	v_mov_b32_e32 v13, v29
	v_mad_u64_u32 v[29:30], s[0:1], v32, s35, v[13:14]
	v_cmp_lt_u32_e32 vcc, 63, v31
	v_cndmask_b32_e32 v13, 0, v20, vcc
	v_add_u32_e32 v33, v13, v31
	v_mov_b32_e32 v13, v30
	v_mad_u64_u32 v[30:31], s[0:1], v32, s36, v[13:14]
	v_cmp_lt_u32_e64 s[0:1], 31, v33
	v_cndmask_b32_e64 v13, 0, v21, s[0:1]
	v_add_u32_e32 v33, v13, v33
	v_mov_b32_e32 v13, v31
	v_mad_u64_u32 v[31:32], s[2:3], v32, s37, v[13:14]
	v_cmp_lt_u32_e64 s[2:3], 31, v33
	v_cndmask_b32_e64 v13, 0, v21, s[2:3]
	v_add_u32_e32 v13, v13, v33
	v_cndmask_b32_e32 v33, v30, v28, vcc
	v_cndmask_b32_e32 v31, v31, v29, vcc
	;; [unrolled: 1-line block ×4, first 2 shown]
	v_cndmask_b32_e64 v32, v31, v33, s[0:1]
	v_cndmask_b32_e64 v30, v30, v31, s[0:1]
	v_cndmask_b32_e64 v31, v33, v29, s[0:1]
	v_cndmask_b32_e32 v26, v28, v26, vcc
	v_cndmask_b32_e64 v30, v30, v32, s[2:3]
	v_cndmask_b32_e64 v32, v32, v31, s[2:3]
	v_sub_u32_e32 v33, 32, v13
	v_cndmask_b32_e64 v28, v29, v26, s[0:1]
	v_alignbit_b32 v34, v30, v32, v33
	v_cmp_eq_u32_e64 s[4:5], 0, v13
	v_cndmask_b32_e64 v29, v31, v28, s[2:3]
	v_cndmask_b32_e64 v13, v34, v30, s[4:5]
	v_alignbit_b32 v30, v32, v29, v33
	v_cndmask_b32_e32 v25, v27, v25, vcc
	v_cndmask_b32_e64 v30, v30, v32, s[4:5]
	v_bfe_u32 v34, v13, 29, 1
	v_cndmask_b32_e64 v25, v26, v25, s[0:1]
	v_alignbit_b32 v31, v13, v30, 30
	v_sub_u32_e32 v35, 0, v34
	v_cndmask_b32_e64 v25, v28, v25, s[2:3]
	v_xor_b32_e32 v31, v31, v35
	v_alignbit_b32 v26, v29, v25, v33
	v_cndmask_b32_e64 v26, v26, v29, s[4:5]
	v_ffbh_u32_e32 v28, v31
	v_alignbit_b32 v27, v30, v26, 30
	v_min_u32_e32 v28, 32, v28
	v_alignbit_b32 v25, v26, v25, 30
	v_xor_b32_e32 v27, v27, v35
	v_sub_u32_e32 v29, 31, v28
	v_xor_b32_e32 v25, v25, v35
	v_alignbit_b32 v30, v31, v27, v29
	v_alignbit_b32 v25, v27, v25, v29
	;; [unrolled: 1-line block ×3, first 2 shown]
	v_ffbh_u32_e32 v27, v26
	v_min_u32_e32 v27, 32, v27
	v_lshrrev_b32_e32 v32, 29, v13
	v_not_b32_e32 v29, v27
	v_alignbit_b32 v25, v26, v25, v29
	v_lshlrev_b32_e32 v26, 31, v32
	v_or_b32_e32 v29, 0x33000000, v26
	v_add_lshl_u32 v27, v27, v28, 23
	v_lshrrev_b32_e32 v25, 9, v25
	v_sub_u32_e32 v27, v29, v27
	v_or_b32_e32 v26, 0.5, v26
	v_lshlrev_b32_e32 v28, 23, v28
	v_or_b32_e32 v25, v27, v25
	v_lshrrev_b32_e32 v27, 9, v30
	v_sub_u32_e32 v26, v26, v28
	v_or_b32_e32 v26, v27, v26
	v_mul_f32_e32 v27, 0x3fc90fda, v26
	v_fma_f32 v28, v26, s38, -v27
	v_fmac_f32_e32 v28, 0x33a22168, v26
	v_fmac_f32_e32 v28, 0x3fc90fda, v25
	v_lshrrev_b32_e32 v13, 30, v13
	v_add_f32_e32 v25, v27, v28
	v_add_u32_e32 v13, v34, v13
	s_andn2_saveexec_b64 s[0:1], s[14:15]
	s_cbranch_execnz .LBB254_272
	s_branch .LBB254_273
.LBB254_271:                            ;   in Loop: Header=BB254_233 Depth=1
	s_andn2_saveexec_b64 s[0:1], s[14:15]
.LBB254_272:                            ;   in Loop: Header=BB254_233 Depth=1
	v_mul_f32_e64 v13, |v9|, s39
	v_rndne_f32_e32 v26, v13
	v_cvt_i32_f32_e32 v13, v26
	v_fma_f32 v25, v26, s40, |v9|
	v_fmac_f32_e32 v25, 0xb3a22168, v26
	v_fmac_f32_e32 v25, 0xa7c234c4, v26
.LBB254_273:                            ;   in Loop: Header=BB254_233 Depth=1
	s_or_b64 exec, exec, s[0:1]
	v_mul_f32_e32 v26, v24, v24
	v_mov_b32_e32 v27, 0x3c0881c4
	v_fmac_f32_e32 v27, 0xb94c1982, v26
	v_fma_f32 v27, v26, v27, v17
	v_mul_f32_e32 v27, v26, v27
	v_fmac_f32_e32 v24, v24, v27
	v_mov_b32_e32 v27, 0xbab64f3b
	v_fmac_f32_e32 v27, 0x37d75334, v26
	v_fma_f32 v27, v26, v27, v18
	v_fma_f32 v27, v26, v27, v19
	v_fma_f32 v26, v26, v27, 1.0
	v_and_b32_e32 v27, 1, v12
	v_cmp_eq_u32_e32 vcc, 0, v27
	v_lshlrev_b32_e32 v12, 30, v12
	v_cndmask_b32_e64 v24, -v24, v26, vcc
	v_and_b32_e32 v12, 0x80000000, v12
	v_xor_b32_e32 v12, v12, v24
	v_cmp_class_f32_e64 vcc, v9, s44
	v_mul_f32_e32 v9, v25, v25
	v_mov_b32_e32 v24, 0x3c0881c4
	v_fmac_f32_e32 v24, 0xb94c1982, v9
	v_fma_f32 v24, v9, v24, v17
	v_mul_f32_e32 v24, v9, v24
	v_fmac_f32_e32 v25, v25, v24
	v_mov_b32_e32 v24, 0xbab64f3b
	v_fmac_f32_e32 v24, 0x37d75334, v9
	v_fma_f32 v24, v9, v24, v18
	v_fma_f32 v24, v9, v24, v19
	v_fma_f32 v9, v9, v24, 1.0
	v_and_b32_e32 v24, 1, v13
	v_cmp_eq_u32_e64 s[0:1], 0, v24
	v_lshlrev_b32_e32 v13, 30, v13
	v_cndmask_b32_e64 v9, v9, v25, s[0:1]
	v_and_or_b32 v7, v13, s26, v7
	v_xor_b32_e32 v7, v7, v9
	v_xor_b32_e32 v6, v7, v6
	v_cndmask_b32_e32 v12, v23, v12, vcc
	v_cndmask_b32_e32 v6, v23, v6, vcc
.LBB254_274:                            ;   in Loop: Header=BB254_233 Depth=1
	s_or_b64 exec, exec, s[12:13]
.LBB254_275:                            ;   in Loop: Header=BB254_233 Depth=1
	s_andn2_saveexec_b64 s[0:1], s[10:11]
	s_cbranch_execz .LBB254_277
; %bb.276:                              ;   in Loop: Header=BB254_233 Depth=1
	v_mul_f32_e32 v7, 0xbfb8aa3b, v8
	v_rndne_f32_e32 v9, v7
	v_sub_f32_e32 v12, v7, v9
	v_fma_f32 v7, v8, s41, -v7
	v_fmac_f32_e32 v7, 0xb2a5705f, v8
	v_add_f32_e32 v7, v12, v7
	v_cvt_i32_f32_e32 v9, v9
	v_exp_f32_e32 v7, v7
	v_cmp_nlt_f32_e32 vcc, s42, v8
	v_ldexp_f32 v7, v7, v9
	v_cndmask_b32_e32 v7, 0, v7, vcc
	v_cmp_ngt_f32_e32 vcc, s43, v8
	v_cndmask_b32_e32 v12, v22, v7, vcc
.LBB254_277:                            ;   in Loop: Header=BB254_233 Depth=1
	s_or_b64 exec, exec, s[0:1]
	v_add_f32_e32 v9, s16, v12
	v_add_f32_e32 v8, s17, v6
	v_cmp_gt_f32_e32 vcc, 0, v9
	v_cndmask_b32_e64 v12, v9, -v9, vcc
	v_cmp_gt_f32_e32 vcc, 0, v8
	v_cndmask_b32_e64 v13, v8, -v8, vcc
	v_cmp_ge_f32_e32 vcc, v12, v13
                                        ; implicit-def: $vgpr7
	s_and_saveexec_b64 s[0:1], vcc
	s_xor_b64 s[2:3], exec, s[0:1]
	s_cbranch_execz .LBB254_283
; %bb.278:                              ;   in Loop: Header=BB254_233 Depth=1
	v_cmp_neq_f32_e32 vcc, 0, v9
	v_cmp_neq_f32_e64 s[0:1], 0, v8
	s_or_b64 s[0:1], vcc, s[0:1]
                                        ; implicit-def: $vgpr7
	s_and_saveexec_b64 s[4:5], s[0:1]
	s_xor_b64 s[0:1], exec, s[4:5]
	s_cbranch_execz .LBB254_280
; %bb.279:                              ;   in Loop: Header=BB254_233 Depth=1
	v_div_scale_f32 v6, s[4:5], v9, v9, v8
	v_div_scale_f32 v7, vcc, v8, v9, v8
	v_rcp_f32_e32 v12, v6
	v_fma_f32 v13, -v6, v12, 1.0
	v_fmac_f32_e32 v12, v13, v12
	v_mul_f32_e32 v13, v7, v12
	v_fma_f32 v24, -v6, v13, v7
	v_fmac_f32_e32 v13, v24, v12
	v_fma_f32 v6, -v6, v13, v7
	v_div_fmas_f32 v6, v6, v12, v13
	v_div_fixup_f32 v6, v6, v9, v8
	v_fmac_f32_e32 v9, v8, v6
	v_div_scale_f32 v7, s[4:5], v9, v9, 1.0
	v_div_scale_f32 v8, vcc, 1.0, v9, 1.0
	v_rcp_f32_e32 v12, v7
	v_fma_f32 v13, -v7, v12, 1.0
	v_fmac_f32_e32 v12, v13, v12
	v_mul_f32_e32 v13, v8, v12
	v_fma_f32 v24, -v7, v13, v8
	v_fmac_f32_e32 v13, v24, v12
	v_fma_f32 v7, -v7, v13, v8
	v_div_fmas_f32 v7, v7, v12, v13
	v_mov_b32_e32 v8, s16
	v_mov_b32_e32 v12, s17
	v_fma_f32 v8, s17, v6, v8
	v_fma_f32 v12, -v6, s16, v12
                                        ; implicit-def: $vgpr13
	v_div_fixup_f32 v7, v7, v9, 1.0
	v_mul_f32_e32 v6, v8, v7
	v_mul_f32_e32 v7, v12, v7
                                        ; implicit-def: $vgpr12
.LBB254_280:                            ;   in Loop: Header=BB254_233 Depth=1
	s_andn2_saveexec_b64 s[4:5], s[0:1]
	s_cbranch_execz .LBB254_282
; %bb.281:                              ;   in Loop: Header=BB254_233 Depth=1
	v_div_scale_f32 v6, s[0:1], v12, v12, s16
	v_div_scale_f32 v7, s[0:1], v13, v13, s17
	v_div_scale_f32 v8, vcc, s16, v12, s16
	v_div_scale_f32 v9, s[0:1], s17, v13, s17
	v_rcp_f32_e32 v24, v6
	v_rcp_f32_e32 v25, v7
	v_fma_f32 v26, -v6, v24, 1.0
	v_fmac_f32_e32 v24, v26, v24
	v_fma_f32 v27, -v7, v25, 1.0
	v_fmac_f32_e32 v25, v27, v25
	v_mul_f32_e32 v26, v8, v24
	v_mul_f32_e32 v27, v9, v25
	v_fma_f32 v28, -v6, v26, v8
	v_fma_f32 v29, -v7, v27, v9
	v_fmac_f32_e32 v26, v28, v24
	v_fmac_f32_e32 v27, v29, v25
	v_fma_f32 v6, -v6, v26, v8
	v_fma_f32 v7, -v7, v27, v9
	v_div_fmas_f32 v6, v6, v24, v26
	s_mov_b64 vcc, s[0:1]
	v_div_fmas_f32 v7, v7, v25, v27
	v_div_fixup_f32 v6, v6, v12, s16
	v_div_fixup_f32 v7, v7, v13, s17
.LBB254_282:                            ;   in Loop: Header=BB254_233 Depth=1
	s_or_b64 exec, exec, s[4:5]
                                        ; implicit-def: $vgpr8
                                        ; implicit-def: $vgpr9
.LBB254_283:                            ;   in Loop: Header=BB254_233 Depth=1
	s_andn2_saveexec_b64 s[0:1], s[2:3]
	s_cbranch_execz .LBB254_285
; %bb.284:                              ;   in Loop: Header=BB254_233 Depth=1
	v_div_scale_f32 v6, s[2:3], v8, v8, v9
	v_div_scale_f32 v7, vcc, v9, v8, v9
	v_rcp_f32_e32 v12, v6
	v_fma_f32 v13, -v6, v12, 1.0
	v_fmac_f32_e32 v12, v13, v12
	v_mul_f32_e32 v13, v7, v12
	v_fma_f32 v24, -v6, v13, v7
	v_fmac_f32_e32 v13, v24, v12
	v_fma_f32 v6, -v6, v13, v7
	v_div_fmas_f32 v6, v6, v12, v13
	v_div_fixup_f32 v6, v6, v8, v9
	v_fmac_f32_e32 v8, v9, v6
	v_div_scale_f32 v7, s[2:3], v8, v8, 1.0
	v_div_scale_f32 v9, vcc, 1.0, v8, 1.0
	v_rcp_f32_e32 v12, v7
	v_fma_f32 v13, -v7, v12, 1.0
	v_fmac_f32_e32 v12, v13, v12
	v_mul_f32_e32 v13, v9, v12
	v_fma_f32 v24, -v7, v13, v9
	v_fmac_f32_e32 v13, v24, v12
	v_fma_f32 v7, -v7, v13, v9
	v_div_fmas_f32 v7, v7, v12, v13
	v_mov_b32_e32 v9, s17
	v_mov_b32_e32 v12, s16
	v_fma_f32 v9, s16, v6, v9
	v_fma_f32 v12, v6, s17, -v12
	v_div_fixup_f32 v7, v7, v8, 1.0
	v_mul_f32_e32 v6, v9, v7
	v_mul_f32_e32 v7, v12, v7
.LBB254_285:                            ;   in Loop: Header=BB254_233 Depth=1
	s_or_b64 exec, exec, s[0:1]
	v_and_b32_e32 v8, 0x7fffffff, v11
	v_xor_b32_e32 v12, 0x80000000, v11
	v_cmp_ne_u32_e32 vcc, 0, v8
                                        ; implicit-def: $vgpr13
	s_and_saveexec_b64 s[0:1], vcc
	s_xor_b64 s[10:11], exec, s[0:1]
	s_cbranch_execz .LBB254_327
; %bb.286:                              ;   in Loop: Header=BB254_233 Depth=1
	v_and_b32_e32 v9, 0x7fffffff, v10
	v_cmp_ne_u32_e32 vcc, 0, v9
                                        ; implicit-def: $vgpr13
	s_and_saveexec_b64 s[0:1], vcc
	s_xor_b64 s[12:13], exec, s[0:1]
	s_cbranch_execz .LBB254_316
; %bb.287:                              ;   in Loop: Header=BB254_233 Depth=1
	v_xor_b32_e32 v24, 0x80000000, v10
	v_cmp_gt_u32_e32 vcc, s27, v8
                                        ; implicit-def: $vgpr13
	s_and_saveexec_b64 s[0:1], vcc
	s_xor_b64 s[14:15], exec, s[0:1]
	s_cbranch_execz .LBB254_309
; %bb.288:                              ;   in Loop: Header=BB254_233 Depth=1
	v_add_u32_e32 v9, 0xbd4e8de8, v24
	v_cmp_lt_u32_e32 vcc, s28, v9
                                        ; implicit-def: $vgpr13
	s_and_saveexec_b64 s[0:1], vcc
	s_xor_b64 s[18:19], exec, s[0:1]
	s_cbranch_execz .LBB254_298
; %bb.289:                              ;   in Loop: Header=BB254_233 Depth=1
	v_cmp_nlt_f32_e64 s[20:21], |v11|, s29
                                        ; implicit-def: $vgpr9
                                        ; implicit-def: $vgpr24
	s_and_saveexec_b64 s[0:1], s[20:21]
	s_xor_b64 s[22:23], exec, s[0:1]
	s_cbranch_execz .LBB254_291
; %bb.290:                              ;   in Loop: Header=BB254_233 Depth=1
	v_and_b32_e32 v9, 0x7fffff, v8
	v_or_b32_e32 v9, 0x800000, v9
	v_mad_u64_u32 v[24:25], s[0:1], v9, s30, 0
	v_mov_b32_e32 v13, v25
	v_mad_u64_u32 v[25:26], s[0:1], v9, s31, v[13:14]
	v_mov_b32_e32 v13, v26
	;; [unrolled: 2-line block ×3, first 2 shown]
	v_mad_u64_u32 v[27:28], s[0:1], v9, s34, v[13:14]
	v_lshrrev_b32_e32 v13, 23, v8
	v_add_u32_e32 v30, 0xffffff88, v13
	v_mov_b32_e32 v13, v28
	v_mad_u64_u32 v[28:29], s[0:1], v9, s35, v[13:14]
	v_cmp_lt_u32_e32 vcc, 63, v30
	v_cndmask_b32_e32 v13, 0, v20, vcc
	v_add_u32_e32 v31, v13, v30
	v_mov_b32_e32 v13, v29
	v_mad_u64_u32 v[29:30], s[0:1], v9, s36, v[13:14]
	v_cmp_lt_u32_e64 s[0:1], 31, v31
	v_cndmask_b32_e64 v13, 0, v21, s[0:1]
	v_add_u32_e32 v32, v13, v31
	v_mov_b32_e32 v13, v30
	v_mad_u64_u32 v[30:31], s[2:3], v9, s37, v[13:14]
	v_cmp_lt_u32_e64 s[2:3], 31, v32
	v_cndmask_b32_e64 v9, 0, v21, s[2:3]
	v_cndmask_b32_e32 v13, v29, v27, vcc
	v_cndmask_b32_e32 v30, v30, v28, vcc
	;; [unrolled: 1-line block ×4, first 2 shown]
	v_add_u32_e32 v9, v9, v32
	v_cndmask_b32_e64 v31, v30, v13, s[0:1]
	v_cndmask_b32_e64 v29, v29, v30, s[0:1]
	;; [unrolled: 1-line block ×3, first 2 shown]
	v_cndmask_b32_e32 v25, v27, v25, vcc
	v_cndmask_b32_e64 v29, v29, v31, s[2:3]
	v_cndmask_b32_e64 v30, v31, v13, s[2:3]
	v_sub_u32_e32 v31, 32, v9
	v_cndmask_b32_e64 v27, v28, v25, s[0:1]
	v_alignbit_b32 v32, v29, v30, v31
	v_cmp_eq_u32_e64 s[4:5], 0, v9
	v_cndmask_b32_e64 v13, v13, v27, s[2:3]
	v_cndmask_b32_e64 v9, v32, v29, s[4:5]
	v_alignbit_b32 v28, v30, v13, v31
	v_cndmask_b32_e32 v24, v26, v24, vcc
	v_cndmask_b32_e64 v28, v28, v30, s[4:5]
	v_bfe_u32 v32, v9, 29, 1
	v_cndmask_b32_e64 v24, v25, v24, s[0:1]
	v_alignbit_b32 v29, v9, v28, 30
	v_sub_u32_e32 v33, 0, v32
	v_cndmask_b32_e64 v24, v27, v24, s[2:3]
	v_xor_b32_e32 v29, v29, v33
	v_alignbit_b32 v25, v13, v24, v31
	v_cndmask_b32_e64 v13, v25, v13, s[4:5]
	v_ffbh_u32_e32 v26, v29
	v_alignbit_b32 v25, v28, v13, 30
	v_min_u32_e32 v26, 32, v26
	v_alignbit_b32 v13, v13, v24, 30
	v_xor_b32_e32 v25, v25, v33
	v_sub_u32_e32 v27, 31, v26
	v_xor_b32_e32 v13, v13, v33
	v_alignbit_b32 v28, v29, v25, v27
	v_alignbit_b32 v13, v25, v13, v27
	;; [unrolled: 1-line block ×3, first 2 shown]
	v_ffbh_u32_e32 v25, v24
	v_min_u32_e32 v25, 32, v25
	v_lshrrev_b32_e32 v30, 29, v9
	v_not_b32_e32 v27, v25
	v_alignbit_b32 v13, v24, v13, v27
	v_lshlrev_b32_e32 v24, 31, v30
	v_or_b32_e32 v27, 0x33000000, v24
	v_add_lshl_u32 v25, v25, v26, 23
	v_lshrrev_b32_e32 v13, 9, v13
	v_sub_u32_e32 v25, v27, v25
	v_or_b32_e32 v24, 0.5, v24
	v_lshlrev_b32_e32 v26, 23, v26
	v_or_b32_e32 v13, v25, v13
	v_lshrrev_b32_e32 v25, 9, v28
	v_sub_u32_e32 v24, v24, v26
	v_or_b32_e32 v24, v25, v24
	v_mul_f32_e32 v25, 0x3fc90fda, v24
	v_fma_f32 v26, v24, s38, -v25
	v_fmac_f32_e32 v26, 0x33a22168, v24
	v_fmac_f32_e32 v26, 0x3fc90fda, v13
	v_lshrrev_b32_e32 v9, 30, v9
	v_add_f32_e32 v24, v25, v26
	v_add_u32_e32 v9, v32, v9
	s_andn2_saveexec_b64 s[0:1], s[22:23]
	s_branch .LBB254_292
.LBB254_291:                            ;   in Loop: Header=BB254_233 Depth=1
	s_andn2_saveexec_b64 s[0:1], s[22:23]
.LBB254_292:                            ;   in Loop: Header=BB254_233 Depth=1
	v_mul_f32_e64 v9, |v11|, s39
	v_rndne_f32_e32 v13, v9
	v_cvt_i32_f32_e32 v9, v13
	v_fma_f32 v24, v13, s40, |v11|
	v_fmac_f32_e32 v24, 0xb3a22168, v13
	v_fmac_f32_e32 v24, 0xa7c234c4, v13
; %bb.293:                              ;   in Loop: Header=BB254_233 Depth=1
	s_or_b64 exec, exec, s[0:1]
                                        ; implicit-def: $vgpr25
                                        ; implicit-def: $vgpr26
	s_and_saveexec_b64 s[0:1], s[20:21]
	s_xor_b64 s[20:21], exec, s[0:1]
	s_cbranch_execz .LBB254_295
; %bb.294:                              ;   in Loop: Header=BB254_233 Depth=1
	v_and_b32_e32 v13, 0x7fffff, v8
	v_or_b32_e32 v32, 0x800000, v13
	v_mad_u64_u32 v[25:26], s[0:1], v32, s30, 0
	v_mov_b32_e32 v13, v26
	v_mad_u64_u32 v[26:27], s[0:1], v32, s31, v[13:14]
	v_mov_b32_e32 v13, v27
	;; [unrolled: 2-line block ×3, first 2 shown]
	v_mad_u64_u32 v[28:29], s[0:1], v32, s34, v[13:14]
	v_lshrrev_b32_e32 v13, 23, v8
	v_add_u32_e32 v31, 0xffffff88, v13
	v_mov_b32_e32 v13, v29
	v_mad_u64_u32 v[29:30], s[0:1], v32, s35, v[13:14]
	v_cmp_lt_u32_e32 vcc, 63, v31
	v_cndmask_b32_e32 v13, 0, v20, vcc
	v_add_u32_e32 v33, v13, v31
	v_mov_b32_e32 v13, v30
	v_mad_u64_u32 v[30:31], s[0:1], v32, s36, v[13:14]
	v_cmp_lt_u32_e64 s[0:1], 31, v33
	v_cndmask_b32_e64 v13, 0, v21, s[0:1]
	v_add_u32_e32 v33, v13, v33
	v_mov_b32_e32 v13, v31
	v_mad_u64_u32 v[31:32], s[2:3], v32, s37, v[13:14]
	v_cmp_lt_u32_e64 s[2:3], 31, v33
	v_cndmask_b32_e64 v13, 0, v21, s[2:3]
	v_add_u32_e32 v13, v13, v33
	v_cndmask_b32_e32 v33, v30, v28, vcc
	v_cndmask_b32_e32 v31, v31, v29, vcc
	;; [unrolled: 1-line block ×4, first 2 shown]
	v_cndmask_b32_e64 v32, v31, v33, s[0:1]
	v_cndmask_b32_e64 v30, v30, v31, s[0:1]
	v_cndmask_b32_e64 v31, v33, v29, s[0:1]
	v_cndmask_b32_e32 v26, v28, v26, vcc
	v_cndmask_b32_e64 v30, v30, v32, s[2:3]
	v_cndmask_b32_e64 v32, v32, v31, s[2:3]
	v_sub_u32_e32 v33, 32, v13
	v_cndmask_b32_e64 v28, v29, v26, s[0:1]
	v_alignbit_b32 v34, v30, v32, v33
	v_cmp_eq_u32_e64 s[4:5], 0, v13
	v_cndmask_b32_e64 v29, v31, v28, s[2:3]
	v_cndmask_b32_e64 v13, v34, v30, s[4:5]
	v_alignbit_b32 v30, v32, v29, v33
	v_cndmask_b32_e32 v25, v27, v25, vcc
	v_cndmask_b32_e64 v30, v30, v32, s[4:5]
	v_bfe_u32 v34, v13, 29, 1
	v_cndmask_b32_e64 v25, v26, v25, s[0:1]
	v_alignbit_b32 v31, v13, v30, 30
	v_sub_u32_e32 v35, 0, v34
	v_cndmask_b32_e64 v25, v28, v25, s[2:3]
	v_xor_b32_e32 v31, v31, v35
	v_alignbit_b32 v26, v29, v25, v33
	v_cndmask_b32_e64 v26, v26, v29, s[4:5]
	v_ffbh_u32_e32 v28, v31
	v_alignbit_b32 v27, v30, v26, 30
	v_min_u32_e32 v28, 32, v28
	v_alignbit_b32 v25, v26, v25, 30
	v_xor_b32_e32 v27, v27, v35
	v_sub_u32_e32 v29, 31, v28
	v_xor_b32_e32 v25, v25, v35
	v_alignbit_b32 v30, v31, v27, v29
	v_alignbit_b32 v25, v27, v25, v29
	;; [unrolled: 1-line block ×3, first 2 shown]
	v_ffbh_u32_e32 v27, v26
	v_min_u32_e32 v27, 32, v27
	v_lshrrev_b32_e32 v32, 29, v13
	v_not_b32_e32 v29, v27
	v_alignbit_b32 v25, v26, v25, v29
	v_lshlrev_b32_e32 v26, 31, v32
	v_or_b32_e32 v29, 0x33000000, v26
	v_add_lshl_u32 v27, v27, v28, 23
	v_lshrrev_b32_e32 v25, 9, v25
	v_sub_u32_e32 v27, v29, v27
	v_or_b32_e32 v26, 0.5, v26
	v_lshlrev_b32_e32 v28, 23, v28
	v_or_b32_e32 v25, v27, v25
	v_lshrrev_b32_e32 v27, 9, v30
	v_sub_u32_e32 v26, v26, v28
	v_or_b32_e32 v26, v27, v26
	v_mul_f32_e32 v27, 0x3fc90fda, v26
	v_fma_f32 v28, v26, s38, -v27
	v_fmac_f32_e32 v28, 0x33a22168, v26
	v_fmac_f32_e32 v28, 0x3fc90fda, v25
	v_lshrrev_b32_e32 v13, 30, v13
	v_add_f32_e32 v26, v27, v28
	v_add_u32_e32 v25, v34, v13
	s_andn2_saveexec_b64 s[0:1], s[20:21]
	s_cbranch_execnz .LBB254_296
	s_branch .LBB254_297
.LBB254_295:                            ;   in Loop: Header=BB254_233 Depth=1
	s_andn2_saveexec_b64 s[0:1], s[20:21]
.LBB254_296:                            ;   in Loop: Header=BB254_233 Depth=1
	v_mul_f32_e64 v13, |v11|, s39
	v_rndne_f32_e32 v13, v13
	v_cvt_i32_f32_e32 v25, v13
	v_fma_f32 v26, v13, s40, |v11|
	v_fmac_f32_e32 v26, 0xb3a22168, v13
	v_fmac_f32_e32 v26, 0xa7c234c4, v13
.LBB254_297:                            ;   in Loop: Header=BB254_233 Depth=1
	s_or_b64 exec, exec, s[0:1]
	v_mul_f32_e32 v13, 0xbfb8aa3b, v10
	v_rndne_f32_e32 v27, v13
	v_sub_f32_e32 v28, v13, v27
	v_fma_f32 v13, v10, s41, -v13
	v_fmac_f32_e32 v13, 0xb2a5705f, v10
	v_add_f32_e32 v13, v28, v13
	v_cvt_i32_f32_e32 v27, v27
	v_exp_f32_e32 v13, v13
	v_cmp_nlt_f32_e32 vcc, s42, v10
	v_ldexp_f32 v13, v13, v27
	v_cndmask_b32_e32 v13, 0, v13, vcc
	v_cmp_ngt_f32_e32 vcc, s43, v10
	v_cndmask_b32_e32 v10, v22, v13, vcc
	v_mul_f32_e32 v13, v24, v24
	v_mov_b32_e32 v27, 0x3c0881c4
	v_fmac_f32_e32 v27, 0xb94c1982, v13
	v_fma_f32 v27, v13, v27, v17
	v_mul_f32_e32 v27, v13, v27
	v_fmac_f32_e32 v24, v24, v27
	v_mov_b32_e32 v27, 0xbab64f3b
	v_fmac_f32_e32 v27, 0x37d75334, v13
	v_fma_f32 v27, v13, v27, v18
	v_fma_f32 v27, v13, v27, v19
	v_fma_f32 v13, v13, v27, 1.0
	v_and_b32_e32 v27, 1, v9
	v_cmp_eq_u32_e32 vcc, 0, v27
	v_lshlrev_b32_e32 v9, 30, v9
	v_cndmask_b32_e64 v13, -v24, v13, vcc
	v_and_b32_e32 v9, 0x80000000, v9
	v_xor_b32_e32 v9, v9, v13
	v_cmp_class_f32_e64 vcc, v11, s44
	v_cndmask_b32_e32 v9, v23, v9, vcc
	v_mul_f32_e32 v13, v10, v9
	v_mul_f32_e32 v9, v26, v26
	v_mov_b32_e32 v11, 0x3c0881c4
	v_fmac_f32_e32 v11, 0xb94c1982, v9
	v_fma_f32 v11, v9, v11, v17
	v_mul_f32_e32 v11, v9, v11
	v_fmac_f32_e32 v26, v26, v11
	v_mov_b32_e32 v11, 0xbab64f3b
	v_fmac_f32_e32 v11, 0x37d75334, v9
	v_fma_f32 v11, v9, v11, v18
	v_fma_f32 v11, v9, v11, v19
	v_fma_f32 v9, v9, v11, 1.0
	v_and_b32_e32 v11, 1, v25
	v_cmp_eq_u32_e64 s[0:1], 0, v11
	v_lshlrev_b32_e32 v11, 30, v25
	v_cndmask_b32_e64 v9, v9, v26, s[0:1]
	v_and_or_b32 v8, v11, s26, v8
	v_xor_b32_e32 v8, v8, v9
	v_xor_b32_e32 v8, v8, v12
	v_cndmask_b32_e32 v8, v23, v8, vcc
	v_mul_f32_e32 v12, v10, v8
                                        ; implicit-def: $vgpr8_vgpr9_vgpr10_vgpr11
                                        ; implicit-def: $vgpr8
.LBB254_298:                            ;   in Loop: Header=BB254_233 Depth=1
	s_andn2_saveexec_b64 s[18:19], s[18:19]
	s_cbranch_execz .LBB254_308
; %bb.299:                              ;   in Loop: Header=BB254_233 Depth=1
	v_cmp_nlt_f32_e64 s[20:21], |v11|, s29
                                        ; implicit-def: $vgpr24
                                        ; implicit-def: $vgpr9
	s_and_saveexec_b64 s[0:1], s[20:21]
	s_xor_b64 s[22:23], exec, s[0:1]
	s_cbranch_execz .LBB254_301
; %bb.300:                              ;   in Loop: Header=BB254_233 Depth=1
	v_and_b32_e32 v9, 0x7fffff, v8
	v_or_b32_e32 v9, 0x800000, v9
	v_mad_u64_u32 v[24:25], s[0:1], v9, s30, 0
	v_mov_b32_e32 v13, v25
	v_mad_u64_u32 v[25:26], s[0:1], v9, s31, v[13:14]
	v_mov_b32_e32 v13, v26
	;; [unrolled: 2-line block ×3, first 2 shown]
	v_mad_u64_u32 v[27:28], s[0:1], v9, s34, v[13:14]
	v_lshrrev_b32_e32 v13, 23, v8
	v_add_u32_e32 v30, 0xffffff88, v13
	v_mov_b32_e32 v13, v28
	v_mad_u64_u32 v[28:29], s[0:1], v9, s35, v[13:14]
	v_cmp_lt_u32_e32 vcc, 63, v30
	v_cndmask_b32_e32 v13, 0, v20, vcc
	v_add_u32_e32 v31, v13, v30
	v_mov_b32_e32 v13, v29
	v_mad_u64_u32 v[29:30], s[0:1], v9, s36, v[13:14]
	v_cmp_lt_u32_e64 s[0:1], 31, v31
	v_cndmask_b32_e64 v13, 0, v21, s[0:1]
	v_add_u32_e32 v32, v13, v31
	v_mov_b32_e32 v13, v30
	v_mad_u64_u32 v[30:31], s[2:3], v9, s37, v[13:14]
	v_cmp_lt_u32_e64 s[2:3], 31, v32
	v_cndmask_b32_e64 v9, 0, v21, s[2:3]
	v_cndmask_b32_e32 v13, v29, v27, vcc
	v_cndmask_b32_e32 v30, v30, v28, vcc
	;; [unrolled: 1-line block ×4, first 2 shown]
	v_add_u32_e32 v9, v9, v32
	v_cndmask_b32_e64 v31, v30, v13, s[0:1]
	v_cndmask_b32_e64 v29, v29, v30, s[0:1]
	;; [unrolled: 1-line block ×5, first 2 shown]
	v_sub_u32_e32 v31, 32, v9
	v_cmp_eq_u32_e64 s[4:5], 0, v9
	v_cndmask_b32_e32 v9, v27, v25, vcc
	v_cndmask_b32_e64 v25, v28, v9, s[0:1]
	v_alignbit_b32 v32, v29, v30, v31
	v_cndmask_b32_e64 v13, v13, v25, s[2:3]
	v_cndmask_b32_e64 v29, v32, v29, s[4:5]
	v_alignbit_b32 v27, v30, v13, v31
	v_cndmask_b32_e32 v24, v26, v24, vcc
	v_cndmask_b32_e64 v27, v27, v30, s[4:5]
	v_bfe_u32 v32, v29, 29, 1
	v_cndmask_b32_e64 v9, v9, v24, s[0:1]
	v_alignbit_b32 v28, v29, v27, 30
	v_sub_u32_e32 v33, 0, v32
	v_cndmask_b32_e64 v9, v25, v9, s[2:3]
	v_xor_b32_e32 v28, v28, v33
	v_alignbit_b32 v24, v13, v9, v31
	v_cndmask_b32_e64 v13, v24, v13, s[4:5]
	v_ffbh_u32_e32 v25, v28
	v_alignbit_b32 v24, v27, v13, 30
	v_min_u32_e32 v25, 32, v25
	v_alignbit_b32 v9, v13, v9, 30
	v_xor_b32_e32 v24, v24, v33
	v_sub_u32_e32 v26, 31, v25
	v_xor_b32_e32 v9, v9, v33
	v_alignbit_b32 v27, v28, v24, v26
	v_alignbit_b32 v9, v24, v9, v26
	;; [unrolled: 1-line block ×3, first 2 shown]
	v_ffbh_u32_e32 v24, v13
	v_min_u32_e32 v24, 32, v24
	v_lshrrev_b32_e32 v30, 29, v29
	v_not_b32_e32 v26, v24
	v_alignbit_b32 v9, v13, v9, v26
	v_lshlrev_b32_e32 v13, 31, v30
	v_or_b32_e32 v26, 0x33000000, v13
	v_add_lshl_u32 v24, v24, v25, 23
	v_lshrrev_b32_e32 v9, 9, v9
	v_sub_u32_e32 v24, v26, v24
	v_or_b32_e32 v13, 0.5, v13
	v_lshlrev_b32_e32 v25, 23, v25
	v_or_b32_e32 v9, v24, v9
	v_lshrrev_b32_e32 v24, 9, v27
	v_sub_u32_e32 v13, v13, v25
	v_or_b32_e32 v13, v24, v13
	v_mul_f32_e32 v24, 0x3fc90fda, v13
	v_fma_f32 v25, v13, s38, -v24
	v_fmac_f32_e32 v25, 0x33a22168, v13
	v_fmac_f32_e32 v25, 0x3fc90fda, v9
	v_lshrrev_b32_e32 v13, 30, v29
	v_add_f32_e32 v9, v24, v25
	v_add_u32_e32 v24, v32, v13
	s_andn2_saveexec_b64 s[0:1], s[22:23]
	s_branch .LBB254_302
.LBB254_301:                            ;   in Loop: Header=BB254_233 Depth=1
	s_andn2_saveexec_b64 s[0:1], s[22:23]
.LBB254_302:                            ;   in Loop: Header=BB254_233 Depth=1
	v_mul_f32_e64 v9, |v11|, s39
	v_rndne_f32_e32 v13, v9
	v_cvt_i32_f32_e32 v24, v13
	v_fma_f32 v9, v13, s40, |v11|
	v_fmac_f32_e32 v9, 0xb3a22168, v13
	v_fmac_f32_e32 v9, 0xa7c234c4, v13
; %bb.303:                              ;   in Loop: Header=BB254_233 Depth=1
	s_or_b64 exec, exec, s[0:1]
                                        ; implicit-def: $vgpr25
                                        ; implicit-def: $vgpr26
	s_and_saveexec_b64 s[0:1], s[20:21]
	s_xor_b64 s[20:21], exec, s[0:1]
	s_cbranch_execz .LBB254_305
; %bb.304:                              ;   in Loop: Header=BB254_233 Depth=1
	v_and_b32_e32 v13, 0x7fffff, v8
	v_or_b32_e32 v32, 0x800000, v13
	v_mad_u64_u32 v[25:26], s[0:1], v32, s30, 0
	v_mov_b32_e32 v13, v26
	v_mad_u64_u32 v[26:27], s[0:1], v32, s31, v[13:14]
	v_mov_b32_e32 v13, v27
	;; [unrolled: 2-line block ×3, first 2 shown]
	v_mad_u64_u32 v[28:29], s[0:1], v32, s34, v[13:14]
	v_lshrrev_b32_e32 v13, 23, v8
	v_add_u32_e32 v31, 0xffffff88, v13
	v_mov_b32_e32 v13, v29
	v_mad_u64_u32 v[29:30], s[0:1], v32, s35, v[13:14]
	v_cmp_lt_u32_e32 vcc, 63, v31
	v_cndmask_b32_e32 v13, 0, v20, vcc
	v_add_u32_e32 v33, v13, v31
	v_mov_b32_e32 v13, v30
	v_mad_u64_u32 v[30:31], s[0:1], v32, s36, v[13:14]
	v_cmp_lt_u32_e64 s[0:1], 31, v33
	v_cndmask_b32_e64 v13, 0, v21, s[0:1]
	v_add_u32_e32 v33, v13, v33
	v_mov_b32_e32 v13, v31
	v_mad_u64_u32 v[31:32], s[2:3], v32, s37, v[13:14]
	v_cmp_lt_u32_e64 s[2:3], 31, v33
	v_cndmask_b32_e64 v13, 0, v21, s[2:3]
	v_add_u32_e32 v13, v13, v33
	v_cndmask_b32_e32 v33, v30, v28, vcc
	v_cndmask_b32_e32 v31, v31, v29, vcc
	;; [unrolled: 1-line block ×4, first 2 shown]
	v_cndmask_b32_e64 v32, v31, v33, s[0:1]
	v_cndmask_b32_e64 v30, v30, v31, s[0:1]
	;; [unrolled: 1-line block ×3, first 2 shown]
	v_cndmask_b32_e32 v26, v28, v26, vcc
	v_cndmask_b32_e64 v30, v30, v32, s[2:3]
	v_cndmask_b32_e64 v32, v32, v31, s[2:3]
	v_sub_u32_e32 v33, 32, v13
	v_cndmask_b32_e64 v28, v29, v26, s[0:1]
	v_alignbit_b32 v34, v30, v32, v33
	v_cmp_eq_u32_e64 s[4:5], 0, v13
	v_cndmask_b32_e64 v29, v31, v28, s[2:3]
	v_cndmask_b32_e64 v13, v34, v30, s[4:5]
	v_alignbit_b32 v30, v32, v29, v33
	v_cndmask_b32_e32 v25, v27, v25, vcc
	v_cndmask_b32_e64 v30, v30, v32, s[4:5]
	v_bfe_u32 v34, v13, 29, 1
	v_cndmask_b32_e64 v25, v26, v25, s[0:1]
	v_alignbit_b32 v31, v13, v30, 30
	v_sub_u32_e32 v35, 0, v34
	v_cndmask_b32_e64 v25, v28, v25, s[2:3]
	v_xor_b32_e32 v31, v31, v35
	v_alignbit_b32 v26, v29, v25, v33
	v_cndmask_b32_e64 v26, v26, v29, s[4:5]
	v_ffbh_u32_e32 v28, v31
	v_alignbit_b32 v27, v30, v26, 30
	v_min_u32_e32 v28, 32, v28
	v_alignbit_b32 v25, v26, v25, 30
	v_xor_b32_e32 v27, v27, v35
	v_sub_u32_e32 v29, 31, v28
	v_xor_b32_e32 v25, v25, v35
	v_alignbit_b32 v30, v31, v27, v29
	v_alignbit_b32 v25, v27, v25, v29
	;; [unrolled: 1-line block ×3, first 2 shown]
	v_ffbh_u32_e32 v27, v26
	v_min_u32_e32 v27, 32, v27
	v_lshrrev_b32_e32 v32, 29, v13
	v_not_b32_e32 v29, v27
	v_alignbit_b32 v25, v26, v25, v29
	v_lshlrev_b32_e32 v26, 31, v32
	v_or_b32_e32 v29, 0x33000000, v26
	v_add_lshl_u32 v27, v27, v28, 23
	v_lshrrev_b32_e32 v25, 9, v25
	v_sub_u32_e32 v27, v29, v27
	v_or_b32_e32 v26, 0.5, v26
	v_lshlrev_b32_e32 v28, 23, v28
	v_or_b32_e32 v25, v27, v25
	v_lshrrev_b32_e32 v27, 9, v30
	v_sub_u32_e32 v26, v26, v28
	v_or_b32_e32 v26, v27, v26
	v_mul_f32_e32 v27, 0x3fc90fda, v26
	v_fma_f32 v28, v26, s38, -v27
	v_fmac_f32_e32 v28, 0x33a22168, v26
	v_fmac_f32_e32 v28, 0x3fc90fda, v25
	v_lshrrev_b32_e32 v13, 30, v13
	v_add_f32_e32 v26, v27, v28
	v_add_u32_e32 v25, v34, v13
	s_andn2_saveexec_b64 s[0:1], s[20:21]
	s_cbranch_execnz .LBB254_306
	s_branch .LBB254_307
.LBB254_305:                            ;   in Loop: Header=BB254_233 Depth=1
	s_andn2_saveexec_b64 s[0:1], s[20:21]
.LBB254_306:                            ;   in Loop: Header=BB254_233 Depth=1
	v_mul_f32_e64 v13, |v11|, s39
	v_rndne_f32_e32 v13, v13
	v_cvt_i32_f32_e32 v25, v13
	v_fma_f32 v26, v13, s40, |v11|
	v_fmac_f32_e32 v26, 0xb3a22168, v13
	v_fmac_f32_e32 v26, 0xa7c234c4, v13
.LBB254_307:                            ;   in Loop: Header=BB254_233 Depth=1
	s_or_b64 exec, exec, s[0:1]
	v_mul_f32_e32 v27, v9, v9
	v_mov_b32_e32 v28, 0xbab64f3b
	v_fmac_f32_e32 v28, 0x37d75334, v27
	v_mov_b32_e32 v29, 0x3c0881c4
	v_fma_f32 v28, v27, v28, v18
	v_fmac_f32_e32 v29, 0xb94c1982, v27
	v_fma_f32 v28, v27, v28, v19
	v_fma_f32 v29, v27, v29, v17
	v_lshlrev_b32_e32 v13, 30, v24
	v_and_b32_e32 v24, 1, v24
	v_fma_f32 v28, v27, v28, 1.0
	v_mul_f32_e32 v27, v27, v29
	v_sub_f32_e32 v10, 0xc322e3bc, v10
	v_fmac_f32_e32 v9, v9, v27
	v_cmp_eq_u32_e32 vcc, 0, v24
	v_mul_f32_e32 v24, 0x3fb8aa3b, v10
	v_cndmask_b32_e64 v9, -v9, v28, vcc
	v_fma_f32 v27, v10, s45, -v24
	v_rndne_f32_e32 v28, v24
	v_fmac_f32_e32 v27, 0x32a5705f, v10
	v_sub_f32_e32 v24, v24, v28
	v_add_f32_e32 v24, v24, v27
	v_exp_f32_e32 v24, v24
	v_cvt_i32_f32_e32 v27, v28
	v_cmp_class_f32_e64 vcc, v11, s44
	v_cmp_ngt_f32_e64 s[0:1], s46, v10
	v_and_b32_e32 v13, 0x80000000, v13
	v_ldexp_f32 v11, v24, v27
	v_cndmask_b32_e64 v11, 0, v11, s[0:1]
	v_cmp_nlt_f32_e64 s[0:1], s47, v10
	v_cndmask_b32_e64 v10, v22, v11, s[0:1]
	v_and_b32_e32 v11, 0x7fffff, v10
	v_lshrrev_b32_e32 v10, 23, v10
	v_subrev_u32_e32 v10, 19, v10
	v_xor_b32_e32 v9, v13, v9
	v_lshrrev_b16_e32 v13, 15, v10
	v_add_u16_e32 v13, v10, v13
	v_ashrrev_i16_e32 v13, 1, v13
	v_cndmask_b32_e32 v9, v23, v9, vcc
	v_or_b32_e32 v11, 0x7f000000, v11
	v_bfe_i32 v13, v13, 0, 16
	v_mul_f32_e32 v9, v9, v11
	v_lshl_add_u32 v24, v13, 23, 1.0
	v_sub_u32_e32 v10, v10, v13
	v_mul_f32_e32 v9, v9, v24
	v_lshl_add_u32 v10, v10, 23, 1.0
	v_mul_f32_e32 v13, v9, v10
	v_mul_f32_e32 v9, v26, v26
	v_mov_b32_e32 v27, 0x3c0881c4
	v_fmac_f32_e32 v27, 0xb94c1982, v9
	v_fma_f32 v27, v9, v27, v17
	v_mul_f32_e32 v27, v9, v27
	v_fmac_f32_e32 v26, v26, v27
	v_mov_b32_e32 v27, 0xbab64f3b
	v_fmac_f32_e32 v27, 0x37d75334, v9
	v_fma_f32 v27, v9, v27, v18
	v_fma_f32 v27, v9, v27, v19
	v_fma_f32 v9, v9, v27, 1.0
	v_and_b32_e32 v27, 1, v25
	v_cmp_eq_u32_e64 s[0:1], 0, v27
	v_lshlrev_b32_e32 v25, 30, v25
	v_cndmask_b32_e64 v9, v9, v26, s[0:1]
	v_and_or_b32 v8, v25, s26, v8
	v_xor_b32_e32 v8, v8, v9
	v_xor_b32_e32 v8, v8, v12
	v_cndmask_b32_e32 v8, v23, v8, vcc
	v_mul_f32_e32 v8, v8, v11
	v_mul_f32_e32 v8, v8, v24
	v_mul_f32_e32 v12, v8, v10
.LBB254_308:                            ;   in Loop: Header=BB254_233 Depth=1
	s_or_b64 exec, exec, s[18:19]
                                        ; implicit-def: $vgpr8_vgpr9_vgpr10_vgpr11
                                        ; implicit-def: $vgpr24
                                        ; implicit-def: $vgpr9
.LBB254_309:                            ;   in Loop: Header=BB254_233 Depth=1
	s_andn2_saveexec_b64 s[0:1], s[14:15]
	s_cbranch_execz .LBB254_315
; %bb.310:                              ;   in Loop: Header=BB254_233 Depth=1
	v_cmp_ne_u32_e32 vcc, s27, v9
	v_sub_f32_e32 v12, v11, v11
	s_and_saveexec_b64 s[2:3], vcc
	s_xor_b64 s[2:3], exec, s[2:3]
; %bb.311:                              ;   in Loop: Header=BB254_233 Depth=1
                                        ; implicit-def: $vgpr24
                                        ; implicit-def: $vgpr8_vgpr9_vgpr10_vgpr11
; %bb.312:                              ;   in Loop: Header=BB254_233 Depth=1
	s_or_saveexec_b64 s[2:3], s[2:3]
	v_mov_b32_e32 v13, v12
	s_xor_b64 exec, exec, s[2:3]
; %bb.313:                              ;   in Loop: Header=BB254_233 Depth=1
	v_cmp_lt_i32_e32 vcc, -1, v24
	v_cndmask_b32_e64 v13, 0, -v10, vcc
	v_cndmask_b32_e32 v12, 0, v12, vcc
; %bb.314:                              ;   in Loop: Header=BB254_233 Depth=1
	s_or_b64 exec, exec, s[2:3]
.LBB254_315:                            ;   in Loop: Header=BB254_233 Depth=1
	s_or_b64 exec, exec, s[0:1]
                                        ; implicit-def: $vgpr8_vgpr9_vgpr10_vgpr11
                                        ; implicit-def: $vgpr8
.LBB254_316:                            ;   in Loop: Header=BB254_233 Depth=1
	s_andn2_saveexec_b64 s[12:13], s[12:13]
	s_cbranch_execz .LBB254_326
; %bb.317:                              ;   in Loop: Header=BB254_233 Depth=1
	v_cmp_nlt_f32_e64 s[14:15], |v11|, s29
                                        ; implicit-def: $vgpr9
                                        ; implicit-def: $vgpr10
	s_and_saveexec_b64 s[0:1], s[14:15]
	s_xor_b64 s[18:19], exec, s[0:1]
	s_cbranch_execz .LBB254_319
; %bb.318:                              ;   in Loop: Header=BB254_233 Depth=1
	v_and_b32_e32 v9, 0x7fffff, v8
	v_or_b32_e32 v30, 0x800000, v9
	v_mad_u64_u32 v[9:10], s[0:1], v30, s30, 0
	v_mov_b32_e32 v13, v10
	v_mad_u64_u32 v[24:25], s[0:1], v30, s31, v[13:14]
	v_lshrrev_b32_e32 v10, 23, v8
	v_add_u32_e32 v10, 0xffffff88, v10
	v_mov_b32_e32 v13, v25
	v_mad_u64_u32 v[25:26], s[0:1], v30, s33, v[13:14]
	v_cmp_lt_u32_e32 vcc, 63, v10
	v_mov_b32_e32 v13, v26
	v_mad_u64_u32 v[26:27], s[0:1], v30, s34, v[13:14]
	v_cndmask_b32_e32 v9, v25, v9, vcc
	v_mov_b32_e32 v13, v27
	v_mad_u64_u32 v[27:28], s[0:1], v30, s35, v[13:14]
	v_cndmask_b32_e32 v13, 0, v20, vcc
	v_add_u32_e32 v10, v13, v10
	v_mov_b32_e32 v13, v28
	v_mad_u64_u32 v[28:29], s[0:1], v30, s36, v[13:14]
	v_cmp_lt_u32_e64 s[0:1], 31, v10
	v_cndmask_b32_e64 v13, 0, v21, s[0:1]
	v_add_u32_e32 v10, v13, v10
	v_mov_b32_e32 v13, v29
	v_mad_u64_u32 v[29:30], s[2:3], v30, s37, v[13:14]
	v_cmp_lt_u32_e64 s[2:3], 31, v10
	v_cndmask_b32_e64 v13, 0, v21, s[2:3]
	v_add_u32_e32 v10, v13, v10
	v_cndmask_b32_e32 v13, v28, v26, vcc
	v_cndmask_b32_e32 v29, v29, v27, vcc
	v_cndmask_b32_e32 v28, v30, v28, vcc
	v_cndmask_b32_e32 v27, v27, v25, vcc
	v_cndmask_b32_e64 v30, v29, v13, s[0:1]
	v_cndmask_b32_e64 v28, v28, v29, s[0:1]
	;; [unrolled: 1-line block ×5, first 2 shown]
	v_sub_u32_e32 v30, 32, v10
	v_cmp_eq_u32_e64 s[4:5], 0, v10
	v_cndmask_b32_e32 v10, v26, v24, vcc
	v_cndmask_b32_e64 v24, v27, v10, s[0:1]
	v_alignbit_b32 v31, v28, v29, v30
	v_cndmask_b32_e64 v13, v13, v24, s[2:3]
	v_cndmask_b32_e64 v28, v31, v28, s[4:5]
	v_alignbit_b32 v26, v29, v13, v30
	v_cndmask_b32_e64 v26, v26, v29, s[4:5]
	v_bfe_u32 v31, v28, 29, 1
	v_cndmask_b32_e64 v9, v10, v9, s[0:1]
	v_alignbit_b32 v27, v28, v26, 30
	v_sub_u32_e32 v32, 0, v31
	v_cndmask_b32_e64 v9, v24, v9, s[2:3]
	v_xor_b32_e32 v27, v27, v32
	v_alignbit_b32 v10, v13, v9, v30
	v_cndmask_b32_e64 v10, v10, v13, s[4:5]
	v_ffbh_u32_e32 v24, v27
	v_alignbit_b32 v13, v26, v10, 30
	v_min_u32_e32 v24, 32, v24
	v_alignbit_b32 v9, v10, v9, 30
	v_xor_b32_e32 v13, v13, v32
	v_sub_u32_e32 v25, 31, v24
	v_xor_b32_e32 v9, v9, v32
	v_alignbit_b32 v26, v27, v13, v25
	v_alignbit_b32 v9, v13, v9, v25
	;; [unrolled: 1-line block ×3, first 2 shown]
	v_ffbh_u32_e32 v13, v10
	v_min_u32_e32 v13, 32, v13
	v_lshrrev_b32_e32 v29, 29, v28
	v_not_b32_e32 v25, v13
	v_alignbit_b32 v9, v10, v9, v25
	v_lshlrev_b32_e32 v10, 31, v29
	v_or_b32_e32 v25, 0x33000000, v10
	v_add_lshl_u32 v13, v13, v24, 23
	v_lshrrev_b32_e32 v9, 9, v9
	v_sub_u32_e32 v13, v25, v13
	v_or_b32_e32 v10, 0.5, v10
	v_lshlrev_b32_e32 v24, 23, v24
	v_or_b32_e32 v9, v13, v9
	v_lshrrev_b32_e32 v13, 9, v26
	v_sub_u32_e32 v10, v10, v24
	v_or_b32_e32 v10, v13, v10
	v_mul_f32_e32 v13, 0x3fc90fda, v10
	v_fma_f32 v24, v10, s38, -v13
	v_fmac_f32_e32 v24, 0x33a22168, v10
	v_fmac_f32_e32 v24, 0x3fc90fda, v9
	v_lshrrev_b32_e32 v9, 30, v28
	v_add_f32_e32 v10, v13, v24
	v_add_u32_e32 v9, v31, v9
	s_andn2_saveexec_b64 s[0:1], s[18:19]
	s_branch .LBB254_320
.LBB254_319:                            ;   in Loop: Header=BB254_233 Depth=1
	s_andn2_saveexec_b64 s[0:1], s[18:19]
.LBB254_320:                            ;   in Loop: Header=BB254_233 Depth=1
	v_mul_f32_e64 v9, |v11|, s39
	v_rndne_f32_e32 v13, v9
	v_cvt_i32_f32_e32 v9, v13
	v_fma_f32 v10, v13, s40, |v11|
	v_fmac_f32_e32 v10, 0xb3a22168, v13
	v_fmac_f32_e32 v10, 0xa7c234c4, v13
; %bb.321:                              ;   in Loop: Header=BB254_233 Depth=1
	s_or_b64 exec, exec, s[0:1]
                                        ; implicit-def: $vgpr24
                                        ; implicit-def: $vgpr25
	s_and_saveexec_b64 s[0:1], s[14:15]
	s_xor_b64 s[14:15], exec, s[0:1]
	s_cbranch_execz .LBB254_323
; %bb.322:                              ;   in Loop: Header=BB254_233 Depth=1
	v_and_b32_e32 v13, 0x7fffff, v8
	v_or_b32_e32 v31, 0x800000, v13
	v_mad_u64_u32 v[24:25], s[0:1], v31, s30, 0
	v_mov_b32_e32 v13, v25
	v_mad_u64_u32 v[25:26], s[0:1], v31, s31, v[13:14]
	v_mov_b32_e32 v13, v26
	;; [unrolled: 2-line block ×3, first 2 shown]
	v_mad_u64_u32 v[27:28], s[0:1], v31, s34, v[13:14]
	v_lshrrev_b32_e32 v13, 23, v8
	v_add_u32_e32 v30, 0xffffff88, v13
	v_mov_b32_e32 v13, v28
	v_mad_u64_u32 v[28:29], s[0:1], v31, s35, v[13:14]
	v_cmp_lt_u32_e32 vcc, 63, v30
	v_cndmask_b32_e32 v13, 0, v20, vcc
	v_add_u32_e32 v32, v13, v30
	v_mov_b32_e32 v13, v29
	v_mad_u64_u32 v[29:30], s[0:1], v31, s36, v[13:14]
	v_cmp_lt_u32_e64 s[0:1], 31, v32
	v_cndmask_b32_e64 v13, 0, v21, s[0:1]
	v_add_u32_e32 v32, v13, v32
	v_mov_b32_e32 v13, v30
	v_mad_u64_u32 v[30:31], s[2:3], v31, s37, v[13:14]
	v_cmp_lt_u32_e64 s[2:3], 31, v32
	v_cndmask_b32_e64 v13, 0, v21, s[2:3]
	v_add_u32_e32 v13, v13, v32
	v_cndmask_b32_e32 v32, v29, v27, vcc
	v_cndmask_b32_e32 v30, v30, v28, vcc
	;; [unrolled: 1-line block ×4, first 2 shown]
	v_cndmask_b32_e64 v31, v30, v32, s[0:1]
	v_cndmask_b32_e64 v29, v29, v30, s[0:1]
	;; [unrolled: 1-line block ×3, first 2 shown]
	v_cndmask_b32_e32 v25, v27, v25, vcc
	v_cndmask_b32_e64 v29, v29, v31, s[2:3]
	v_cndmask_b32_e64 v31, v31, v30, s[2:3]
	v_sub_u32_e32 v32, 32, v13
	v_cndmask_b32_e64 v27, v28, v25, s[0:1]
	v_alignbit_b32 v33, v29, v31, v32
	v_cmp_eq_u32_e64 s[4:5], 0, v13
	v_cndmask_b32_e64 v28, v30, v27, s[2:3]
	v_cndmask_b32_e64 v13, v33, v29, s[4:5]
	v_alignbit_b32 v29, v31, v28, v32
	v_cndmask_b32_e32 v24, v26, v24, vcc
	v_cndmask_b32_e64 v29, v29, v31, s[4:5]
	v_bfe_u32 v33, v13, 29, 1
	v_cndmask_b32_e64 v24, v25, v24, s[0:1]
	v_alignbit_b32 v30, v13, v29, 30
	v_sub_u32_e32 v34, 0, v33
	v_cndmask_b32_e64 v24, v27, v24, s[2:3]
	v_xor_b32_e32 v30, v30, v34
	v_alignbit_b32 v25, v28, v24, v32
	v_cndmask_b32_e64 v25, v25, v28, s[4:5]
	v_ffbh_u32_e32 v27, v30
	v_alignbit_b32 v26, v29, v25, 30
	v_min_u32_e32 v27, 32, v27
	v_alignbit_b32 v24, v25, v24, 30
	v_xor_b32_e32 v26, v26, v34
	v_sub_u32_e32 v28, 31, v27
	v_xor_b32_e32 v24, v24, v34
	v_alignbit_b32 v29, v30, v26, v28
	v_alignbit_b32 v24, v26, v24, v28
	;; [unrolled: 1-line block ×3, first 2 shown]
	v_ffbh_u32_e32 v26, v25
	v_min_u32_e32 v26, 32, v26
	v_lshrrev_b32_e32 v31, 29, v13
	v_not_b32_e32 v28, v26
	v_alignbit_b32 v24, v25, v24, v28
	v_lshlrev_b32_e32 v25, 31, v31
	v_or_b32_e32 v28, 0x33000000, v25
	v_add_lshl_u32 v26, v26, v27, 23
	v_lshrrev_b32_e32 v24, 9, v24
	v_sub_u32_e32 v26, v28, v26
	v_or_b32_e32 v25, 0.5, v25
	v_lshlrev_b32_e32 v27, 23, v27
	v_or_b32_e32 v24, v26, v24
	v_lshrrev_b32_e32 v26, 9, v29
	v_sub_u32_e32 v25, v25, v27
	v_or_b32_e32 v25, v26, v25
	v_mul_f32_e32 v26, 0x3fc90fda, v25
	v_fma_f32 v27, v25, s38, -v26
	v_fmac_f32_e32 v27, 0x33a22168, v25
	v_fmac_f32_e32 v27, 0x3fc90fda, v24
	v_lshrrev_b32_e32 v13, 30, v13
	v_add_f32_e32 v25, v26, v27
	v_add_u32_e32 v24, v33, v13
	s_andn2_saveexec_b64 s[0:1], s[14:15]
	s_cbranch_execnz .LBB254_324
	s_branch .LBB254_325
.LBB254_323:                            ;   in Loop: Header=BB254_233 Depth=1
	s_andn2_saveexec_b64 s[0:1], s[14:15]
.LBB254_324:                            ;   in Loop: Header=BB254_233 Depth=1
	v_mul_f32_e64 v13, |v11|, s39
	v_rndne_f32_e32 v13, v13
	v_cvt_i32_f32_e32 v24, v13
	v_fma_f32 v25, v13, s40, |v11|
	v_fmac_f32_e32 v25, 0xb3a22168, v13
	v_fmac_f32_e32 v25, 0xa7c234c4, v13
.LBB254_325:                            ;   in Loop: Header=BB254_233 Depth=1
	s_or_b64 exec, exec, s[0:1]
	v_mul_f32_e32 v13, v10, v10
	v_mov_b32_e32 v26, 0x3c0881c4
	v_fmac_f32_e32 v26, 0xb94c1982, v13
	v_fma_f32 v26, v13, v26, v17
	v_mul_f32_e32 v26, v13, v26
	v_fmac_f32_e32 v10, v10, v26
	v_mov_b32_e32 v26, 0xbab64f3b
	v_fmac_f32_e32 v26, 0x37d75334, v13
	v_fma_f32 v26, v13, v26, v18
	v_fma_f32 v26, v13, v26, v19
	v_fma_f32 v13, v13, v26, 1.0
	v_and_b32_e32 v26, 1, v9
	v_cmp_eq_u32_e32 vcc, 0, v26
	v_lshlrev_b32_e32 v9, 30, v9
	v_cndmask_b32_e64 v10, -v10, v13, vcc
	v_and_b32_e32 v9, 0x80000000, v9
	v_xor_b32_e32 v9, v9, v10
	v_cmp_class_f32_e64 vcc, v11, s44
	v_cndmask_b32_e32 v13, v23, v9, vcc
	v_mul_f32_e32 v9, v25, v25
	v_mov_b32_e32 v10, 0x3c0881c4
	v_fmac_f32_e32 v10, 0xb94c1982, v9
	v_fma_f32 v10, v9, v10, v17
	v_mul_f32_e32 v10, v9, v10
	v_fmac_f32_e32 v25, v25, v10
	v_mov_b32_e32 v10, 0xbab64f3b
	v_fmac_f32_e32 v10, 0x37d75334, v9
	v_fma_f32 v10, v9, v10, v18
	v_fma_f32 v10, v9, v10, v19
	v_fma_f32 v9, v9, v10, 1.0
	v_and_b32_e32 v10, 1, v24
	v_cmp_eq_u32_e64 s[0:1], 0, v10
	v_lshlrev_b32_e32 v10, 30, v24
	v_cndmask_b32_e64 v9, v9, v25, s[0:1]
	v_and_or_b32 v8, v10, s26, v8
	v_xor_b32_e32 v8, v8, v9
	v_xor_b32_e32 v8, v8, v12
	v_cndmask_b32_e32 v12, v23, v8, vcc
.LBB254_326:                            ;   in Loop: Header=BB254_233 Depth=1
	s_or_b64 exec, exec, s[12:13]
                                        ; implicit-def: $vgpr8_vgpr9_vgpr10_vgpr11
.LBB254_327:                            ;   in Loop: Header=BB254_233 Depth=1
	s_andn2_saveexec_b64 s[0:1], s[10:11]
	s_cbranch_execz .LBB254_329
; %bb.328:                              ;   in Loop: Header=BB254_233 Depth=1
	v_mul_f32_e32 v8, 0xbfb8aa3b, v10
	v_rndne_f32_e32 v9, v8
	v_sub_f32_e32 v11, v8, v9
	v_fma_f32 v8, v10, s41, -v8
	v_fmac_f32_e32 v8, 0xb2a5705f, v10
	v_add_f32_e32 v8, v11, v8
	v_cvt_i32_f32_e32 v9, v9
	v_exp_f32_e32 v8, v8
	v_cmp_nlt_f32_e32 vcc, s42, v10
	v_ldexp_f32 v8, v8, v9
	v_cndmask_b32_e32 v8, 0, v8, vcc
	v_cmp_ngt_f32_e32 vcc, s43, v10
	v_cndmask_b32_e32 v13, v22, v8, vcc
.LBB254_329:                            ;   in Loop: Header=BB254_233 Depth=1
	s_or_b64 exec, exec, s[0:1]
	v_add_f32_e32 v11, s16, v13
	v_add_f32_e32 v10, s17, v12
	v_cmp_gt_f32_e32 vcc, 0, v11
	v_cndmask_b32_e64 v12, v11, -v11, vcc
	v_cmp_gt_f32_e32 vcc, 0, v10
	v_cndmask_b32_e64 v13, v10, -v10, vcc
	v_cmp_ge_f32_e32 vcc, v12, v13
	s_and_saveexec_b64 s[0:1], vcc
	s_xor_b64 s[2:3], exec, s[0:1]
	s_cbranch_execz .LBB254_335
; %bb.330:                              ;   in Loop: Header=BB254_233 Depth=1
	v_cmp_neq_f32_e32 vcc, 0, v11
	v_cmp_neq_f32_e64 s[0:1], 0, v10
	s_or_b64 s[0:1], vcc, s[0:1]
	s_and_saveexec_b64 s[4:5], s[0:1]
	s_xor_b64 s[0:1], exec, s[4:5]
	s_cbranch_execz .LBB254_332
; %bb.331:                              ;   in Loop: Header=BB254_233 Depth=1
	v_div_scale_f32 v8, s[4:5], v11, v11, v10
	v_div_scale_f32 v9, vcc, v10, v11, v10
	v_rcp_f32_e32 v12, v8
	v_fma_f32 v13, -v8, v12, 1.0
	v_fmac_f32_e32 v12, v13, v12
	v_mul_f32_e32 v13, v9, v12
	v_fma_f32 v24, -v8, v13, v9
	v_fmac_f32_e32 v13, v24, v12
	v_fma_f32 v8, -v8, v13, v9
	v_div_fmas_f32 v8, v8, v12, v13
	v_div_fixup_f32 v8, v8, v11, v10
	v_fmac_f32_e32 v11, v10, v8
	v_div_scale_f32 v9, s[4:5], v11, v11, 1.0
	v_div_scale_f32 v10, vcc, 1.0, v11, 1.0
	v_rcp_f32_e32 v12, v9
	v_fma_f32 v13, -v9, v12, 1.0
	v_fmac_f32_e32 v12, v13, v12
	v_mul_f32_e32 v13, v10, v12
	v_fma_f32 v24, -v9, v13, v10
	v_fmac_f32_e32 v13, v24, v12
	v_fma_f32 v9, -v9, v13, v10
	v_div_fmas_f32 v9, v9, v12, v13
	v_mov_b32_e32 v10, s16
	v_mov_b32_e32 v12, s17
	v_fma_f32 v10, s17, v8, v10
	v_fma_f32 v12, -v8, s16, v12
                                        ; implicit-def: $vgpr13
	v_div_fixup_f32 v9, v9, v11, 1.0
	v_mul_f32_e32 v8, v10, v9
	v_mul_f32_e32 v9, v12, v9
                                        ; implicit-def: $vgpr12
.LBB254_332:                            ;   in Loop: Header=BB254_233 Depth=1
	s_andn2_saveexec_b64 s[4:5], s[0:1]
	s_cbranch_execz .LBB254_334
; %bb.333:                              ;   in Loop: Header=BB254_233 Depth=1
	v_div_scale_f32 v8, s[0:1], v12, v12, s16
	v_div_scale_f32 v9, s[0:1], v13, v13, s17
	v_div_scale_f32 v10, vcc, s16, v12, s16
	v_div_scale_f32 v11, s[0:1], s17, v13, s17
	v_rcp_f32_e32 v24, v8
	v_rcp_f32_e32 v25, v9
	v_fma_f32 v26, -v8, v24, 1.0
	v_fmac_f32_e32 v24, v26, v24
	v_fma_f32 v27, -v9, v25, 1.0
	v_fmac_f32_e32 v25, v27, v25
	v_mul_f32_e32 v26, v10, v24
	v_mul_f32_e32 v27, v11, v25
	v_fma_f32 v28, -v8, v26, v10
	v_fma_f32 v29, -v9, v27, v11
	v_fmac_f32_e32 v26, v28, v24
	v_fmac_f32_e32 v27, v29, v25
	v_fma_f32 v8, -v8, v26, v10
	v_fma_f32 v9, -v9, v27, v11
	v_div_fmas_f32 v8, v8, v24, v26
	s_mov_b64 vcc, s[0:1]
	v_div_fmas_f32 v9, v9, v25, v27
	v_div_fixup_f32 v8, v8, v12, s16
	v_div_fixup_f32 v9, v9, v13, s17
.LBB254_334:                            ;   in Loop: Header=BB254_233 Depth=1
	s_or_b64 exec, exec, s[4:5]
                                        ; implicit-def: $vgpr10
                                        ; implicit-def: $vgpr11
.LBB254_335:                            ;   in Loop: Header=BB254_233 Depth=1
	s_andn2_saveexec_b64 s[0:1], s[2:3]
	s_cbranch_execz .LBB254_337
; %bb.336:                              ;   in Loop: Header=BB254_233 Depth=1
	v_div_scale_f32 v8, s[2:3], v10, v10, v11
	v_div_scale_f32 v9, vcc, v11, v10, v11
	v_rcp_f32_e32 v12, v8
	v_fma_f32 v13, -v8, v12, 1.0
	v_fmac_f32_e32 v12, v13, v12
	v_mul_f32_e32 v13, v9, v12
	v_fma_f32 v24, -v8, v13, v9
	v_fmac_f32_e32 v13, v24, v12
	v_fma_f32 v8, -v8, v13, v9
	v_div_fmas_f32 v8, v8, v12, v13
	v_div_fixup_f32 v8, v8, v10, v11
	v_fmac_f32_e32 v10, v11, v8
	v_div_scale_f32 v9, s[2:3], v10, v10, 1.0
	v_div_scale_f32 v11, vcc, 1.0, v10, 1.0
	v_rcp_f32_e32 v12, v9
	v_fma_f32 v13, -v9, v12, 1.0
	v_fmac_f32_e32 v12, v13, v12
	v_mul_f32_e32 v13, v11, v12
	v_fma_f32 v24, -v9, v13, v11
	v_fmac_f32_e32 v13, v24, v12
	v_fma_f32 v9, -v9, v13, v11
	v_div_fmas_f32 v9, v9, v12, v13
	v_mov_b32_e32 v11, s17
	v_mov_b32_e32 v12, s16
	v_fma_f32 v11, s16, v8, v11
	v_fma_f32 v12, v8, s17, -v12
	v_div_fixup_f32 v9, v9, v10, 1.0
	v_mul_f32_e32 v8, v11, v9
	v_mul_f32_e32 v9, v12, v9
.LBB254_337:                            ;   in Loop: Header=BB254_233 Depth=1
	s_or_b64 exec, exec, s[0:1]
	s_waitcnt vmcnt(0)
	v_and_b32_e32 v11, 0x7fffffff, v3
	v_xor_b32_e32 v10, 0x80000000, v3
	v_cmp_ne_u32_e32 vcc, 0, v11
                                        ; implicit-def: $vgpr12
	s_and_saveexec_b64 s[0:1], vcc
	s_xor_b64 s[10:11], exec, s[0:1]
	s_cbranch_execz .LBB254_379
; %bb.338:                              ;   in Loop: Header=BB254_233 Depth=1
	v_and_b32_e32 v24, 0x7fffffff, v2
	v_cmp_ne_u32_e32 vcc, 0, v24
                                        ; implicit-def: $vgpr12
	s_and_saveexec_b64 s[0:1], vcc
	s_xor_b64 s[12:13], exec, s[0:1]
	s_cbranch_execz .LBB254_368
; %bb.339:                              ;   in Loop: Header=BB254_233 Depth=1
	v_xor_b32_e32 v13, 0x80000000, v2
	v_cmp_gt_u32_e32 vcc, s27, v11
                                        ; implicit-def: $vgpr12
	s_and_saveexec_b64 s[0:1], vcc
	s_xor_b64 s[14:15], exec, s[0:1]
	s_cbranch_execz .LBB254_361
; %bb.340:                              ;   in Loop: Header=BB254_233 Depth=1
	v_add_u32_e32 v12, 0xbd4e8de8, v13
	v_cmp_lt_u32_e32 vcc, s28, v12
                                        ; implicit-def: $vgpr12
	s_and_saveexec_b64 s[0:1], vcc
	s_xor_b64 s[18:19], exec, s[0:1]
	s_cbranch_execz .LBB254_350
; %bb.341:                              ;   in Loop: Header=BB254_233 Depth=1
	v_cmp_nlt_f32_e64 s[20:21], |v3|, s29
                                        ; implicit-def: $vgpr12
                                        ; implicit-def: $vgpr24
	s_and_saveexec_b64 s[0:1], s[20:21]
	s_xor_b64 s[22:23], exec, s[0:1]
	s_cbranch_execz .LBB254_343
; %bb.342:                              ;   in Loop: Header=BB254_233 Depth=1
	v_and_b32_e32 v12, 0x7fffff, v11
	v_or_b32_e32 v30, 0x800000, v12
	v_mad_u64_u32 v[12:13], s[0:1], v30, s30, 0
	v_mad_u64_u32 v[24:25], s[0:1], v30, s31, v[13:14]
	v_mov_b32_e32 v13, v25
	v_mad_u64_u32 v[25:26], s[0:1], v30, s33, v[13:14]
	v_mov_b32_e32 v13, v26
	v_mad_u64_u32 v[26:27], s[0:1], v30, s34, v[13:14]
	v_lshrrev_b32_e32 v13, 23, v11
	v_add_u32_e32 v29, 0xffffff88, v13
	v_mov_b32_e32 v13, v27
	v_mad_u64_u32 v[27:28], s[0:1], v30, s35, v[13:14]
	v_cmp_lt_u32_e32 vcc, 63, v29
	v_cndmask_b32_e32 v13, 0, v20, vcc
	v_add_u32_e32 v31, v13, v29
	v_mov_b32_e32 v13, v28
	v_mad_u64_u32 v[28:29], s[0:1], v30, s36, v[13:14]
	v_cmp_lt_u32_e64 s[0:1], 31, v31
	v_cndmask_b32_e64 v13, 0, v21, s[0:1]
	v_add_u32_e32 v31, v13, v31
	v_mov_b32_e32 v13, v29
	v_mad_u64_u32 v[29:30], s[2:3], v30, s37, v[13:14]
	v_cmp_lt_u32_e64 s[2:3], 31, v31
	v_cndmask_b32_e64 v13, 0, v21, s[2:3]
	v_add_u32_e32 v13, v13, v31
	v_cndmask_b32_e32 v31, v28, v26, vcc
	v_cndmask_b32_e32 v29, v29, v27, vcc
	;; [unrolled: 1-line block ×4, first 2 shown]
	v_cndmask_b32_e64 v30, v29, v31, s[0:1]
	v_cndmask_b32_e64 v28, v28, v29, s[0:1]
	;; [unrolled: 1-line block ×3, first 2 shown]
	v_cndmask_b32_e32 v24, v26, v24, vcc
	v_cndmask_b32_e64 v28, v28, v30, s[2:3]
	v_cndmask_b32_e64 v30, v30, v29, s[2:3]
	v_sub_u32_e32 v31, 32, v13
	v_cndmask_b32_e64 v26, v27, v24, s[0:1]
	v_alignbit_b32 v32, v28, v30, v31
	v_cmp_eq_u32_e64 s[4:5], 0, v13
	v_cndmask_b32_e64 v27, v29, v26, s[2:3]
	v_cndmask_b32_e64 v13, v32, v28, s[4:5]
	v_alignbit_b32 v28, v30, v27, v31
	v_cndmask_b32_e32 v12, v25, v12, vcc
	v_cndmask_b32_e64 v28, v28, v30, s[4:5]
	v_bfe_u32 v32, v13, 29, 1
	v_cndmask_b32_e64 v12, v24, v12, s[0:1]
	v_alignbit_b32 v29, v13, v28, 30
	v_sub_u32_e32 v33, 0, v32
	v_cndmask_b32_e64 v12, v26, v12, s[2:3]
	v_xor_b32_e32 v29, v29, v33
	v_alignbit_b32 v24, v27, v12, v31
	v_cndmask_b32_e64 v24, v24, v27, s[4:5]
	v_ffbh_u32_e32 v26, v29
	v_alignbit_b32 v25, v28, v24, 30
	v_min_u32_e32 v26, 32, v26
	v_alignbit_b32 v12, v24, v12, 30
	v_xor_b32_e32 v25, v25, v33
	v_sub_u32_e32 v27, 31, v26
	v_xor_b32_e32 v12, v12, v33
	v_alignbit_b32 v28, v29, v25, v27
	v_alignbit_b32 v12, v25, v12, v27
	;; [unrolled: 1-line block ×3, first 2 shown]
	v_ffbh_u32_e32 v25, v24
	v_min_u32_e32 v25, 32, v25
	v_lshrrev_b32_e32 v30, 29, v13
	v_not_b32_e32 v27, v25
	v_alignbit_b32 v12, v24, v12, v27
	v_lshlrev_b32_e32 v24, 31, v30
	v_or_b32_e32 v27, 0x33000000, v24
	v_add_lshl_u32 v25, v25, v26, 23
	v_lshrrev_b32_e32 v12, 9, v12
	v_sub_u32_e32 v25, v27, v25
	v_or_b32_e32 v24, 0.5, v24
	v_lshlrev_b32_e32 v26, 23, v26
	v_or_b32_e32 v12, v25, v12
	v_lshrrev_b32_e32 v25, 9, v28
	v_sub_u32_e32 v24, v24, v26
	v_or_b32_e32 v24, v25, v24
	v_mul_f32_e32 v25, 0x3fc90fda, v24
	v_fma_f32 v26, v24, s38, -v25
	v_fmac_f32_e32 v26, 0x33a22168, v24
	v_fmac_f32_e32 v26, 0x3fc90fda, v12
	v_lshrrev_b32_e32 v12, 30, v13
	v_add_f32_e32 v24, v25, v26
	v_add_u32_e32 v12, v32, v12
	s_andn2_saveexec_b64 s[0:1], s[22:23]
	s_branch .LBB254_344
.LBB254_343:                            ;   in Loop: Header=BB254_233 Depth=1
	s_andn2_saveexec_b64 s[0:1], s[22:23]
.LBB254_344:                            ;   in Loop: Header=BB254_233 Depth=1
	v_mul_f32_e64 v12, |v3|, s39
	v_rndne_f32_e32 v13, v12
	v_cvt_i32_f32_e32 v12, v13
	v_fma_f32 v24, v13, s40, |v3|
	v_fmac_f32_e32 v24, 0xb3a22168, v13
	v_fmac_f32_e32 v24, 0xa7c234c4, v13
; %bb.345:                              ;   in Loop: Header=BB254_233 Depth=1
	s_or_b64 exec, exec, s[0:1]
                                        ; implicit-def: $vgpr13
                                        ; implicit-def: $vgpr25
	s_and_saveexec_b64 s[0:1], s[20:21]
	s_xor_b64 s[20:21], exec, s[0:1]
	s_cbranch_execz .LBB254_347
; %bb.346:                              ;   in Loop: Header=BB254_233 Depth=1
	v_and_b32_e32 v13, 0x7fffff, v11
	v_or_b32_e32 v32, 0x800000, v13
	v_mad_u64_u32 v[25:26], s[0:1], v32, s30, 0
	v_mov_b32_e32 v13, v26
	v_mad_u64_u32 v[26:27], s[0:1], v32, s31, v[13:14]
	v_mov_b32_e32 v13, v27
	;; [unrolled: 2-line block ×3, first 2 shown]
	v_mad_u64_u32 v[28:29], s[0:1], v32, s34, v[13:14]
	v_lshrrev_b32_e32 v13, 23, v11
	v_add_u32_e32 v31, 0xffffff88, v13
	v_mov_b32_e32 v13, v29
	v_mad_u64_u32 v[29:30], s[0:1], v32, s35, v[13:14]
	v_cmp_lt_u32_e32 vcc, 63, v31
	v_cndmask_b32_e32 v13, 0, v20, vcc
	v_add_u32_e32 v33, v13, v31
	v_mov_b32_e32 v13, v30
	v_mad_u64_u32 v[30:31], s[0:1], v32, s36, v[13:14]
	v_cmp_lt_u32_e64 s[0:1], 31, v33
	v_cndmask_b32_e64 v13, 0, v21, s[0:1]
	v_add_u32_e32 v33, v13, v33
	v_mov_b32_e32 v13, v31
	v_mad_u64_u32 v[31:32], s[2:3], v32, s37, v[13:14]
	v_cmp_lt_u32_e64 s[2:3], 31, v33
	v_cndmask_b32_e64 v13, 0, v21, s[2:3]
	v_add_u32_e32 v13, v13, v33
	v_cndmask_b32_e32 v33, v30, v28, vcc
	v_cndmask_b32_e32 v31, v31, v29, vcc
	;; [unrolled: 1-line block ×4, first 2 shown]
	v_cndmask_b32_e64 v32, v31, v33, s[0:1]
	v_cndmask_b32_e64 v30, v30, v31, s[0:1]
	;; [unrolled: 1-line block ×3, first 2 shown]
	v_cndmask_b32_e32 v26, v28, v26, vcc
	v_cndmask_b32_e64 v30, v30, v32, s[2:3]
	v_cndmask_b32_e64 v32, v32, v31, s[2:3]
	v_sub_u32_e32 v33, 32, v13
	v_cndmask_b32_e64 v28, v29, v26, s[0:1]
	v_alignbit_b32 v34, v30, v32, v33
	v_cmp_eq_u32_e64 s[4:5], 0, v13
	v_cndmask_b32_e64 v29, v31, v28, s[2:3]
	v_cndmask_b32_e64 v13, v34, v30, s[4:5]
	v_alignbit_b32 v30, v32, v29, v33
	v_cndmask_b32_e32 v25, v27, v25, vcc
	v_cndmask_b32_e64 v30, v30, v32, s[4:5]
	v_bfe_u32 v34, v13, 29, 1
	v_cndmask_b32_e64 v25, v26, v25, s[0:1]
	v_alignbit_b32 v31, v13, v30, 30
	v_sub_u32_e32 v35, 0, v34
	v_cndmask_b32_e64 v25, v28, v25, s[2:3]
	v_xor_b32_e32 v31, v31, v35
	v_alignbit_b32 v26, v29, v25, v33
	v_cndmask_b32_e64 v26, v26, v29, s[4:5]
	v_ffbh_u32_e32 v28, v31
	v_alignbit_b32 v27, v30, v26, 30
	v_min_u32_e32 v28, 32, v28
	v_alignbit_b32 v25, v26, v25, 30
	v_xor_b32_e32 v27, v27, v35
	v_sub_u32_e32 v29, 31, v28
	v_xor_b32_e32 v25, v25, v35
	v_alignbit_b32 v30, v31, v27, v29
	v_alignbit_b32 v25, v27, v25, v29
	;; [unrolled: 1-line block ×3, first 2 shown]
	v_ffbh_u32_e32 v27, v26
	v_min_u32_e32 v27, 32, v27
	v_lshrrev_b32_e32 v32, 29, v13
	v_not_b32_e32 v29, v27
	v_alignbit_b32 v25, v26, v25, v29
	v_lshlrev_b32_e32 v26, 31, v32
	v_or_b32_e32 v29, 0x33000000, v26
	v_add_lshl_u32 v27, v27, v28, 23
	v_lshrrev_b32_e32 v25, 9, v25
	v_sub_u32_e32 v27, v29, v27
	v_or_b32_e32 v26, 0.5, v26
	v_lshlrev_b32_e32 v28, 23, v28
	v_or_b32_e32 v25, v27, v25
	v_lshrrev_b32_e32 v27, 9, v30
	v_sub_u32_e32 v26, v26, v28
	v_or_b32_e32 v26, v27, v26
	v_mul_f32_e32 v27, 0x3fc90fda, v26
	v_fma_f32 v28, v26, s38, -v27
	v_fmac_f32_e32 v28, 0x33a22168, v26
	v_fmac_f32_e32 v28, 0x3fc90fda, v25
	v_lshrrev_b32_e32 v13, 30, v13
	v_add_f32_e32 v25, v27, v28
	v_add_u32_e32 v13, v34, v13
	s_andn2_saveexec_b64 s[0:1], s[20:21]
	s_cbranch_execnz .LBB254_348
	s_branch .LBB254_349
.LBB254_347:                            ;   in Loop: Header=BB254_233 Depth=1
	s_andn2_saveexec_b64 s[0:1], s[20:21]
.LBB254_348:                            ;   in Loop: Header=BB254_233 Depth=1
	v_mul_f32_e64 v13, |v3|, s39
	v_rndne_f32_e32 v26, v13
	v_cvt_i32_f32_e32 v13, v26
	v_fma_f32 v25, v26, s40, |v3|
	v_fmac_f32_e32 v25, 0xb3a22168, v26
	v_fmac_f32_e32 v25, 0xa7c234c4, v26
.LBB254_349:                            ;   in Loop: Header=BB254_233 Depth=1
	s_or_b64 exec, exec, s[0:1]
	v_mul_f32_e32 v26, 0xbfb8aa3b, v2
	v_rndne_f32_e32 v27, v26
	v_sub_f32_e32 v28, v26, v27
	v_fma_f32 v26, v2, s41, -v26
	v_fmac_f32_e32 v26, 0xb2a5705f, v2
	v_add_f32_e32 v26, v28, v26
	v_cvt_i32_f32_e32 v27, v27
	v_exp_f32_e32 v26, v26
	v_mov_b32_e32 v28, 0x3c0881c4
	v_cmp_nlt_f32_e32 vcc, s42, v2
	v_ldexp_f32 v26, v26, v27
	v_mul_f32_e32 v27, v24, v24
	v_fmac_f32_e32 v28, 0xb94c1982, v27
	v_fma_f32 v28, v27, v28, v17
	v_mul_f32_e32 v28, v27, v28
	v_fmac_f32_e32 v24, v24, v28
	v_mov_b32_e32 v28, 0xbab64f3b
	v_fmac_f32_e32 v28, 0x37d75334, v27
	v_fma_f32 v28, v27, v28, v18
	v_fma_f32 v28, v27, v28, v19
	v_cndmask_b32_e32 v26, 0, v26, vcc
	v_cmp_ngt_f32_e32 vcc, s43, v2
	v_fma_f32 v27, v27, v28, 1.0
	v_and_b32_e32 v28, 1, v12
	v_cndmask_b32_e32 v26, v22, v26, vcc
	v_cmp_eq_u32_e32 vcc, 0, v28
	v_lshlrev_b32_e32 v12, 30, v12
	v_cndmask_b32_e64 v24, -v24, v27, vcc
	v_and_b32_e32 v12, 0x80000000, v12
	v_xor_b32_e32 v12, v12, v24
	v_mul_f32_e32 v24, v25, v25
	v_mov_b32_e32 v27, 0x3c0881c4
	v_fmac_f32_e32 v27, 0xb94c1982, v24
	v_fma_f32 v27, v24, v27, v17
	v_mul_f32_e32 v27, v24, v27
	v_fmac_f32_e32 v25, v25, v27
	v_mov_b32_e32 v27, 0xbab64f3b
	v_fmac_f32_e32 v27, 0x37d75334, v24
	v_fma_f32 v27, v24, v27, v18
	v_fma_f32 v27, v24, v27, v19
	v_fma_f32 v24, v24, v27, 1.0
	v_and_b32_e32 v27, 1, v13
	v_cmp_eq_u32_e64 s[0:1], 0, v27
	v_lshlrev_b32_e32 v13, 30, v13
	v_cndmask_b32_e64 v24, v24, v25, s[0:1]
	v_and_or_b32 v11, v13, s26, v11
	v_xor_b32_e32 v11, v11, v24
	v_cmp_class_f32_e64 vcc, v3, s44
	v_xor_b32_e32 v10, v11, v10
	v_cndmask_b32_e32 v12, v23, v12, vcc
	v_cndmask_b32_e32 v10, v23, v10, vcc
	v_mul_f32_e32 v12, v26, v12
	v_mul_f32_e32 v10, v26, v10
                                        ; implicit-def: $vgpr11
.LBB254_350:                            ;   in Loop: Header=BB254_233 Depth=1
	s_andn2_saveexec_b64 s[18:19], s[18:19]
	s_cbranch_execz .LBB254_360
; %bb.351:                              ;   in Loop: Header=BB254_233 Depth=1
	v_cmp_nlt_f32_e64 s[20:21], |v3|, s29
                                        ; implicit-def: $vgpr24
                                        ; implicit-def: $vgpr12
	s_and_saveexec_b64 s[0:1], s[20:21]
	s_xor_b64 s[22:23], exec, s[0:1]
	s_cbranch_execz .LBB254_353
; %bb.352:                              ;   in Loop: Header=BB254_233 Depth=1
	v_and_b32_e32 v12, 0x7fffff, v11
	v_or_b32_e32 v30, 0x800000, v12
	v_mad_u64_u32 v[12:13], s[0:1], v30, s30, 0
	v_mad_u64_u32 v[24:25], s[0:1], v30, s31, v[13:14]
	v_mov_b32_e32 v13, v25
	v_mad_u64_u32 v[25:26], s[0:1], v30, s33, v[13:14]
	v_mov_b32_e32 v13, v26
	v_mad_u64_u32 v[26:27], s[0:1], v30, s34, v[13:14]
	v_lshrrev_b32_e32 v13, 23, v11
	v_add_u32_e32 v29, 0xffffff88, v13
	v_mov_b32_e32 v13, v27
	v_mad_u64_u32 v[27:28], s[0:1], v30, s35, v[13:14]
	v_cmp_lt_u32_e32 vcc, 63, v29
	v_cndmask_b32_e32 v13, 0, v20, vcc
	v_add_u32_e32 v31, v13, v29
	v_mov_b32_e32 v13, v28
	v_mad_u64_u32 v[28:29], s[0:1], v30, s36, v[13:14]
	v_cmp_lt_u32_e64 s[0:1], 31, v31
	v_cndmask_b32_e64 v13, 0, v21, s[0:1]
	v_add_u32_e32 v31, v13, v31
	v_mov_b32_e32 v13, v29
	v_mad_u64_u32 v[29:30], s[2:3], v30, s37, v[13:14]
	v_cmp_lt_u32_e64 s[2:3], 31, v31
	v_cndmask_b32_e64 v13, 0, v21, s[2:3]
	v_add_u32_e32 v13, v13, v31
	v_cndmask_b32_e32 v31, v28, v26, vcc
	v_cndmask_b32_e32 v29, v29, v27, vcc
	;; [unrolled: 1-line block ×4, first 2 shown]
	v_cndmask_b32_e64 v30, v29, v31, s[0:1]
	v_cndmask_b32_e64 v28, v28, v29, s[0:1]
	;; [unrolled: 1-line block ×3, first 2 shown]
	v_cndmask_b32_e32 v24, v26, v24, vcc
	v_cndmask_b32_e64 v28, v28, v30, s[2:3]
	v_cndmask_b32_e64 v30, v30, v29, s[2:3]
	v_sub_u32_e32 v31, 32, v13
	v_cndmask_b32_e64 v26, v27, v24, s[0:1]
	v_alignbit_b32 v32, v28, v30, v31
	v_cmp_eq_u32_e64 s[4:5], 0, v13
	v_cndmask_b32_e64 v27, v29, v26, s[2:3]
	v_cndmask_b32_e64 v13, v32, v28, s[4:5]
	v_alignbit_b32 v28, v30, v27, v31
	v_cndmask_b32_e32 v12, v25, v12, vcc
	v_cndmask_b32_e64 v28, v28, v30, s[4:5]
	v_bfe_u32 v32, v13, 29, 1
	v_cndmask_b32_e64 v12, v24, v12, s[0:1]
	v_alignbit_b32 v29, v13, v28, 30
	v_sub_u32_e32 v33, 0, v32
	v_cndmask_b32_e64 v12, v26, v12, s[2:3]
	v_xor_b32_e32 v29, v29, v33
	v_alignbit_b32 v24, v27, v12, v31
	v_cndmask_b32_e64 v24, v24, v27, s[4:5]
	v_ffbh_u32_e32 v26, v29
	v_alignbit_b32 v25, v28, v24, 30
	v_min_u32_e32 v26, 32, v26
	v_alignbit_b32 v12, v24, v12, 30
	v_xor_b32_e32 v25, v25, v33
	v_sub_u32_e32 v27, 31, v26
	v_xor_b32_e32 v12, v12, v33
	v_alignbit_b32 v28, v29, v25, v27
	v_alignbit_b32 v12, v25, v12, v27
	;; [unrolled: 1-line block ×3, first 2 shown]
	v_ffbh_u32_e32 v25, v24
	v_min_u32_e32 v25, 32, v25
	v_lshrrev_b32_e32 v30, 29, v13
	v_not_b32_e32 v27, v25
	v_alignbit_b32 v12, v24, v12, v27
	v_lshlrev_b32_e32 v24, 31, v30
	v_or_b32_e32 v27, 0x33000000, v24
	v_add_lshl_u32 v25, v25, v26, 23
	v_lshrrev_b32_e32 v12, 9, v12
	v_sub_u32_e32 v25, v27, v25
	v_or_b32_e32 v24, 0.5, v24
	v_lshlrev_b32_e32 v26, 23, v26
	v_or_b32_e32 v12, v25, v12
	v_lshrrev_b32_e32 v25, 9, v28
	v_sub_u32_e32 v24, v24, v26
	v_or_b32_e32 v24, v25, v24
	v_mul_f32_e32 v25, 0x3fc90fda, v24
	v_fma_f32 v26, v24, s38, -v25
	v_fmac_f32_e32 v26, 0x33a22168, v24
	v_fmac_f32_e32 v26, 0x3fc90fda, v12
	v_lshrrev_b32_e32 v13, 30, v13
	v_add_f32_e32 v12, v25, v26
	v_add_u32_e32 v24, v32, v13
	s_andn2_saveexec_b64 s[0:1], s[22:23]
	s_branch .LBB254_354
.LBB254_353:                            ;   in Loop: Header=BB254_233 Depth=1
	s_andn2_saveexec_b64 s[0:1], s[22:23]
.LBB254_354:                            ;   in Loop: Header=BB254_233 Depth=1
	v_mul_f32_e64 v12, |v3|, s39
	v_rndne_f32_e32 v13, v12
	v_cvt_i32_f32_e32 v24, v13
	v_fma_f32 v12, v13, s40, |v3|
	v_fmac_f32_e32 v12, 0xb3a22168, v13
	v_fmac_f32_e32 v12, 0xa7c234c4, v13
; %bb.355:                              ;   in Loop: Header=BB254_233 Depth=1
	s_or_b64 exec, exec, s[0:1]
                                        ; implicit-def: $vgpr13
                                        ; implicit-def: $vgpr25
	s_and_saveexec_b64 s[0:1], s[20:21]
	s_xor_b64 s[20:21], exec, s[0:1]
	s_cbranch_execz .LBB254_357
; %bb.356:                              ;   in Loop: Header=BB254_233 Depth=1
	v_and_b32_e32 v13, 0x7fffff, v11
	v_or_b32_e32 v32, 0x800000, v13
	v_mad_u64_u32 v[25:26], s[0:1], v32, s30, 0
	v_mov_b32_e32 v13, v26
	v_mad_u64_u32 v[26:27], s[0:1], v32, s31, v[13:14]
	v_mov_b32_e32 v13, v27
	;; [unrolled: 2-line block ×3, first 2 shown]
	v_mad_u64_u32 v[28:29], s[0:1], v32, s34, v[13:14]
	v_lshrrev_b32_e32 v13, 23, v11
	v_add_u32_e32 v31, 0xffffff88, v13
	v_mov_b32_e32 v13, v29
	v_mad_u64_u32 v[29:30], s[0:1], v32, s35, v[13:14]
	v_cmp_lt_u32_e32 vcc, 63, v31
	v_cndmask_b32_e32 v13, 0, v20, vcc
	v_add_u32_e32 v33, v13, v31
	v_mov_b32_e32 v13, v30
	v_mad_u64_u32 v[30:31], s[0:1], v32, s36, v[13:14]
	v_cmp_lt_u32_e64 s[0:1], 31, v33
	v_cndmask_b32_e64 v13, 0, v21, s[0:1]
	v_add_u32_e32 v33, v13, v33
	v_mov_b32_e32 v13, v31
	v_mad_u64_u32 v[31:32], s[2:3], v32, s37, v[13:14]
	v_cmp_lt_u32_e64 s[2:3], 31, v33
	v_cndmask_b32_e64 v13, 0, v21, s[2:3]
	v_add_u32_e32 v13, v13, v33
	v_cndmask_b32_e32 v33, v30, v28, vcc
	v_cndmask_b32_e32 v31, v31, v29, vcc
	;; [unrolled: 1-line block ×4, first 2 shown]
	v_cndmask_b32_e64 v32, v31, v33, s[0:1]
	v_cndmask_b32_e64 v30, v30, v31, s[0:1]
	;; [unrolled: 1-line block ×3, first 2 shown]
	v_cndmask_b32_e32 v26, v28, v26, vcc
	v_cndmask_b32_e64 v30, v30, v32, s[2:3]
	v_cndmask_b32_e64 v32, v32, v31, s[2:3]
	v_sub_u32_e32 v33, 32, v13
	v_cndmask_b32_e64 v28, v29, v26, s[0:1]
	v_alignbit_b32 v34, v30, v32, v33
	v_cmp_eq_u32_e64 s[4:5], 0, v13
	v_cndmask_b32_e64 v29, v31, v28, s[2:3]
	v_cndmask_b32_e64 v13, v34, v30, s[4:5]
	v_alignbit_b32 v30, v32, v29, v33
	v_cndmask_b32_e32 v25, v27, v25, vcc
	v_cndmask_b32_e64 v30, v30, v32, s[4:5]
	v_bfe_u32 v34, v13, 29, 1
	v_cndmask_b32_e64 v25, v26, v25, s[0:1]
	v_alignbit_b32 v31, v13, v30, 30
	v_sub_u32_e32 v35, 0, v34
	v_cndmask_b32_e64 v25, v28, v25, s[2:3]
	v_xor_b32_e32 v31, v31, v35
	v_alignbit_b32 v26, v29, v25, v33
	v_cndmask_b32_e64 v26, v26, v29, s[4:5]
	v_ffbh_u32_e32 v28, v31
	v_alignbit_b32 v27, v30, v26, 30
	v_min_u32_e32 v28, 32, v28
	v_alignbit_b32 v25, v26, v25, 30
	v_xor_b32_e32 v27, v27, v35
	v_sub_u32_e32 v29, 31, v28
	v_xor_b32_e32 v25, v25, v35
	v_alignbit_b32 v30, v31, v27, v29
	v_alignbit_b32 v25, v27, v25, v29
	;; [unrolled: 1-line block ×3, first 2 shown]
	v_ffbh_u32_e32 v27, v26
	v_min_u32_e32 v27, 32, v27
	v_lshrrev_b32_e32 v32, 29, v13
	v_not_b32_e32 v29, v27
	v_alignbit_b32 v25, v26, v25, v29
	v_lshlrev_b32_e32 v26, 31, v32
	v_or_b32_e32 v29, 0x33000000, v26
	v_add_lshl_u32 v27, v27, v28, 23
	v_lshrrev_b32_e32 v25, 9, v25
	v_sub_u32_e32 v27, v29, v27
	v_or_b32_e32 v26, 0.5, v26
	v_lshlrev_b32_e32 v28, 23, v28
	v_or_b32_e32 v25, v27, v25
	v_lshrrev_b32_e32 v27, 9, v30
	v_sub_u32_e32 v26, v26, v28
	v_or_b32_e32 v26, v27, v26
	v_mul_f32_e32 v27, 0x3fc90fda, v26
	v_fma_f32 v28, v26, s38, -v27
	v_fmac_f32_e32 v28, 0x33a22168, v26
	v_fmac_f32_e32 v28, 0x3fc90fda, v25
	v_lshrrev_b32_e32 v13, 30, v13
	v_add_f32_e32 v25, v27, v28
	v_add_u32_e32 v13, v34, v13
	s_andn2_saveexec_b64 s[0:1], s[20:21]
	s_cbranch_execnz .LBB254_358
	s_branch .LBB254_359
.LBB254_357:                            ;   in Loop: Header=BB254_233 Depth=1
	s_andn2_saveexec_b64 s[0:1], s[20:21]
.LBB254_358:                            ;   in Loop: Header=BB254_233 Depth=1
	v_mul_f32_e64 v13, |v3|, s39
	v_rndne_f32_e32 v26, v13
	v_cvt_i32_f32_e32 v13, v26
	v_fma_f32 v25, v26, s40, |v3|
	v_fmac_f32_e32 v25, 0xb3a22168, v26
	v_fmac_f32_e32 v25, 0xa7c234c4, v26
.LBB254_359:                            ;   in Loop: Header=BB254_233 Depth=1
	s_or_b64 exec, exec, s[0:1]
	v_mul_f32_e32 v27, v12, v12
	v_mov_b32_e32 v28, 0xbab64f3b
	v_fmac_f32_e32 v28, 0x37d75334, v27
	v_mov_b32_e32 v29, 0x3c0881c4
	v_fma_f32 v28, v27, v28, v18
	v_fmac_f32_e32 v29, 0xb94c1982, v27
	v_lshlrev_b32_e32 v26, 30, v24
	v_and_b32_e32 v24, 1, v24
	v_fma_f32 v28, v27, v28, v19
	v_fma_f32 v29, v27, v29, v17
	v_fma_f32 v28, v27, v28, 1.0
	v_mul_f32_e32 v27, v27, v29
	v_cmp_eq_u32_e32 vcc, 0, v24
	v_sub_f32_e32 v24, 0xc322e3bc, v2
	v_fmac_f32_e32 v12, v12, v27
	v_mul_f32_e32 v27, 0x3fb8aa3b, v24
	v_cndmask_b32_e64 v12, -v12, v28, vcc
	v_fma_f32 v28, v24, s45, -v27
	v_rndne_f32_e32 v29, v27
	v_fmac_f32_e32 v28, 0x32a5705f, v24
	v_sub_f32_e32 v27, v27, v29
	v_add_f32_e32 v27, v27, v28
	v_exp_f32_e32 v27, v27
	v_cvt_i32_f32_e32 v28, v29
	v_and_b32_e32 v26, 0x80000000, v26
	v_xor_b32_e32 v12, v26, v12
	v_cmp_ngt_f32_e64 s[0:1], s46, v24
	v_ldexp_f32 v26, v27, v28
	v_cndmask_b32_e64 v26, 0, v26, s[0:1]
	v_cmp_nlt_f32_e64 s[0:1], s47, v24
	v_cndmask_b32_e64 v24, v22, v26, s[0:1]
	v_and_b32_e32 v26, 0x7fffff, v24
	v_lshrrev_b32_e32 v24, 23, v24
	v_subrev_u32_e32 v24, 19, v24
	v_lshrrev_b16_e32 v27, 15, v24
	v_add_u16_e32 v27, v24, v27
	v_ashrrev_i16_e32 v27, 1, v27
	v_bfe_i32 v27, v27, 0, 16
	v_lshl_add_u32 v28, v27, 23, 1.0
	v_sub_u32_e32 v24, v24, v27
	v_mul_f32_e32 v27, v25, v25
	v_mov_b32_e32 v29, 0x3c0881c4
	v_fmac_f32_e32 v29, 0xb94c1982, v27
	v_fma_f32 v29, v27, v29, v17
	v_mul_f32_e32 v29, v27, v29
	v_fmac_f32_e32 v25, v25, v29
	v_mov_b32_e32 v29, 0xbab64f3b
	v_fmac_f32_e32 v29, 0x37d75334, v27
	v_fma_f32 v29, v27, v29, v18
	v_fma_f32 v29, v27, v29, v19
	v_fma_f32 v27, v27, v29, 1.0
	v_and_b32_e32 v29, 1, v13
	v_cmp_eq_u32_e64 s[0:1], 0, v29
	v_lshlrev_b32_e32 v13, 30, v13
	v_cndmask_b32_e64 v25, v27, v25, s[0:1]
	v_and_or_b32 v11, v13, s26, v11
	v_xor_b32_e32 v11, v11, v25
	v_cmp_class_f32_e64 vcc, v3, s44
	v_xor_b32_e32 v10, v11, v10
	v_cndmask_b32_e32 v12, v23, v12, vcc
	v_or_b32_e32 v26, 0x7f000000, v26
	v_cndmask_b32_e32 v10, v23, v10, vcc
	v_mul_f32_e32 v12, v12, v26
	v_mul_f32_e32 v10, v10, v26
	;; [unrolled: 1-line block ×3, first 2 shown]
	v_lshl_add_u32 v24, v24, 23, 1.0
	v_mul_f32_e32 v10, v10, v28
	v_mul_f32_e32 v12, v12, v24
	;; [unrolled: 1-line block ×3, first 2 shown]
.LBB254_360:                            ;   in Loop: Header=BB254_233 Depth=1
	s_or_b64 exec, exec, s[18:19]
                                        ; implicit-def: $vgpr13
                                        ; implicit-def: $vgpr24
.LBB254_361:                            ;   in Loop: Header=BB254_233 Depth=1
	s_andn2_saveexec_b64 s[0:1], s[14:15]
	s_cbranch_execz .LBB254_367
; %bb.362:                              ;   in Loop: Header=BB254_233 Depth=1
	v_cmp_ne_u32_e32 vcc, s27, v24
	v_sub_f32_e32 v10, v3, v3
	s_and_saveexec_b64 s[2:3], vcc
	s_xor_b64 s[2:3], exec, s[2:3]
; %bb.363:                              ;   in Loop: Header=BB254_233 Depth=1
                                        ; implicit-def: $vgpr13
; %bb.364:                              ;   in Loop: Header=BB254_233 Depth=1
	s_or_saveexec_b64 s[2:3], s[2:3]
	v_mov_b32_e32 v12, v10
	s_xor_b64 exec, exec, s[2:3]
; %bb.365:                              ;   in Loop: Header=BB254_233 Depth=1
	v_cmp_lt_i32_e32 vcc, -1, v13
	v_cndmask_b32_e64 v12, 0, -v2, vcc
	v_cndmask_b32_e32 v10, 0, v10, vcc
; %bb.366:                              ;   in Loop: Header=BB254_233 Depth=1
	s_or_b64 exec, exec, s[2:3]
.LBB254_367:                            ;   in Loop: Header=BB254_233 Depth=1
	s_or_b64 exec, exec, s[0:1]
                                        ; implicit-def: $vgpr11
.LBB254_368:                            ;   in Loop: Header=BB254_233 Depth=1
	s_andn2_saveexec_b64 s[12:13], s[12:13]
	s_cbranch_execz .LBB254_378
; %bb.369:                              ;   in Loop: Header=BB254_233 Depth=1
	v_cmp_nlt_f32_e64 s[14:15], |v3|, s29
                                        ; implicit-def: $vgpr12
                                        ; implicit-def: $vgpr24
	s_and_saveexec_b64 s[0:1], s[14:15]
	s_xor_b64 s[18:19], exec, s[0:1]
	s_cbranch_execz .LBB254_371
; %bb.370:                              ;   in Loop: Header=BB254_233 Depth=1
	v_and_b32_e32 v12, 0x7fffff, v11
	v_or_b32_e32 v30, 0x800000, v12
	v_mad_u64_u32 v[12:13], s[0:1], v30, s30, 0
	v_mad_u64_u32 v[24:25], s[0:1], v30, s31, v[13:14]
	v_mov_b32_e32 v13, v25
	v_mad_u64_u32 v[25:26], s[0:1], v30, s33, v[13:14]
	v_mov_b32_e32 v13, v26
	v_mad_u64_u32 v[26:27], s[0:1], v30, s34, v[13:14]
	v_lshrrev_b32_e32 v13, 23, v11
	v_add_u32_e32 v29, 0xffffff88, v13
	v_mov_b32_e32 v13, v27
	v_mad_u64_u32 v[27:28], s[0:1], v30, s35, v[13:14]
	v_cmp_lt_u32_e32 vcc, 63, v29
	v_cndmask_b32_e32 v13, 0, v20, vcc
	v_add_u32_e32 v31, v13, v29
	v_mov_b32_e32 v13, v28
	v_mad_u64_u32 v[28:29], s[0:1], v30, s36, v[13:14]
	v_cmp_lt_u32_e64 s[0:1], 31, v31
	v_cndmask_b32_e64 v13, 0, v21, s[0:1]
	v_add_u32_e32 v31, v13, v31
	v_mov_b32_e32 v13, v29
	v_mad_u64_u32 v[29:30], s[2:3], v30, s37, v[13:14]
	v_cmp_lt_u32_e64 s[2:3], 31, v31
	v_cndmask_b32_e64 v13, 0, v21, s[2:3]
	v_add_u32_e32 v13, v13, v31
	v_cndmask_b32_e32 v31, v28, v26, vcc
	v_cndmask_b32_e32 v29, v29, v27, vcc
	;; [unrolled: 1-line block ×4, first 2 shown]
	v_cndmask_b32_e64 v30, v29, v31, s[0:1]
	v_cndmask_b32_e64 v28, v28, v29, s[0:1]
	v_cndmask_b32_e64 v29, v31, v27, s[0:1]
	v_cndmask_b32_e32 v24, v26, v24, vcc
	v_cndmask_b32_e64 v28, v28, v30, s[2:3]
	v_cndmask_b32_e64 v30, v30, v29, s[2:3]
	v_sub_u32_e32 v31, 32, v13
	v_cndmask_b32_e64 v26, v27, v24, s[0:1]
	v_alignbit_b32 v32, v28, v30, v31
	v_cmp_eq_u32_e64 s[4:5], 0, v13
	v_cndmask_b32_e64 v27, v29, v26, s[2:3]
	v_cndmask_b32_e64 v13, v32, v28, s[4:5]
	v_alignbit_b32 v28, v30, v27, v31
	v_cndmask_b32_e32 v12, v25, v12, vcc
	v_cndmask_b32_e64 v28, v28, v30, s[4:5]
	v_bfe_u32 v32, v13, 29, 1
	v_cndmask_b32_e64 v12, v24, v12, s[0:1]
	v_alignbit_b32 v29, v13, v28, 30
	v_sub_u32_e32 v33, 0, v32
	v_cndmask_b32_e64 v12, v26, v12, s[2:3]
	v_xor_b32_e32 v29, v29, v33
	v_alignbit_b32 v24, v27, v12, v31
	v_cndmask_b32_e64 v24, v24, v27, s[4:5]
	v_ffbh_u32_e32 v26, v29
	v_alignbit_b32 v25, v28, v24, 30
	v_min_u32_e32 v26, 32, v26
	v_alignbit_b32 v12, v24, v12, 30
	v_xor_b32_e32 v25, v25, v33
	v_sub_u32_e32 v27, 31, v26
	v_xor_b32_e32 v12, v12, v33
	v_alignbit_b32 v28, v29, v25, v27
	v_alignbit_b32 v12, v25, v12, v27
	;; [unrolled: 1-line block ×3, first 2 shown]
	v_ffbh_u32_e32 v25, v24
	v_min_u32_e32 v25, 32, v25
	v_lshrrev_b32_e32 v30, 29, v13
	v_not_b32_e32 v27, v25
	v_alignbit_b32 v12, v24, v12, v27
	v_lshlrev_b32_e32 v24, 31, v30
	v_or_b32_e32 v27, 0x33000000, v24
	v_add_lshl_u32 v25, v25, v26, 23
	v_lshrrev_b32_e32 v12, 9, v12
	v_sub_u32_e32 v25, v27, v25
	v_or_b32_e32 v24, 0.5, v24
	v_lshlrev_b32_e32 v26, 23, v26
	v_or_b32_e32 v12, v25, v12
	v_lshrrev_b32_e32 v25, 9, v28
	v_sub_u32_e32 v24, v24, v26
	v_or_b32_e32 v24, v25, v24
	v_mul_f32_e32 v25, 0x3fc90fda, v24
	v_fma_f32 v26, v24, s38, -v25
	v_fmac_f32_e32 v26, 0x33a22168, v24
	v_fmac_f32_e32 v26, 0x3fc90fda, v12
	v_lshrrev_b32_e32 v12, 30, v13
	v_add_f32_e32 v24, v25, v26
	v_add_u32_e32 v12, v32, v12
	s_andn2_saveexec_b64 s[0:1], s[18:19]
	s_branch .LBB254_372
.LBB254_371:                            ;   in Loop: Header=BB254_233 Depth=1
	s_andn2_saveexec_b64 s[0:1], s[18:19]
.LBB254_372:                            ;   in Loop: Header=BB254_233 Depth=1
	v_mul_f32_e64 v12, |v3|, s39
	v_rndne_f32_e32 v13, v12
	v_cvt_i32_f32_e32 v12, v13
	v_fma_f32 v24, v13, s40, |v3|
	v_fmac_f32_e32 v24, 0xb3a22168, v13
	v_fmac_f32_e32 v24, 0xa7c234c4, v13
; %bb.373:                              ;   in Loop: Header=BB254_233 Depth=1
	s_or_b64 exec, exec, s[0:1]
                                        ; implicit-def: $vgpr13
                                        ; implicit-def: $vgpr25
	s_and_saveexec_b64 s[0:1], s[14:15]
	s_xor_b64 s[14:15], exec, s[0:1]
	s_cbranch_execz .LBB254_375
; %bb.374:                              ;   in Loop: Header=BB254_233 Depth=1
	v_and_b32_e32 v13, 0x7fffff, v11
	v_or_b32_e32 v32, 0x800000, v13
	v_mad_u64_u32 v[25:26], s[0:1], v32, s30, 0
	v_mov_b32_e32 v13, v26
	v_mad_u64_u32 v[26:27], s[0:1], v32, s31, v[13:14]
	v_mov_b32_e32 v13, v27
	;; [unrolled: 2-line block ×3, first 2 shown]
	v_mad_u64_u32 v[28:29], s[0:1], v32, s34, v[13:14]
	v_lshrrev_b32_e32 v13, 23, v11
	v_add_u32_e32 v31, 0xffffff88, v13
	v_mov_b32_e32 v13, v29
	v_mad_u64_u32 v[29:30], s[0:1], v32, s35, v[13:14]
	v_cmp_lt_u32_e32 vcc, 63, v31
	v_cndmask_b32_e32 v13, 0, v20, vcc
	v_add_u32_e32 v33, v13, v31
	v_mov_b32_e32 v13, v30
	v_mad_u64_u32 v[30:31], s[0:1], v32, s36, v[13:14]
	v_cmp_lt_u32_e64 s[0:1], 31, v33
	v_cndmask_b32_e64 v13, 0, v21, s[0:1]
	v_add_u32_e32 v33, v13, v33
	v_mov_b32_e32 v13, v31
	v_mad_u64_u32 v[31:32], s[2:3], v32, s37, v[13:14]
	v_cmp_lt_u32_e64 s[2:3], 31, v33
	v_cndmask_b32_e64 v13, 0, v21, s[2:3]
	v_add_u32_e32 v13, v13, v33
	v_cndmask_b32_e32 v33, v30, v28, vcc
	v_cndmask_b32_e32 v31, v31, v29, vcc
	;; [unrolled: 1-line block ×4, first 2 shown]
	v_cndmask_b32_e64 v32, v31, v33, s[0:1]
	v_cndmask_b32_e64 v30, v30, v31, s[0:1]
	v_cndmask_b32_e64 v31, v33, v29, s[0:1]
	v_cndmask_b32_e32 v26, v28, v26, vcc
	v_cndmask_b32_e64 v30, v30, v32, s[2:3]
	v_cndmask_b32_e64 v32, v32, v31, s[2:3]
	v_sub_u32_e32 v33, 32, v13
	v_cndmask_b32_e64 v28, v29, v26, s[0:1]
	v_alignbit_b32 v34, v30, v32, v33
	v_cmp_eq_u32_e64 s[4:5], 0, v13
	v_cndmask_b32_e64 v29, v31, v28, s[2:3]
	v_cndmask_b32_e64 v13, v34, v30, s[4:5]
	v_alignbit_b32 v30, v32, v29, v33
	v_cndmask_b32_e32 v25, v27, v25, vcc
	v_cndmask_b32_e64 v30, v30, v32, s[4:5]
	v_bfe_u32 v34, v13, 29, 1
	v_cndmask_b32_e64 v25, v26, v25, s[0:1]
	v_alignbit_b32 v31, v13, v30, 30
	v_sub_u32_e32 v35, 0, v34
	v_cndmask_b32_e64 v25, v28, v25, s[2:3]
	v_xor_b32_e32 v31, v31, v35
	v_alignbit_b32 v26, v29, v25, v33
	v_cndmask_b32_e64 v26, v26, v29, s[4:5]
	v_ffbh_u32_e32 v28, v31
	v_alignbit_b32 v27, v30, v26, 30
	v_min_u32_e32 v28, 32, v28
	v_alignbit_b32 v25, v26, v25, 30
	v_xor_b32_e32 v27, v27, v35
	v_sub_u32_e32 v29, 31, v28
	v_xor_b32_e32 v25, v25, v35
	v_alignbit_b32 v30, v31, v27, v29
	v_alignbit_b32 v25, v27, v25, v29
	;; [unrolled: 1-line block ×3, first 2 shown]
	v_ffbh_u32_e32 v27, v26
	v_min_u32_e32 v27, 32, v27
	v_lshrrev_b32_e32 v32, 29, v13
	v_not_b32_e32 v29, v27
	v_alignbit_b32 v25, v26, v25, v29
	v_lshlrev_b32_e32 v26, 31, v32
	v_or_b32_e32 v29, 0x33000000, v26
	v_add_lshl_u32 v27, v27, v28, 23
	v_lshrrev_b32_e32 v25, 9, v25
	v_sub_u32_e32 v27, v29, v27
	v_or_b32_e32 v26, 0.5, v26
	v_lshlrev_b32_e32 v28, 23, v28
	v_or_b32_e32 v25, v27, v25
	v_lshrrev_b32_e32 v27, 9, v30
	v_sub_u32_e32 v26, v26, v28
	v_or_b32_e32 v26, v27, v26
	v_mul_f32_e32 v27, 0x3fc90fda, v26
	v_fma_f32 v28, v26, s38, -v27
	v_fmac_f32_e32 v28, 0x33a22168, v26
	v_fmac_f32_e32 v28, 0x3fc90fda, v25
	v_lshrrev_b32_e32 v13, 30, v13
	v_add_f32_e32 v25, v27, v28
	v_add_u32_e32 v13, v34, v13
	s_andn2_saveexec_b64 s[0:1], s[14:15]
	s_cbranch_execnz .LBB254_376
	s_branch .LBB254_377
.LBB254_375:                            ;   in Loop: Header=BB254_233 Depth=1
	s_andn2_saveexec_b64 s[0:1], s[14:15]
.LBB254_376:                            ;   in Loop: Header=BB254_233 Depth=1
	v_mul_f32_e64 v13, |v3|, s39
	v_rndne_f32_e32 v26, v13
	v_cvt_i32_f32_e32 v13, v26
	v_fma_f32 v25, v26, s40, |v3|
	v_fmac_f32_e32 v25, 0xb3a22168, v26
	v_fmac_f32_e32 v25, 0xa7c234c4, v26
.LBB254_377:                            ;   in Loop: Header=BB254_233 Depth=1
	s_or_b64 exec, exec, s[0:1]
	v_mul_f32_e32 v26, v24, v24
	v_mov_b32_e32 v27, 0x3c0881c4
	v_fmac_f32_e32 v27, 0xb94c1982, v26
	v_fma_f32 v27, v26, v27, v17
	v_mul_f32_e32 v27, v26, v27
	v_fmac_f32_e32 v24, v24, v27
	v_mov_b32_e32 v27, 0xbab64f3b
	v_fmac_f32_e32 v27, 0x37d75334, v26
	v_fma_f32 v27, v26, v27, v18
	v_fma_f32 v27, v26, v27, v19
	v_fma_f32 v26, v26, v27, 1.0
	v_and_b32_e32 v27, 1, v12
	v_cmp_eq_u32_e32 vcc, 0, v27
	v_lshlrev_b32_e32 v12, 30, v12
	v_cndmask_b32_e64 v24, -v24, v26, vcc
	v_and_b32_e32 v12, 0x80000000, v12
	v_xor_b32_e32 v12, v12, v24
	v_cmp_class_f32_e64 vcc, v3, s44
	v_mul_f32_e32 v3, v25, v25
	v_mov_b32_e32 v24, 0x3c0881c4
	v_fmac_f32_e32 v24, 0xb94c1982, v3
	v_fma_f32 v24, v3, v24, v17
	v_mul_f32_e32 v24, v3, v24
	v_fmac_f32_e32 v25, v25, v24
	v_mov_b32_e32 v24, 0xbab64f3b
	v_fmac_f32_e32 v24, 0x37d75334, v3
	v_fma_f32 v24, v3, v24, v18
	v_fma_f32 v24, v3, v24, v19
	v_fma_f32 v3, v3, v24, 1.0
	v_and_b32_e32 v24, 1, v13
	v_cmp_eq_u32_e64 s[0:1], 0, v24
	v_lshlrev_b32_e32 v13, 30, v13
	v_cndmask_b32_e64 v3, v3, v25, s[0:1]
	v_and_or_b32 v11, v13, s26, v11
	v_xor_b32_e32 v3, v11, v3
	v_xor_b32_e32 v3, v3, v10
	v_cndmask_b32_e32 v12, v23, v12, vcc
	v_cndmask_b32_e32 v10, v23, v3, vcc
.LBB254_378:                            ;   in Loop: Header=BB254_233 Depth=1
	s_or_b64 exec, exec, s[12:13]
.LBB254_379:                            ;   in Loop: Header=BB254_233 Depth=1
	s_andn2_saveexec_b64 s[0:1], s[10:11]
	s_cbranch_execz .LBB254_381
; %bb.380:                              ;   in Loop: Header=BB254_233 Depth=1
	v_mul_f32_e32 v3, 0xbfb8aa3b, v2
	v_rndne_f32_e32 v11, v3
	v_sub_f32_e32 v12, v3, v11
	v_fma_f32 v3, v2, s41, -v3
	v_fmac_f32_e32 v3, 0xb2a5705f, v2
	v_add_f32_e32 v3, v12, v3
	v_cvt_i32_f32_e32 v11, v11
	v_exp_f32_e32 v3, v3
	v_cmp_nlt_f32_e32 vcc, s42, v2
	v_ldexp_f32 v3, v3, v11
	v_cndmask_b32_e32 v3, 0, v3, vcc
	v_cmp_ngt_f32_e32 vcc, s43, v2
	v_cndmask_b32_e32 v12, v22, v3, vcc
.LBB254_381:                            ;   in Loop: Header=BB254_233 Depth=1
	s_or_b64 exec, exec, s[0:1]
	v_add_f32_e32 v3, s16, v12
	v_add_f32_e32 v2, s17, v10
	v_cmp_gt_f32_e32 vcc, 0, v3
	v_cndmask_b32_e64 v12, v3, -v3, vcc
	v_cmp_gt_f32_e32 vcc, 0, v2
	v_cndmask_b32_e64 v13, v2, -v2, vcc
	v_cmp_ge_f32_e32 vcc, v12, v13
                                        ; implicit-def: $vgpr11
	s_and_saveexec_b64 s[0:1], vcc
	s_xor_b64 s[2:3], exec, s[0:1]
	s_cbranch_execz .LBB254_387
; %bb.382:                              ;   in Loop: Header=BB254_233 Depth=1
	v_cmp_neq_f32_e32 vcc, 0, v3
	v_cmp_neq_f32_e64 s[0:1], 0, v2
	s_or_b64 s[0:1], vcc, s[0:1]
                                        ; implicit-def: $vgpr11
	s_and_saveexec_b64 s[4:5], s[0:1]
	s_xor_b64 s[0:1], exec, s[4:5]
	s_cbranch_execz .LBB254_384
; %bb.383:                              ;   in Loop: Header=BB254_233 Depth=1
	v_div_scale_f32 v10, s[4:5], v3, v3, v2
	v_div_scale_f32 v11, vcc, v2, v3, v2
	v_rcp_f32_e32 v12, v10
	v_fma_f32 v13, -v10, v12, 1.0
	v_fmac_f32_e32 v12, v13, v12
	v_mul_f32_e32 v13, v11, v12
	v_fma_f32 v24, -v10, v13, v11
	v_fmac_f32_e32 v13, v24, v12
	v_fma_f32 v10, -v10, v13, v11
	v_div_fmas_f32 v10, v10, v12, v13
	v_div_fixup_f32 v10, v10, v3, v2
	v_fmac_f32_e32 v3, v2, v10
	v_div_scale_f32 v2, s[4:5], v3, v3, 1.0
	v_div_scale_f32 v11, vcc, 1.0, v3, 1.0
	v_rcp_f32_e32 v12, v2
	v_fma_f32 v13, -v2, v12, 1.0
	v_fmac_f32_e32 v12, v13, v12
	v_mul_f32_e32 v13, v11, v12
	v_fma_f32 v24, -v2, v13, v11
	v_fmac_f32_e32 v13, v24, v12
	v_fma_f32 v2, -v2, v13, v11
	v_div_fmas_f32 v2, v2, v12, v13
	v_mov_b32_e32 v11, s16
	v_mov_b32_e32 v12, s17
	v_fma_f32 v11, s17, v10, v11
	v_fma_f32 v12, -v10, s16, v12
                                        ; implicit-def: $vgpr13
	v_div_fixup_f32 v2, v2, v3, 1.0
	v_mul_f32_e32 v10, v11, v2
	v_mul_f32_e32 v11, v12, v2
                                        ; implicit-def: $vgpr12
.LBB254_384:                            ;   in Loop: Header=BB254_233 Depth=1
	s_andn2_saveexec_b64 s[4:5], s[0:1]
	s_cbranch_execz .LBB254_386
; %bb.385:                              ;   in Loop: Header=BB254_233 Depth=1
	v_div_scale_f32 v2, s[0:1], v12, v12, s16
	v_div_scale_f32 v3, s[0:1], v13, v13, s17
	v_div_scale_f32 v10, vcc, s16, v12, s16
	v_div_scale_f32 v11, s[0:1], s17, v13, s17
	v_rcp_f32_e32 v24, v2
	v_rcp_f32_e32 v25, v3
	v_fma_f32 v26, -v2, v24, 1.0
	v_fmac_f32_e32 v24, v26, v24
	v_fma_f32 v27, -v3, v25, 1.0
	v_fmac_f32_e32 v25, v27, v25
	v_mul_f32_e32 v26, v10, v24
	v_mul_f32_e32 v27, v11, v25
	v_fma_f32 v28, -v2, v26, v10
	v_fma_f32 v29, -v3, v27, v11
	v_fmac_f32_e32 v26, v28, v24
	v_fmac_f32_e32 v27, v29, v25
	v_fma_f32 v2, -v2, v26, v10
	v_fma_f32 v3, -v3, v27, v11
	v_div_fmas_f32 v2, v2, v24, v26
	s_mov_b64 vcc, s[0:1]
	v_div_fmas_f32 v3, v3, v25, v27
	v_div_fixup_f32 v10, v2, v12, s16
	v_div_fixup_f32 v11, v3, v13, s17
.LBB254_386:                            ;   in Loop: Header=BB254_233 Depth=1
	s_or_b64 exec, exec, s[4:5]
                                        ; implicit-def: $vgpr2
                                        ; implicit-def: $vgpr3
.LBB254_387:                            ;   in Loop: Header=BB254_233 Depth=1
	s_andn2_saveexec_b64 s[0:1], s[2:3]
	s_cbranch_execz .LBB254_389
; %bb.388:                              ;   in Loop: Header=BB254_233 Depth=1
	v_div_scale_f32 v10, s[2:3], v2, v2, v3
	v_div_scale_f32 v11, vcc, v3, v2, v3
	v_rcp_f32_e32 v12, v10
	v_fma_f32 v13, -v10, v12, 1.0
	v_fmac_f32_e32 v12, v13, v12
	v_mul_f32_e32 v13, v11, v12
	v_fma_f32 v24, -v10, v13, v11
	v_fmac_f32_e32 v13, v24, v12
	v_fma_f32 v10, -v10, v13, v11
	v_div_fmas_f32 v10, v10, v12, v13
	v_div_fixup_f32 v10, v10, v2, v3
	v_fmac_f32_e32 v2, v3, v10
	v_div_scale_f32 v3, s[2:3], v2, v2, 1.0
	v_div_scale_f32 v11, vcc, 1.0, v2, 1.0
	v_rcp_f32_e32 v12, v3
	v_fma_f32 v13, -v3, v12, 1.0
	v_fmac_f32_e32 v12, v13, v12
	v_mul_f32_e32 v13, v11, v12
	v_fma_f32 v24, -v3, v13, v11
	v_fmac_f32_e32 v13, v24, v12
	v_fma_f32 v3, -v3, v13, v11
	v_div_fmas_f32 v3, v3, v12, v13
	v_mov_b32_e32 v11, s17
	v_mov_b32_e32 v12, s16
	v_fma_f32 v11, s16, v10, v11
	v_fma_f32 v12, v10, s17, -v12
	v_div_fixup_f32 v2, v3, v2, 1.0
	v_mul_f32_e32 v10, v11, v2
	v_mul_f32_e32 v11, v12, v2
.LBB254_389:                            ;   in Loop: Header=BB254_233 Depth=1
	s_or_b64 exec, exec, s[0:1]
	v_and_b32_e32 v2, 0x7fffffff, v5
	v_xor_b32_e32 v12, 0x80000000, v5
	v_cmp_ne_u32_e32 vcc, 0, v2
                                        ; implicit-def: $vgpr13
	s_and_saveexec_b64 s[0:1], vcc
	s_xor_b64 s[10:11], exec, s[0:1]
	s_cbranch_execz .LBB254_431
; %bb.390:                              ;   in Loop: Header=BB254_233 Depth=1
	v_and_b32_e32 v3, 0x7fffffff, v4
	v_cmp_ne_u32_e32 vcc, 0, v3
                                        ; implicit-def: $vgpr13
	s_and_saveexec_b64 s[0:1], vcc
	s_xor_b64 s[12:13], exec, s[0:1]
	s_cbranch_execz .LBB254_420
; %bb.391:                              ;   in Loop: Header=BB254_233 Depth=1
	v_xor_b32_e32 v24, 0x80000000, v4
	v_cmp_gt_u32_e32 vcc, s27, v2
                                        ; implicit-def: $vgpr13
	s_and_saveexec_b64 s[0:1], vcc
	s_xor_b64 s[14:15], exec, s[0:1]
	s_cbranch_execz .LBB254_413
; %bb.392:                              ;   in Loop: Header=BB254_233 Depth=1
	v_add_u32_e32 v3, 0xbd4e8de8, v24
	v_cmp_lt_u32_e32 vcc, s28, v3
                                        ; implicit-def: $vgpr13
	s_and_saveexec_b64 s[0:1], vcc
	s_xor_b64 s[18:19], exec, s[0:1]
	s_cbranch_execz .LBB254_402
; %bb.393:                              ;   in Loop: Header=BB254_233 Depth=1
	v_cmp_nlt_f32_e64 s[20:21], |v5|, s29
                                        ; implicit-def: $vgpr3
                                        ; implicit-def: $vgpr24
	s_and_saveexec_b64 s[0:1], s[20:21]
	s_xor_b64 s[22:23], exec, s[0:1]
	s_cbranch_execz .LBB254_395
; %bb.394:                              ;   in Loop: Header=BB254_233 Depth=1
	v_and_b32_e32 v3, 0x7fffff, v2
	v_or_b32_e32 v3, 0x800000, v3
	v_mad_u64_u32 v[24:25], s[0:1], v3, s30, 0
	v_mov_b32_e32 v13, v25
	v_mad_u64_u32 v[25:26], s[0:1], v3, s31, v[13:14]
	v_mov_b32_e32 v13, v26
	;; [unrolled: 2-line block ×3, first 2 shown]
	v_mad_u64_u32 v[27:28], s[0:1], v3, s34, v[13:14]
	v_lshrrev_b32_e32 v13, 23, v2
	v_add_u32_e32 v30, 0xffffff88, v13
	v_mov_b32_e32 v13, v28
	v_mad_u64_u32 v[28:29], s[0:1], v3, s35, v[13:14]
	v_cmp_lt_u32_e32 vcc, 63, v30
	v_cndmask_b32_e32 v13, 0, v20, vcc
	v_add_u32_e32 v31, v13, v30
	v_mov_b32_e32 v13, v29
	v_mad_u64_u32 v[29:30], s[0:1], v3, s36, v[13:14]
	v_cmp_lt_u32_e64 s[0:1], 31, v31
	v_cndmask_b32_e64 v13, 0, v21, s[0:1]
	v_add_u32_e32 v32, v13, v31
	v_mov_b32_e32 v13, v30
	v_mad_u64_u32 v[30:31], s[2:3], v3, s37, v[13:14]
	v_cmp_lt_u32_e64 s[2:3], 31, v32
	v_cndmask_b32_e64 v3, 0, v21, s[2:3]
	v_cndmask_b32_e32 v13, v29, v27, vcc
	v_cndmask_b32_e32 v30, v30, v28, vcc
	v_cndmask_b32_e32 v29, v31, v29, vcc
	v_cndmask_b32_e32 v28, v28, v26, vcc
	v_add_u32_e32 v3, v3, v32
	v_cndmask_b32_e64 v31, v30, v13, s[0:1]
	v_cndmask_b32_e64 v29, v29, v30, s[0:1]
	;; [unrolled: 1-line block ×3, first 2 shown]
	v_cndmask_b32_e32 v25, v27, v25, vcc
	v_cndmask_b32_e64 v29, v29, v31, s[2:3]
	v_cndmask_b32_e64 v30, v31, v13, s[2:3]
	v_sub_u32_e32 v31, 32, v3
	v_cndmask_b32_e64 v27, v28, v25, s[0:1]
	v_alignbit_b32 v32, v29, v30, v31
	v_cmp_eq_u32_e64 s[4:5], 0, v3
	v_cndmask_b32_e64 v13, v13, v27, s[2:3]
	v_cndmask_b32_e64 v3, v32, v29, s[4:5]
	v_alignbit_b32 v28, v30, v13, v31
	v_cndmask_b32_e32 v24, v26, v24, vcc
	v_cndmask_b32_e64 v28, v28, v30, s[4:5]
	v_bfe_u32 v32, v3, 29, 1
	v_cndmask_b32_e64 v24, v25, v24, s[0:1]
	v_alignbit_b32 v29, v3, v28, 30
	v_sub_u32_e32 v33, 0, v32
	v_cndmask_b32_e64 v24, v27, v24, s[2:3]
	v_xor_b32_e32 v29, v29, v33
	v_alignbit_b32 v25, v13, v24, v31
	v_cndmask_b32_e64 v13, v25, v13, s[4:5]
	v_ffbh_u32_e32 v26, v29
	v_alignbit_b32 v25, v28, v13, 30
	v_min_u32_e32 v26, 32, v26
	v_alignbit_b32 v13, v13, v24, 30
	v_xor_b32_e32 v25, v25, v33
	v_sub_u32_e32 v27, 31, v26
	v_xor_b32_e32 v13, v13, v33
	v_alignbit_b32 v28, v29, v25, v27
	v_alignbit_b32 v13, v25, v13, v27
	;; [unrolled: 1-line block ×3, first 2 shown]
	v_ffbh_u32_e32 v25, v24
	v_min_u32_e32 v25, 32, v25
	v_lshrrev_b32_e32 v30, 29, v3
	v_not_b32_e32 v27, v25
	v_alignbit_b32 v13, v24, v13, v27
	v_lshlrev_b32_e32 v24, 31, v30
	v_or_b32_e32 v27, 0x33000000, v24
	v_add_lshl_u32 v25, v25, v26, 23
	v_lshrrev_b32_e32 v13, 9, v13
	v_sub_u32_e32 v25, v27, v25
	v_or_b32_e32 v24, 0.5, v24
	v_lshlrev_b32_e32 v26, 23, v26
	v_or_b32_e32 v13, v25, v13
	v_lshrrev_b32_e32 v25, 9, v28
	v_sub_u32_e32 v24, v24, v26
	v_or_b32_e32 v24, v25, v24
	v_mul_f32_e32 v25, 0x3fc90fda, v24
	v_fma_f32 v26, v24, s38, -v25
	v_fmac_f32_e32 v26, 0x33a22168, v24
	v_fmac_f32_e32 v26, 0x3fc90fda, v13
	v_lshrrev_b32_e32 v3, 30, v3
	v_add_f32_e32 v24, v25, v26
	v_add_u32_e32 v3, v32, v3
	s_andn2_saveexec_b64 s[0:1], s[22:23]
	s_branch .LBB254_396
.LBB254_395:                            ;   in Loop: Header=BB254_233 Depth=1
	s_andn2_saveexec_b64 s[0:1], s[22:23]
.LBB254_396:                            ;   in Loop: Header=BB254_233 Depth=1
	v_mul_f32_e64 v3, |v5|, s39
	v_rndne_f32_e32 v13, v3
	v_cvt_i32_f32_e32 v3, v13
	v_fma_f32 v24, v13, s40, |v5|
	v_fmac_f32_e32 v24, 0xb3a22168, v13
	v_fmac_f32_e32 v24, 0xa7c234c4, v13
; %bb.397:                              ;   in Loop: Header=BB254_233 Depth=1
	s_or_b64 exec, exec, s[0:1]
                                        ; implicit-def: $vgpr25
                                        ; implicit-def: $vgpr26
	s_and_saveexec_b64 s[0:1], s[20:21]
	s_xor_b64 s[20:21], exec, s[0:1]
	s_cbranch_execz .LBB254_399
; %bb.398:                              ;   in Loop: Header=BB254_233 Depth=1
	v_and_b32_e32 v13, 0x7fffff, v2
	v_or_b32_e32 v32, 0x800000, v13
	v_mad_u64_u32 v[25:26], s[0:1], v32, s30, 0
	v_mov_b32_e32 v13, v26
	v_mad_u64_u32 v[26:27], s[0:1], v32, s31, v[13:14]
	v_mov_b32_e32 v13, v27
	;; [unrolled: 2-line block ×3, first 2 shown]
	v_mad_u64_u32 v[28:29], s[0:1], v32, s34, v[13:14]
	v_lshrrev_b32_e32 v13, 23, v2
	v_add_u32_e32 v31, 0xffffff88, v13
	v_mov_b32_e32 v13, v29
	v_mad_u64_u32 v[29:30], s[0:1], v32, s35, v[13:14]
	v_cmp_lt_u32_e32 vcc, 63, v31
	v_cndmask_b32_e32 v13, 0, v20, vcc
	v_add_u32_e32 v33, v13, v31
	v_mov_b32_e32 v13, v30
	v_mad_u64_u32 v[30:31], s[0:1], v32, s36, v[13:14]
	v_cmp_lt_u32_e64 s[0:1], 31, v33
	v_cndmask_b32_e64 v13, 0, v21, s[0:1]
	v_add_u32_e32 v33, v13, v33
	v_mov_b32_e32 v13, v31
	v_mad_u64_u32 v[31:32], s[2:3], v32, s37, v[13:14]
	v_cmp_lt_u32_e64 s[2:3], 31, v33
	v_cndmask_b32_e64 v13, 0, v21, s[2:3]
	v_add_u32_e32 v13, v13, v33
	v_cndmask_b32_e32 v33, v30, v28, vcc
	v_cndmask_b32_e32 v31, v31, v29, vcc
	;; [unrolled: 1-line block ×4, first 2 shown]
	v_cndmask_b32_e64 v32, v31, v33, s[0:1]
	v_cndmask_b32_e64 v30, v30, v31, s[0:1]
	;; [unrolled: 1-line block ×3, first 2 shown]
	v_cndmask_b32_e32 v26, v28, v26, vcc
	v_cndmask_b32_e64 v30, v30, v32, s[2:3]
	v_cndmask_b32_e64 v32, v32, v31, s[2:3]
	v_sub_u32_e32 v33, 32, v13
	v_cndmask_b32_e64 v28, v29, v26, s[0:1]
	v_alignbit_b32 v34, v30, v32, v33
	v_cmp_eq_u32_e64 s[4:5], 0, v13
	v_cndmask_b32_e64 v29, v31, v28, s[2:3]
	v_cndmask_b32_e64 v13, v34, v30, s[4:5]
	v_alignbit_b32 v30, v32, v29, v33
	v_cndmask_b32_e32 v25, v27, v25, vcc
	v_cndmask_b32_e64 v30, v30, v32, s[4:5]
	v_bfe_u32 v34, v13, 29, 1
	v_cndmask_b32_e64 v25, v26, v25, s[0:1]
	v_alignbit_b32 v31, v13, v30, 30
	v_sub_u32_e32 v35, 0, v34
	v_cndmask_b32_e64 v25, v28, v25, s[2:3]
	v_xor_b32_e32 v31, v31, v35
	v_alignbit_b32 v26, v29, v25, v33
	v_cndmask_b32_e64 v26, v26, v29, s[4:5]
	v_ffbh_u32_e32 v28, v31
	v_alignbit_b32 v27, v30, v26, 30
	v_min_u32_e32 v28, 32, v28
	v_alignbit_b32 v25, v26, v25, 30
	v_xor_b32_e32 v27, v27, v35
	v_sub_u32_e32 v29, 31, v28
	v_xor_b32_e32 v25, v25, v35
	v_alignbit_b32 v30, v31, v27, v29
	v_alignbit_b32 v25, v27, v25, v29
	;; [unrolled: 1-line block ×3, first 2 shown]
	v_ffbh_u32_e32 v27, v26
	v_min_u32_e32 v27, 32, v27
	v_lshrrev_b32_e32 v32, 29, v13
	v_not_b32_e32 v29, v27
	v_alignbit_b32 v25, v26, v25, v29
	v_lshlrev_b32_e32 v26, 31, v32
	v_or_b32_e32 v29, 0x33000000, v26
	v_add_lshl_u32 v27, v27, v28, 23
	v_lshrrev_b32_e32 v25, 9, v25
	v_sub_u32_e32 v27, v29, v27
	v_or_b32_e32 v26, 0.5, v26
	v_lshlrev_b32_e32 v28, 23, v28
	v_or_b32_e32 v25, v27, v25
	v_lshrrev_b32_e32 v27, 9, v30
	v_sub_u32_e32 v26, v26, v28
	v_or_b32_e32 v26, v27, v26
	v_mul_f32_e32 v27, 0x3fc90fda, v26
	v_fma_f32 v28, v26, s38, -v27
	v_fmac_f32_e32 v28, 0x33a22168, v26
	v_fmac_f32_e32 v28, 0x3fc90fda, v25
	v_lshrrev_b32_e32 v13, 30, v13
	v_add_f32_e32 v26, v27, v28
	v_add_u32_e32 v25, v34, v13
	s_andn2_saveexec_b64 s[0:1], s[20:21]
	s_cbranch_execnz .LBB254_400
	s_branch .LBB254_401
.LBB254_399:                            ;   in Loop: Header=BB254_233 Depth=1
	s_andn2_saveexec_b64 s[0:1], s[20:21]
.LBB254_400:                            ;   in Loop: Header=BB254_233 Depth=1
	v_mul_f32_e64 v13, |v5|, s39
	v_rndne_f32_e32 v13, v13
	v_cvt_i32_f32_e32 v25, v13
	v_fma_f32 v26, v13, s40, |v5|
	v_fmac_f32_e32 v26, 0xb3a22168, v13
	v_fmac_f32_e32 v26, 0xa7c234c4, v13
.LBB254_401:                            ;   in Loop: Header=BB254_233 Depth=1
	s_or_b64 exec, exec, s[0:1]
	v_mul_f32_e32 v13, 0xbfb8aa3b, v4
	v_rndne_f32_e32 v27, v13
	v_sub_f32_e32 v28, v13, v27
	v_fma_f32 v13, v4, s41, -v13
	v_fmac_f32_e32 v13, 0xb2a5705f, v4
	v_add_f32_e32 v13, v28, v13
	v_cvt_i32_f32_e32 v27, v27
	v_exp_f32_e32 v13, v13
	v_cmp_nlt_f32_e32 vcc, s42, v4
	v_ldexp_f32 v13, v13, v27
	v_cndmask_b32_e32 v13, 0, v13, vcc
	v_cmp_ngt_f32_e32 vcc, s43, v4
	v_cndmask_b32_e32 v4, v22, v13, vcc
	v_mul_f32_e32 v13, v24, v24
	v_mov_b32_e32 v27, 0x3c0881c4
	v_fmac_f32_e32 v27, 0xb94c1982, v13
	v_fma_f32 v27, v13, v27, v17
	v_mul_f32_e32 v27, v13, v27
	v_fmac_f32_e32 v24, v24, v27
	v_mov_b32_e32 v27, 0xbab64f3b
	v_fmac_f32_e32 v27, 0x37d75334, v13
	v_fma_f32 v27, v13, v27, v18
	v_fma_f32 v27, v13, v27, v19
	v_fma_f32 v13, v13, v27, 1.0
	v_and_b32_e32 v27, 1, v3
	v_cmp_eq_u32_e32 vcc, 0, v27
	v_lshlrev_b32_e32 v3, 30, v3
	v_cndmask_b32_e64 v13, -v24, v13, vcc
	v_and_b32_e32 v3, 0x80000000, v3
	v_xor_b32_e32 v3, v3, v13
	v_cmp_class_f32_e64 vcc, v5, s44
	v_cndmask_b32_e32 v3, v23, v3, vcc
	v_mul_f32_e32 v13, v4, v3
	v_mul_f32_e32 v3, v26, v26
	v_mov_b32_e32 v5, 0x3c0881c4
	v_fmac_f32_e32 v5, 0xb94c1982, v3
	v_fma_f32 v5, v3, v5, v17
	v_mul_f32_e32 v5, v3, v5
	v_fmac_f32_e32 v26, v26, v5
	v_mov_b32_e32 v5, 0xbab64f3b
	v_fmac_f32_e32 v5, 0x37d75334, v3
	v_fma_f32 v5, v3, v5, v18
	v_fma_f32 v5, v3, v5, v19
	v_fma_f32 v3, v3, v5, 1.0
	v_and_b32_e32 v5, 1, v25
	v_cmp_eq_u32_e64 s[0:1], 0, v5
	v_lshlrev_b32_e32 v5, 30, v25
	v_cndmask_b32_e64 v3, v3, v26, s[0:1]
	v_and_or_b32 v2, v5, s26, v2
	v_xor_b32_e32 v2, v2, v3
	v_xor_b32_e32 v2, v2, v12
	v_cndmask_b32_e32 v2, v23, v2, vcc
	v_mul_f32_e32 v12, v4, v2
                                        ; implicit-def: $vgpr2_vgpr3_vgpr4_vgpr5
                                        ; implicit-def: $vgpr2
.LBB254_402:                            ;   in Loop: Header=BB254_233 Depth=1
	s_andn2_saveexec_b64 s[18:19], s[18:19]
	s_cbranch_execz .LBB254_412
; %bb.403:                              ;   in Loop: Header=BB254_233 Depth=1
	v_cmp_nlt_f32_e64 s[20:21], |v5|, s29
                                        ; implicit-def: $vgpr24
                                        ; implicit-def: $vgpr3
	s_and_saveexec_b64 s[0:1], s[20:21]
	s_xor_b64 s[22:23], exec, s[0:1]
	s_cbranch_execz .LBB254_405
; %bb.404:                              ;   in Loop: Header=BB254_233 Depth=1
	v_and_b32_e32 v3, 0x7fffff, v2
	v_or_b32_e32 v3, 0x800000, v3
	v_mad_u64_u32 v[24:25], s[0:1], v3, s30, 0
	v_mov_b32_e32 v13, v25
	v_mad_u64_u32 v[25:26], s[0:1], v3, s31, v[13:14]
	v_mov_b32_e32 v13, v26
	;; [unrolled: 2-line block ×3, first 2 shown]
	v_mad_u64_u32 v[27:28], s[0:1], v3, s34, v[13:14]
	v_lshrrev_b32_e32 v13, 23, v2
	v_add_u32_e32 v30, 0xffffff88, v13
	v_mov_b32_e32 v13, v28
	v_mad_u64_u32 v[28:29], s[0:1], v3, s35, v[13:14]
	v_cmp_lt_u32_e32 vcc, 63, v30
	v_cndmask_b32_e32 v13, 0, v20, vcc
	v_add_u32_e32 v31, v13, v30
	v_mov_b32_e32 v13, v29
	v_mad_u64_u32 v[29:30], s[0:1], v3, s36, v[13:14]
	v_cmp_lt_u32_e64 s[0:1], 31, v31
	v_cndmask_b32_e64 v13, 0, v21, s[0:1]
	v_add_u32_e32 v32, v13, v31
	v_mov_b32_e32 v13, v30
	v_mad_u64_u32 v[30:31], s[2:3], v3, s37, v[13:14]
	v_cmp_lt_u32_e64 s[2:3], 31, v32
	v_cndmask_b32_e64 v3, 0, v21, s[2:3]
	v_cndmask_b32_e32 v13, v29, v27, vcc
	v_cndmask_b32_e32 v30, v30, v28, vcc
	;; [unrolled: 1-line block ×4, first 2 shown]
	v_add_u32_e32 v3, v3, v32
	v_cndmask_b32_e64 v31, v30, v13, s[0:1]
	v_cndmask_b32_e64 v29, v29, v30, s[0:1]
	;; [unrolled: 1-line block ×5, first 2 shown]
	v_sub_u32_e32 v31, 32, v3
	v_cmp_eq_u32_e64 s[4:5], 0, v3
	v_cndmask_b32_e32 v3, v27, v25, vcc
	v_cndmask_b32_e64 v25, v28, v3, s[0:1]
	v_alignbit_b32 v32, v29, v30, v31
	v_cndmask_b32_e64 v13, v13, v25, s[2:3]
	v_cndmask_b32_e64 v29, v32, v29, s[4:5]
	v_alignbit_b32 v27, v30, v13, v31
	v_cndmask_b32_e32 v24, v26, v24, vcc
	v_cndmask_b32_e64 v27, v27, v30, s[4:5]
	v_bfe_u32 v32, v29, 29, 1
	v_cndmask_b32_e64 v3, v3, v24, s[0:1]
	v_alignbit_b32 v28, v29, v27, 30
	v_sub_u32_e32 v33, 0, v32
	v_cndmask_b32_e64 v3, v25, v3, s[2:3]
	v_xor_b32_e32 v28, v28, v33
	v_alignbit_b32 v24, v13, v3, v31
	v_cndmask_b32_e64 v13, v24, v13, s[4:5]
	v_ffbh_u32_e32 v25, v28
	v_alignbit_b32 v24, v27, v13, 30
	v_min_u32_e32 v25, 32, v25
	v_alignbit_b32 v3, v13, v3, 30
	v_xor_b32_e32 v24, v24, v33
	v_sub_u32_e32 v26, 31, v25
	v_xor_b32_e32 v3, v3, v33
	v_alignbit_b32 v27, v28, v24, v26
	v_alignbit_b32 v3, v24, v3, v26
	v_alignbit_b32 v13, v27, v3, 9
	v_ffbh_u32_e32 v24, v13
	v_min_u32_e32 v24, 32, v24
	v_lshrrev_b32_e32 v30, 29, v29
	v_not_b32_e32 v26, v24
	v_alignbit_b32 v3, v13, v3, v26
	v_lshlrev_b32_e32 v13, 31, v30
	v_or_b32_e32 v26, 0x33000000, v13
	v_add_lshl_u32 v24, v24, v25, 23
	v_lshrrev_b32_e32 v3, 9, v3
	v_sub_u32_e32 v24, v26, v24
	v_or_b32_e32 v13, 0.5, v13
	v_lshlrev_b32_e32 v25, 23, v25
	v_or_b32_e32 v3, v24, v3
	v_lshrrev_b32_e32 v24, 9, v27
	v_sub_u32_e32 v13, v13, v25
	v_or_b32_e32 v13, v24, v13
	v_mul_f32_e32 v24, 0x3fc90fda, v13
	v_fma_f32 v25, v13, s38, -v24
	v_fmac_f32_e32 v25, 0x33a22168, v13
	v_fmac_f32_e32 v25, 0x3fc90fda, v3
	v_lshrrev_b32_e32 v13, 30, v29
	v_add_f32_e32 v3, v24, v25
	v_add_u32_e32 v24, v32, v13
	s_andn2_saveexec_b64 s[0:1], s[22:23]
	s_branch .LBB254_406
.LBB254_405:                            ;   in Loop: Header=BB254_233 Depth=1
	s_andn2_saveexec_b64 s[0:1], s[22:23]
.LBB254_406:                            ;   in Loop: Header=BB254_233 Depth=1
	v_mul_f32_e64 v3, |v5|, s39
	v_rndne_f32_e32 v13, v3
	v_cvt_i32_f32_e32 v24, v13
	v_fma_f32 v3, v13, s40, |v5|
	v_fmac_f32_e32 v3, 0xb3a22168, v13
	v_fmac_f32_e32 v3, 0xa7c234c4, v13
; %bb.407:                              ;   in Loop: Header=BB254_233 Depth=1
	s_or_b64 exec, exec, s[0:1]
                                        ; implicit-def: $vgpr25
                                        ; implicit-def: $vgpr26
	s_and_saveexec_b64 s[0:1], s[20:21]
	s_xor_b64 s[20:21], exec, s[0:1]
	s_cbranch_execz .LBB254_409
; %bb.408:                              ;   in Loop: Header=BB254_233 Depth=1
	v_and_b32_e32 v13, 0x7fffff, v2
	v_or_b32_e32 v32, 0x800000, v13
	v_mad_u64_u32 v[25:26], s[0:1], v32, s30, 0
	v_mov_b32_e32 v13, v26
	v_mad_u64_u32 v[26:27], s[0:1], v32, s31, v[13:14]
	v_mov_b32_e32 v13, v27
	v_mad_u64_u32 v[27:28], s[0:1], v32, s33, v[13:14]
	v_mov_b32_e32 v13, v28
	v_mad_u64_u32 v[28:29], s[0:1], v32, s34, v[13:14]
	v_lshrrev_b32_e32 v13, 23, v2
	v_add_u32_e32 v31, 0xffffff88, v13
	v_mov_b32_e32 v13, v29
	v_mad_u64_u32 v[29:30], s[0:1], v32, s35, v[13:14]
	v_cmp_lt_u32_e32 vcc, 63, v31
	v_cndmask_b32_e32 v13, 0, v20, vcc
	v_add_u32_e32 v33, v13, v31
	v_mov_b32_e32 v13, v30
	v_mad_u64_u32 v[30:31], s[0:1], v32, s36, v[13:14]
	v_cmp_lt_u32_e64 s[0:1], 31, v33
	v_cndmask_b32_e64 v13, 0, v21, s[0:1]
	v_add_u32_e32 v33, v13, v33
	v_mov_b32_e32 v13, v31
	v_mad_u64_u32 v[31:32], s[2:3], v32, s37, v[13:14]
	v_cmp_lt_u32_e64 s[2:3], 31, v33
	v_cndmask_b32_e64 v13, 0, v21, s[2:3]
	v_add_u32_e32 v13, v13, v33
	v_cndmask_b32_e32 v33, v30, v28, vcc
	v_cndmask_b32_e32 v31, v31, v29, vcc
	;; [unrolled: 1-line block ×4, first 2 shown]
	v_cndmask_b32_e64 v32, v31, v33, s[0:1]
	v_cndmask_b32_e64 v30, v30, v31, s[0:1]
	v_cndmask_b32_e64 v31, v33, v29, s[0:1]
	v_cndmask_b32_e32 v26, v28, v26, vcc
	v_cndmask_b32_e64 v30, v30, v32, s[2:3]
	v_cndmask_b32_e64 v32, v32, v31, s[2:3]
	v_sub_u32_e32 v33, 32, v13
	v_cndmask_b32_e64 v28, v29, v26, s[0:1]
	v_alignbit_b32 v34, v30, v32, v33
	v_cmp_eq_u32_e64 s[4:5], 0, v13
	v_cndmask_b32_e64 v29, v31, v28, s[2:3]
	v_cndmask_b32_e64 v13, v34, v30, s[4:5]
	v_alignbit_b32 v30, v32, v29, v33
	v_cndmask_b32_e32 v25, v27, v25, vcc
	v_cndmask_b32_e64 v30, v30, v32, s[4:5]
	v_bfe_u32 v34, v13, 29, 1
	v_cndmask_b32_e64 v25, v26, v25, s[0:1]
	v_alignbit_b32 v31, v13, v30, 30
	v_sub_u32_e32 v35, 0, v34
	v_cndmask_b32_e64 v25, v28, v25, s[2:3]
	v_xor_b32_e32 v31, v31, v35
	v_alignbit_b32 v26, v29, v25, v33
	v_cndmask_b32_e64 v26, v26, v29, s[4:5]
	v_ffbh_u32_e32 v28, v31
	v_alignbit_b32 v27, v30, v26, 30
	v_min_u32_e32 v28, 32, v28
	v_alignbit_b32 v25, v26, v25, 30
	v_xor_b32_e32 v27, v27, v35
	v_sub_u32_e32 v29, 31, v28
	v_xor_b32_e32 v25, v25, v35
	v_alignbit_b32 v30, v31, v27, v29
	v_alignbit_b32 v25, v27, v25, v29
	v_alignbit_b32 v26, v30, v25, 9
	v_ffbh_u32_e32 v27, v26
	v_min_u32_e32 v27, 32, v27
	v_lshrrev_b32_e32 v32, 29, v13
	v_not_b32_e32 v29, v27
	v_alignbit_b32 v25, v26, v25, v29
	v_lshlrev_b32_e32 v26, 31, v32
	v_or_b32_e32 v29, 0x33000000, v26
	v_add_lshl_u32 v27, v27, v28, 23
	v_lshrrev_b32_e32 v25, 9, v25
	v_sub_u32_e32 v27, v29, v27
	v_or_b32_e32 v26, 0.5, v26
	v_lshlrev_b32_e32 v28, 23, v28
	v_or_b32_e32 v25, v27, v25
	v_lshrrev_b32_e32 v27, 9, v30
	v_sub_u32_e32 v26, v26, v28
	v_or_b32_e32 v26, v27, v26
	v_mul_f32_e32 v27, 0x3fc90fda, v26
	v_fma_f32 v28, v26, s38, -v27
	v_fmac_f32_e32 v28, 0x33a22168, v26
	v_fmac_f32_e32 v28, 0x3fc90fda, v25
	v_lshrrev_b32_e32 v13, 30, v13
	v_add_f32_e32 v26, v27, v28
	v_add_u32_e32 v25, v34, v13
	s_andn2_saveexec_b64 s[0:1], s[20:21]
	s_cbranch_execnz .LBB254_410
	s_branch .LBB254_411
.LBB254_409:                            ;   in Loop: Header=BB254_233 Depth=1
	s_andn2_saveexec_b64 s[0:1], s[20:21]
.LBB254_410:                            ;   in Loop: Header=BB254_233 Depth=1
	v_mul_f32_e64 v13, |v5|, s39
	v_rndne_f32_e32 v13, v13
	v_cvt_i32_f32_e32 v25, v13
	v_fma_f32 v26, v13, s40, |v5|
	v_fmac_f32_e32 v26, 0xb3a22168, v13
	v_fmac_f32_e32 v26, 0xa7c234c4, v13
.LBB254_411:                            ;   in Loop: Header=BB254_233 Depth=1
	s_or_b64 exec, exec, s[0:1]
	v_mul_f32_e32 v27, v3, v3
	v_mov_b32_e32 v28, 0xbab64f3b
	v_fmac_f32_e32 v28, 0x37d75334, v27
	v_mov_b32_e32 v29, 0x3c0881c4
	v_fma_f32 v28, v27, v28, v18
	v_fmac_f32_e32 v29, 0xb94c1982, v27
	v_fma_f32 v28, v27, v28, v19
	v_fma_f32 v29, v27, v29, v17
	v_lshlrev_b32_e32 v13, 30, v24
	v_and_b32_e32 v24, 1, v24
	v_fma_f32 v28, v27, v28, 1.0
	v_mul_f32_e32 v27, v27, v29
	v_sub_f32_e32 v4, 0xc322e3bc, v4
	v_fmac_f32_e32 v3, v3, v27
	v_cmp_eq_u32_e32 vcc, 0, v24
	v_mul_f32_e32 v24, 0x3fb8aa3b, v4
	v_cndmask_b32_e64 v3, -v3, v28, vcc
	v_fma_f32 v27, v4, s45, -v24
	v_rndne_f32_e32 v28, v24
	v_fmac_f32_e32 v27, 0x32a5705f, v4
	v_sub_f32_e32 v24, v24, v28
	v_add_f32_e32 v24, v24, v27
	v_exp_f32_e32 v24, v24
	v_cvt_i32_f32_e32 v27, v28
	v_cmp_class_f32_e64 vcc, v5, s44
	v_cmp_ngt_f32_e64 s[0:1], s46, v4
	v_and_b32_e32 v13, 0x80000000, v13
	v_ldexp_f32 v5, v24, v27
	v_cndmask_b32_e64 v5, 0, v5, s[0:1]
	v_cmp_nlt_f32_e64 s[0:1], s47, v4
	v_cndmask_b32_e64 v4, v22, v5, s[0:1]
	v_and_b32_e32 v5, 0x7fffff, v4
	v_lshrrev_b32_e32 v4, 23, v4
	v_subrev_u32_e32 v4, 19, v4
	v_xor_b32_e32 v3, v13, v3
	v_lshrrev_b16_e32 v13, 15, v4
	v_add_u16_e32 v13, v4, v13
	v_ashrrev_i16_e32 v13, 1, v13
	v_cndmask_b32_e32 v3, v23, v3, vcc
	v_or_b32_e32 v5, 0x7f000000, v5
	v_bfe_i32 v13, v13, 0, 16
	v_mul_f32_e32 v3, v3, v5
	v_lshl_add_u32 v24, v13, 23, 1.0
	v_sub_u32_e32 v4, v4, v13
	v_mul_f32_e32 v3, v3, v24
	v_lshl_add_u32 v4, v4, 23, 1.0
	v_mul_f32_e32 v13, v3, v4
	v_mul_f32_e32 v3, v26, v26
	v_mov_b32_e32 v27, 0x3c0881c4
	v_fmac_f32_e32 v27, 0xb94c1982, v3
	v_fma_f32 v27, v3, v27, v17
	v_mul_f32_e32 v27, v3, v27
	v_fmac_f32_e32 v26, v26, v27
	v_mov_b32_e32 v27, 0xbab64f3b
	v_fmac_f32_e32 v27, 0x37d75334, v3
	v_fma_f32 v27, v3, v27, v18
	v_fma_f32 v27, v3, v27, v19
	v_fma_f32 v3, v3, v27, 1.0
	v_and_b32_e32 v27, 1, v25
	v_cmp_eq_u32_e64 s[0:1], 0, v27
	v_lshlrev_b32_e32 v25, 30, v25
	v_cndmask_b32_e64 v3, v3, v26, s[0:1]
	v_and_or_b32 v2, v25, s26, v2
	v_xor_b32_e32 v2, v2, v3
	v_xor_b32_e32 v2, v2, v12
	v_cndmask_b32_e32 v2, v23, v2, vcc
	v_mul_f32_e32 v2, v2, v5
	v_mul_f32_e32 v2, v2, v24
	;; [unrolled: 1-line block ×3, first 2 shown]
.LBB254_412:                            ;   in Loop: Header=BB254_233 Depth=1
	s_or_b64 exec, exec, s[18:19]
                                        ; implicit-def: $vgpr2_vgpr3_vgpr4_vgpr5
                                        ; implicit-def: $vgpr24
                                        ; implicit-def: $vgpr3
.LBB254_413:                            ;   in Loop: Header=BB254_233 Depth=1
	s_andn2_saveexec_b64 s[0:1], s[14:15]
	s_cbranch_execz .LBB254_419
; %bb.414:                              ;   in Loop: Header=BB254_233 Depth=1
	v_cmp_ne_u32_e32 vcc, s27, v3
	v_sub_f32_e32 v12, v5, v5
	s_and_saveexec_b64 s[2:3], vcc
	s_xor_b64 s[2:3], exec, s[2:3]
; %bb.415:                              ;   in Loop: Header=BB254_233 Depth=1
                                        ; implicit-def: $vgpr24
                                        ; implicit-def: $vgpr2_vgpr3_vgpr4_vgpr5
; %bb.416:                              ;   in Loop: Header=BB254_233 Depth=1
	s_or_saveexec_b64 s[2:3], s[2:3]
	v_mov_b32_e32 v13, v12
	s_xor_b64 exec, exec, s[2:3]
; %bb.417:                              ;   in Loop: Header=BB254_233 Depth=1
	v_cmp_lt_i32_e32 vcc, -1, v24
	v_cndmask_b32_e64 v13, 0, -v4, vcc
	v_cndmask_b32_e32 v12, 0, v12, vcc
; %bb.418:                              ;   in Loop: Header=BB254_233 Depth=1
	s_or_b64 exec, exec, s[2:3]
.LBB254_419:                            ;   in Loop: Header=BB254_233 Depth=1
	s_or_b64 exec, exec, s[0:1]
                                        ; implicit-def: $vgpr2_vgpr3_vgpr4_vgpr5
                                        ; implicit-def: $vgpr2
.LBB254_420:                            ;   in Loop: Header=BB254_233 Depth=1
	s_andn2_saveexec_b64 s[12:13], s[12:13]
	s_cbranch_execz .LBB254_430
; %bb.421:                              ;   in Loop: Header=BB254_233 Depth=1
	v_cmp_nlt_f32_e64 s[14:15], |v5|, s29
                                        ; implicit-def: $vgpr3
                                        ; implicit-def: $vgpr4
	s_and_saveexec_b64 s[0:1], s[14:15]
	s_xor_b64 s[18:19], exec, s[0:1]
	s_cbranch_execz .LBB254_423
; %bb.422:                              ;   in Loop: Header=BB254_233 Depth=1
	v_and_b32_e32 v3, 0x7fffff, v2
	v_or_b32_e32 v30, 0x800000, v3
	v_mad_u64_u32 v[3:4], s[0:1], v30, s30, 0
	v_mov_b32_e32 v13, v4
	v_mad_u64_u32 v[24:25], s[0:1], v30, s31, v[13:14]
	v_lshrrev_b32_e32 v4, 23, v2
	v_add_u32_e32 v4, 0xffffff88, v4
	v_mov_b32_e32 v13, v25
	v_mad_u64_u32 v[25:26], s[0:1], v30, s33, v[13:14]
	v_cmp_lt_u32_e32 vcc, 63, v4
	v_mov_b32_e32 v13, v26
	v_mad_u64_u32 v[26:27], s[0:1], v30, s34, v[13:14]
	v_cndmask_b32_e32 v3, v25, v3, vcc
	v_mov_b32_e32 v13, v27
	v_mad_u64_u32 v[27:28], s[0:1], v30, s35, v[13:14]
	v_cndmask_b32_e32 v13, 0, v20, vcc
	v_add_u32_e32 v4, v13, v4
	v_mov_b32_e32 v13, v28
	v_mad_u64_u32 v[28:29], s[0:1], v30, s36, v[13:14]
	v_cmp_lt_u32_e64 s[0:1], 31, v4
	v_cndmask_b32_e64 v13, 0, v21, s[0:1]
	v_add_u32_e32 v4, v13, v4
	v_mov_b32_e32 v13, v29
	v_mad_u64_u32 v[29:30], s[2:3], v30, s37, v[13:14]
	v_cmp_lt_u32_e64 s[2:3], 31, v4
	v_cndmask_b32_e64 v13, 0, v21, s[2:3]
	v_add_u32_e32 v4, v13, v4
	v_cndmask_b32_e32 v13, v28, v26, vcc
	v_cndmask_b32_e32 v29, v29, v27, vcc
	;; [unrolled: 1-line block ×4, first 2 shown]
	v_cndmask_b32_e64 v30, v29, v13, s[0:1]
	v_cndmask_b32_e64 v28, v28, v29, s[0:1]
	;; [unrolled: 1-line block ×5, first 2 shown]
	v_sub_u32_e32 v30, 32, v4
	v_cmp_eq_u32_e64 s[4:5], 0, v4
	v_cndmask_b32_e32 v4, v26, v24, vcc
	v_cndmask_b32_e64 v24, v27, v4, s[0:1]
	v_alignbit_b32 v31, v28, v29, v30
	v_cndmask_b32_e64 v13, v13, v24, s[2:3]
	v_cndmask_b32_e64 v28, v31, v28, s[4:5]
	v_alignbit_b32 v26, v29, v13, v30
	v_cndmask_b32_e64 v26, v26, v29, s[4:5]
	v_bfe_u32 v31, v28, 29, 1
	v_cndmask_b32_e64 v3, v4, v3, s[0:1]
	v_alignbit_b32 v27, v28, v26, 30
	v_sub_u32_e32 v32, 0, v31
	v_cndmask_b32_e64 v3, v24, v3, s[2:3]
	v_xor_b32_e32 v27, v27, v32
	v_alignbit_b32 v4, v13, v3, v30
	v_cndmask_b32_e64 v4, v4, v13, s[4:5]
	v_ffbh_u32_e32 v24, v27
	v_alignbit_b32 v13, v26, v4, 30
	v_min_u32_e32 v24, 32, v24
	v_alignbit_b32 v3, v4, v3, 30
	v_xor_b32_e32 v13, v13, v32
	v_sub_u32_e32 v25, 31, v24
	v_xor_b32_e32 v3, v3, v32
	v_alignbit_b32 v26, v27, v13, v25
	v_alignbit_b32 v3, v13, v3, v25
	v_alignbit_b32 v4, v26, v3, 9
	v_ffbh_u32_e32 v13, v4
	v_min_u32_e32 v13, 32, v13
	v_lshrrev_b32_e32 v29, 29, v28
	v_not_b32_e32 v25, v13
	v_alignbit_b32 v3, v4, v3, v25
	v_lshlrev_b32_e32 v4, 31, v29
	v_or_b32_e32 v25, 0x33000000, v4
	v_add_lshl_u32 v13, v13, v24, 23
	v_lshrrev_b32_e32 v3, 9, v3
	v_sub_u32_e32 v13, v25, v13
	v_or_b32_e32 v4, 0.5, v4
	v_lshlrev_b32_e32 v24, 23, v24
	v_or_b32_e32 v3, v13, v3
	v_lshrrev_b32_e32 v13, 9, v26
	v_sub_u32_e32 v4, v4, v24
	v_or_b32_e32 v4, v13, v4
	v_mul_f32_e32 v13, 0x3fc90fda, v4
	v_fma_f32 v24, v4, s38, -v13
	v_fmac_f32_e32 v24, 0x33a22168, v4
	v_fmac_f32_e32 v24, 0x3fc90fda, v3
	v_lshrrev_b32_e32 v3, 30, v28
	v_add_f32_e32 v4, v13, v24
	v_add_u32_e32 v3, v31, v3
	s_andn2_saveexec_b64 s[0:1], s[18:19]
	s_branch .LBB254_424
.LBB254_423:                            ;   in Loop: Header=BB254_233 Depth=1
	s_andn2_saveexec_b64 s[0:1], s[18:19]
.LBB254_424:                            ;   in Loop: Header=BB254_233 Depth=1
	v_mul_f32_e64 v3, |v5|, s39
	v_rndne_f32_e32 v13, v3
	v_cvt_i32_f32_e32 v3, v13
	v_fma_f32 v4, v13, s40, |v5|
	v_fmac_f32_e32 v4, 0xb3a22168, v13
	v_fmac_f32_e32 v4, 0xa7c234c4, v13
; %bb.425:                              ;   in Loop: Header=BB254_233 Depth=1
	s_or_b64 exec, exec, s[0:1]
                                        ; implicit-def: $vgpr24
                                        ; implicit-def: $vgpr25
	s_and_saveexec_b64 s[0:1], s[14:15]
	s_xor_b64 s[14:15], exec, s[0:1]
	s_cbranch_execz .LBB254_427
; %bb.426:                              ;   in Loop: Header=BB254_233 Depth=1
	v_and_b32_e32 v13, 0x7fffff, v2
	v_or_b32_e32 v31, 0x800000, v13
	v_mad_u64_u32 v[24:25], s[0:1], v31, s30, 0
	v_mov_b32_e32 v13, v25
	v_mad_u64_u32 v[25:26], s[0:1], v31, s31, v[13:14]
	v_mov_b32_e32 v13, v26
	;; [unrolled: 2-line block ×3, first 2 shown]
	v_mad_u64_u32 v[27:28], s[0:1], v31, s34, v[13:14]
	v_lshrrev_b32_e32 v13, 23, v2
	v_add_u32_e32 v30, 0xffffff88, v13
	v_mov_b32_e32 v13, v28
	v_mad_u64_u32 v[28:29], s[0:1], v31, s35, v[13:14]
	v_cmp_lt_u32_e32 vcc, 63, v30
	v_cndmask_b32_e32 v13, 0, v20, vcc
	v_add_u32_e32 v32, v13, v30
	v_mov_b32_e32 v13, v29
	v_mad_u64_u32 v[29:30], s[0:1], v31, s36, v[13:14]
	v_cmp_lt_u32_e64 s[0:1], 31, v32
	v_cndmask_b32_e64 v13, 0, v21, s[0:1]
	v_add_u32_e32 v32, v13, v32
	v_mov_b32_e32 v13, v30
	v_mad_u64_u32 v[30:31], s[2:3], v31, s37, v[13:14]
	v_cmp_lt_u32_e64 s[2:3], 31, v32
	v_cndmask_b32_e64 v13, 0, v21, s[2:3]
	v_add_u32_e32 v13, v13, v32
	v_cndmask_b32_e32 v32, v29, v27, vcc
	v_cndmask_b32_e32 v30, v30, v28, vcc
	;; [unrolled: 1-line block ×4, first 2 shown]
	v_cndmask_b32_e64 v31, v30, v32, s[0:1]
	v_cndmask_b32_e64 v29, v29, v30, s[0:1]
	;; [unrolled: 1-line block ×3, first 2 shown]
	v_cndmask_b32_e32 v25, v27, v25, vcc
	v_cndmask_b32_e64 v29, v29, v31, s[2:3]
	v_cndmask_b32_e64 v31, v31, v30, s[2:3]
	v_sub_u32_e32 v32, 32, v13
	v_cndmask_b32_e64 v27, v28, v25, s[0:1]
	v_alignbit_b32 v33, v29, v31, v32
	v_cmp_eq_u32_e64 s[4:5], 0, v13
	v_cndmask_b32_e64 v28, v30, v27, s[2:3]
	v_cndmask_b32_e64 v13, v33, v29, s[4:5]
	v_alignbit_b32 v29, v31, v28, v32
	v_cndmask_b32_e32 v24, v26, v24, vcc
	v_cndmask_b32_e64 v29, v29, v31, s[4:5]
	v_bfe_u32 v33, v13, 29, 1
	v_cndmask_b32_e64 v24, v25, v24, s[0:1]
	v_alignbit_b32 v30, v13, v29, 30
	v_sub_u32_e32 v34, 0, v33
	v_cndmask_b32_e64 v24, v27, v24, s[2:3]
	v_xor_b32_e32 v30, v30, v34
	v_alignbit_b32 v25, v28, v24, v32
	v_cndmask_b32_e64 v25, v25, v28, s[4:5]
	v_ffbh_u32_e32 v27, v30
	v_alignbit_b32 v26, v29, v25, 30
	v_min_u32_e32 v27, 32, v27
	v_alignbit_b32 v24, v25, v24, 30
	v_xor_b32_e32 v26, v26, v34
	v_sub_u32_e32 v28, 31, v27
	v_xor_b32_e32 v24, v24, v34
	v_alignbit_b32 v29, v30, v26, v28
	v_alignbit_b32 v24, v26, v24, v28
	;; [unrolled: 1-line block ×3, first 2 shown]
	v_ffbh_u32_e32 v26, v25
	v_min_u32_e32 v26, 32, v26
	v_lshrrev_b32_e32 v31, 29, v13
	v_not_b32_e32 v28, v26
	v_alignbit_b32 v24, v25, v24, v28
	v_lshlrev_b32_e32 v25, 31, v31
	v_or_b32_e32 v28, 0x33000000, v25
	v_add_lshl_u32 v26, v26, v27, 23
	v_lshrrev_b32_e32 v24, 9, v24
	v_sub_u32_e32 v26, v28, v26
	v_or_b32_e32 v25, 0.5, v25
	v_lshlrev_b32_e32 v27, 23, v27
	v_or_b32_e32 v24, v26, v24
	v_lshrrev_b32_e32 v26, 9, v29
	v_sub_u32_e32 v25, v25, v27
	v_or_b32_e32 v25, v26, v25
	v_mul_f32_e32 v26, 0x3fc90fda, v25
	v_fma_f32 v27, v25, s38, -v26
	v_fmac_f32_e32 v27, 0x33a22168, v25
	v_fmac_f32_e32 v27, 0x3fc90fda, v24
	v_lshrrev_b32_e32 v13, 30, v13
	v_add_f32_e32 v25, v26, v27
	v_add_u32_e32 v24, v33, v13
	s_andn2_saveexec_b64 s[0:1], s[14:15]
	s_cbranch_execnz .LBB254_428
	s_branch .LBB254_429
.LBB254_427:                            ;   in Loop: Header=BB254_233 Depth=1
	s_andn2_saveexec_b64 s[0:1], s[14:15]
.LBB254_428:                            ;   in Loop: Header=BB254_233 Depth=1
	v_mul_f32_e64 v13, |v5|, s39
	v_rndne_f32_e32 v13, v13
	v_cvt_i32_f32_e32 v24, v13
	v_fma_f32 v25, v13, s40, |v5|
	v_fmac_f32_e32 v25, 0xb3a22168, v13
	v_fmac_f32_e32 v25, 0xa7c234c4, v13
.LBB254_429:                            ;   in Loop: Header=BB254_233 Depth=1
	s_or_b64 exec, exec, s[0:1]
	v_mul_f32_e32 v13, v4, v4
	v_mov_b32_e32 v26, 0x3c0881c4
	v_fmac_f32_e32 v26, 0xb94c1982, v13
	v_fma_f32 v26, v13, v26, v17
	v_mul_f32_e32 v26, v13, v26
	v_fmac_f32_e32 v4, v4, v26
	v_mov_b32_e32 v26, 0xbab64f3b
	v_fmac_f32_e32 v26, 0x37d75334, v13
	v_fma_f32 v26, v13, v26, v18
	v_fma_f32 v26, v13, v26, v19
	v_fma_f32 v13, v13, v26, 1.0
	v_and_b32_e32 v26, 1, v3
	v_cmp_eq_u32_e32 vcc, 0, v26
	v_lshlrev_b32_e32 v3, 30, v3
	v_cndmask_b32_e64 v4, -v4, v13, vcc
	v_and_b32_e32 v3, 0x80000000, v3
	v_xor_b32_e32 v3, v3, v4
	v_cmp_class_f32_e64 vcc, v5, s44
	v_cndmask_b32_e32 v13, v23, v3, vcc
	v_mul_f32_e32 v3, v25, v25
	v_mov_b32_e32 v4, 0x3c0881c4
	v_fmac_f32_e32 v4, 0xb94c1982, v3
	v_fma_f32 v4, v3, v4, v17
	v_mul_f32_e32 v4, v3, v4
	v_fmac_f32_e32 v25, v25, v4
	v_mov_b32_e32 v4, 0xbab64f3b
	v_fmac_f32_e32 v4, 0x37d75334, v3
	v_fma_f32 v4, v3, v4, v18
	v_fma_f32 v4, v3, v4, v19
	v_fma_f32 v3, v3, v4, 1.0
	v_and_b32_e32 v4, 1, v24
	v_cmp_eq_u32_e64 s[0:1], 0, v4
	v_lshlrev_b32_e32 v4, 30, v24
	v_cndmask_b32_e64 v3, v3, v25, s[0:1]
	v_and_or_b32 v2, v4, s26, v2
	v_xor_b32_e32 v2, v2, v3
	v_xor_b32_e32 v2, v2, v12
	v_cndmask_b32_e32 v12, v23, v2, vcc
.LBB254_430:                            ;   in Loop: Header=BB254_233 Depth=1
	s_or_b64 exec, exec, s[12:13]
                                        ; implicit-def: $vgpr2_vgpr3_vgpr4_vgpr5
.LBB254_431:                            ;   in Loop: Header=BB254_233 Depth=1
	s_andn2_saveexec_b64 s[0:1], s[10:11]
	s_cbranch_execz .LBB254_433
; %bb.432:                              ;   in Loop: Header=BB254_233 Depth=1
	v_mul_f32_e32 v2, 0xbfb8aa3b, v4
	v_rndne_f32_e32 v3, v2
	v_sub_f32_e32 v5, v2, v3
	v_fma_f32 v2, v4, s41, -v2
	v_fmac_f32_e32 v2, 0xb2a5705f, v4
	v_add_f32_e32 v2, v5, v2
	v_cvt_i32_f32_e32 v3, v3
	v_exp_f32_e32 v2, v2
	v_cmp_nlt_f32_e32 vcc, s42, v4
	v_ldexp_f32 v2, v2, v3
	v_cndmask_b32_e32 v2, 0, v2, vcc
	v_cmp_ngt_f32_e32 vcc, s43, v4
	v_cndmask_b32_e32 v13, v22, v2, vcc
.LBB254_433:                            ;   in Loop: Header=BB254_233 Depth=1
	s_or_b64 exec, exec, s[0:1]
	v_add_f32_e32 v3, s16, v13
	v_add_f32_e32 v2, s17, v12
	v_cmp_gt_f32_e32 vcc, 0, v3
	v_cndmask_b32_e64 v4, v3, -v3, vcc
	v_cmp_gt_f32_e32 vcc, 0, v2
	v_cndmask_b32_e64 v5, v2, -v2, vcc
	v_cmp_ge_f32_e32 vcc, v4, v5
	s_and_saveexec_b64 s[0:1], vcc
	s_xor_b64 s[2:3], exec, s[0:1]
	s_cbranch_execz .LBB254_439
; %bb.434:                              ;   in Loop: Header=BB254_233 Depth=1
	v_cmp_neq_f32_e32 vcc, 0, v3
	v_cmp_neq_f32_e64 s[0:1], 0, v2
	s_or_b64 s[0:1], vcc, s[0:1]
	s_and_saveexec_b64 s[4:5], s[0:1]
	s_xor_b64 s[0:1], exec, s[4:5]
	s_cbranch_execz .LBB254_436
; %bb.435:                              ;   in Loop: Header=BB254_233 Depth=1
	v_div_scale_f32 v4, s[4:5], v3, v3, v2
	v_div_scale_f32 v5, vcc, v2, v3, v2
	v_rcp_f32_e32 v12, v4
	v_fma_f32 v13, -v4, v12, 1.0
	v_fmac_f32_e32 v12, v13, v12
	v_mul_f32_e32 v13, v5, v12
	v_fma_f32 v24, -v4, v13, v5
	v_fmac_f32_e32 v13, v24, v12
	v_fma_f32 v4, -v4, v13, v5
	v_div_fmas_f32 v4, v4, v12, v13
	v_div_fixup_f32 v4, v4, v3, v2
	v_fmac_f32_e32 v3, v2, v4
	v_div_scale_f32 v2, s[4:5], v3, v3, 1.0
	v_div_scale_f32 v5, vcc, 1.0, v3, 1.0
	v_rcp_f32_e32 v12, v2
	v_fma_f32 v13, -v2, v12, 1.0
	v_fmac_f32_e32 v12, v13, v12
	v_mul_f32_e32 v13, v5, v12
	v_fma_f32 v24, -v2, v13, v5
	v_fmac_f32_e32 v13, v24, v12
	v_fma_f32 v2, -v2, v13, v5
	v_div_fmas_f32 v2, v2, v12, v13
	v_mov_b32_e32 v5, s16
	v_mov_b32_e32 v12, s17
	v_fma_f32 v5, s17, v4, v5
	v_fma_f32 v4, -v4, s16, v12
	v_div_fixup_f32 v2, v2, v3, 1.0
	v_mul_f32_e32 v12, v5, v2
	v_mul_f32_e32 v13, v4, v2
                                        ; implicit-def: $vgpr4
                                        ; implicit-def: $vgpr5
.LBB254_436:                            ;   in Loop: Header=BB254_233 Depth=1
	s_andn2_saveexec_b64 s[4:5], s[0:1]
	s_cbranch_execz .LBB254_438
; %bb.437:                              ;   in Loop: Header=BB254_233 Depth=1
	v_div_scale_f32 v2, s[0:1], v4, v4, s16
	v_div_scale_f32 v3, s[0:1], v5, v5, s17
	v_div_scale_f32 v12, vcc, s16, v4, s16
	v_div_scale_f32 v13, s[0:1], s17, v5, s17
	v_rcp_f32_e32 v24, v2
	v_rcp_f32_e32 v25, v3
	v_fma_f32 v26, -v2, v24, 1.0
	v_fmac_f32_e32 v24, v26, v24
	v_fma_f32 v27, -v3, v25, 1.0
	v_fmac_f32_e32 v25, v27, v25
	v_mul_f32_e32 v26, v12, v24
	v_mul_f32_e32 v27, v13, v25
	v_fma_f32 v28, -v2, v26, v12
	v_fma_f32 v29, -v3, v27, v13
	v_fmac_f32_e32 v26, v28, v24
	v_fmac_f32_e32 v27, v29, v25
	v_fma_f32 v2, -v2, v26, v12
	v_fma_f32 v3, -v3, v27, v13
	v_div_fmas_f32 v2, v2, v24, v26
	s_mov_b64 vcc, s[0:1]
	v_div_fmas_f32 v3, v3, v25, v27
	v_div_fixup_f32 v12, v2, v4, s16
	v_div_fixup_f32 v13, v3, v5, s17
.LBB254_438:                            ;   in Loop: Header=BB254_233 Depth=1
	s_or_b64 exec, exec, s[4:5]
                                        ; implicit-def: $vgpr2
                                        ; implicit-def: $vgpr3
.LBB254_439:                            ;   in Loop: Header=BB254_233 Depth=1
	s_andn2_saveexec_b64 s[0:1], s[2:3]
	s_cbranch_execz .LBB254_232
; %bb.440:                              ;   in Loop: Header=BB254_233 Depth=1
	v_div_scale_f32 v4, s[2:3], v2, v2, v3
	v_div_scale_f32 v5, vcc, v3, v2, v3
	v_rcp_f32_e32 v12, v4
	v_fma_f32 v13, -v4, v12, 1.0
	v_fmac_f32_e32 v12, v13, v12
	v_mul_f32_e32 v13, v5, v12
	v_fma_f32 v24, -v4, v13, v5
	v_fmac_f32_e32 v13, v24, v12
	v_fma_f32 v4, -v4, v13, v5
	v_div_fmas_f32 v4, v4, v12, v13
	v_div_fixup_f32 v4, v4, v2, v3
	v_fmac_f32_e32 v2, v3, v4
	v_div_scale_f32 v3, s[2:3], v2, v2, 1.0
	v_div_scale_f32 v5, vcc, 1.0, v2, 1.0
	v_rcp_f32_e32 v12, v3
	v_fma_f32 v13, -v3, v12, 1.0
	v_fmac_f32_e32 v12, v13, v12
	v_mul_f32_e32 v13, v5, v12
	v_fma_f32 v24, -v3, v13, v5
	v_fmac_f32_e32 v13, v24, v12
	v_fma_f32 v3, -v3, v13, v5
	v_div_fmas_f32 v3, v3, v12, v13
	v_mov_b32_e32 v5, s17
	v_mov_b32_e32 v12, s16
	v_fma_f32 v5, s16, v4, v5
	v_fma_f32 v4, v4, s17, -v12
	v_div_fixup_f32 v2, v3, v2, 1.0
	v_mul_f32_e32 v12, v5, v2
	v_mul_f32_e32 v13, v4, v2
	s_branch .LBB254_232
.LBB254_441:
	s_endpgm
	.section	.rodata,"a",@progbits
	.p2align	6, 0x0
	.amdhsa_kernel _ZN2at6native12_GLOBAL__N_125multi_tensor_apply_kernelINS1_18TensorListMetadataILi1EEENS1_14UnaryOpFunctorIN3c107complexIfEELi1ELi1ELi0EEEJNS0_7SigmoidIS8_EEEEEvT_T0_DpT1_
		.amdhsa_group_segment_fixed_size 0
		.amdhsa_private_segment_fixed_size 0
		.amdhsa_kernarg_size 3640
		.amdhsa_user_sgpr_count 6
		.amdhsa_user_sgpr_private_segment_buffer 1
		.amdhsa_user_sgpr_dispatch_ptr 0
		.amdhsa_user_sgpr_queue_ptr 0
		.amdhsa_user_sgpr_kernarg_segment_ptr 1
		.amdhsa_user_sgpr_dispatch_id 0
		.amdhsa_user_sgpr_flat_scratch_init 0
		.amdhsa_user_sgpr_private_segment_size 0
		.amdhsa_uses_dynamic_stack 0
		.amdhsa_system_sgpr_private_segment_wavefront_offset 0
		.amdhsa_system_sgpr_workgroup_id_x 1
		.amdhsa_system_sgpr_workgroup_id_y 0
		.amdhsa_system_sgpr_workgroup_id_z 0
		.amdhsa_system_sgpr_workgroup_info 0
		.amdhsa_system_vgpr_workitem_id 0
		.amdhsa_next_free_vgpr 45
		.amdhsa_next_free_sgpr 68
		.amdhsa_reserve_vcc 1
		.amdhsa_reserve_flat_scratch 0
		.amdhsa_float_round_mode_32 0
		.amdhsa_float_round_mode_16_64 0
		.amdhsa_float_denorm_mode_32 3
		.amdhsa_float_denorm_mode_16_64 3
		.amdhsa_dx10_clamp 1
		.amdhsa_ieee_mode 1
		.amdhsa_fp16_overflow 0
		.amdhsa_exception_fp_ieee_invalid_op 0
		.amdhsa_exception_fp_denorm_src 0
		.amdhsa_exception_fp_ieee_div_zero 0
		.amdhsa_exception_fp_ieee_overflow 0
		.amdhsa_exception_fp_ieee_underflow 0
		.amdhsa_exception_fp_ieee_inexact 0
		.amdhsa_exception_int_div_zero 0
	.end_amdhsa_kernel
	.section	.text._ZN2at6native12_GLOBAL__N_125multi_tensor_apply_kernelINS1_18TensorListMetadataILi1EEENS1_14UnaryOpFunctorIN3c107complexIfEELi1ELi1ELi0EEEJNS0_7SigmoidIS8_EEEEEvT_T0_DpT1_,"axG",@progbits,_ZN2at6native12_GLOBAL__N_125multi_tensor_apply_kernelINS1_18TensorListMetadataILi1EEENS1_14UnaryOpFunctorIN3c107complexIfEELi1ELi1ELi0EEEJNS0_7SigmoidIS8_EEEEEvT_T0_DpT1_,comdat
.Lfunc_end254:
	.size	_ZN2at6native12_GLOBAL__N_125multi_tensor_apply_kernelINS1_18TensorListMetadataILi1EEENS1_14UnaryOpFunctorIN3c107complexIfEELi1ELi1ELi0EEEJNS0_7SigmoidIS8_EEEEEvT_T0_DpT1_, .Lfunc_end254-_ZN2at6native12_GLOBAL__N_125multi_tensor_apply_kernelINS1_18TensorListMetadataILi1EEENS1_14UnaryOpFunctorIN3c107complexIfEELi1ELi1ELi0EEEJNS0_7SigmoidIS8_EEEEEvT_T0_DpT1_
                                        ; -- End function
	.set _ZN2at6native12_GLOBAL__N_125multi_tensor_apply_kernelINS1_18TensorListMetadataILi1EEENS1_14UnaryOpFunctorIN3c107complexIfEELi1ELi1ELi0EEEJNS0_7SigmoidIS8_EEEEEvT_T0_DpT1_.num_vgpr, 45
	.set _ZN2at6native12_GLOBAL__N_125multi_tensor_apply_kernelINS1_18TensorListMetadataILi1EEENS1_14UnaryOpFunctorIN3c107complexIfEELi1ELi1ELi0EEEJNS0_7SigmoidIS8_EEEEEvT_T0_DpT1_.num_agpr, 0
	.set _ZN2at6native12_GLOBAL__N_125multi_tensor_apply_kernelINS1_18TensorListMetadataILi1EEENS1_14UnaryOpFunctorIN3c107complexIfEELi1ELi1ELi0EEEJNS0_7SigmoidIS8_EEEEEvT_T0_DpT1_.numbered_sgpr, 68
	.set _ZN2at6native12_GLOBAL__N_125multi_tensor_apply_kernelINS1_18TensorListMetadataILi1EEENS1_14UnaryOpFunctorIN3c107complexIfEELi1ELi1ELi0EEEJNS0_7SigmoidIS8_EEEEEvT_T0_DpT1_.num_named_barrier, 0
	.set _ZN2at6native12_GLOBAL__N_125multi_tensor_apply_kernelINS1_18TensorListMetadataILi1EEENS1_14UnaryOpFunctorIN3c107complexIfEELi1ELi1ELi0EEEJNS0_7SigmoidIS8_EEEEEvT_T0_DpT1_.private_seg_size, 0
	.set _ZN2at6native12_GLOBAL__N_125multi_tensor_apply_kernelINS1_18TensorListMetadataILi1EEENS1_14UnaryOpFunctorIN3c107complexIfEELi1ELi1ELi0EEEJNS0_7SigmoidIS8_EEEEEvT_T0_DpT1_.uses_vcc, 1
	.set _ZN2at6native12_GLOBAL__N_125multi_tensor_apply_kernelINS1_18TensorListMetadataILi1EEENS1_14UnaryOpFunctorIN3c107complexIfEELi1ELi1ELi0EEEJNS0_7SigmoidIS8_EEEEEvT_T0_DpT1_.uses_flat_scratch, 0
	.set _ZN2at6native12_GLOBAL__N_125multi_tensor_apply_kernelINS1_18TensorListMetadataILi1EEENS1_14UnaryOpFunctorIN3c107complexIfEELi1ELi1ELi0EEEJNS0_7SigmoidIS8_EEEEEvT_T0_DpT1_.has_dyn_sized_stack, 0
	.set _ZN2at6native12_GLOBAL__N_125multi_tensor_apply_kernelINS1_18TensorListMetadataILi1EEENS1_14UnaryOpFunctorIN3c107complexIfEELi1ELi1ELi0EEEJNS0_7SigmoidIS8_EEEEEvT_T0_DpT1_.has_recursion, 0
	.set _ZN2at6native12_GLOBAL__N_125multi_tensor_apply_kernelINS1_18TensorListMetadataILi1EEENS1_14UnaryOpFunctorIN3c107complexIfEELi1ELi1ELi0EEEJNS0_7SigmoidIS8_EEEEEvT_T0_DpT1_.has_indirect_call, 0
	.section	.AMDGPU.csdata,"",@progbits
; Kernel info:
; codeLenInByte = 44588
; TotalNumSgprs: 72
; NumVgprs: 45
; ScratchSize: 0
; MemoryBound: 1
; FloatMode: 240
; IeeeMode: 1
; LDSByteSize: 0 bytes/workgroup (compile time only)
; SGPRBlocks: 8
; VGPRBlocks: 11
; NumSGPRsForWavesPerEU: 72
; NumVGPRsForWavesPerEU: 45
; Occupancy: 5
; WaveLimiterHint : 0
; COMPUTE_PGM_RSRC2:SCRATCH_EN: 0
; COMPUTE_PGM_RSRC2:USER_SGPR: 6
; COMPUTE_PGM_RSRC2:TRAP_HANDLER: 0
; COMPUTE_PGM_RSRC2:TGID_X_EN: 1
; COMPUTE_PGM_RSRC2:TGID_Y_EN: 0
; COMPUTE_PGM_RSRC2:TGID_Z_EN: 0
; COMPUTE_PGM_RSRC2:TIDIG_COMP_CNT: 0
	.section	.text._ZN2at6native12_GLOBAL__N_125multi_tensor_apply_kernelINS1_18TensorListMetadataILi1EEENS1_14UnaryOpFunctorIN3c104HalfELi1ELi1ELi0EEEJNS0_7SigmoidIfEEEEEvT_T0_DpT1_,"axG",@progbits,_ZN2at6native12_GLOBAL__N_125multi_tensor_apply_kernelINS1_18TensorListMetadataILi1EEENS1_14UnaryOpFunctorIN3c104HalfELi1ELi1ELi0EEEJNS0_7SigmoidIfEEEEEvT_T0_DpT1_,comdat
	.globl	_ZN2at6native12_GLOBAL__N_125multi_tensor_apply_kernelINS1_18TensorListMetadataILi1EEENS1_14UnaryOpFunctorIN3c104HalfELi1ELi1ELi0EEEJNS0_7SigmoidIfEEEEEvT_T0_DpT1_ ; -- Begin function _ZN2at6native12_GLOBAL__N_125multi_tensor_apply_kernelINS1_18TensorListMetadataILi1EEENS1_14UnaryOpFunctorIN3c104HalfELi1ELi1ELi0EEEJNS0_7SigmoidIfEEEEEvT_T0_DpT1_
	.p2align	8
	.type	_ZN2at6native12_GLOBAL__N_125multi_tensor_apply_kernelINS1_18TensorListMetadataILi1EEENS1_14UnaryOpFunctorIN3c104HalfELi1ELi1ELi0EEEJNS0_7SigmoidIfEEEEEvT_T0_DpT1_,@function
_ZN2at6native12_GLOBAL__N_125multi_tensor_apply_kernelINS1_18TensorListMetadataILi1EEENS1_14UnaryOpFunctorIN3c104HalfELi1ELi1ELi0EEEJNS0_7SigmoidIfEEEEEvT_T0_DpT1_: ; @_ZN2at6native12_GLOBAL__N_125multi_tensor_apply_kernelINS1_18TensorListMetadataILi1EEENS1_14UnaryOpFunctorIN3c104HalfELi1ELi1ELi0EEEJNS0_7SigmoidIfEEEEEvT_T0_DpT1_
; %bb.0:
	v_mov_b32_e32 v1, s6
	global_load_ubyte v1, v1, s[4:5] offset:1760
	s_add_u32 s0, s4, s6
	s_mul_hi_u32 s1, s6, 3
	s_mul_i32 s6, s6, 3
	s_addc_u32 s2, s5, 0
	s_add_u32 s0, s0, s6
	s_addc_u32 s1, s2, s1
	s_load_dword s0, s[0:1], 0x820
	s_mov_b32 s7, 0
	s_waitcnt vmcnt(0)
	v_readfirstlane_b32 s1, v1
	s_lshl_b32 s1, s1, 3
	s_load_dword s24, s[4:5], 0xd2c
	s_load_dwordx2 s[2:3], s[4:5], s1 offset:0x370
	s_load_dwordx2 s[10:11], s[4:5], s1 offset:0x0
	s_waitcnt lgkmcnt(0)
	s_ashr_i32 s1, s0, 31
	s_lshl_b64 s[12:13], s[0:1], 17
	s_lshl_b64 s[0:1], s[0:1], 16
	s_and_b32 s6, s10, 7
	s_sub_u32 s14, s2, s0
	s_subb_u32 s15, s3, s1
	s_and_b32 s0, s2, 3
	s_mov_b32 s1, s7
	s_or_b64 s[0:1], s[6:7], s[0:1]
	s_cmp_eq_u64 s[0:1], 0
	s_cbranch_scc1 .LBB255_21
; %bb.1:
	v_cmp_lt_i64_e64 s[0:1], s[14:15], 1
	s_and_b64 vcc, exec, s[0:1]
	s_cbranch_vccnz .LBB255_20
; %bb.2:
	v_mov_b32_e32 v1, 0x10000
	s_load_dword s2, s[4:5], 0xd3c
	v_mov_b32_e32 v2, 0
	v_cmp_lt_i64_e32 vcc, s[14:15], v[1:2]
	s_mov_b64 s[20:21], 0
	s_and_b64 s[0:1], vcc, exec
	v_cmp_lt_u64_e32 vcc, s[14:15], v[1:2]
	s_cselect_b32 s17, s15, 0
	s_cselect_b32 s16, s14, 0x10000
	s_waitcnt lgkmcnt(0)
	s_and_b32 s2, s2, 0xffff
	s_and_b64 s[0:1], vcc, exec
	s_cselect_b32 s19, s15, 0
	s_cselect_b32 s18, s14, 0x10000
	s_lshl_b32 s3, s2, 1
	s_lshl_b32 s25, s2, 2
	s_add_u32 s6, s10, s12
	v_lshlrev_b32_e32 v1, 1, v0
	s_addc_u32 s7, s11, s13
	v_mov_b32_e32 v2, s7
	v_add_co_u32_e32 v1, vcc, s6, v1
	s_mul_i32 s0, s2, 3
	v_addc_co_u32_e32 v2, vcc, 0, v2, vcc
	v_add_co_u32_e32 v5, vcc, s0, v0
	v_addc_co_u32_e64 v6, s[0:1], 0, 0, vcc
	v_add_co_u32_e32 v7, vcc, s3, v0
	v_addc_co_u32_e64 v8, s[0:1], 0, 0, vcc
	v_add_co_u32_e32 v9, vcc, s2, v0
	v_lshlrev_b32_e32 v3, 1, v9
	v_addc_co_u32_e64 v10, s[0:1], 0, 0, vcc
	v_mov_b32_e32 v4, s7
	v_add_co_u32_e32 v3, vcc, s6, v3
	s_lshl_b32 s26, s2, 3
	s_mul_i32 s27, s2, 6
	v_addc_co_u32_e32 v4, vcc, 0, v4, vcc
	s_mov_b32 s28, 0xbfb8aa3b
	s_mov_b32 s29, 0x42ce8ed0
	;; [unrolled: 1-line block ×3, first 2 shown]
	v_mov_b32_e32 v11, 0x7f800000
	s_branch .LBB255_4
.LBB255_3:                              ;   in Loop: Header=BB255_4 Depth=1
	s_or_b64 exec, exec, s[2:3]
	s_add_u32 s20, s20, s25
	v_add_co_u32_e32 v1, vcc, s26, v1
	v_mov_b32_e32 v12, s16
	s_addc_u32 s21, s21, 0
	v_addc_co_u32_e32 v2, vcc, 0, v2, vcc
	v_mov_b32_e32 v13, s17
	v_cmp_lt_i64_e32 vcc, s[20:21], v[12:13]
	v_add_co_u32_e64 v3, s[0:1], s26, v3
	v_addc_co_u32_e64 v4, s[0:1], 0, v4, s[0:1]
	s_cbranch_vccz .LBB255_20
.LBB255_4:                              ; =>This Inner Loop Header: Depth=1
	v_mov_b32_e32 v13, s21
	v_add_co_u32_e32 v12, vcc, s20, v0
	v_addc_co_u32_e32 v13, vcc, 0, v13, vcc
	v_cmp_gt_u64_e32 vcc, s[18:19], v[12:13]
	v_mov_b32_e32 v15, 0
	s_and_saveexec_b64 s[0:1], vcc
	s_cbranch_execz .LBB255_6
; %bb.5:                                ;   in Loop: Header=BB255_4 Depth=1
	global_load_ushort v12, v[1:2], off
	s_waitcnt vmcnt(0)
	v_cvt_f32_f16_e32 v15, v12
.LBB255_6:                              ;   in Loop: Header=BB255_4 Depth=1
	s_or_b64 exec, exec, s[0:1]
	v_mov_b32_e32 v13, s21
	v_add_co_u32_e64 v12, s[0:1], s20, v9
	v_addc_co_u32_e64 v13, s[0:1], v10, v13, s[0:1]
	v_cmp_gt_u64_e64 s[6:7], s[18:19], v[12:13]
	v_mov_b32_e32 v13, 0
	v_mov_b32_e32 v14, 0
	s_and_saveexec_b64 s[0:1], s[6:7]
	s_cbranch_execz .LBB255_8
; %bb.7:                                ;   in Loop: Header=BB255_4 Depth=1
	global_load_ushort v12, v[3:4], off
	s_waitcnt vmcnt(0)
	v_cvt_f32_f16_e32 v14, v12
.LBB255_8:                              ;   in Loop: Header=BB255_4 Depth=1
	s_or_b64 exec, exec, s[0:1]
	v_mov_b32_e32 v12, s21
	v_add_co_u32_e64 v16, s[0:1], s20, v7
	v_addc_co_u32_e64 v17, s[0:1], v8, v12, s[0:1]
	v_cmp_gt_u64_e64 s[2:3], s[18:19], v[16:17]
	s_and_saveexec_b64 s[8:9], s[2:3]
	s_cbranch_execz .LBB255_10
; %bb.9:                                ;   in Loop: Header=BB255_4 Depth=1
	v_add_co_u32_e64 v12, s[0:1], s25, v1
	v_addc_co_u32_e64 v13, s[0:1], 0, v2, s[0:1]
	global_load_ushort v12, v[12:13], off
	s_waitcnt vmcnt(0)
	v_cvt_f32_f16_e32 v13, v12
.LBB255_10:                             ;   in Loop: Header=BB255_4 Depth=1
	s_or_b64 exec, exec, s[8:9]
	v_mov_b32_e32 v12, s21
	v_add_co_u32_e64 v16, s[0:1], s20, v5
	v_addc_co_u32_e64 v17, s[0:1], v6, v12, s[0:1]
	v_cmp_gt_u64_e64 s[0:1], s[18:19], v[16:17]
	v_mov_b32_e32 v12, 0
	s_and_saveexec_b64 s[22:23], s[0:1]
	s_cbranch_execnz .LBB255_15
; %bb.11:                               ;   in Loop: Header=BB255_4 Depth=1
	s_or_b64 exec, exec, s[22:23]
	s_and_saveexec_b64 s[8:9], vcc
	s_cbranch_execnz .LBB255_16
.LBB255_12:                             ;   in Loop: Header=BB255_4 Depth=1
	s_or_b64 exec, exec, s[8:9]
	s_and_saveexec_b64 s[8:9], s[6:7]
	s_cbranch_execnz .LBB255_17
.LBB255_13:                             ;   in Loop: Header=BB255_4 Depth=1
	s_or_b64 exec, exec, s[8:9]
	s_and_saveexec_b64 s[6:7], s[2:3]
	s_cbranch_execnz .LBB255_18
.LBB255_14:                             ;   in Loop: Header=BB255_4 Depth=1
	s_or_b64 exec, exec, s[6:7]
	s_and_saveexec_b64 s[2:3], s[0:1]
	s_cbranch_execz .LBB255_3
	s_branch .LBB255_19
.LBB255_15:                             ;   in Loop: Header=BB255_4 Depth=1
	v_add_co_u32_e64 v16, s[8:9], s27, v1
	v_addc_co_u32_e64 v17, s[8:9], 0, v2, s[8:9]
	global_load_ushort v12, v[16:17], off
	s_waitcnt vmcnt(0)
	v_cvt_f32_f16_e32 v12, v12
	s_or_b64 exec, exec, s[22:23]
	s_and_saveexec_b64 s[8:9], vcc
	s_cbranch_execz .LBB255_12
.LBB255_16:                             ;   in Loop: Header=BB255_4 Depth=1
	v_mul_f32_e32 v16, 0xbfb8aa3b, v15
	v_rndne_f32_e32 v17, v16
	v_sub_f32_e32 v18, v16, v17
	v_fma_f32 v16, v15, s28, -v16
	v_fmac_f32_e32 v16, 0xb2a5705f, v15
	v_add_f32_e32 v16, v18, v16
	v_cvt_i32_f32_e32 v17, v17
	v_exp_f32_e32 v16, v16
	v_cmp_nlt_f32_e32 vcc, s29, v15
	v_ldexp_f32 v16, v16, v17
	v_cndmask_b32_e32 v16, 0, v16, vcc
	v_cmp_ngt_f32_e32 vcc, s30, v15
	v_cndmask_b32_e32 v15, v11, v16, vcc
	v_add_f32_e32 v15, s24, v15
	v_div_scale_f32 v16, s[22:23], v15, v15, s24
	v_div_scale_f32 v17, vcc, s24, v15, s24
	v_rcp_f32_e32 v18, v16
	v_fma_f32 v19, -v16, v18, 1.0
	v_fmac_f32_e32 v18, v19, v18
	v_mul_f32_e32 v19, v17, v18
	v_fma_f32 v20, -v16, v19, v17
	v_fmac_f32_e32 v19, v20, v18
	v_fma_f32 v16, -v16, v19, v17
	v_div_fmas_f32 v16, v16, v18, v19
	v_div_fixup_f32 v15, v16, v15, s24
	v_cvt_f16_f32_e32 v15, v15
	global_store_short v[1:2], v15, off
	s_or_b64 exec, exec, s[8:9]
	s_and_saveexec_b64 s[8:9], s[6:7]
	s_cbranch_execz .LBB255_13
.LBB255_17:                             ;   in Loop: Header=BB255_4 Depth=1
	v_mul_f32_e32 v15, 0xbfb8aa3b, v14
	v_rndne_f32_e32 v16, v15
	v_sub_f32_e32 v17, v15, v16
	v_fma_f32 v15, v14, s28, -v15
	v_fmac_f32_e32 v15, 0xb2a5705f, v14
	v_add_f32_e32 v15, v17, v15
	v_cvt_i32_f32_e32 v16, v16
	v_exp_f32_e32 v15, v15
	v_cmp_nlt_f32_e32 vcc, s29, v14
	v_ldexp_f32 v15, v15, v16
	v_cndmask_b32_e32 v15, 0, v15, vcc
	v_cmp_ngt_f32_e32 vcc, s30, v14
	v_cndmask_b32_e32 v14, v11, v15, vcc
	v_add_f32_e32 v14, s24, v14
	v_div_scale_f32 v15, s[6:7], v14, v14, s24
	v_div_scale_f32 v16, vcc, s24, v14, s24
	v_rcp_f32_e32 v17, v15
	v_fma_f32 v18, -v15, v17, 1.0
	v_fmac_f32_e32 v17, v18, v17
	v_mul_f32_e32 v18, v16, v17
	v_fma_f32 v19, -v15, v18, v16
	v_fmac_f32_e32 v18, v19, v17
	v_fma_f32 v15, -v15, v18, v16
	v_div_fmas_f32 v15, v15, v17, v18
	v_div_fixup_f32 v14, v15, v14, s24
	v_cvt_f16_f32_e32 v14, v14
	global_store_short v[3:4], v14, off
	s_or_b64 exec, exec, s[8:9]
	s_and_saveexec_b64 s[6:7], s[2:3]
	s_cbranch_execz .LBB255_14
.LBB255_18:                             ;   in Loop: Header=BB255_4 Depth=1
	v_mul_f32_e32 v14, 0xbfb8aa3b, v13
	v_rndne_f32_e32 v15, v14
	v_sub_f32_e32 v16, v14, v15
	v_fma_f32 v14, v13, s28, -v14
	v_fmac_f32_e32 v14, 0xb2a5705f, v13
	v_add_f32_e32 v14, v16, v14
	v_cvt_i32_f32_e32 v15, v15
	v_exp_f32_e32 v14, v14
	v_cmp_nlt_f32_e32 vcc, s29, v13
	v_ldexp_f32 v14, v14, v15
	v_cndmask_b32_e32 v14, 0, v14, vcc
	v_cmp_ngt_f32_e32 vcc, s30, v13
	v_cndmask_b32_e32 v13, v11, v14, vcc
	v_add_f32_e32 v13, s24, v13
	v_div_scale_f32 v14, s[2:3], v13, v13, s24
	v_div_scale_f32 v15, vcc, s24, v13, s24
	v_rcp_f32_e32 v16, v14
	v_fma_f32 v17, -v14, v16, 1.0
	v_fmac_f32_e32 v16, v17, v16
	v_mul_f32_e32 v17, v15, v16
	v_fma_f32 v18, -v14, v17, v15
	v_fmac_f32_e32 v17, v18, v16
	v_fma_f32 v14, -v14, v17, v15
	v_div_fmas_f32 v14, v14, v16, v17
	v_div_fixup_f32 v13, v14, v13, s24
	v_cvt_f16_f32_e32 v15, v13
	v_add_co_u32_e32 v13, vcc, s25, v1
	v_addc_co_u32_e32 v14, vcc, 0, v2, vcc
	global_store_short v[13:14], v15, off
	s_or_b64 exec, exec, s[6:7]
	s_and_saveexec_b64 s[2:3], s[0:1]
	s_cbranch_execz .LBB255_3
.LBB255_19:                             ;   in Loop: Header=BB255_4 Depth=1
	v_mul_f32_e32 v13, 0xbfb8aa3b, v12
	v_rndne_f32_e32 v14, v13
	v_sub_f32_e32 v15, v13, v14
	v_fma_f32 v13, v12, s28, -v13
	v_fmac_f32_e32 v13, 0xb2a5705f, v12
	v_add_f32_e32 v13, v15, v13
	v_cvt_i32_f32_e32 v14, v14
	v_exp_f32_e32 v13, v13
	v_cmp_nlt_f32_e32 vcc, s29, v12
	v_ldexp_f32 v13, v13, v14
	v_cndmask_b32_e32 v13, 0, v13, vcc
	v_cmp_ngt_f32_e32 vcc, s30, v12
	v_cndmask_b32_e32 v12, v11, v13, vcc
	v_add_f32_e32 v12, s24, v12
	v_div_scale_f32 v13, s[0:1], v12, v12, s24
	v_div_scale_f32 v14, vcc, s24, v12, s24
	v_rcp_f32_e32 v15, v13
	v_fma_f32 v16, -v13, v15, 1.0
	v_fmac_f32_e32 v15, v16, v15
	v_mul_f32_e32 v16, v14, v15
	v_fma_f32 v17, -v13, v16, v14
	v_fmac_f32_e32 v16, v17, v15
	v_fma_f32 v13, -v13, v16, v14
	v_div_fmas_f32 v13, v13, v15, v16
	v_div_fixup_f32 v12, v13, v12, s24
	v_cvt_f16_f32_e32 v14, v12
	v_add_co_u32_e32 v12, vcc, s27, v1
	v_addc_co_u32_e32 v13, vcc, 0, v2, vcc
	global_store_short v[12:13], v14, off
	s_branch .LBB255_3
.LBB255_20:
	s_cbranch_execz .LBB255_22
	s_branch .LBB255_25
.LBB255_21:
.LBB255_22:
	v_mov_b32_e32 v1, 0x10000
	v_mov_b32_e32 v2, 0
	v_cmp_lt_i64_e32 vcc, s[14:15], v[1:2]
	v_mov_b32_e32 v2, 0
	s_and_b64 s[0:1], vcc, exec
	s_cselect_b32 s7, s15, 0
	s_cselect_b32 s6, s14, 0x10000
	v_lshlrev_b32_e32 v1, 2, v0
	v_cmp_gt_i64_e32 vcc, s[6:7], v[1:2]
	s_and_saveexec_b64 s[0:1], vcc
	s_cbranch_execz .LBB255_25
; %bb.23:
	s_load_dword s0, s[4:5], 0xd3c
	v_mov_b32_e32 v1, v2
	v_lshlrev_b32_e32 v2, 3, v0
	s_mov_b64 s[8:9], 0
	s_mov_b32 s15, 0x42b17218
	s_waitcnt lgkmcnt(0)
	s_and_b32 s14, s0, 0xffff
	s_add_u32 s0, s10, s12
	s_addc_u32 s1, s11, s13
	v_mov_b32_e32 v3, s1
	v_add_co_u32_e32 v2, vcc, s0, v2
	v_addc_co_u32_e32 v3, vcc, 0, v3, vcc
	v_add_co_u32_e32 v2, vcc, 4, v2
	v_addc_co_u32_e32 v3, vcc, 0, v3, vcc
	s_lshl_b32 s10, s14, 3
	s_mov_b32 s11, 0x3fb8aa3b
	s_mov_b32 s12, 0x32a5705f
	;; [unrolled: 1-line block ×3, first 2 shown]
	v_mov_b32_e32 v4, 0x7f800000
.LBB255_24:                             ; =>This Inner Loop Header: Depth=1
	global_load_dwordx2 v[5:6], v[2:3], off offset:-4
	s_waitcnt vmcnt(0)
	v_cvt_f32_f16_e64 v7, -v5
	v_cvt_f32_f16_sdwa v8, -v5 dst_sel:DWORD dst_unused:UNUSED_PAD src0_sel:WORD_1
	v_cvt_f32_f16_e64 v9, -v6
	v_cvt_f32_f16_sdwa v10, -v6 dst_sel:DWORD dst_unused:UNUSED_PAD src0_sel:WORD_1
	v_mul_f32_e32 v11, 0x3fb8aa3b, v7
	v_mul_f32_e32 v12, 0x3fb8aa3b, v8
	;; [unrolled: 1-line block ×4, first 2 shown]
	v_rndne_f32_e32 v15, v11
	v_fma_mix_f32 v16, -v5, s11, -v11 op_sel_hi:[1,0,0]
	v_fma_mix_f32 v17, -v5, s11, -v12 op_sel:[1,0,0] op_sel_hi:[1,0,0]
	v_fma_mix_f32 v18, -v6, s11, -v13 op_sel_hi:[1,0,0]
	v_fma_mix_f32 v19, -v6, s11, -v14 op_sel:[1,0,0] op_sel_hi:[1,0,0]
	v_fma_mix_f32 v16, -v5, s12, v16 op_sel_hi:[1,0,0]
	v_fma_mix_f32 v5, -v5, s12, v17 op_sel:[1,0,0] op_sel_hi:[1,0,0]
	v_fma_mix_f32 v17, -v6, s12, v18 op_sel_hi:[1,0,0]
	v_rndne_f32_e32 v18, v12
	v_sub_f32_e32 v11, v11, v15
	v_fma_mix_f32 v6, -v6, s12, v19 op_sel:[1,0,0] op_sel_hi:[1,0,0]
	v_rndne_f32_e32 v19, v13
	v_add_f32_e32 v11, v11, v16
	v_sub_f32_e32 v12, v12, v18
	v_rndne_f32_e32 v16, v14
	v_cvt_i32_f32_e32 v15, v15
	v_sub_f32_e32 v13, v13, v19
	v_add_f32_e32 v5, v12, v5
	v_exp_f32_e32 v11, v11
	v_cvt_i32_f32_e32 v18, v18
	v_sub_f32_e32 v14, v14, v16
	v_add_f32_e32 v12, v13, v17
	v_exp_f32_e32 v5, v5
	v_cvt_i32_f32_e32 v19, v19
	v_add_f32_e32 v6, v14, v6
	v_exp_f32_e32 v12, v12
	v_cvt_i32_f32_e32 v16, v16
	v_exp_f32_e32 v6, v6
	v_ldexp_f32 v11, v11, v15
	v_cmp_ngt_f32_e32 vcc, s13, v7
	v_ldexp_f32 v5, v5, v18
	v_cndmask_b32_e32 v11, 0, v11, vcc
	v_cmp_ngt_f32_e32 vcc, s13, v8
	v_ldexp_f32 v12, v12, v19
	v_cndmask_b32_e32 v5, 0, v5, vcc
	;; [unrolled: 3-line block ×3, first 2 shown]
	v_cmp_ngt_f32_e32 vcc, s13, v10
	v_cndmask_b32_e32 v6, 0, v6, vcc
	v_cmp_nlt_f32_e32 vcc, s15, v7
	v_cndmask_b32_e32 v7, v4, v11, vcc
	v_cmp_nlt_f32_e32 vcc, s15, v8
	;; [unrolled: 2-line block ×4, first 2 shown]
	v_add_f32_e32 v7, s24, v7
	v_cndmask_b32_e32 v6, v4, v6, vcc
	v_add_f32_e32 v9, s24, v5
	v_add_f32_e32 v8, s24, v8
	v_div_scale_f32 v5, s[0:1], v7, v7, s24
	v_add_f32_e32 v10, s24, v6
	v_div_scale_f32 v6, s[0:1], v9, v9, s24
	v_div_scale_f32 v11, s[0:1], v8, v8, s24
	v_div_scale_f32 v12, s[0:1], v10, v10, s24
	v_div_scale_f32 v13, vcc, s24, v7, s24
	v_rcp_f32_e32 v14, v5
	v_rcp_f32_e32 v15, v6
	v_fma_f32 v18, -v5, v14, 1.0
	v_rcp_f32_e32 v16, v11
	v_fmac_f32_e32 v14, v18, v14
	v_rcp_f32_e32 v17, v12
	v_fma_f32 v19, -v6, v15, 1.0
	v_fma_f32 v18, -v11, v16, 1.0
	v_fmac_f32_e32 v15, v19, v15
	v_fma_f32 v19, -v12, v17, 1.0
	v_fmac_f32_e32 v16, v18, v16
	v_mul_f32_e32 v18, v13, v14
	v_fmac_f32_e32 v17, v19, v17
	v_fma_f32 v19, -v5, v18, v13
	v_fmac_f32_e32 v18, v19, v14
	v_div_scale_f32 v19, s[0:1], s24, v9, s24
	v_fma_f32 v5, -v5, v18, v13
	v_div_scale_f32 v13, s[2:3], s24, v8, s24
	v_div_fmas_f32 v14, v5, v14, v18
	s_mov_b64 vcc, s[0:1]
	v_mul_f32_e32 v5, v19, v15
	v_fma_f32 v18, -v6, v5, v19
	v_fmac_f32_e32 v5, v18, v15
	v_mul_f32_e32 v18, v13, v16
	v_fma_f32 v20, -v11, v18, v13
	v_fmac_f32_e32 v18, v20, v16
	v_div_scale_f32 v20, s[4:5], s24, v10, s24
	v_fma_f32 v6, -v6, v5, v19
	v_fma_f32 v11, -v11, v18, v13
	v_div_fmas_f32 v13, v6, v15, v5
	s_mov_b64 vcc, s[2:3]
	v_div_fmas_f32 v11, v11, v16, v18
	s_mov_b64 vcc, s[4:5]
	v_mul_f32_e32 v21, v20, v17
	v_fma_f32 v22, -v12, v21, v20
	v_fmac_f32_e32 v21, v22, v17
	v_fma_f32 v12, -v12, v21, v20
	v_div_fmas_f32 v12, v12, v17, v21
	v_add_co_u32_e32 v0, vcc, s14, v0
	v_addc_co_u32_e32 v1, vcc, 0, v1, vcc
	v_lshlrev_b64 v[5:6], 2, v[0:1]
	v_cmp_le_i64_e32 vcc, s[6:7], v[5:6]
	v_div_fixup_f32 v5, v14, v7, s24
	v_div_fixup_f32 v6, v13, v9, s24
	;; [unrolled: 1-line block ×3, first 2 shown]
	v_cvt_f16_f32_e32 v5, v5
	v_cvt_f16_f32_e32 v6, v6
	;; [unrolled: 1-line block ×3, first 2 shown]
	s_or_b64 s[8:9], vcc, s[8:9]
	v_div_fixup_f32 v8, v12, v10, s24
	v_cvt_f16_f32_e32 v8, v8
	v_pack_b32_f16 v5, v5, v6
	v_pack_b32_f16 v6, v7, v8
	global_store_dwordx2 v[2:3], v[5:6], off offset:-4
	v_add_co_u32_e32 v2, vcc, s10, v2
	v_addc_co_u32_e32 v3, vcc, 0, v3, vcc
	s_andn2_b64 exec, exec, s[8:9]
	s_cbranch_execnz .LBB255_24
.LBB255_25:
	s_endpgm
	.section	.rodata,"a",@progbits
	.p2align	6, 0x0
	.amdhsa_kernel _ZN2at6native12_GLOBAL__N_125multi_tensor_apply_kernelINS1_18TensorListMetadataILi1EEENS1_14UnaryOpFunctorIN3c104HalfELi1ELi1ELi0EEEJNS0_7SigmoidIfEEEEEvT_T0_DpT1_
		.amdhsa_group_segment_fixed_size 0
		.amdhsa_private_segment_fixed_size 0
		.amdhsa_kernarg_size 3632
		.amdhsa_user_sgpr_count 6
		.amdhsa_user_sgpr_private_segment_buffer 1
		.amdhsa_user_sgpr_dispatch_ptr 0
		.amdhsa_user_sgpr_queue_ptr 0
		.amdhsa_user_sgpr_kernarg_segment_ptr 1
		.amdhsa_user_sgpr_dispatch_id 0
		.amdhsa_user_sgpr_flat_scratch_init 0
		.amdhsa_user_sgpr_private_segment_size 0
		.amdhsa_uses_dynamic_stack 0
		.amdhsa_system_sgpr_private_segment_wavefront_offset 0
		.amdhsa_system_sgpr_workgroup_id_x 1
		.amdhsa_system_sgpr_workgroup_id_y 0
		.amdhsa_system_sgpr_workgroup_id_z 0
		.amdhsa_system_sgpr_workgroup_info 0
		.amdhsa_system_vgpr_workitem_id 0
		.amdhsa_next_free_vgpr 23
		.amdhsa_next_free_sgpr 31
		.amdhsa_reserve_vcc 1
		.amdhsa_reserve_flat_scratch 0
		.amdhsa_float_round_mode_32 0
		.amdhsa_float_round_mode_16_64 0
		.amdhsa_float_denorm_mode_32 3
		.amdhsa_float_denorm_mode_16_64 3
		.amdhsa_dx10_clamp 1
		.amdhsa_ieee_mode 1
		.amdhsa_fp16_overflow 0
		.amdhsa_exception_fp_ieee_invalid_op 0
		.amdhsa_exception_fp_denorm_src 0
		.amdhsa_exception_fp_ieee_div_zero 0
		.amdhsa_exception_fp_ieee_overflow 0
		.amdhsa_exception_fp_ieee_underflow 0
		.amdhsa_exception_fp_ieee_inexact 0
		.amdhsa_exception_int_div_zero 0
	.end_amdhsa_kernel
	.section	.text._ZN2at6native12_GLOBAL__N_125multi_tensor_apply_kernelINS1_18TensorListMetadataILi1EEENS1_14UnaryOpFunctorIN3c104HalfELi1ELi1ELi0EEEJNS0_7SigmoidIfEEEEEvT_T0_DpT1_,"axG",@progbits,_ZN2at6native12_GLOBAL__N_125multi_tensor_apply_kernelINS1_18TensorListMetadataILi1EEENS1_14UnaryOpFunctorIN3c104HalfELi1ELi1ELi0EEEJNS0_7SigmoidIfEEEEEvT_T0_DpT1_,comdat
.Lfunc_end255:
	.size	_ZN2at6native12_GLOBAL__N_125multi_tensor_apply_kernelINS1_18TensorListMetadataILi1EEENS1_14UnaryOpFunctorIN3c104HalfELi1ELi1ELi0EEEJNS0_7SigmoidIfEEEEEvT_T0_DpT1_, .Lfunc_end255-_ZN2at6native12_GLOBAL__N_125multi_tensor_apply_kernelINS1_18TensorListMetadataILi1EEENS1_14UnaryOpFunctorIN3c104HalfELi1ELi1ELi0EEEJNS0_7SigmoidIfEEEEEvT_T0_DpT1_
                                        ; -- End function
	.set _ZN2at6native12_GLOBAL__N_125multi_tensor_apply_kernelINS1_18TensorListMetadataILi1EEENS1_14UnaryOpFunctorIN3c104HalfELi1ELi1ELi0EEEJNS0_7SigmoidIfEEEEEvT_T0_DpT1_.num_vgpr, 23
	.set _ZN2at6native12_GLOBAL__N_125multi_tensor_apply_kernelINS1_18TensorListMetadataILi1EEENS1_14UnaryOpFunctorIN3c104HalfELi1ELi1ELi0EEEJNS0_7SigmoidIfEEEEEvT_T0_DpT1_.num_agpr, 0
	.set _ZN2at6native12_GLOBAL__N_125multi_tensor_apply_kernelINS1_18TensorListMetadataILi1EEENS1_14UnaryOpFunctorIN3c104HalfELi1ELi1ELi0EEEJNS0_7SigmoidIfEEEEEvT_T0_DpT1_.numbered_sgpr, 31
	.set _ZN2at6native12_GLOBAL__N_125multi_tensor_apply_kernelINS1_18TensorListMetadataILi1EEENS1_14UnaryOpFunctorIN3c104HalfELi1ELi1ELi0EEEJNS0_7SigmoidIfEEEEEvT_T0_DpT1_.num_named_barrier, 0
	.set _ZN2at6native12_GLOBAL__N_125multi_tensor_apply_kernelINS1_18TensorListMetadataILi1EEENS1_14UnaryOpFunctorIN3c104HalfELi1ELi1ELi0EEEJNS0_7SigmoidIfEEEEEvT_T0_DpT1_.private_seg_size, 0
	.set _ZN2at6native12_GLOBAL__N_125multi_tensor_apply_kernelINS1_18TensorListMetadataILi1EEENS1_14UnaryOpFunctorIN3c104HalfELi1ELi1ELi0EEEJNS0_7SigmoidIfEEEEEvT_T0_DpT1_.uses_vcc, 1
	.set _ZN2at6native12_GLOBAL__N_125multi_tensor_apply_kernelINS1_18TensorListMetadataILi1EEENS1_14UnaryOpFunctorIN3c104HalfELi1ELi1ELi0EEEJNS0_7SigmoidIfEEEEEvT_T0_DpT1_.uses_flat_scratch, 0
	.set _ZN2at6native12_GLOBAL__N_125multi_tensor_apply_kernelINS1_18TensorListMetadataILi1EEENS1_14UnaryOpFunctorIN3c104HalfELi1ELi1ELi0EEEJNS0_7SigmoidIfEEEEEvT_T0_DpT1_.has_dyn_sized_stack, 0
	.set _ZN2at6native12_GLOBAL__N_125multi_tensor_apply_kernelINS1_18TensorListMetadataILi1EEENS1_14UnaryOpFunctorIN3c104HalfELi1ELi1ELi0EEEJNS0_7SigmoidIfEEEEEvT_T0_DpT1_.has_recursion, 0
	.set _ZN2at6native12_GLOBAL__N_125multi_tensor_apply_kernelINS1_18TensorListMetadataILi1EEENS1_14UnaryOpFunctorIN3c104HalfELi1ELi1ELi0EEEJNS0_7SigmoidIfEEEEEvT_T0_DpT1_.has_indirect_call, 0
	.section	.AMDGPU.csdata,"",@progbits
; Kernel info:
; codeLenInByte = 2288
; TotalNumSgprs: 35
; NumVgprs: 23
; ScratchSize: 0
; MemoryBound: 0
; FloatMode: 240
; IeeeMode: 1
; LDSByteSize: 0 bytes/workgroup (compile time only)
; SGPRBlocks: 4
; VGPRBlocks: 5
; NumSGPRsForWavesPerEU: 35
; NumVGPRsForWavesPerEU: 23
; Occupancy: 10
; WaveLimiterHint : 0
; COMPUTE_PGM_RSRC2:SCRATCH_EN: 0
; COMPUTE_PGM_RSRC2:USER_SGPR: 6
; COMPUTE_PGM_RSRC2:TRAP_HANDLER: 0
; COMPUTE_PGM_RSRC2:TGID_X_EN: 1
; COMPUTE_PGM_RSRC2:TGID_Y_EN: 0
; COMPUTE_PGM_RSRC2:TGID_Z_EN: 0
; COMPUTE_PGM_RSRC2:TIDIG_COMP_CNT: 0
	.section	.text._ZN2at6native12_GLOBAL__N_125multi_tensor_apply_kernelINS1_18TensorListMetadataILi1EEENS1_14UnaryOpFunctorIN3c108BFloat16ELi1ELi1ELi0EEEJNS0_7SigmoidIfEEEEEvT_T0_DpT1_,"axG",@progbits,_ZN2at6native12_GLOBAL__N_125multi_tensor_apply_kernelINS1_18TensorListMetadataILi1EEENS1_14UnaryOpFunctorIN3c108BFloat16ELi1ELi1ELi0EEEJNS0_7SigmoidIfEEEEEvT_T0_DpT1_,comdat
	.globl	_ZN2at6native12_GLOBAL__N_125multi_tensor_apply_kernelINS1_18TensorListMetadataILi1EEENS1_14UnaryOpFunctorIN3c108BFloat16ELi1ELi1ELi0EEEJNS0_7SigmoidIfEEEEEvT_T0_DpT1_ ; -- Begin function _ZN2at6native12_GLOBAL__N_125multi_tensor_apply_kernelINS1_18TensorListMetadataILi1EEENS1_14UnaryOpFunctorIN3c108BFloat16ELi1ELi1ELi0EEEJNS0_7SigmoidIfEEEEEvT_T0_DpT1_
	.p2align	8
	.type	_ZN2at6native12_GLOBAL__N_125multi_tensor_apply_kernelINS1_18TensorListMetadataILi1EEENS1_14UnaryOpFunctorIN3c108BFloat16ELi1ELi1ELi0EEEJNS0_7SigmoidIfEEEEEvT_T0_DpT1_,@function
_ZN2at6native12_GLOBAL__N_125multi_tensor_apply_kernelINS1_18TensorListMetadataILi1EEENS1_14UnaryOpFunctorIN3c108BFloat16ELi1ELi1ELi0EEEJNS0_7SigmoidIfEEEEEvT_T0_DpT1_: ; @_ZN2at6native12_GLOBAL__N_125multi_tensor_apply_kernelINS1_18TensorListMetadataILi1EEENS1_14UnaryOpFunctorIN3c108BFloat16ELi1ELi1ELi0EEEJNS0_7SigmoidIfEEEEEvT_T0_DpT1_
; %bb.0:
	v_mov_b32_e32 v1, s6
	global_load_ubyte v1, v1, s[4:5] offset:1760
	s_add_u32 s0, s4, s6
	s_mul_hi_u32 s1, s6, 3
	s_mul_i32 s6, s6, 3
	s_addc_u32 s2, s5, 0
	s_add_u32 s0, s0, s6
	s_addc_u32 s1, s2, s1
	s_load_dword s0, s[0:1], 0x820
	s_mov_b32 s7, 0
	s_waitcnt vmcnt(0)
	v_readfirstlane_b32 s1, v1
	s_lshl_b32 s1, s1, 3
	s_load_dword s24, s[4:5], 0xd2c
	s_load_dwordx2 s[2:3], s[4:5], s1 offset:0x370
	s_load_dwordx2 s[10:11], s[4:5], s1 offset:0x0
	s_waitcnt lgkmcnt(0)
	s_ashr_i32 s1, s0, 31
	s_lshl_b64 s[12:13], s[0:1], 17
	s_lshl_b64 s[0:1], s[0:1], 16
	s_and_b32 s6, s10, 7
	s_sub_u32 s14, s2, s0
	s_subb_u32 s15, s3, s1
	s_and_b32 s0, s2, 3
	s_mov_b32 s1, s7
	s_or_b64 s[0:1], s[6:7], s[0:1]
	s_cmp_eq_u64 s[0:1], 0
	s_cbranch_scc1 .LBB256_21
; %bb.1:
	v_cmp_lt_i64_e64 s[0:1], s[14:15], 1
	s_and_b64 vcc, exec, s[0:1]
	s_cbranch_vccnz .LBB256_20
; %bb.2:
	v_mov_b32_e32 v1, 0x10000
	s_load_dword s2, s[4:5], 0xd3c
	v_mov_b32_e32 v2, 0
	v_cmp_lt_i64_e32 vcc, s[14:15], v[1:2]
	s_mov_b64 s[20:21], 0
	s_and_b64 s[0:1], vcc, exec
	v_cmp_lt_u64_e32 vcc, s[14:15], v[1:2]
	s_cselect_b32 s17, s15, 0
	s_cselect_b32 s16, s14, 0x10000
	s_waitcnt lgkmcnt(0)
	s_and_b32 s2, s2, 0xffff
	s_and_b64 s[0:1], vcc, exec
	s_cselect_b32 s19, s15, 0
	s_cselect_b32 s18, s14, 0x10000
	s_lshl_b32 s3, s2, 1
	s_lshl_b32 s25, s2, 2
	s_add_u32 s6, s10, s12
	v_lshlrev_b32_e32 v1, 1, v0
	s_addc_u32 s7, s11, s13
	v_mov_b32_e32 v2, s7
	v_add_co_u32_e32 v1, vcc, s6, v1
	s_mul_i32 s0, s2, 3
	v_addc_co_u32_e32 v2, vcc, 0, v2, vcc
	v_add_co_u32_e32 v5, vcc, s0, v0
	v_addc_co_u32_e64 v6, s[0:1], 0, 0, vcc
	v_add_co_u32_e32 v7, vcc, s3, v0
	v_addc_co_u32_e64 v8, s[0:1], 0, 0, vcc
	v_add_co_u32_e32 v9, vcc, s2, v0
	v_lshlrev_b32_e32 v3, 1, v9
	v_addc_co_u32_e64 v10, s[0:1], 0, 0, vcc
	v_mov_b32_e32 v4, s7
	v_add_co_u32_e32 v3, vcc, s6, v3
	s_lshl_b32 s26, s2, 3
	s_mul_i32 s27, s2, 6
	v_addc_co_u32_e32 v4, vcc, 0, v4, vcc
	s_mov_b32 s28, 0xbfb8aa3b
	s_mov_b32 s29, 0x42ce8ed0
	;; [unrolled: 1-line block ×3, first 2 shown]
	s_movk_i32 s31, 0x7fff
	v_mov_b32_e32 v11, 0x7f800000
	v_mov_b32_e32 v12, 0x7fc0
	s_branch .LBB256_4
.LBB256_3:                              ;   in Loop: Header=BB256_4 Depth=1
	s_or_b64 exec, exec, s[2:3]
	s_add_u32 s20, s20, s25
	v_add_co_u32_e32 v1, vcc, s26, v1
	v_mov_b32_e32 v13, s16
	s_addc_u32 s21, s21, 0
	v_addc_co_u32_e32 v2, vcc, 0, v2, vcc
	v_mov_b32_e32 v14, s17
	v_cmp_lt_i64_e32 vcc, s[20:21], v[13:14]
	v_add_co_u32_e64 v3, s[0:1], s26, v3
	v_addc_co_u32_e64 v4, s[0:1], 0, v4, s[0:1]
	s_cbranch_vccz .LBB256_20
.LBB256_4:                              ; =>This Inner Loop Header: Depth=1
	v_mov_b32_e32 v14, s21
	v_add_co_u32_e32 v13, vcc, s20, v0
	v_addc_co_u32_e32 v14, vcc, 0, v14, vcc
	v_cmp_gt_u64_e32 vcc, s[18:19], v[13:14]
	v_mov_b32_e32 v16, 0
	s_and_saveexec_b64 s[0:1], vcc
	s_cbranch_execz .LBB256_6
; %bb.5:                                ;   in Loop: Header=BB256_4 Depth=1
	global_load_ushort v13, v[1:2], off
	s_waitcnt vmcnt(0)
	v_lshlrev_b32_e32 v16, 16, v13
.LBB256_6:                              ;   in Loop: Header=BB256_4 Depth=1
	s_or_b64 exec, exec, s[0:1]
	v_mov_b32_e32 v14, s21
	v_add_co_u32_e64 v13, s[0:1], s20, v9
	v_addc_co_u32_e64 v14, s[0:1], v10, v14, s[0:1]
	v_cmp_gt_u64_e64 s[6:7], s[18:19], v[13:14]
	v_mov_b32_e32 v14, 0
	v_mov_b32_e32 v15, 0
	s_and_saveexec_b64 s[0:1], s[6:7]
	s_cbranch_execz .LBB256_8
; %bb.7:                                ;   in Loop: Header=BB256_4 Depth=1
	global_load_ushort v13, v[3:4], off
	s_waitcnt vmcnt(0)
	v_lshlrev_b32_e32 v15, 16, v13
.LBB256_8:                              ;   in Loop: Header=BB256_4 Depth=1
	s_or_b64 exec, exec, s[0:1]
	v_mov_b32_e32 v13, s21
	v_add_co_u32_e64 v17, s[0:1], s20, v7
	v_addc_co_u32_e64 v18, s[0:1], v8, v13, s[0:1]
	v_cmp_gt_u64_e64 s[2:3], s[18:19], v[17:18]
	s_and_saveexec_b64 s[8:9], s[2:3]
	s_cbranch_execz .LBB256_10
; %bb.9:                                ;   in Loop: Header=BB256_4 Depth=1
	v_add_co_u32_e64 v13, s[0:1], s25, v1
	v_addc_co_u32_e64 v14, s[0:1], 0, v2, s[0:1]
	global_load_ushort v13, v[13:14], off
	s_waitcnt vmcnt(0)
	v_lshlrev_b32_e32 v14, 16, v13
.LBB256_10:                             ;   in Loop: Header=BB256_4 Depth=1
	s_or_b64 exec, exec, s[8:9]
	v_mov_b32_e32 v13, s21
	v_add_co_u32_e64 v17, s[0:1], s20, v5
	v_addc_co_u32_e64 v18, s[0:1], v6, v13, s[0:1]
	v_cmp_gt_u64_e64 s[0:1], s[18:19], v[17:18]
	v_mov_b32_e32 v13, 0
	s_and_saveexec_b64 s[22:23], s[0:1]
	s_cbranch_execnz .LBB256_15
; %bb.11:                               ;   in Loop: Header=BB256_4 Depth=1
	s_or_b64 exec, exec, s[22:23]
	s_and_saveexec_b64 s[8:9], vcc
	s_cbranch_execnz .LBB256_16
.LBB256_12:                             ;   in Loop: Header=BB256_4 Depth=1
	s_or_b64 exec, exec, s[8:9]
	s_and_saveexec_b64 s[8:9], s[6:7]
	s_cbranch_execnz .LBB256_17
.LBB256_13:                             ;   in Loop: Header=BB256_4 Depth=1
	s_or_b64 exec, exec, s[8:9]
	s_and_saveexec_b64 s[6:7], s[2:3]
	s_cbranch_execnz .LBB256_18
.LBB256_14:                             ;   in Loop: Header=BB256_4 Depth=1
	s_or_b64 exec, exec, s[6:7]
	s_and_saveexec_b64 s[2:3], s[0:1]
	s_cbranch_execz .LBB256_3
	s_branch .LBB256_19
.LBB256_15:                             ;   in Loop: Header=BB256_4 Depth=1
	v_add_co_u32_e64 v17, s[8:9], s27, v1
	v_addc_co_u32_e64 v18, s[8:9], 0, v2, s[8:9]
	global_load_ushort v13, v[17:18], off
	s_waitcnt vmcnt(0)
	v_lshlrev_b32_e32 v13, 16, v13
	s_or_b64 exec, exec, s[22:23]
	s_and_saveexec_b64 s[8:9], vcc
	s_cbranch_execz .LBB256_12
.LBB256_16:                             ;   in Loop: Header=BB256_4 Depth=1
	v_mul_f32_e32 v17, 0xbfb8aa3b, v16
	v_rndne_f32_e32 v18, v17
	v_sub_f32_e32 v19, v17, v18
	v_fma_f32 v17, v16, s28, -v17
	v_fmac_f32_e32 v17, 0xb2a5705f, v16
	v_add_f32_e32 v17, v19, v17
	v_cvt_i32_f32_e32 v18, v18
	v_exp_f32_e32 v17, v17
	v_cmp_nlt_f32_e32 vcc, s29, v16
	v_ldexp_f32 v17, v17, v18
	v_cndmask_b32_e32 v17, 0, v17, vcc
	v_cmp_ngt_f32_e32 vcc, s30, v16
	v_cndmask_b32_e32 v16, v11, v17, vcc
	v_add_f32_e32 v16, s24, v16
	v_div_scale_f32 v17, s[22:23], v16, v16, s24
	v_div_scale_f32 v18, vcc, s24, v16, s24
	v_rcp_f32_e32 v19, v17
	v_fma_f32 v20, -v17, v19, 1.0
	v_fmac_f32_e32 v19, v20, v19
	v_mul_f32_e32 v20, v18, v19
	v_fma_f32 v21, -v17, v20, v18
	v_fmac_f32_e32 v20, v21, v19
	v_fma_f32 v17, -v17, v20, v18
	v_div_fmas_f32 v17, v17, v19, v20
	v_div_fixup_f32 v16, v17, v16, s24
	v_bfe_u32 v17, v16, 16, 1
	v_cmp_o_f32_e32 vcc, v16, v16
	v_add3_u32 v16, v16, v17, s31
	v_cndmask_b32_sdwa v16, v12, v16, vcc dst_sel:DWORD dst_unused:UNUSED_PAD src0_sel:DWORD src1_sel:WORD_1
	global_store_short v[1:2], v16, off
	s_or_b64 exec, exec, s[8:9]
	s_and_saveexec_b64 s[8:9], s[6:7]
	s_cbranch_execz .LBB256_13
.LBB256_17:                             ;   in Loop: Header=BB256_4 Depth=1
	v_mul_f32_e32 v16, 0xbfb8aa3b, v15
	v_rndne_f32_e32 v17, v16
	v_sub_f32_e32 v18, v16, v17
	v_fma_f32 v16, v15, s28, -v16
	v_fmac_f32_e32 v16, 0xb2a5705f, v15
	v_add_f32_e32 v16, v18, v16
	v_cvt_i32_f32_e32 v17, v17
	v_exp_f32_e32 v16, v16
	v_cmp_nlt_f32_e32 vcc, s29, v15
	v_ldexp_f32 v16, v16, v17
	v_cndmask_b32_e32 v16, 0, v16, vcc
	v_cmp_ngt_f32_e32 vcc, s30, v15
	v_cndmask_b32_e32 v15, v11, v16, vcc
	v_add_f32_e32 v15, s24, v15
	v_div_scale_f32 v16, s[6:7], v15, v15, s24
	v_div_scale_f32 v17, vcc, s24, v15, s24
	v_rcp_f32_e32 v18, v16
	v_fma_f32 v19, -v16, v18, 1.0
	v_fmac_f32_e32 v18, v19, v18
	v_mul_f32_e32 v19, v17, v18
	v_fma_f32 v20, -v16, v19, v17
	v_fmac_f32_e32 v19, v20, v18
	v_fma_f32 v16, -v16, v19, v17
	v_div_fmas_f32 v16, v16, v18, v19
	v_div_fixup_f32 v15, v16, v15, s24
	v_bfe_u32 v16, v15, 16, 1
	v_cmp_o_f32_e32 vcc, v15, v15
	v_add3_u32 v15, v15, v16, s31
	v_cndmask_b32_sdwa v15, v12, v15, vcc dst_sel:DWORD dst_unused:UNUSED_PAD src0_sel:DWORD src1_sel:WORD_1
	global_store_short v[3:4], v15, off
	s_or_b64 exec, exec, s[8:9]
	s_and_saveexec_b64 s[6:7], s[2:3]
	s_cbranch_execz .LBB256_14
.LBB256_18:                             ;   in Loop: Header=BB256_4 Depth=1
	v_mul_f32_e32 v15, 0xbfb8aa3b, v14
	v_rndne_f32_e32 v16, v15
	v_sub_f32_e32 v17, v15, v16
	v_fma_f32 v15, v14, s28, -v15
	v_fmac_f32_e32 v15, 0xb2a5705f, v14
	v_add_f32_e32 v15, v17, v15
	v_cvt_i32_f32_e32 v16, v16
	v_exp_f32_e32 v15, v15
	v_cmp_nlt_f32_e32 vcc, s29, v14
	v_ldexp_f32 v15, v15, v16
	v_cndmask_b32_e32 v15, 0, v15, vcc
	v_cmp_ngt_f32_e32 vcc, s30, v14
	v_cndmask_b32_e32 v14, v11, v15, vcc
	v_add_f32_e32 v14, s24, v14
	v_div_scale_f32 v15, s[2:3], v14, v14, s24
	v_div_scale_f32 v16, vcc, s24, v14, s24
	v_rcp_f32_e32 v17, v15
	v_fma_f32 v18, -v15, v17, 1.0
	v_fmac_f32_e32 v17, v18, v17
	v_mul_f32_e32 v18, v16, v17
	v_fma_f32 v19, -v15, v18, v16
	v_fmac_f32_e32 v18, v19, v17
	v_fma_f32 v15, -v15, v18, v16
	v_div_fmas_f32 v15, v15, v17, v18
	v_div_fixup_f32 v14, v15, v14, s24
	v_bfe_u32 v15, v14, 16, 1
	v_cmp_o_f32_e32 vcc, v14, v14
	v_add3_u32 v14, v14, v15, s31
	v_cndmask_b32_sdwa v16, v12, v14, vcc dst_sel:DWORD dst_unused:UNUSED_PAD src0_sel:DWORD src1_sel:WORD_1
	v_add_co_u32_e32 v14, vcc, s25, v1
	v_addc_co_u32_e32 v15, vcc, 0, v2, vcc
	global_store_short v[14:15], v16, off
	s_or_b64 exec, exec, s[6:7]
	s_and_saveexec_b64 s[2:3], s[0:1]
	s_cbranch_execz .LBB256_3
.LBB256_19:                             ;   in Loop: Header=BB256_4 Depth=1
	v_mul_f32_e32 v14, 0xbfb8aa3b, v13
	v_rndne_f32_e32 v15, v14
	v_sub_f32_e32 v16, v14, v15
	v_fma_f32 v14, v13, s28, -v14
	v_fmac_f32_e32 v14, 0xb2a5705f, v13
	v_add_f32_e32 v14, v16, v14
	v_cvt_i32_f32_e32 v15, v15
	v_exp_f32_e32 v14, v14
	v_cmp_nlt_f32_e32 vcc, s29, v13
	v_ldexp_f32 v14, v14, v15
	v_cndmask_b32_e32 v14, 0, v14, vcc
	v_cmp_ngt_f32_e32 vcc, s30, v13
	v_cndmask_b32_e32 v13, v11, v14, vcc
	v_add_f32_e32 v13, s24, v13
	v_div_scale_f32 v14, s[0:1], v13, v13, s24
	v_div_scale_f32 v15, vcc, s24, v13, s24
	v_rcp_f32_e32 v16, v14
	v_fma_f32 v17, -v14, v16, 1.0
	v_fmac_f32_e32 v16, v17, v16
	v_mul_f32_e32 v17, v15, v16
	v_fma_f32 v18, -v14, v17, v15
	v_fmac_f32_e32 v17, v18, v16
	v_fma_f32 v14, -v14, v17, v15
	v_div_fmas_f32 v14, v14, v16, v17
	v_div_fixup_f32 v13, v14, v13, s24
	v_bfe_u32 v14, v13, 16, 1
	v_cmp_o_f32_e32 vcc, v13, v13
	v_add3_u32 v13, v13, v14, s31
	v_cndmask_b32_sdwa v15, v12, v13, vcc dst_sel:DWORD dst_unused:UNUSED_PAD src0_sel:DWORD src1_sel:WORD_1
	v_add_co_u32_e32 v13, vcc, s27, v1
	v_addc_co_u32_e32 v14, vcc, 0, v2, vcc
	global_store_short v[13:14], v15, off
	s_branch .LBB256_3
.LBB256_20:
	s_cbranch_execz .LBB256_22
	s_branch .LBB256_25
.LBB256_21:
.LBB256_22:
	v_mov_b32_e32 v1, 0x10000
	v_mov_b32_e32 v2, 0
	v_cmp_lt_i64_e32 vcc, s[14:15], v[1:2]
	v_mov_b32_e32 v2, 0
	s_and_b64 s[0:1], vcc, exec
	s_cselect_b32 s7, s15, 0
	s_cselect_b32 s6, s14, 0x10000
	v_lshlrev_b32_e32 v1, 2, v0
	v_cmp_gt_i64_e32 vcc, s[6:7], v[1:2]
	s_and_saveexec_b64 s[0:1], vcc
	s_cbranch_execz .LBB256_25
; %bb.23:
	s_load_dword s0, s[4:5], 0xd3c
	v_mov_b32_e32 v1, v2
	v_lshlrev_b32_e32 v2, 3, v0
	s_mov_b64 s[4:5], 0
	v_mov_b32_e32 v4, 0x7f800000
	s_waitcnt lgkmcnt(0)
	s_and_b32 s8, s0, 0xffff
	s_add_u32 s0, s10, s12
	s_addc_u32 s1, s11, s13
	v_mov_b32_e32 v3, s1
	v_add_co_u32_e32 v2, vcc, s0, v2
	v_addc_co_u32_e32 v3, vcc, 0, v3, vcc
	s_lshl_b32 s9, s8, 3
	s_mov_b32 s10, 0xbfb8aa3b
	s_mov_b32 s11, 0x42ce8ed0
	;; [unrolled: 1-line block ×3, first 2 shown]
	s_movk_i32 s13, 0x7fff
	v_mov_b32_e32 v5, 0x7fc00000
	v_mov_b32_e32 v6, 0x7fc0
.LBB256_24:                             ; =>This Inner Loop Header: Depth=1
	global_load_dwordx2 v[7:8], v[2:3], off
	s_waitcnt vmcnt(0)
	v_lshlrev_b32_e32 v10, 16, v7
	v_and_b32_e32 v9, 0xffff0000, v7
	v_mul_f32_e32 v11, 0xbfb8aa3b, v10
	v_alignbit_b32 v7, v8, v7, 16
	v_and_b32_e32 v8, 0xffff0000, v8
	v_mul_f32_e32 v12, 0xbfb8aa3b, v9
	v_fma_f32 v14, v10, s10, -v11
	v_rndne_f32_e32 v15, v11
	v_mul_f32_e32 v13, 0xbfb8aa3b, v8
	v_fma_f32 v16, v9, s10, -v12
	v_rndne_f32_e32 v17, v12
	v_fmac_f32_e32 v14, 0xb2a5705f, v10
	v_sub_f32_e32 v11, v11, v15
	v_fma_f32 v19, v8, s10, -v13
	v_add_f32_e32 v11, v11, v14
	v_rndne_f32_e32 v14, v13
	v_fmac_f32_e32 v16, 0xb2a5705f, v9
	v_sub_f32_e32 v12, v12, v17
	v_cvt_i32_f32_e32 v15, v15
	v_add_f32_e32 v12, v12, v16
	v_fmac_f32_e32 v19, 0xb2a5705f, v8
	v_sub_f32_e32 v13, v13, v14
	v_exp_f32_e32 v11, v11
	v_cvt_i32_f32_e32 v17, v17
	v_add_f32_e32 v13, v13, v19
	v_exp_f32_e32 v12, v12
	v_cvt_i32_f32_e32 v14, v14
	v_exp_f32_e32 v13, v13
	v_and_b32_e32 v7, 0xffff0000, v7
	v_ldexp_f32 v11, v11, v15
	v_cmp_nlt_f32_e32 vcc, s11, v10
	v_mul_f32_e32 v18, 0xbfb8aa3b, v7
	v_ldexp_f32 v12, v12, v17
	v_cndmask_b32_e32 v11, 0, v11, vcc
	v_cmp_nlt_f32_e32 vcc, s11, v9
	v_fma_f32 v16, v7, s10, -v18
	v_rndne_f32_e32 v19, v18
	v_ldexp_f32 v13, v13, v14
	v_cndmask_b32_e32 v12, 0, v12, vcc
	v_cmp_nlt_f32_e32 vcc, s11, v8
	v_fmac_f32_e32 v16, 0xb2a5705f, v7
	v_sub_f32_e32 v18, v18, v19
	v_cndmask_b32_e32 v13, 0, v13, vcc
	v_cmp_ngt_f32_e32 vcc, s12, v10
	v_add_f32_e32 v16, v18, v16
	v_cndmask_b32_e32 v10, v4, v11, vcc
	v_cvt_i32_f32_e32 v19, v19
	v_exp_f32_e32 v16, v16
	v_cmp_ngt_f32_e32 vcc, s12, v9
	v_add_f32_e32 v10, s24, v10
	v_cndmask_b32_e32 v9, v4, v12, vcc
	v_div_scale_f32 v12, s[0:1], v10, v10, s24
	v_ldexp_f32 v14, v16, v19
	v_cmp_nlt_f32_e32 vcc, s11, v7
	v_cndmask_b32_e32 v11, 0, v14, vcc
	v_cmp_ngt_f32_e32 vcc, s12, v8
	v_cndmask_b32_e32 v8, v4, v13, vcc
	v_cmp_ngt_f32_e32 vcc, s12, v7
	v_cndmask_b32_e32 v7, v4, v11, vcc
	v_div_scale_f32 v11, vcc, s24, v10, s24
	v_add_f32_e32 v9, s24, v9
	v_add_f32_e32 v8, s24, v8
	v_div_scale_f32 v13, s[0:1], v9, v9, s24
	v_div_scale_f32 v14, s[0:1], v8, v8, s24
	v_add_f32_e32 v7, s24, v7
	v_div_scale_f32 v15, s[0:1], v7, v7, s24
	v_div_scale_f32 v17, s[0:1], s24, v9, s24
	v_rcp_f32_e32 v16, v12
	v_fma_f32 v18, -v12, v16, 1.0
	v_fmac_f32_e32 v16, v18, v16
	v_mul_f32_e32 v18, v11, v16
	v_fma_f32 v19, -v12, v18, v11
	v_fmac_f32_e32 v18, v19, v16
	v_rcp_f32_e32 v19, v13
	v_fma_f32 v11, -v12, v18, v11
	v_rcp_f32_e32 v12, v14
	v_div_fmas_f32 v11, v11, v16, v18
	v_rcp_f32_e32 v16, v15
	v_fma_f32 v18, -v13, v19, 1.0
	v_fmac_f32_e32 v19, v18, v19
	v_fma_f32 v18, -v14, v12, 1.0
	v_fmac_f32_e32 v12, v18, v12
	;; [unrolled: 2-line block ×3, first 2 shown]
	v_mul_f32_e32 v18, v17, v19
	v_fma_f32 v20, -v13, v18, v17
	v_fmac_f32_e32 v18, v20, v19
	v_fma_f32 v13, -v13, v18, v17
	v_div_scale_f32 v17, s[2:3], s24, v7, s24
	s_mov_b64 vcc, s[0:1]
	v_div_fmas_f32 v13, v13, v19, v18
	s_mov_b64 vcc, s[2:3]
	v_div_fixup_f32 v10, v11, v10, s24
	v_bfe_u32 v11, v10, 16, 1
	v_add3_u32 v11, v10, v11, s13
	v_lshrrev_b32_e32 v11, 16, v11
	v_mul_f32_e32 v18, v17, v16
	v_fma_f32 v19, -v15, v18, v17
	v_fmac_f32_e32 v18, v19, v16
	v_div_scale_f32 v19, s[0:1], s24, v8, s24
	v_fma_f32 v15, -v15, v18, v17
	v_div_fmas_f32 v15, v15, v16, v18
	s_mov_b64 vcc, s[0:1]
	v_div_fixup_f32 v9, v13, v9, s24
	v_bfe_u32 v13, v9, 16, 1
	v_add3_u32 v13, v9, v13, s13
	v_mul_f32_e32 v17, v19, v12
	v_fma_f32 v16, -v14, v17, v19
	v_fmac_f32_e32 v17, v16, v12
	v_fma_f32 v14, -v14, v17, v19
	v_div_fmas_f32 v12, v14, v12, v17
	v_add_co_u32_e32 v0, vcc, s8, v0
	v_addc_co_u32_e32 v1, vcc, 0, v1, vcc
	v_div_fixup_f32 v7, v15, v7, s24
	v_bfe_u32 v14, v7, 16, 1
	v_cmp_o_f32_e32 vcc, v10, v10
	v_cndmask_b32_e32 v10, v6, v11, vcc
	v_cmp_o_f32_e32 vcc, v9, v9
	v_div_fixup_f32 v8, v12, v8, s24
	v_and_b32_e32 v12, 0xffff0000, v13
	v_add3_u32 v13, v7, v14, s13
	v_bfe_u32 v14, v8, 16, 1
	v_lshrrev_b32_e32 v11, 16, v13
	v_cndmask_b32_e32 v9, v5, v12, vcc
	v_cmp_o_f32_e32 vcc, v7, v7
	v_add3_u32 v13, v8, v14, s13
	v_cndmask_b32_e32 v7, v6, v11, vcc
	v_or_b32_e32 v11, v10, v9
	v_lshlrev_b64 v[9:10], 2, v[0:1]
	v_and_b32_e32 v12, 0xffff0000, v13
	v_cmp_o_f32_e32 vcc, v8, v8
	v_cndmask_b32_e32 v8, v5, v12, vcc
	v_cmp_le_i64_e32 vcc, s[6:7], v[9:10]
	v_or3_b32 v8, 0, v7, v8
	v_or3_b32 v7, v11, 0, 0
	global_store_dwordx2 v[2:3], v[7:8], off
	s_or_b64 s[4:5], vcc, s[4:5]
	v_add_co_u32_e32 v2, vcc, s9, v2
	v_addc_co_u32_e32 v3, vcc, 0, v3, vcc
	s_andn2_b64 exec, exec, s[4:5]
	s_cbranch_execnz .LBB256_24
.LBB256_25:
	s_endpgm
	.section	.rodata,"a",@progbits
	.p2align	6, 0x0
	.amdhsa_kernel _ZN2at6native12_GLOBAL__N_125multi_tensor_apply_kernelINS1_18TensorListMetadataILi1EEENS1_14UnaryOpFunctorIN3c108BFloat16ELi1ELi1ELi0EEEJNS0_7SigmoidIfEEEEEvT_T0_DpT1_
		.amdhsa_group_segment_fixed_size 0
		.amdhsa_private_segment_fixed_size 0
		.amdhsa_kernarg_size 3632
		.amdhsa_user_sgpr_count 6
		.amdhsa_user_sgpr_private_segment_buffer 1
		.amdhsa_user_sgpr_dispatch_ptr 0
		.amdhsa_user_sgpr_queue_ptr 0
		.amdhsa_user_sgpr_kernarg_segment_ptr 1
		.amdhsa_user_sgpr_dispatch_id 0
		.amdhsa_user_sgpr_flat_scratch_init 0
		.amdhsa_user_sgpr_private_segment_size 0
		.amdhsa_uses_dynamic_stack 0
		.amdhsa_system_sgpr_private_segment_wavefront_offset 0
		.amdhsa_system_sgpr_workgroup_id_x 1
		.amdhsa_system_sgpr_workgroup_id_y 0
		.amdhsa_system_sgpr_workgroup_id_z 0
		.amdhsa_system_sgpr_workgroup_info 0
		.amdhsa_system_vgpr_workitem_id 0
		.amdhsa_next_free_vgpr 22
		.amdhsa_next_free_sgpr 32
		.amdhsa_reserve_vcc 1
		.amdhsa_reserve_flat_scratch 0
		.amdhsa_float_round_mode_32 0
		.amdhsa_float_round_mode_16_64 0
		.amdhsa_float_denorm_mode_32 3
		.amdhsa_float_denorm_mode_16_64 3
		.amdhsa_dx10_clamp 1
		.amdhsa_ieee_mode 1
		.amdhsa_fp16_overflow 0
		.amdhsa_exception_fp_ieee_invalid_op 0
		.amdhsa_exception_fp_denorm_src 0
		.amdhsa_exception_fp_ieee_div_zero 0
		.amdhsa_exception_fp_ieee_overflow 0
		.amdhsa_exception_fp_ieee_underflow 0
		.amdhsa_exception_fp_ieee_inexact 0
		.amdhsa_exception_int_div_zero 0
	.end_amdhsa_kernel
	.section	.text._ZN2at6native12_GLOBAL__N_125multi_tensor_apply_kernelINS1_18TensorListMetadataILi1EEENS1_14UnaryOpFunctorIN3c108BFloat16ELi1ELi1ELi0EEEJNS0_7SigmoidIfEEEEEvT_T0_DpT1_,"axG",@progbits,_ZN2at6native12_GLOBAL__N_125multi_tensor_apply_kernelINS1_18TensorListMetadataILi1EEENS1_14UnaryOpFunctorIN3c108BFloat16ELi1ELi1ELi0EEEJNS0_7SigmoidIfEEEEEvT_T0_DpT1_,comdat
.Lfunc_end256:
	.size	_ZN2at6native12_GLOBAL__N_125multi_tensor_apply_kernelINS1_18TensorListMetadataILi1EEENS1_14UnaryOpFunctorIN3c108BFloat16ELi1ELi1ELi0EEEJNS0_7SigmoidIfEEEEEvT_T0_DpT1_, .Lfunc_end256-_ZN2at6native12_GLOBAL__N_125multi_tensor_apply_kernelINS1_18TensorListMetadataILi1EEENS1_14UnaryOpFunctorIN3c108BFloat16ELi1ELi1ELi0EEEJNS0_7SigmoidIfEEEEEvT_T0_DpT1_
                                        ; -- End function
	.set _ZN2at6native12_GLOBAL__N_125multi_tensor_apply_kernelINS1_18TensorListMetadataILi1EEENS1_14UnaryOpFunctorIN3c108BFloat16ELi1ELi1ELi0EEEJNS0_7SigmoidIfEEEEEvT_T0_DpT1_.num_vgpr, 22
	.set _ZN2at6native12_GLOBAL__N_125multi_tensor_apply_kernelINS1_18TensorListMetadataILi1EEENS1_14UnaryOpFunctorIN3c108BFloat16ELi1ELi1ELi0EEEJNS0_7SigmoidIfEEEEEvT_T0_DpT1_.num_agpr, 0
	.set _ZN2at6native12_GLOBAL__N_125multi_tensor_apply_kernelINS1_18TensorListMetadataILi1EEENS1_14UnaryOpFunctorIN3c108BFloat16ELi1ELi1ELi0EEEJNS0_7SigmoidIfEEEEEvT_T0_DpT1_.numbered_sgpr, 32
	.set _ZN2at6native12_GLOBAL__N_125multi_tensor_apply_kernelINS1_18TensorListMetadataILi1EEENS1_14UnaryOpFunctorIN3c108BFloat16ELi1ELi1ELi0EEEJNS0_7SigmoidIfEEEEEvT_T0_DpT1_.num_named_barrier, 0
	.set _ZN2at6native12_GLOBAL__N_125multi_tensor_apply_kernelINS1_18TensorListMetadataILi1EEENS1_14UnaryOpFunctorIN3c108BFloat16ELi1ELi1ELi0EEEJNS0_7SigmoidIfEEEEEvT_T0_DpT1_.private_seg_size, 0
	.set _ZN2at6native12_GLOBAL__N_125multi_tensor_apply_kernelINS1_18TensorListMetadataILi1EEENS1_14UnaryOpFunctorIN3c108BFloat16ELi1ELi1ELi0EEEJNS0_7SigmoidIfEEEEEvT_T0_DpT1_.uses_vcc, 1
	.set _ZN2at6native12_GLOBAL__N_125multi_tensor_apply_kernelINS1_18TensorListMetadataILi1EEENS1_14UnaryOpFunctorIN3c108BFloat16ELi1ELi1ELi0EEEJNS0_7SigmoidIfEEEEEvT_T0_DpT1_.uses_flat_scratch, 0
	.set _ZN2at6native12_GLOBAL__N_125multi_tensor_apply_kernelINS1_18TensorListMetadataILi1EEENS1_14UnaryOpFunctorIN3c108BFloat16ELi1ELi1ELi0EEEJNS0_7SigmoidIfEEEEEvT_T0_DpT1_.has_dyn_sized_stack, 0
	.set _ZN2at6native12_GLOBAL__N_125multi_tensor_apply_kernelINS1_18TensorListMetadataILi1EEENS1_14UnaryOpFunctorIN3c108BFloat16ELi1ELi1ELi0EEEJNS0_7SigmoidIfEEEEEvT_T0_DpT1_.has_recursion, 0
	.set _ZN2at6native12_GLOBAL__N_125multi_tensor_apply_kernelINS1_18TensorListMetadataILi1EEENS1_14UnaryOpFunctorIN3c108BFloat16ELi1ELi1ELi0EEEJNS0_7SigmoidIfEEEEEvT_T0_DpT1_.has_indirect_call, 0
	.section	.AMDGPU.csdata,"",@progbits
; Kernel info:
; codeLenInByte = 2512
; TotalNumSgprs: 36
; NumVgprs: 22
; ScratchSize: 0
; MemoryBound: 0
; FloatMode: 240
; IeeeMode: 1
; LDSByteSize: 0 bytes/workgroup (compile time only)
; SGPRBlocks: 4
; VGPRBlocks: 5
; NumSGPRsForWavesPerEU: 36
; NumVGPRsForWavesPerEU: 22
; Occupancy: 10
; WaveLimiterHint : 0
; COMPUTE_PGM_RSRC2:SCRATCH_EN: 0
; COMPUTE_PGM_RSRC2:USER_SGPR: 6
; COMPUTE_PGM_RSRC2:TRAP_HANDLER: 0
; COMPUTE_PGM_RSRC2:TGID_X_EN: 1
; COMPUTE_PGM_RSRC2:TGID_Y_EN: 0
; COMPUTE_PGM_RSRC2:TGID_Z_EN: 0
; COMPUTE_PGM_RSRC2:TIDIG_COMP_CNT: 0
	.section	.text._ZN2at6native12_GLOBAL__N_125multi_tensor_apply_kernelINS1_18TensorListMetadataILi2EEENS1_14UnaryOpFunctorIdLi2ELi1ELi1EEEJNS0_5RoundIdEEEEEvT_T0_DpT1_,"axG",@progbits,_ZN2at6native12_GLOBAL__N_125multi_tensor_apply_kernelINS1_18TensorListMetadataILi2EEENS1_14UnaryOpFunctorIdLi2ELi1ELi1EEEJNS0_5RoundIdEEEEEvT_T0_DpT1_,comdat
	.globl	_ZN2at6native12_GLOBAL__N_125multi_tensor_apply_kernelINS1_18TensorListMetadataILi2EEENS1_14UnaryOpFunctorIdLi2ELi1ELi1EEEJNS0_5RoundIdEEEEEvT_T0_DpT1_ ; -- Begin function _ZN2at6native12_GLOBAL__N_125multi_tensor_apply_kernelINS1_18TensorListMetadataILi2EEENS1_14UnaryOpFunctorIdLi2ELi1ELi1EEEJNS0_5RoundIdEEEEEvT_T0_DpT1_
	.p2align	8
	.type	_ZN2at6native12_GLOBAL__N_125multi_tensor_apply_kernelINS1_18TensorListMetadataILi2EEENS1_14UnaryOpFunctorIdLi2ELi1ELi1EEEJNS0_5RoundIdEEEEEvT_T0_DpT1_,@function
_ZN2at6native12_GLOBAL__N_125multi_tensor_apply_kernelINS1_18TensorListMetadataILi2EEENS1_14UnaryOpFunctorIdLi2ELi1ELi1EEEJNS0_5RoundIdEEEEEvT_T0_DpT1_: ; @_ZN2at6native12_GLOBAL__N_125multi_tensor_apply_kernelINS1_18TensorListMetadataILi2EEENS1_14UnaryOpFunctorIdLi2ELi1ELi1EEEJNS0_5RoundIdEEEEEvT_T0_DpT1_
; %bb.0:
	v_mov_b32_e32 v1, s6
	global_load_ubyte v1, v1, s[4:5] offset:1536
	s_add_u32 s0, s4, s6
	s_mul_hi_u32 s1, s6, 3
	s_mul_i32 s6, s6, 3
	s_addc_u32 s2, s5, 0
	s_add_u32 s0, s0, s6
	s_addc_u32 s1, s2, s1
	s_load_dword s6, s[0:1], 0x740
	s_mov_b32 s11, 0
	s_mov_b32 s13, s11
	s_waitcnt vmcnt(0)
	v_readfirstlane_b32 s0, v1
	s_lshl_b32 s7, s0, 3
	s_load_dwordx2 s[14:15], s[4:5], s7 offset:0x400
	s_load_dwordx2 s[2:3], s[4:5], s7 offset:0x0
	;; [unrolled: 1-line block ×3, first 2 shown]
	s_waitcnt lgkmcnt(0)
	s_ashr_i32 s7, s6, 31
	s_lshl_b64 s[8:9], s[6:7], 19
	s_lshl_b64 s[6:7], s[6:7], 16
	s_add_u32 s10, s2, s8
	s_and_b32 s12, s0, 31
	s_and_b32 s10, s10, 31
	s_sub_u32 s6, s14, s6
	s_subb_u32 s7, s15, s7
	s_and_b32 s14, s14, 3
	s_mov_b32 s15, s11
	s_or_b64 s[12:13], s[12:13], s[14:15]
	s_or_b64 s[10:11], s[12:13], s[10:11]
	s_cmp_eq_u64 s[10:11], 0
	s_mov_b64 s[10:11], -1
	s_cbranch_scc0 .LBB257_5
; %bb.1:
	v_mov_b32_e32 v1, 0x10000
	v_mov_b32_e32 v2, 0
	v_cmp_lt_i64_e32 vcc, s[6:7], v[1:2]
	v_mov_b32_e32 v2, 0
	s_and_b64 s[10:11], vcc, exec
	s_cselect_b32 s11, s7, 0
	s_cselect_b32 s10, s6, 0x10000
	v_lshlrev_b32_e32 v1, 2, v0
	v_cmp_gt_i64_e32 vcc, s[10:11], v[1:2]
	s_and_saveexec_b64 s[12:13], vcc
	s_cbranch_execz .LBB257_4
; %bb.2:
	s_load_dword s14, s[4:5], 0xc5c
	v_mov_b32_e32 v1, v2
	v_lshlrev_b32_e32 v2, 5, v0
	v_mov_b32_e32 v4, s9
	v_add_co_u32_e32 v3, vcc, s8, v2
	s_waitcnt lgkmcnt(0)
	s_and_b32 s16, s14, 0xffff
	v_mov_b32_e32 v2, v1
	v_addc_co_u32_e32 v4, vcc, 0, v4, vcc
	s_lshl_b32 s17, s16, 5
	s_mov_b64 s[14:15], 0
	v_mov_b32_e32 v5, s3
	v_mov_b32_e32 v6, s1
	;; [unrolled: 1-line block ×3, first 2 shown]
.LBB257_3:                              ; =>This Inner Loop Header: Depth=1
	v_add_co_u32_e32 v15, vcc, s2, v3
	v_addc_co_u32_e32 v16, vcc, v5, v4, vcc
	global_load_dwordx4 v[7:10], v[15:16], off
	global_load_dwordx4 v[11:14], v[15:16], off offset:16
	v_add_co_u32_e32 v15, vcc, s0, v3
	v_addc_co_u32_e32 v16, vcc, v6, v4, vcc
	v_add_co_u32_e32 v1, vcc, s16, v1
	v_addc_co_u32_e32 v2, vcc, 0, v2, vcc
	v_add_co_u32_e32 v3, vcc, s17, v3
	v_lshlrev_b64 v[17:18], 2, v[1:2]
	v_addc_co_u32_e32 v4, vcc, 0, v4, vcc
	v_cmp_le_i64_e32 vcc, s[10:11], v[17:18]
	s_or_b64 s[14:15], vcc, s[14:15]
	s_waitcnt vmcnt(1)
	v_rndne_f64_e32 v[7:8], v[7:8]
	v_rndne_f64_e32 v[9:10], v[9:10]
	s_waitcnt vmcnt(0)
	v_rndne_f64_e32 v[11:12], v[11:12]
	v_rndne_f64_e32 v[13:14], v[13:14]
	global_store_dwordx4 v[15:16], v[7:10], off
	global_store_dwordx4 v[15:16], v[11:14], off offset:16
	s_andn2_b64 exec, exec, s[14:15]
	s_cbranch_execnz .LBB257_3
.LBB257_4:
	s_or_b64 exec, exec, s[12:13]
	s_mov_b64 s[10:11], 0
.LBB257_5:
	s_andn2_b64 vcc, exec, s[10:11]
	s_cbranch_vccnz .LBB257_25
; %bb.6:
	v_cmp_lt_i64_e64 s[10:11], s[6:7], 1
	s_and_b64 vcc, exec, s[10:11]
	s_cbranch_vccnz .LBB257_25
; %bb.7:
	v_mov_b32_e32 v1, 0x10000
	s_load_dword s12, s[4:5], 0xc5c
	v_mov_b32_e32 v2, 0
	v_cmp_lt_i64_e32 vcc, s[6:7], v[1:2]
	v_mov_b32_e32 v3, 0
	s_and_b64 s[4:5], vcc, exec
	v_cmp_lt_u64_e32 vcc, s[6:7], v[1:2]
	s_cselect_b32 s11, s7, 0
	s_cselect_b32 s10, s6, 0x10000
	s_waitcnt lgkmcnt(0)
	s_and_b32 s14, s12, 0xffff
	v_lshlrev_b32_e32 v2, 3, v0
	s_and_b64 s[4:5], vcc, exec
	v_mov_b32_e32 v1, s3
	v_add_co_u32_e32 v9, vcc, s2, v2
	v_mad_u64_u32 v[3:4], s[4:5], s14, 24, v[2:3]
	v_addc_co_u32_e32 v10, vcc, 0, v1, vcc
	v_mov_b32_e32 v1, s1
	v_add_co_u32_e32 v11, vcc, s0, v2
	v_addc_co_u32_e32 v12, vcc, 0, v1, vcc
	v_mov_b32_e32 v1, s3
	v_add_co_u32_e32 v13, vcc, s2, v3
	;; [unrolled: 3-line block ×3, first 2 shown]
	s_cselect_b32 s13, s7, 0
	s_cselect_b32 s12, s6, 0x10000
	v_addc_co_u32_e32 v16, vcc, v1, v4, vcc
	s_lshl_b32 s4, s14, 4
	v_add_co_u32_e32 v1, vcc, s4, v2
	v_addc_co_u32_e64 v2, s[4:5], 0, 0, vcc
	v_mov_b32_e32 v3, s3
	v_add_co_u32_e32 v17, vcc, s2, v1
	v_addc_co_u32_e32 v18, vcc, v3, v2, vcc
	v_mov_b32_e32 v3, s1
	v_add_co_u32_e32 v19, vcc, s0, v1
	v_addc_co_u32_e32 v20, vcc, v3, v2, vcc
	v_add_co_u32_e32 v21, vcc, s14, v0
	v_lshlrev_b32_e32 v1, 3, v21
	v_addc_co_u32_e64 v22, s[4:5], 0, 0, vcc
	v_mov_b32_e32 v2, s3
	v_add_co_u32_e32 v23, vcc, s2, v1
	v_addc_co_u32_e32 v24, vcc, 0, v2, vcc
	v_mov_b32_e32 v2, s1
	v_add_co_u32_e32 v25, vcc, s0, v1
	s_mul_i32 s7, s14, 3
	v_addc_co_u32_e32 v26, vcc, 0, v2, vcc
	s_lshl_b32 s6, s14, 1
	v_add_co_u32_e32 v27, vcc, s7, v0
	v_addc_co_u32_e64 v28, s[0:1], 0, 0, vcc
	v_add_co_u32_e32 v29, vcc, s6, v0
	s_lshl_b32 s18, s14, 2
	s_lshl_b32 s19, s14, 5
	s_mov_b64 s[14:15], 0
	v_addc_co_u32_e64 v30, s[0:1], 0, 0, vcc
	s_branch .LBB257_9
.LBB257_8:                              ;   in Loop: Header=BB257_9 Depth=1
	s_or_b64 exec, exec, s[0:1]
	v_add_co_u32_e32 v9, vcc, s19, v9
	v_addc_co_u32_e32 v10, vcc, 0, v10, vcc
	v_add_co_u32_e32 v11, vcc, s19, v11
	v_addc_co_u32_e32 v12, vcc, 0, v12, vcc
	;; [unrolled: 2-line block ×6, first 2 shown]
	s_add_u32 s14, s14, s18
	v_add_co_u32_e32 v23, vcc, s19, v23
	v_mov_b32_e32 v1, s10
	s_addc_u32 s15, s15, 0
	v_addc_co_u32_e32 v24, vcc, 0, v24, vcc
	v_mov_b32_e32 v2, s11
	v_cmp_ge_i64_e32 vcc, s[14:15], v[1:2]
	v_add_co_u32_e64 v25, s[0:1], s19, v25
	v_addc_co_u32_e64 v26, s[0:1], 0, v26, s[0:1]
	s_cbranch_vccnz .LBB257_25
.LBB257_9:                              ; =>This Inner Loop Header: Depth=1
	v_mov_b32_e32 v2, s15
	v_add_co_u32_e32 v1, vcc, s14, v0
	v_addc_co_u32_e32 v2, vcc, 0, v2, vcc
	v_cmp_gt_u64_e32 vcc, s[12:13], v[1:2]
	v_mov_b32_e32 v1, 0
	v_mov_b32_e32 v3, 0
	;; [unrolled: 1-line block ×4, first 2 shown]
	s_and_saveexec_b64 s[2:3], vcc
	s_cbranch_execz .LBB257_11
; %bb.10:                               ;   in Loop: Header=BB257_9 Depth=1
	v_mov_b32_e32 v4, s9
	v_add_co_u32_e64 v3, s[0:1], s8, v9
	v_addc_co_u32_e64 v4, s[0:1], v10, v4, s[0:1]
	global_load_dwordx2 v[3:4], v[3:4], off
	s_waitcnt vmcnt(0)
	v_rndne_f64_e32 v[3:4], v[3:4]
.LBB257_11:                             ;   in Loop: Header=BB257_9 Depth=1
	s_or_b64 exec, exec, s[2:3]
	v_mov_b32_e32 v6, s15
	v_add_co_u32_e64 v5, s[0:1], s14, v21
	v_addc_co_u32_e64 v6, s[0:1], v22, v6, s[0:1]
	v_cmp_gt_u64_e64 s[0:1], s[12:13], v[5:6]
	s_and_saveexec_b64 s[4:5], s[0:1]
	s_cbranch_execz .LBB257_13
; %bb.12:                               ;   in Loop: Header=BB257_9 Depth=1
	v_mov_b32_e32 v2, s9
	v_add_co_u32_e64 v1, s[2:3], s8, v23
	v_addc_co_u32_e64 v2, s[2:3], v24, v2, s[2:3]
	global_load_dwordx2 v[1:2], v[1:2], off
	s_waitcnt vmcnt(0)
	v_rndne_f64_e32 v[1:2], v[1:2]
.LBB257_13:                             ;   in Loop: Header=BB257_9 Depth=1
	s_or_b64 exec, exec, s[4:5]
	v_mov_b32_e32 v6, s15
	v_add_co_u32_e64 v5, s[2:3], s14, v29
	v_addc_co_u32_e64 v6, s[2:3], v30, v6, s[2:3]
	v_cmp_gt_u64_e64 s[2:3], s[12:13], v[5:6]
	v_mov_b32_e32 v5, 0
	v_mov_b32_e32 v7, 0
	;; [unrolled: 1-line block ×4, first 2 shown]
	s_and_saveexec_b64 s[6:7], s[2:3]
	s_cbranch_execz .LBB257_15
; %bb.14:                               ;   in Loop: Header=BB257_9 Depth=1
	v_mov_b32_e32 v8, s9
	v_add_co_u32_e64 v7, s[4:5], s8, v17
	v_addc_co_u32_e64 v8, s[4:5], v18, v8, s[4:5]
	global_load_dwordx2 v[7:8], v[7:8], off
	s_waitcnt vmcnt(0)
	v_rndne_f64_e32 v[7:8], v[7:8]
.LBB257_15:                             ;   in Loop: Header=BB257_9 Depth=1
	s_or_b64 exec, exec, s[6:7]
	v_mov_b32_e32 v32, s15
	v_add_co_u32_e64 v31, s[4:5], s14, v27
	v_addc_co_u32_e64 v32, s[4:5], v28, v32, s[4:5]
	v_cmp_gt_u64_e64 s[4:5], s[12:13], v[31:32]
	s_and_saveexec_b64 s[16:17], s[4:5]
	s_cbranch_execnz .LBB257_20
; %bb.16:                               ;   in Loop: Header=BB257_9 Depth=1
	s_or_b64 exec, exec, s[16:17]
	s_and_saveexec_b64 s[6:7], vcc
	s_cbranch_execnz .LBB257_21
.LBB257_17:                             ;   in Loop: Header=BB257_9 Depth=1
	s_or_b64 exec, exec, s[6:7]
	s_and_saveexec_b64 s[6:7], s[0:1]
	s_cbranch_execnz .LBB257_22
.LBB257_18:                             ;   in Loop: Header=BB257_9 Depth=1
	s_or_b64 exec, exec, s[6:7]
	s_and_saveexec_b64 s[0:1], s[2:3]
	s_cbranch_execnz .LBB257_23
.LBB257_19:                             ;   in Loop: Header=BB257_9 Depth=1
	s_or_b64 exec, exec, s[0:1]
	s_and_saveexec_b64 s[0:1], s[4:5]
	s_cbranch_execz .LBB257_8
	s_branch .LBB257_24
.LBB257_20:                             ;   in Loop: Header=BB257_9 Depth=1
	v_mov_b32_e32 v6, s9
	v_add_co_u32_e64 v5, s[6:7], s8, v13
	v_addc_co_u32_e64 v6, s[6:7], v14, v6, s[6:7]
	global_load_dwordx2 v[5:6], v[5:6], off
	s_waitcnt vmcnt(0)
	v_rndne_f64_e32 v[5:6], v[5:6]
	s_or_b64 exec, exec, s[16:17]
	s_and_saveexec_b64 s[6:7], vcc
	s_cbranch_execz .LBB257_17
.LBB257_21:                             ;   in Loop: Header=BB257_9 Depth=1
	v_mov_b32_e32 v32, s9
	v_add_co_u32_e32 v31, vcc, s8, v11
	v_addc_co_u32_e32 v32, vcc, v12, v32, vcc
	global_store_dwordx2 v[31:32], v[3:4], off
	s_or_b64 exec, exec, s[6:7]
	s_and_saveexec_b64 s[6:7], s[0:1]
	s_cbranch_execz .LBB257_18
.LBB257_22:                             ;   in Loop: Header=BB257_9 Depth=1
	v_mov_b32_e32 v4, s9
	v_add_co_u32_e32 v3, vcc, s8, v25
	v_addc_co_u32_e32 v4, vcc, v26, v4, vcc
	global_store_dwordx2 v[3:4], v[1:2], off
	s_or_b64 exec, exec, s[6:7]
	s_and_saveexec_b64 s[0:1], s[2:3]
	s_cbranch_execz .LBB257_19
.LBB257_23:                             ;   in Loop: Header=BB257_9 Depth=1
	v_mov_b32_e32 v2, s9
	v_add_co_u32_e32 v1, vcc, s8, v19
	v_addc_co_u32_e32 v2, vcc, v20, v2, vcc
	global_store_dwordx2 v[1:2], v[7:8], off
	s_or_b64 exec, exec, s[0:1]
	s_and_saveexec_b64 s[0:1], s[4:5]
	s_cbranch_execz .LBB257_8
.LBB257_24:                             ;   in Loop: Header=BB257_9 Depth=1
	v_mov_b32_e32 v2, s9
	v_add_co_u32_e32 v1, vcc, s8, v15
	v_addc_co_u32_e32 v2, vcc, v16, v2, vcc
	global_store_dwordx2 v[1:2], v[5:6], off
	s_branch .LBB257_8
.LBB257_25:
	s_endpgm
	.section	.rodata,"a",@progbits
	.p2align	6, 0x0
	.amdhsa_kernel _ZN2at6native12_GLOBAL__N_125multi_tensor_apply_kernelINS1_18TensorListMetadataILi2EEENS1_14UnaryOpFunctorIdLi2ELi1ELi1EEEJNS0_5RoundIdEEEEEvT_T0_DpT1_
		.amdhsa_group_segment_fixed_size 0
		.amdhsa_private_segment_fixed_size 0
		.amdhsa_kernarg_size 3408
		.amdhsa_user_sgpr_count 6
		.amdhsa_user_sgpr_private_segment_buffer 1
		.amdhsa_user_sgpr_dispatch_ptr 0
		.amdhsa_user_sgpr_queue_ptr 0
		.amdhsa_user_sgpr_kernarg_segment_ptr 1
		.amdhsa_user_sgpr_dispatch_id 0
		.amdhsa_user_sgpr_flat_scratch_init 0
		.amdhsa_user_sgpr_private_segment_size 0
		.amdhsa_uses_dynamic_stack 0
		.amdhsa_system_sgpr_private_segment_wavefront_offset 0
		.amdhsa_system_sgpr_workgroup_id_x 1
		.amdhsa_system_sgpr_workgroup_id_y 0
		.amdhsa_system_sgpr_workgroup_id_z 0
		.amdhsa_system_sgpr_workgroup_info 0
		.amdhsa_system_vgpr_workitem_id 0
		.amdhsa_next_free_vgpr 33
		.amdhsa_next_free_sgpr 20
		.amdhsa_reserve_vcc 1
		.amdhsa_reserve_flat_scratch 0
		.amdhsa_float_round_mode_32 0
		.amdhsa_float_round_mode_16_64 0
		.amdhsa_float_denorm_mode_32 3
		.amdhsa_float_denorm_mode_16_64 3
		.amdhsa_dx10_clamp 1
		.amdhsa_ieee_mode 1
		.amdhsa_fp16_overflow 0
		.amdhsa_exception_fp_ieee_invalid_op 0
		.amdhsa_exception_fp_denorm_src 0
		.amdhsa_exception_fp_ieee_div_zero 0
		.amdhsa_exception_fp_ieee_overflow 0
		.amdhsa_exception_fp_ieee_underflow 0
		.amdhsa_exception_fp_ieee_inexact 0
		.amdhsa_exception_int_div_zero 0
	.end_amdhsa_kernel
	.section	.text._ZN2at6native12_GLOBAL__N_125multi_tensor_apply_kernelINS1_18TensorListMetadataILi2EEENS1_14UnaryOpFunctorIdLi2ELi1ELi1EEEJNS0_5RoundIdEEEEEvT_T0_DpT1_,"axG",@progbits,_ZN2at6native12_GLOBAL__N_125multi_tensor_apply_kernelINS1_18TensorListMetadataILi2EEENS1_14UnaryOpFunctorIdLi2ELi1ELi1EEEJNS0_5RoundIdEEEEEvT_T0_DpT1_,comdat
.Lfunc_end257:
	.size	_ZN2at6native12_GLOBAL__N_125multi_tensor_apply_kernelINS1_18TensorListMetadataILi2EEENS1_14UnaryOpFunctorIdLi2ELi1ELi1EEEJNS0_5RoundIdEEEEEvT_T0_DpT1_, .Lfunc_end257-_ZN2at6native12_GLOBAL__N_125multi_tensor_apply_kernelINS1_18TensorListMetadataILi2EEENS1_14UnaryOpFunctorIdLi2ELi1ELi1EEEJNS0_5RoundIdEEEEEvT_T0_DpT1_
                                        ; -- End function
	.set _ZN2at6native12_GLOBAL__N_125multi_tensor_apply_kernelINS1_18TensorListMetadataILi2EEENS1_14UnaryOpFunctorIdLi2ELi1ELi1EEEJNS0_5RoundIdEEEEEvT_T0_DpT1_.num_vgpr, 33
	.set _ZN2at6native12_GLOBAL__N_125multi_tensor_apply_kernelINS1_18TensorListMetadataILi2EEENS1_14UnaryOpFunctorIdLi2ELi1ELi1EEEJNS0_5RoundIdEEEEEvT_T0_DpT1_.num_agpr, 0
	.set _ZN2at6native12_GLOBAL__N_125multi_tensor_apply_kernelINS1_18TensorListMetadataILi2EEENS1_14UnaryOpFunctorIdLi2ELi1ELi1EEEJNS0_5RoundIdEEEEEvT_T0_DpT1_.numbered_sgpr, 20
	.set _ZN2at6native12_GLOBAL__N_125multi_tensor_apply_kernelINS1_18TensorListMetadataILi2EEENS1_14UnaryOpFunctorIdLi2ELi1ELi1EEEJNS0_5RoundIdEEEEEvT_T0_DpT1_.num_named_barrier, 0
	.set _ZN2at6native12_GLOBAL__N_125multi_tensor_apply_kernelINS1_18TensorListMetadataILi2EEENS1_14UnaryOpFunctorIdLi2ELi1ELi1EEEJNS0_5RoundIdEEEEEvT_T0_DpT1_.private_seg_size, 0
	.set _ZN2at6native12_GLOBAL__N_125multi_tensor_apply_kernelINS1_18TensorListMetadataILi2EEENS1_14UnaryOpFunctorIdLi2ELi1ELi1EEEJNS0_5RoundIdEEEEEvT_T0_DpT1_.uses_vcc, 1
	.set _ZN2at6native12_GLOBAL__N_125multi_tensor_apply_kernelINS1_18TensorListMetadataILi2EEENS1_14UnaryOpFunctorIdLi2ELi1ELi1EEEJNS0_5RoundIdEEEEEvT_T0_DpT1_.uses_flat_scratch, 0
	.set _ZN2at6native12_GLOBAL__N_125multi_tensor_apply_kernelINS1_18TensorListMetadataILi2EEENS1_14UnaryOpFunctorIdLi2ELi1ELi1EEEJNS0_5RoundIdEEEEEvT_T0_DpT1_.has_dyn_sized_stack, 0
	.set _ZN2at6native12_GLOBAL__N_125multi_tensor_apply_kernelINS1_18TensorListMetadataILi2EEENS1_14UnaryOpFunctorIdLi2ELi1ELi1EEEJNS0_5RoundIdEEEEEvT_T0_DpT1_.has_recursion, 0
	.set _ZN2at6native12_GLOBAL__N_125multi_tensor_apply_kernelINS1_18TensorListMetadataILi2EEENS1_14UnaryOpFunctorIdLi2ELi1ELi1EEEJNS0_5RoundIdEEEEEvT_T0_DpT1_.has_indirect_call, 0
	.section	.AMDGPU.csdata,"",@progbits
; Kernel info:
; codeLenInByte = 1284
; TotalNumSgprs: 24
; NumVgprs: 33
; ScratchSize: 0
; MemoryBound: 0
; FloatMode: 240
; IeeeMode: 1
; LDSByteSize: 0 bytes/workgroup (compile time only)
; SGPRBlocks: 2
; VGPRBlocks: 8
; NumSGPRsForWavesPerEU: 24
; NumVGPRsForWavesPerEU: 33
; Occupancy: 7
; WaveLimiterHint : 0
; COMPUTE_PGM_RSRC2:SCRATCH_EN: 0
; COMPUTE_PGM_RSRC2:USER_SGPR: 6
; COMPUTE_PGM_RSRC2:TRAP_HANDLER: 0
; COMPUTE_PGM_RSRC2:TGID_X_EN: 1
; COMPUTE_PGM_RSRC2:TGID_Y_EN: 0
; COMPUTE_PGM_RSRC2:TGID_Z_EN: 0
; COMPUTE_PGM_RSRC2:TIDIG_COMP_CNT: 0
	.section	.text._ZN2at6native12_GLOBAL__N_125multi_tensor_apply_kernelINS1_18TensorListMetadataILi2EEENS1_14UnaryOpFunctorIfLi2ELi1ELi1EEEJNS0_5RoundIfEEEEEvT_T0_DpT1_,"axG",@progbits,_ZN2at6native12_GLOBAL__N_125multi_tensor_apply_kernelINS1_18TensorListMetadataILi2EEENS1_14UnaryOpFunctorIfLi2ELi1ELi1EEEJNS0_5RoundIfEEEEEvT_T0_DpT1_,comdat
	.globl	_ZN2at6native12_GLOBAL__N_125multi_tensor_apply_kernelINS1_18TensorListMetadataILi2EEENS1_14UnaryOpFunctorIfLi2ELi1ELi1EEEJNS0_5RoundIfEEEEEvT_T0_DpT1_ ; -- Begin function _ZN2at6native12_GLOBAL__N_125multi_tensor_apply_kernelINS1_18TensorListMetadataILi2EEENS1_14UnaryOpFunctorIfLi2ELi1ELi1EEEJNS0_5RoundIfEEEEEvT_T0_DpT1_
	.p2align	8
	.type	_ZN2at6native12_GLOBAL__N_125multi_tensor_apply_kernelINS1_18TensorListMetadataILi2EEENS1_14UnaryOpFunctorIfLi2ELi1ELi1EEEJNS0_5RoundIfEEEEEvT_T0_DpT1_,@function
_ZN2at6native12_GLOBAL__N_125multi_tensor_apply_kernelINS1_18TensorListMetadataILi2EEENS1_14UnaryOpFunctorIfLi2ELi1ELi1EEEJNS0_5RoundIfEEEEEvT_T0_DpT1_: ; @_ZN2at6native12_GLOBAL__N_125multi_tensor_apply_kernelINS1_18TensorListMetadataILi2EEENS1_14UnaryOpFunctorIfLi2ELi1ELi1EEEJNS0_5RoundIfEEEEEvT_T0_DpT1_
; %bb.0:
	v_mov_b32_e32 v1, s6
	global_load_ubyte v1, v1, s[4:5] offset:1536
	s_add_u32 s0, s4, s6
	s_mul_hi_u32 s1, s6, 3
	s_mul_i32 s6, s6, 3
	s_addc_u32 s2, s5, 0
	s_add_u32 s0, s0, s6
	s_addc_u32 s1, s2, s1
	s_load_dword s6, s[0:1], 0x740
	s_mov_b32 s11, 0
	s_mov_b32 s13, s11
	s_waitcnt vmcnt(0)
	v_readfirstlane_b32 s0, v1
	s_lshl_b32 s7, s0, 3
	s_load_dwordx2 s[14:15], s[4:5], s7 offset:0x400
	s_load_dwordx2 s[2:3], s[4:5], s7 offset:0x0
	;; [unrolled: 1-line block ×3, first 2 shown]
	s_waitcnt lgkmcnt(0)
	s_ashr_i32 s7, s6, 31
	s_lshl_b64 s[8:9], s[6:7], 18
	s_lshl_b64 s[6:7], s[6:7], 16
	s_add_u32 s10, s2, s8
	s_and_b32 s12, s0, 15
	s_and_b32 s10, s10, 15
	s_sub_u32 s6, s14, s6
	s_subb_u32 s7, s15, s7
	s_and_b32 s14, s14, 3
	s_mov_b32 s15, s11
	s_or_b64 s[12:13], s[12:13], s[14:15]
	s_or_b64 s[10:11], s[12:13], s[10:11]
	s_cmp_eq_u64 s[10:11], 0
	s_mov_b64 s[10:11], -1
	s_cbranch_scc0 .LBB258_5
; %bb.1:
	v_mov_b32_e32 v1, 0x10000
	v_mov_b32_e32 v2, 0
	v_cmp_lt_i64_e32 vcc, s[6:7], v[1:2]
	v_mov_b32_e32 v2, 0
	s_and_b64 s[10:11], vcc, exec
	s_cselect_b32 s11, s7, 0
	s_cselect_b32 s10, s6, 0x10000
	v_lshlrev_b32_e32 v1, 2, v0
	v_cmp_gt_i64_e32 vcc, s[10:11], v[1:2]
	s_and_saveexec_b64 s[12:13], vcc
	s_cbranch_execz .LBB258_4
; %bb.2:
	s_load_dword s14, s[4:5], 0xc5c
	v_mov_b32_e32 v1, v2
	v_lshlrev_b32_e32 v2, 4, v0
	v_mov_b32_e32 v4, s9
	v_add_co_u32_e32 v3, vcc, s8, v2
	s_waitcnt lgkmcnt(0)
	s_and_b32 s16, s14, 0xffff
	v_mov_b32_e32 v2, v1
	v_addc_co_u32_e32 v4, vcc, 0, v4, vcc
	s_lshl_b32 s17, s16, 4
	s_mov_b64 s[14:15], 0
	v_mov_b32_e32 v5, s3
	v_mov_b32_e32 v6, s1
	;; [unrolled: 1-line block ×3, first 2 shown]
.LBB258_3:                              ; =>This Inner Loop Header: Depth=1
	v_add_co_u32_e32 v7, vcc, s2, v3
	v_addc_co_u32_e32 v8, vcc, v5, v4, vcc
	global_load_dwordx4 v[7:10], v[7:8], off
	v_add_co_u32_e32 v11, vcc, s0, v3
	v_addc_co_u32_e32 v12, vcc, v6, v4, vcc
	v_add_co_u32_e32 v1, vcc, s16, v1
	v_addc_co_u32_e32 v2, vcc, 0, v2, vcc
	v_add_co_u32_e32 v3, vcc, s17, v3
	v_lshlrev_b64 v[13:14], 2, v[1:2]
	v_addc_co_u32_e32 v4, vcc, 0, v4, vcc
	v_cmp_le_i64_e32 vcc, s[10:11], v[13:14]
	s_or_b64 s[14:15], vcc, s[14:15]
	s_waitcnt vmcnt(0)
	v_rndne_f32_e32 v7, v7
	v_rndne_f32_e32 v8, v8
	;; [unrolled: 1-line block ×4, first 2 shown]
	global_store_dwordx4 v[11:12], v[7:10], off
	s_andn2_b64 exec, exec, s[14:15]
	s_cbranch_execnz .LBB258_3
.LBB258_4:
	s_or_b64 exec, exec, s[12:13]
	s_mov_b64 s[10:11], 0
.LBB258_5:
	s_andn2_b64 vcc, exec, s[10:11]
	s_cbranch_vccnz .LBB258_25
; %bb.6:
	v_cmp_lt_i64_e64 s[10:11], s[6:7], 1
	s_and_b64 vcc, exec, s[10:11]
	s_cbranch_vccnz .LBB258_25
; %bb.7:
	v_mov_b32_e32 v1, 0x10000
	s_load_dword s12, s[4:5], 0xc5c
	v_mov_b32_e32 v2, 0
	v_cmp_lt_i64_e32 vcc, s[6:7], v[1:2]
	v_mov_b32_e32 v10, 0
	s_and_b64 s[4:5], vcc, exec
	v_cmp_lt_u64_e32 vcc, s[6:7], v[1:2]
	s_cselect_b32 s11, s7, 0
	s_cselect_b32 s10, s6, 0x10000
	s_waitcnt lgkmcnt(0)
	s_and_b32 s14, s12, 0xffff
	v_lshlrev_b32_e32 v9, 2, v0
	s_and_b64 s[4:5], vcc, exec
	v_mov_b32_e32 v2, s3
	v_add_co_u32_e32 v1, vcc, s2, v9
	v_mad_u64_u32 v[7:8], s[4:5], s14, 12, v[9:10]
	v_addc_co_u32_e32 v2, vcc, 0, v2, vcc
	v_mov_b32_e32 v4, s1
	v_add_co_u32_e32 v3, vcc, s0, v9
	v_addc_co_u32_e32 v4, vcc, 0, v4, vcc
	v_mov_b32_e32 v6, s3
	v_add_co_u32_e32 v5, vcc, s2, v7
	;; [unrolled: 3-line block ×3, first 2 shown]
	s_cselect_b32 s13, s7, 0
	s_cselect_b32 s12, s6, 0x10000
	v_addc_co_u32_e32 v8, vcc, v10, v8, vcc
	s_lshl_b32 s4, s14, 3
	v_add_co_u32_e32 v11, vcc, s4, v9
	v_addc_co_u32_e64 v12, s[4:5], 0, 0, vcc
	v_mov_b32_e32 v10, s3
	v_add_co_u32_e32 v9, vcc, s2, v11
	v_addc_co_u32_e32 v10, vcc, v10, v12, vcc
	v_mov_b32_e32 v13, s1
	v_add_co_u32_e32 v11, vcc, s0, v11
	v_addc_co_u32_e32 v12, vcc, v13, v12, vcc
	v_add_co_u32_e32 v13, vcc, s14, v0
	v_lshlrev_b32_e32 v17, 2, v13
	v_addc_co_u32_e64 v14, s[4:5], 0, 0, vcc
	v_mov_b32_e32 v16, s3
	v_add_co_u32_e32 v15, vcc, s2, v17
	v_addc_co_u32_e32 v16, vcc, 0, v16, vcc
	v_mov_b32_e32 v18, s1
	v_add_co_u32_e32 v17, vcc, s0, v17
	s_mul_i32 s7, s14, 3
	v_addc_co_u32_e32 v18, vcc, 0, v18, vcc
	s_lshl_b32 s6, s14, 1
	v_add_co_u32_e32 v19, vcc, s7, v0
	v_addc_co_u32_e64 v20, s[0:1], 0, 0, vcc
	v_add_co_u32_e32 v21, vcc, s6, v0
	s_lshl_b32 s18, s14, 2
	s_lshl_b32 s19, s14, 4
	s_mov_b64 s[14:15], 0
	v_addc_co_u32_e64 v22, s[0:1], 0, 0, vcc
	s_branch .LBB258_9
.LBB258_8:                              ;   in Loop: Header=BB258_9 Depth=1
	s_or_b64 exec, exec, s[0:1]
	v_add_co_u32_e32 v1, vcc, s19, v1
	v_addc_co_u32_e32 v2, vcc, 0, v2, vcc
	v_add_co_u32_e32 v3, vcc, s19, v3
	v_addc_co_u32_e32 v4, vcc, 0, v4, vcc
	;; [unrolled: 2-line block ×6, first 2 shown]
	s_add_u32 s14, s14, s18
	v_add_co_u32_e32 v15, vcc, s19, v15
	v_mov_b32_e32 v24, s11
	s_addc_u32 s15, s15, 0
	v_addc_co_u32_e32 v16, vcc, 0, v16, vcc
	v_mov_b32_e32 v23, s10
	v_cmp_ge_i64_e32 vcc, s[14:15], v[23:24]
	v_add_co_u32_e64 v17, s[0:1], s19, v17
	v_addc_co_u32_e64 v18, s[0:1], 0, v18, s[0:1]
	s_cbranch_vccnz .LBB258_25
.LBB258_9:                              ; =>This Inner Loop Header: Depth=1
	v_mov_b32_e32 v24, s15
	v_add_co_u32_e32 v23, vcc, s14, v0
	v_addc_co_u32_e32 v24, vcc, 0, v24, vcc
	v_cmp_gt_u64_e32 vcc, s[12:13], v[23:24]
	v_mov_b32_e32 v24, 0
	s_and_saveexec_b64 s[2:3], vcc
	s_cbranch_execz .LBB258_11
; %bb.10:                               ;   in Loop: Header=BB258_9 Depth=1
	v_mov_b32_e32 v24, s9
	v_add_co_u32_e64 v23, s[0:1], s8, v1
	v_addc_co_u32_e64 v24, s[0:1], v2, v24, s[0:1]
	global_load_dword v23, v[23:24], off
	s_waitcnt vmcnt(0)
	v_rndne_f32_e32 v24, v23
.LBB258_11:                             ;   in Loop: Header=BB258_9 Depth=1
	s_or_b64 exec, exec, s[2:3]
	v_mov_b32_e32 v23, s15
	v_add_co_u32_e64 v25, s[0:1], s14, v13
	v_addc_co_u32_e64 v26, s[0:1], v14, v23, s[0:1]
	v_cmp_gt_u64_e64 s[0:1], s[12:13], v[25:26]
	v_mov_b32_e32 v23, 0
	v_mov_b32_e32 v25, 0
	s_and_saveexec_b64 s[4:5], s[0:1]
	s_cbranch_execz .LBB258_13
; %bb.12:                               ;   in Loop: Header=BB258_9 Depth=1
	v_mov_b32_e32 v26, s9
	v_add_co_u32_e64 v25, s[2:3], s8, v15
	v_addc_co_u32_e64 v26, s[2:3], v16, v26, s[2:3]
	global_load_dword v25, v[25:26], off
	s_waitcnt vmcnt(0)
	v_rndne_f32_e32 v25, v25
.LBB258_13:                             ;   in Loop: Header=BB258_9 Depth=1
	s_or_b64 exec, exec, s[4:5]
	v_mov_b32_e32 v27, s15
	v_add_co_u32_e64 v26, s[2:3], s14, v21
	v_addc_co_u32_e64 v27, s[2:3], v22, v27, s[2:3]
	v_cmp_gt_u64_e64 s[2:3], s[12:13], v[26:27]
	s_and_saveexec_b64 s[6:7], s[2:3]
	s_cbranch_execz .LBB258_15
; %bb.14:                               ;   in Loop: Header=BB258_9 Depth=1
	v_mov_b32_e32 v23, s9
	v_add_co_u32_e64 v26, s[4:5], s8, v9
	v_addc_co_u32_e64 v27, s[4:5], v10, v23, s[4:5]
	global_load_dword v23, v[26:27], off
	s_waitcnt vmcnt(0)
	v_rndne_f32_e32 v23, v23
.LBB258_15:                             ;   in Loop: Header=BB258_9 Depth=1
	s_or_b64 exec, exec, s[6:7]
	v_mov_b32_e32 v27, s15
	v_add_co_u32_e64 v26, s[4:5], s14, v19
	v_addc_co_u32_e64 v27, s[4:5], v20, v27, s[4:5]
	v_cmp_gt_u64_e64 s[4:5], s[12:13], v[26:27]
	v_mov_b32_e32 v26, 0
	s_and_saveexec_b64 s[16:17], s[4:5]
	s_cbranch_execnz .LBB258_20
; %bb.16:                               ;   in Loop: Header=BB258_9 Depth=1
	s_or_b64 exec, exec, s[16:17]
	s_and_saveexec_b64 s[6:7], vcc
	s_cbranch_execnz .LBB258_21
.LBB258_17:                             ;   in Loop: Header=BB258_9 Depth=1
	s_or_b64 exec, exec, s[6:7]
	s_and_saveexec_b64 s[6:7], s[0:1]
	s_cbranch_execnz .LBB258_22
.LBB258_18:                             ;   in Loop: Header=BB258_9 Depth=1
	s_or_b64 exec, exec, s[6:7]
	s_and_saveexec_b64 s[0:1], s[2:3]
	s_cbranch_execnz .LBB258_23
.LBB258_19:                             ;   in Loop: Header=BB258_9 Depth=1
	s_or_b64 exec, exec, s[0:1]
	s_and_saveexec_b64 s[0:1], s[4:5]
	s_cbranch_execz .LBB258_8
	s_branch .LBB258_24
.LBB258_20:                             ;   in Loop: Header=BB258_9 Depth=1
	v_mov_b32_e32 v27, s9
	v_add_co_u32_e64 v26, s[6:7], s8, v5
	v_addc_co_u32_e64 v27, s[6:7], v6, v27, s[6:7]
	global_load_dword v26, v[26:27], off
	s_waitcnt vmcnt(0)
	v_rndne_f32_e32 v26, v26
	s_or_b64 exec, exec, s[16:17]
	s_and_saveexec_b64 s[6:7], vcc
	s_cbranch_execz .LBB258_17
.LBB258_21:                             ;   in Loop: Header=BB258_9 Depth=1
	v_mov_b32_e32 v28, s9
	v_add_co_u32_e32 v27, vcc, s8, v3
	v_addc_co_u32_e32 v28, vcc, v4, v28, vcc
	global_store_dword v[27:28], v24, off
	s_or_b64 exec, exec, s[6:7]
	s_and_saveexec_b64 s[6:7], s[0:1]
	s_cbranch_execz .LBB258_18
.LBB258_22:                             ;   in Loop: Header=BB258_9 Depth=1
	v_mov_b32_e32 v24, s9
	v_add_co_u32_e32 v27, vcc, s8, v17
	v_addc_co_u32_e32 v28, vcc, v18, v24, vcc
	global_store_dword v[27:28], v25, off
	s_or_b64 exec, exec, s[6:7]
	s_and_saveexec_b64 s[0:1], s[2:3]
	s_cbranch_execz .LBB258_19
.LBB258_23:                             ;   in Loop: Header=BB258_9 Depth=1
	v_mov_b32_e32 v25, s9
	v_add_co_u32_e32 v24, vcc, s8, v11
	v_addc_co_u32_e32 v25, vcc, v12, v25, vcc
	global_store_dword v[24:25], v23, off
	s_or_b64 exec, exec, s[0:1]
	s_and_saveexec_b64 s[0:1], s[4:5]
	s_cbranch_execz .LBB258_8
.LBB258_24:                             ;   in Loop: Header=BB258_9 Depth=1
	v_mov_b32_e32 v24, s9
	v_add_co_u32_e32 v23, vcc, s8, v7
	v_addc_co_u32_e32 v24, vcc, v8, v24, vcc
	global_store_dword v[23:24], v26, off
	s_branch .LBB258_8
.LBB258_25:
	s_endpgm
	.section	.rodata,"a",@progbits
	.p2align	6, 0x0
	.amdhsa_kernel _ZN2at6native12_GLOBAL__N_125multi_tensor_apply_kernelINS1_18TensorListMetadataILi2EEENS1_14UnaryOpFunctorIfLi2ELi1ELi1EEEJNS0_5RoundIfEEEEEvT_T0_DpT1_
		.amdhsa_group_segment_fixed_size 0
		.amdhsa_private_segment_fixed_size 0
		.amdhsa_kernarg_size 3408
		.amdhsa_user_sgpr_count 6
		.amdhsa_user_sgpr_private_segment_buffer 1
		.amdhsa_user_sgpr_dispatch_ptr 0
		.amdhsa_user_sgpr_queue_ptr 0
		.amdhsa_user_sgpr_kernarg_segment_ptr 1
		.amdhsa_user_sgpr_dispatch_id 0
		.amdhsa_user_sgpr_flat_scratch_init 0
		.amdhsa_user_sgpr_private_segment_size 0
		.amdhsa_uses_dynamic_stack 0
		.amdhsa_system_sgpr_private_segment_wavefront_offset 0
		.amdhsa_system_sgpr_workgroup_id_x 1
		.amdhsa_system_sgpr_workgroup_id_y 0
		.amdhsa_system_sgpr_workgroup_id_z 0
		.amdhsa_system_sgpr_workgroup_info 0
		.amdhsa_system_vgpr_workitem_id 0
		.amdhsa_next_free_vgpr 29
		.amdhsa_next_free_sgpr 20
		.amdhsa_reserve_vcc 1
		.amdhsa_reserve_flat_scratch 0
		.amdhsa_float_round_mode_32 0
		.amdhsa_float_round_mode_16_64 0
		.amdhsa_float_denorm_mode_32 3
		.amdhsa_float_denorm_mode_16_64 3
		.amdhsa_dx10_clamp 1
		.amdhsa_ieee_mode 1
		.amdhsa_fp16_overflow 0
		.amdhsa_exception_fp_ieee_invalid_op 0
		.amdhsa_exception_fp_denorm_src 0
		.amdhsa_exception_fp_ieee_div_zero 0
		.amdhsa_exception_fp_ieee_overflow 0
		.amdhsa_exception_fp_ieee_underflow 0
		.amdhsa_exception_fp_ieee_inexact 0
		.amdhsa_exception_int_div_zero 0
	.end_amdhsa_kernel
	.section	.text._ZN2at6native12_GLOBAL__N_125multi_tensor_apply_kernelINS1_18TensorListMetadataILi2EEENS1_14UnaryOpFunctorIfLi2ELi1ELi1EEEJNS0_5RoundIfEEEEEvT_T0_DpT1_,"axG",@progbits,_ZN2at6native12_GLOBAL__N_125multi_tensor_apply_kernelINS1_18TensorListMetadataILi2EEENS1_14UnaryOpFunctorIfLi2ELi1ELi1EEEJNS0_5RoundIfEEEEEvT_T0_DpT1_,comdat
.Lfunc_end258:
	.size	_ZN2at6native12_GLOBAL__N_125multi_tensor_apply_kernelINS1_18TensorListMetadataILi2EEENS1_14UnaryOpFunctorIfLi2ELi1ELi1EEEJNS0_5RoundIfEEEEEvT_T0_DpT1_, .Lfunc_end258-_ZN2at6native12_GLOBAL__N_125multi_tensor_apply_kernelINS1_18TensorListMetadataILi2EEENS1_14UnaryOpFunctorIfLi2ELi1ELi1EEEJNS0_5RoundIfEEEEEvT_T0_DpT1_
                                        ; -- End function
	.set _ZN2at6native12_GLOBAL__N_125multi_tensor_apply_kernelINS1_18TensorListMetadataILi2EEENS1_14UnaryOpFunctorIfLi2ELi1ELi1EEEJNS0_5RoundIfEEEEEvT_T0_DpT1_.num_vgpr, 29
	.set _ZN2at6native12_GLOBAL__N_125multi_tensor_apply_kernelINS1_18TensorListMetadataILi2EEENS1_14UnaryOpFunctorIfLi2ELi1ELi1EEEJNS0_5RoundIfEEEEEvT_T0_DpT1_.num_agpr, 0
	.set _ZN2at6native12_GLOBAL__N_125multi_tensor_apply_kernelINS1_18TensorListMetadataILi2EEENS1_14UnaryOpFunctorIfLi2ELi1ELi1EEEJNS0_5RoundIfEEEEEvT_T0_DpT1_.numbered_sgpr, 20
	.set _ZN2at6native12_GLOBAL__N_125multi_tensor_apply_kernelINS1_18TensorListMetadataILi2EEENS1_14UnaryOpFunctorIfLi2ELi1ELi1EEEJNS0_5RoundIfEEEEEvT_T0_DpT1_.num_named_barrier, 0
	.set _ZN2at6native12_GLOBAL__N_125multi_tensor_apply_kernelINS1_18TensorListMetadataILi2EEENS1_14UnaryOpFunctorIfLi2ELi1ELi1EEEJNS0_5RoundIfEEEEEvT_T0_DpT1_.private_seg_size, 0
	.set _ZN2at6native12_GLOBAL__N_125multi_tensor_apply_kernelINS1_18TensorListMetadataILi2EEENS1_14UnaryOpFunctorIfLi2ELi1ELi1EEEJNS0_5RoundIfEEEEEvT_T0_DpT1_.uses_vcc, 1
	.set _ZN2at6native12_GLOBAL__N_125multi_tensor_apply_kernelINS1_18TensorListMetadataILi2EEENS1_14UnaryOpFunctorIfLi2ELi1ELi1EEEJNS0_5RoundIfEEEEEvT_T0_DpT1_.uses_flat_scratch, 0
	.set _ZN2at6native12_GLOBAL__N_125multi_tensor_apply_kernelINS1_18TensorListMetadataILi2EEENS1_14UnaryOpFunctorIfLi2ELi1ELi1EEEJNS0_5RoundIfEEEEEvT_T0_DpT1_.has_dyn_sized_stack, 0
	.set _ZN2at6native12_GLOBAL__N_125multi_tensor_apply_kernelINS1_18TensorListMetadataILi2EEENS1_14UnaryOpFunctorIfLi2ELi1ELi1EEEJNS0_5RoundIfEEEEEvT_T0_DpT1_.has_recursion, 0
	.set _ZN2at6native12_GLOBAL__N_125multi_tensor_apply_kernelINS1_18TensorListMetadataILi2EEENS1_14UnaryOpFunctorIfLi2ELi1ELi1EEEJNS0_5RoundIfEEEEEvT_T0_DpT1_.has_indirect_call, 0
	.section	.AMDGPU.csdata,"",@progbits
; Kernel info:
; codeLenInByte = 1248
; TotalNumSgprs: 24
; NumVgprs: 29
; ScratchSize: 0
; MemoryBound: 0
; FloatMode: 240
; IeeeMode: 1
; LDSByteSize: 0 bytes/workgroup (compile time only)
; SGPRBlocks: 2
; VGPRBlocks: 7
; NumSGPRsForWavesPerEU: 24
; NumVGPRsForWavesPerEU: 29
; Occupancy: 8
; WaveLimiterHint : 0
; COMPUTE_PGM_RSRC2:SCRATCH_EN: 0
; COMPUTE_PGM_RSRC2:USER_SGPR: 6
; COMPUTE_PGM_RSRC2:TRAP_HANDLER: 0
; COMPUTE_PGM_RSRC2:TGID_X_EN: 1
; COMPUTE_PGM_RSRC2:TGID_Y_EN: 0
; COMPUTE_PGM_RSRC2:TGID_Z_EN: 0
; COMPUTE_PGM_RSRC2:TIDIG_COMP_CNT: 0
	.section	.text._ZN2at6native12_GLOBAL__N_125multi_tensor_apply_kernelINS1_18TensorListMetadataILi2EEENS1_14UnaryOpFunctorIN3c104HalfELi2ELi1ELi1EEEJNS0_5RoundIfEEEEEvT_T0_DpT1_,"axG",@progbits,_ZN2at6native12_GLOBAL__N_125multi_tensor_apply_kernelINS1_18TensorListMetadataILi2EEENS1_14UnaryOpFunctorIN3c104HalfELi2ELi1ELi1EEEJNS0_5RoundIfEEEEEvT_T0_DpT1_,comdat
	.globl	_ZN2at6native12_GLOBAL__N_125multi_tensor_apply_kernelINS1_18TensorListMetadataILi2EEENS1_14UnaryOpFunctorIN3c104HalfELi2ELi1ELi1EEEJNS0_5RoundIfEEEEEvT_T0_DpT1_ ; -- Begin function _ZN2at6native12_GLOBAL__N_125multi_tensor_apply_kernelINS1_18TensorListMetadataILi2EEENS1_14UnaryOpFunctorIN3c104HalfELi2ELi1ELi1EEEJNS0_5RoundIfEEEEEvT_T0_DpT1_
	.p2align	8
	.type	_ZN2at6native12_GLOBAL__N_125multi_tensor_apply_kernelINS1_18TensorListMetadataILi2EEENS1_14UnaryOpFunctorIN3c104HalfELi2ELi1ELi1EEEJNS0_5RoundIfEEEEEvT_T0_DpT1_,@function
_ZN2at6native12_GLOBAL__N_125multi_tensor_apply_kernelINS1_18TensorListMetadataILi2EEENS1_14UnaryOpFunctorIN3c104HalfELi2ELi1ELi1EEEJNS0_5RoundIfEEEEEvT_T0_DpT1_: ; @_ZN2at6native12_GLOBAL__N_125multi_tensor_apply_kernelINS1_18TensorListMetadataILi2EEENS1_14UnaryOpFunctorIN3c104HalfELi2ELi1ELi1EEEJNS0_5RoundIfEEEEEvT_T0_DpT1_
; %bb.0:
	v_mov_b32_e32 v1, s6
	global_load_ubyte v1, v1, s[4:5] offset:1536
	s_add_u32 s0, s4, s6
	s_mul_hi_u32 s1, s6, 3
	s_mul_i32 s6, s6, 3
	s_addc_u32 s2, s5, 0
	s_add_u32 s0, s0, s6
	s_addc_u32 s1, s2, s1
	s_load_dword s6, s[0:1], 0x740
	s_mov_b32 s11, 0
	s_mov_b32 s13, s11
	s_waitcnt vmcnt(0)
	v_readfirstlane_b32 s0, v1
	s_lshl_b32 s7, s0, 3
	s_load_dwordx2 s[14:15], s[4:5], s7 offset:0x400
	s_load_dwordx2 s[2:3], s[4:5], s7 offset:0x0
	;; [unrolled: 1-line block ×3, first 2 shown]
	s_waitcnt lgkmcnt(0)
	s_ashr_i32 s7, s6, 31
	s_lshl_b64 s[8:9], s[6:7], 17
	s_lshl_b64 s[6:7], s[6:7], 16
	s_add_u32 s10, s2, s8
	s_and_b32 s12, s0, 7
	s_and_b32 s10, s10, 7
	s_sub_u32 s6, s14, s6
	s_subb_u32 s7, s15, s7
	s_and_b32 s14, s14, 3
	s_mov_b32 s15, s11
	s_or_b64 s[12:13], s[12:13], s[14:15]
	s_or_b64 s[10:11], s[12:13], s[10:11]
	s_cmp_eq_u64 s[10:11], 0
	s_mov_b64 s[10:11], -1
	s_cbranch_scc0 .LBB259_5
; %bb.1:
	v_mov_b32_e32 v1, 0x10000
	v_mov_b32_e32 v2, 0
	v_cmp_lt_i64_e32 vcc, s[6:7], v[1:2]
	v_mov_b32_e32 v2, 0
	s_and_b64 s[10:11], vcc, exec
	s_cselect_b32 s11, s7, 0
	s_cselect_b32 s10, s6, 0x10000
	v_lshlrev_b32_e32 v1, 2, v0
	v_cmp_gt_i64_e32 vcc, s[10:11], v[1:2]
	s_and_saveexec_b64 s[12:13], vcc
	s_cbranch_execz .LBB259_4
; %bb.2:
	s_load_dword s14, s[4:5], 0xc5c
	v_mov_b32_e32 v1, v2
	v_lshlrev_b32_e32 v2, 3, v0
	v_mov_b32_e32 v4, s9
	v_add_co_u32_e32 v3, vcc, s8, v2
	s_waitcnt lgkmcnt(0)
	s_and_b32 s16, s14, 0xffff
	v_mov_b32_e32 v2, v1
	v_addc_co_u32_e32 v4, vcc, 0, v4, vcc
	s_lshl_b32 s17, s16, 3
	s_mov_b64 s[14:15], 0
	v_mov_b32_e32 v5, s3
	v_mov_b32_e32 v6, s1
	;; [unrolled: 1-line block ×3, first 2 shown]
.LBB259_3:                              ; =>This Inner Loop Header: Depth=1
	v_add_co_u32_e32 v7, vcc, s2, v3
	v_addc_co_u32_e32 v8, vcc, v5, v4, vcc
	global_load_dwordx2 v[7:8], v[7:8], off
	v_add_co_u32_e32 v9, vcc, s0, v3
	v_addc_co_u32_e32 v10, vcc, v6, v4, vcc
	v_add_co_u32_e32 v1, vcc, s16, v1
	v_addc_co_u32_e32 v2, vcc, 0, v2, vcc
	v_add_co_u32_e32 v3, vcc, s17, v3
	v_lshlrev_b64 v[11:12], 2, v[1:2]
	v_addc_co_u32_e32 v4, vcc, 0, v4, vcc
	v_cmp_le_i64_e32 vcc, s[10:11], v[11:12]
	s_or_b64 s[14:15], vcc, s[14:15]
	s_waitcnt vmcnt(0)
	v_rndne_f16_e32 v11, v7
	v_rndne_f16_sdwa v7, v7 dst_sel:DWORD dst_unused:UNUSED_PAD src0_sel:WORD_1
	v_rndne_f16_e32 v12, v8
	v_rndne_f16_sdwa v8, v8 dst_sel:DWORD dst_unused:UNUSED_PAD src0_sel:WORD_1
	v_pack_b32_f16 v8, v12, v8
	v_pack_b32_f16 v7, v11, v7
	global_store_dwordx2 v[9:10], v[7:8], off
	s_andn2_b64 exec, exec, s[14:15]
	s_cbranch_execnz .LBB259_3
.LBB259_4:
	s_or_b64 exec, exec, s[12:13]
	s_mov_b64 s[10:11], 0
.LBB259_5:
	s_andn2_b64 vcc, exec, s[10:11]
	s_cbranch_vccnz .LBB259_25
; %bb.6:
	v_cmp_lt_i64_e64 s[10:11], s[6:7], 1
	s_and_b64 vcc, exec, s[10:11]
	s_cbranch_vccnz .LBB259_25
; %bb.7:
	v_mov_b32_e32 v1, 0x10000
	s_load_dword s12, s[4:5], 0xc5c
	v_mov_b32_e32 v2, 0
	v_cmp_lt_i64_e32 vcc, s[6:7], v[1:2]
	v_mov_b32_e32 v10, 0
	s_and_b64 s[4:5], vcc, exec
	v_cmp_lt_u64_e32 vcc, s[6:7], v[1:2]
	s_cselect_b32 s11, s7, 0
	s_cselect_b32 s10, s6, 0x10000
	s_waitcnt lgkmcnt(0)
	s_and_b32 s14, s12, 0xffff
	v_lshlrev_b32_e32 v9, 1, v0
	s_and_b64 s[4:5], vcc, exec
	v_mov_b32_e32 v2, s3
	v_add_co_u32_e32 v1, vcc, s2, v9
	v_mad_u64_u32 v[7:8], s[4:5], s14, 6, v[9:10]
	v_addc_co_u32_e32 v2, vcc, 0, v2, vcc
	v_mov_b32_e32 v4, s1
	v_add_co_u32_e32 v3, vcc, s0, v9
	v_addc_co_u32_e32 v4, vcc, 0, v4, vcc
	v_mov_b32_e32 v6, s3
	v_add_co_u32_e32 v5, vcc, s2, v7
	;; [unrolled: 3-line block ×3, first 2 shown]
	s_cselect_b32 s13, s7, 0
	s_cselect_b32 s12, s6, 0x10000
	s_lshl_b32 s18, s14, 2
	v_addc_co_u32_e32 v8, vcc, v10, v8, vcc
	v_add_co_u32_e32 v11, vcc, s18, v9
	v_addc_co_u32_e64 v12, s[4:5], 0, 0, vcc
	v_mov_b32_e32 v10, s3
	v_add_co_u32_e32 v9, vcc, s2, v11
	v_addc_co_u32_e32 v10, vcc, v10, v12, vcc
	v_mov_b32_e32 v13, s1
	v_add_co_u32_e32 v11, vcc, s0, v11
	v_addc_co_u32_e32 v12, vcc, v13, v12, vcc
	v_add_co_u32_e32 v13, vcc, s14, v0
	v_lshlrev_b32_e32 v17, 1, v13
	v_addc_co_u32_e64 v14, s[4:5], 0, 0, vcc
	v_mov_b32_e32 v16, s3
	v_add_co_u32_e32 v15, vcc, s2, v17
	v_addc_co_u32_e32 v16, vcc, 0, v16, vcc
	v_mov_b32_e32 v18, s1
	v_add_co_u32_e32 v17, vcc, s0, v17
	s_mul_i32 s7, s14, 3
	v_addc_co_u32_e32 v18, vcc, 0, v18, vcc
	s_lshl_b32 s6, s14, 1
	v_add_co_u32_e32 v19, vcc, s7, v0
	v_addc_co_u32_e64 v20, s[0:1], 0, 0, vcc
	v_add_co_u32_e32 v21, vcc, s6, v0
	s_lshl_b32 s19, s14, 3
	s_mov_b64 s[14:15], 0
	v_addc_co_u32_e64 v22, s[0:1], 0, 0, vcc
	s_branch .LBB259_9
.LBB259_8:                              ;   in Loop: Header=BB259_9 Depth=1
	s_or_b64 exec, exec, s[0:1]
	v_add_co_u32_e32 v1, vcc, s19, v1
	v_addc_co_u32_e32 v2, vcc, 0, v2, vcc
	v_add_co_u32_e32 v3, vcc, s19, v3
	v_addc_co_u32_e32 v4, vcc, 0, v4, vcc
	;; [unrolled: 2-line block ×6, first 2 shown]
	s_add_u32 s14, s14, s18
	v_add_co_u32_e32 v15, vcc, s19, v15
	v_mov_b32_e32 v24, s11
	s_addc_u32 s15, s15, 0
	v_addc_co_u32_e32 v16, vcc, 0, v16, vcc
	v_mov_b32_e32 v23, s10
	v_cmp_ge_i64_e32 vcc, s[14:15], v[23:24]
	v_add_co_u32_e64 v17, s[0:1], s19, v17
	v_addc_co_u32_e64 v18, s[0:1], 0, v18, s[0:1]
	s_cbranch_vccnz .LBB259_25
.LBB259_9:                              ; =>This Inner Loop Header: Depth=1
	v_mov_b32_e32 v24, s15
	v_add_co_u32_e32 v23, vcc, s14, v0
	v_addc_co_u32_e32 v24, vcc, 0, v24, vcc
	v_cmp_gt_u64_e32 vcc, s[12:13], v[23:24]
	v_mov_b32_e32 v24, 0
	s_and_saveexec_b64 s[2:3], vcc
	s_cbranch_execz .LBB259_11
; %bb.10:                               ;   in Loop: Header=BB259_9 Depth=1
	v_mov_b32_e32 v24, s9
	v_add_co_u32_e64 v23, s[0:1], s8, v1
	v_addc_co_u32_e64 v24, s[0:1], v2, v24, s[0:1]
	global_load_ushort v23, v[23:24], off
	s_waitcnt vmcnt(0)
	v_rndne_f16_e32 v24, v23
.LBB259_11:                             ;   in Loop: Header=BB259_9 Depth=1
	s_or_b64 exec, exec, s[2:3]
	v_mov_b32_e32 v23, s15
	v_add_co_u32_e64 v25, s[0:1], s14, v13
	v_addc_co_u32_e64 v26, s[0:1], v14, v23, s[0:1]
	v_cmp_gt_u64_e64 s[0:1], s[12:13], v[25:26]
	v_mov_b32_e32 v23, 0
	v_mov_b32_e32 v25, 0
	s_and_saveexec_b64 s[4:5], s[0:1]
	s_cbranch_execz .LBB259_13
; %bb.12:                               ;   in Loop: Header=BB259_9 Depth=1
	v_mov_b32_e32 v26, s9
	v_add_co_u32_e64 v25, s[2:3], s8, v15
	v_addc_co_u32_e64 v26, s[2:3], v16, v26, s[2:3]
	global_load_ushort v25, v[25:26], off
	s_waitcnt vmcnt(0)
	v_rndne_f16_e32 v25, v25
.LBB259_13:                             ;   in Loop: Header=BB259_9 Depth=1
	s_or_b64 exec, exec, s[4:5]
	v_mov_b32_e32 v27, s15
	v_add_co_u32_e64 v26, s[2:3], s14, v21
	v_addc_co_u32_e64 v27, s[2:3], v22, v27, s[2:3]
	v_cmp_gt_u64_e64 s[2:3], s[12:13], v[26:27]
	s_and_saveexec_b64 s[6:7], s[2:3]
	s_cbranch_execz .LBB259_15
; %bb.14:                               ;   in Loop: Header=BB259_9 Depth=1
	v_mov_b32_e32 v23, s9
	v_add_co_u32_e64 v26, s[4:5], s8, v9
	v_addc_co_u32_e64 v27, s[4:5], v10, v23, s[4:5]
	global_load_ushort v23, v[26:27], off
	s_waitcnt vmcnt(0)
	v_rndne_f16_e32 v23, v23
.LBB259_15:                             ;   in Loop: Header=BB259_9 Depth=1
	s_or_b64 exec, exec, s[6:7]
	v_mov_b32_e32 v27, s15
	v_add_co_u32_e64 v26, s[4:5], s14, v19
	v_addc_co_u32_e64 v27, s[4:5], v20, v27, s[4:5]
	v_cmp_gt_u64_e64 s[4:5], s[12:13], v[26:27]
	v_mov_b32_e32 v26, 0
	s_and_saveexec_b64 s[16:17], s[4:5]
	s_cbranch_execnz .LBB259_20
; %bb.16:                               ;   in Loop: Header=BB259_9 Depth=1
	s_or_b64 exec, exec, s[16:17]
	s_and_saveexec_b64 s[6:7], vcc
	s_cbranch_execnz .LBB259_21
.LBB259_17:                             ;   in Loop: Header=BB259_9 Depth=1
	s_or_b64 exec, exec, s[6:7]
	s_and_saveexec_b64 s[6:7], s[0:1]
	s_cbranch_execnz .LBB259_22
.LBB259_18:                             ;   in Loop: Header=BB259_9 Depth=1
	s_or_b64 exec, exec, s[6:7]
	s_and_saveexec_b64 s[0:1], s[2:3]
	s_cbranch_execnz .LBB259_23
.LBB259_19:                             ;   in Loop: Header=BB259_9 Depth=1
	s_or_b64 exec, exec, s[0:1]
	s_and_saveexec_b64 s[0:1], s[4:5]
	s_cbranch_execz .LBB259_8
	s_branch .LBB259_24
.LBB259_20:                             ;   in Loop: Header=BB259_9 Depth=1
	v_mov_b32_e32 v27, s9
	v_add_co_u32_e64 v26, s[6:7], s8, v5
	v_addc_co_u32_e64 v27, s[6:7], v6, v27, s[6:7]
	global_load_ushort v26, v[26:27], off
	s_waitcnt vmcnt(0)
	v_rndne_f16_e32 v26, v26
	s_or_b64 exec, exec, s[16:17]
	s_and_saveexec_b64 s[6:7], vcc
	s_cbranch_execz .LBB259_17
.LBB259_21:                             ;   in Loop: Header=BB259_9 Depth=1
	v_mov_b32_e32 v28, s9
	v_add_co_u32_e32 v27, vcc, s8, v3
	v_addc_co_u32_e32 v28, vcc, v4, v28, vcc
	global_store_short v[27:28], v24, off
	s_or_b64 exec, exec, s[6:7]
	s_and_saveexec_b64 s[6:7], s[0:1]
	s_cbranch_execz .LBB259_18
.LBB259_22:                             ;   in Loop: Header=BB259_9 Depth=1
	v_mov_b32_e32 v24, s9
	v_add_co_u32_e32 v27, vcc, s8, v17
	v_addc_co_u32_e32 v28, vcc, v18, v24, vcc
	global_store_short v[27:28], v25, off
	s_or_b64 exec, exec, s[6:7]
	s_and_saveexec_b64 s[0:1], s[2:3]
	s_cbranch_execz .LBB259_19
.LBB259_23:                             ;   in Loop: Header=BB259_9 Depth=1
	v_mov_b32_e32 v25, s9
	v_add_co_u32_e32 v24, vcc, s8, v11
	v_addc_co_u32_e32 v25, vcc, v12, v25, vcc
	global_store_short v[24:25], v23, off
	s_or_b64 exec, exec, s[0:1]
	s_and_saveexec_b64 s[0:1], s[4:5]
	s_cbranch_execz .LBB259_8
.LBB259_24:                             ;   in Loop: Header=BB259_9 Depth=1
	v_mov_b32_e32 v24, s9
	v_add_co_u32_e32 v23, vcc, s8, v7
	v_addc_co_u32_e32 v24, vcc, v8, v24, vcc
	global_store_short v[23:24], v26, off
	s_branch .LBB259_8
.LBB259_25:
	s_endpgm
	.section	.rodata,"a",@progbits
	.p2align	6, 0x0
	.amdhsa_kernel _ZN2at6native12_GLOBAL__N_125multi_tensor_apply_kernelINS1_18TensorListMetadataILi2EEENS1_14UnaryOpFunctorIN3c104HalfELi2ELi1ELi1EEEJNS0_5RoundIfEEEEEvT_T0_DpT1_
		.amdhsa_group_segment_fixed_size 0
		.amdhsa_private_segment_fixed_size 0
		.amdhsa_kernarg_size 3408
		.amdhsa_user_sgpr_count 6
		.amdhsa_user_sgpr_private_segment_buffer 1
		.amdhsa_user_sgpr_dispatch_ptr 0
		.amdhsa_user_sgpr_queue_ptr 0
		.amdhsa_user_sgpr_kernarg_segment_ptr 1
		.amdhsa_user_sgpr_dispatch_id 0
		.amdhsa_user_sgpr_flat_scratch_init 0
		.amdhsa_user_sgpr_private_segment_size 0
		.amdhsa_uses_dynamic_stack 0
		.amdhsa_system_sgpr_private_segment_wavefront_offset 0
		.amdhsa_system_sgpr_workgroup_id_x 1
		.amdhsa_system_sgpr_workgroup_id_y 0
		.amdhsa_system_sgpr_workgroup_id_z 0
		.amdhsa_system_sgpr_workgroup_info 0
		.amdhsa_system_vgpr_workitem_id 0
		.amdhsa_next_free_vgpr 29
		.amdhsa_next_free_sgpr 20
		.amdhsa_reserve_vcc 1
		.amdhsa_reserve_flat_scratch 0
		.amdhsa_float_round_mode_32 0
		.amdhsa_float_round_mode_16_64 0
		.amdhsa_float_denorm_mode_32 3
		.amdhsa_float_denorm_mode_16_64 3
		.amdhsa_dx10_clamp 1
		.amdhsa_ieee_mode 1
		.amdhsa_fp16_overflow 0
		.amdhsa_exception_fp_ieee_invalid_op 0
		.amdhsa_exception_fp_denorm_src 0
		.amdhsa_exception_fp_ieee_div_zero 0
		.amdhsa_exception_fp_ieee_overflow 0
		.amdhsa_exception_fp_ieee_underflow 0
		.amdhsa_exception_fp_ieee_inexact 0
		.amdhsa_exception_int_div_zero 0
	.end_amdhsa_kernel
	.section	.text._ZN2at6native12_GLOBAL__N_125multi_tensor_apply_kernelINS1_18TensorListMetadataILi2EEENS1_14UnaryOpFunctorIN3c104HalfELi2ELi1ELi1EEEJNS0_5RoundIfEEEEEvT_T0_DpT1_,"axG",@progbits,_ZN2at6native12_GLOBAL__N_125multi_tensor_apply_kernelINS1_18TensorListMetadataILi2EEENS1_14UnaryOpFunctorIN3c104HalfELi2ELi1ELi1EEEJNS0_5RoundIfEEEEEvT_T0_DpT1_,comdat
.Lfunc_end259:
	.size	_ZN2at6native12_GLOBAL__N_125multi_tensor_apply_kernelINS1_18TensorListMetadataILi2EEENS1_14UnaryOpFunctorIN3c104HalfELi2ELi1ELi1EEEJNS0_5RoundIfEEEEEvT_T0_DpT1_, .Lfunc_end259-_ZN2at6native12_GLOBAL__N_125multi_tensor_apply_kernelINS1_18TensorListMetadataILi2EEENS1_14UnaryOpFunctorIN3c104HalfELi2ELi1ELi1EEEJNS0_5RoundIfEEEEEvT_T0_DpT1_
                                        ; -- End function
	.set _ZN2at6native12_GLOBAL__N_125multi_tensor_apply_kernelINS1_18TensorListMetadataILi2EEENS1_14UnaryOpFunctorIN3c104HalfELi2ELi1ELi1EEEJNS0_5RoundIfEEEEEvT_T0_DpT1_.num_vgpr, 29
	.set _ZN2at6native12_GLOBAL__N_125multi_tensor_apply_kernelINS1_18TensorListMetadataILi2EEENS1_14UnaryOpFunctorIN3c104HalfELi2ELi1ELi1EEEJNS0_5RoundIfEEEEEvT_T0_DpT1_.num_agpr, 0
	.set _ZN2at6native12_GLOBAL__N_125multi_tensor_apply_kernelINS1_18TensorListMetadataILi2EEENS1_14UnaryOpFunctorIN3c104HalfELi2ELi1ELi1EEEJNS0_5RoundIfEEEEEvT_T0_DpT1_.numbered_sgpr, 20
	.set _ZN2at6native12_GLOBAL__N_125multi_tensor_apply_kernelINS1_18TensorListMetadataILi2EEENS1_14UnaryOpFunctorIN3c104HalfELi2ELi1ELi1EEEJNS0_5RoundIfEEEEEvT_T0_DpT1_.num_named_barrier, 0
	.set _ZN2at6native12_GLOBAL__N_125multi_tensor_apply_kernelINS1_18TensorListMetadataILi2EEENS1_14UnaryOpFunctorIN3c104HalfELi2ELi1ELi1EEEJNS0_5RoundIfEEEEEvT_T0_DpT1_.private_seg_size, 0
	.set _ZN2at6native12_GLOBAL__N_125multi_tensor_apply_kernelINS1_18TensorListMetadataILi2EEENS1_14UnaryOpFunctorIN3c104HalfELi2ELi1ELi1EEEJNS0_5RoundIfEEEEEvT_T0_DpT1_.uses_vcc, 1
	.set _ZN2at6native12_GLOBAL__N_125multi_tensor_apply_kernelINS1_18TensorListMetadataILi2EEENS1_14UnaryOpFunctorIN3c104HalfELi2ELi1ELi1EEEJNS0_5RoundIfEEEEEvT_T0_DpT1_.uses_flat_scratch, 0
	.set _ZN2at6native12_GLOBAL__N_125multi_tensor_apply_kernelINS1_18TensorListMetadataILi2EEENS1_14UnaryOpFunctorIN3c104HalfELi2ELi1ELi1EEEJNS0_5RoundIfEEEEEvT_T0_DpT1_.has_dyn_sized_stack, 0
	.set _ZN2at6native12_GLOBAL__N_125multi_tensor_apply_kernelINS1_18TensorListMetadataILi2EEENS1_14UnaryOpFunctorIN3c104HalfELi2ELi1ELi1EEEJNS0_5RoundIfEEEEEvT_T0_DpT1_.has_recursion, 0
	.set _ZN2at6native12_GLOBAL__N_125multi_tensor_apply_kernelINS1_18TensorListMetadataILi2EEENS1_14UnaryOpFunctorIN3c104HalfELi2ELi1ELi1EEEJNS0_5RoundIfEEEEEvT_T0_DpT1_.has_indirect_call, 0
	.section	.AMDGPU.csdata,"",@progbits
; Kernel info:
; codeLenInByte = 1268
; TotalNumSgprs: 24
; NumVgprs: 29
; ScratchSize: 0
; MemoryBound: 0
; FloatMode: 240
; IeeeMode: 1
; LDSByteSize: 0 bytes/workgroup (compile time only)
; SGPRBlocks: 2
; VGPRBlocks: 7
; NumSGPRsForWavesPerEU: 24
; NumVGPRsForWavesPerEU: 29
; Occupancy: 8
; WaveLimiterHint : 0
; COMPUTE_PGM_RSRC2:SCRATCH_EN: 0
; COMPUTE_PGM_RSRC2:USER_SGPR: 6
; COMPUTE_PGM_RSRC2:TRAP_HANDLER: 0
; COMPUTE_PGM_RSRC2:TGID_X_EN: 1
; COMPUTE_PGM_RSRC2:TGID_Y_EN: 0
; COMPUTE_PGM_RSRC2:TGID_Z_EN: 0
; COMPUTE_PGM_RSRC2:TIDIG_COMP_CNT: 0
	.section	.text._ZN2at6native12_GLOBAL__N_125multi_tensor_apply_kernelINS1_18TensorListMetadataILi2EEENS1_14UnaryOpFunctorIN3c108BFloat16ELi2ELi1ELi1EEEJNS0_5RoundIfEEEEEvT_T0_DpT1_,"axG",@progbits,_ZN2at6native12_GLOBAL__N_125multi_tensor_apply_kernelINS1_18TensorListMetadataILi2EEENS1_14UnaryOpFunctorIN3c108BFloat16ELi2ELi1ELi1EEEJNS0_5RoundIfEEEEEvT_T0_DpT1_,comdat
	.globl	_ZN2at6native12_GLOBAL__N_125multi_tensor_apply_kernelINS1_18TensorListMetadataILi2EEENS1_14UnaryOpFunctorIN3c108BFloat16ELi2ELi1ELi1EEEJNS0_5RoundIfEEEEEvT_T0_DpT1_ ; -- Begin function _ZN2at6native12_GLOBAL__N_125multi_tensor_apply_kernelINS1_18TensorListMetadataILi2EEENS1_14UnaryOpFunctorIN3c108BFloat16ELi2ELi1ELi1EEEJNS0_5RoundIfEEEEEvT_T0_DpT1_
	.p2align	8
	.type	_ZN2at6native12_GLOBAL__N_125multi_tensor_apply_kernelINS1_18TensorListMetadataILi2EEENS1_14UnaryOpFunctorIN3c108BFloat16ELi2ELi1ELi1EEEJNS0_5RoundIfEEEEEvT_T0_DpT1_,@function
_ZN2at6native12_GLOBAL__N_125multi_tensor_apply_kernelINS1_18TensorListMetadataILi2EEENS1_14UnaryOpFunctorIN3c108BFloat16ELi2ELi1ELi1EEEJNS0_5RoundIfEEEEEvT_T0_DpT1_: ; @_ZN2at6native12_GLOBAL__N_125multi_tensor_apply_kernelINS1_18TensorListMetadataILi2EEENS1_14UnaryOpFunctorIN3c108BFloat16ELi2ELi1ELi1EEEJNS0_5RoundIfEEEEEvT_T0_DpT1_
; %bb.0:
	v_mov_b32_e32 v1, s6
	global_load_ubyte v1, v1, s[4:5] offset:1536
	s_add_u32 s0, s4, s6
	s_mul_hi_u32 s2, s6, 3
	s_mul_i32 s6, s6, 3
	s_addc_u32 s7, s5, 0
	s_add_u32 s6, s0, s6
	s_addc_u32 s7, s7, s2
	s_load_dword s10, s[6:7], 0x740
	s_mov_b32 s1, 0
	s_mov_b32 s3, s1
	s_waitcnt lgkmcnt(0)
	s_ashr_i32 s11, s10, 31
	s_lshl_b64 s[8:9], s[10:11], 17
	s_lshl_b64 s[10:11], s[10:11], 16
	s_waitcnt vmcnt(0)
	v_readfirstlane_b32 s0, v1
	s_lshl_b32 s0, s0, 3
	s_load_dwordx2 s[16:17], s[4:5], s0 offset:0x400
	s_load_dwordx2 s[14:15], s[4:5], s0 offset:0x0
	;; [unrolled: 1-line block ×3, first 2 shown]
	s_waitcnt lgkmcnt(0)
	s_add_u32 s0, s14, s8
	s_and_b32 s2, s6, 7
	s_and_b32 s0, s0, 7
	s_sub_u32 s12, s16, s10
	s_subb_u32 s13, s17, s11
	s_and_b32 s10, s16, 3
	s_mov_b32 s11, s1
	s_or_b64 s[2:3], s[2:3], s[10:11]
	s_or_b64 s[0:1], s[2:3], s[0:1]
	s_cmp_eq_u64 s[0:1], 0
	s_mov_b64 s[0:1], -1
	s_cbranch_scc0 .LBB260_5
; %bb.1:
	v_mov_b32_e32 v1, 0x10000
	v_mov_b32_e32 v2, 0
	v_cmp_lt_i64_e32 vcc, s[12:13], v[1:2]
	v_mov_b32_e32 v2, 0
	s_and_b64 s[0:1], vcc, exec
	s_cselect_b32 s11, s13, 0
	s_cselect_b32 s10, s12, 0x10000
	v_lshlrev_b32_e32 v1, 2, v0
	v_cmp_gt_i64_e32 vcc, s[10:11], v[1:2]
	s_and_saveexec_b64 s[16:17], vcc
	s_cbranch_execz .LBB260_4
; %bb.2:
	s_load_dword s0, s[4:5], 0xc5c
	v_mov_b32_e32 v1, v2
	v_lshlrev_b32_e32 v2, 3, v0
	v_mov_b32_e32 v4, s9
	v_add_co_u32_e32 v3, vcc, s8, v2
	s_waitcnt lgkmcnt(0)
	s_and_b32 s20, s0, 0xffff
	v_mov_b32_e32 v2, v1
	v_addc_co_u32_e32 v4, vcc, 0, v4, vcc
	s_lshl_b32 s21, s20, 3
	s_mov_b64 s[18:19], 0
	v_mov_b32_e32 v5, s15
	s_movk_i32 s22, 0x7fff
	v_mov_b32_e32 v6, s7
	v_mov_b32_e32 v7, 0x7fc00000
	;; [unrolled: 1-line block ×4, first 2 shown]
.LBB260_3:                              ; =>This Inner Loop Header: Depth=1
	v_add_co_u32_e32 v9, vcc, s14, v3
	v_addc_co_u32_e32 v10, vcc, v5, v4, vcc
	global_load_dwordx2 v[9:10], v[9:10], off
	v_add_co_u32_e32 v11, vcc, s6, v3
	v_addc_co_u32_e32 v12, vcc, v6, v4, vcc
	v_add_co_u32_e32 v1, vcc, s20, v1
	v_addc_co_u32_e32 v2, vcc, 0, v2, vcc
	v_add_co_u32_e32 v3, vcc, s21, v3
	v_lshlrev_b64 v[13:14], 2, v[1:2]
	v_addc_co_u32_e32 v4, vcc, 0, v4, vcc
	v_cmp_le_i64_e32 vcc, s[10:11], v[13:14]
	s_or_b64 s[18:19], vcc, s[18:19]
	s_waitcnt vmcnt(0)
	v_and_b32_e32 v13, 0xffff0000, v9
	v_lshlrev_b32_e32 v14, 16, v9
	v_alignbit_b32 v9, v10, v9, 16
	v_and_b32_e32 v10, 0xffff0000, v10
	v_rndne_f32_e32 v14, v14
	v_rndne_f32_e32 v13, v13
	v_and_b32_e32 v9, 0xffff0000, v9
	v_rndne_f32_e32 v10, v10
	v_bfe_u32 v15, v14, 16, 1
	v_bfe_u32 v16, v13, 16, 1
	v_rndne_f32_e32 v9, v9
	v_bfe_u32 v17, v10, 16, 1
	v_add3_u32 v15, v14, v15, s22
	v_add3_u32 v16, v13, v16, s22
	v_bfe_u32 v18, v9, 16, 1
	v_add3_u32 v17, v10, v17, s22
	v_lshrrev_b32_e32 v15, 16, v15
	v_and_b32_e32 v16, 0xffff0000, v16
	v_add3_u32 v18, v9, v18, s22
	v_and_b32_e32 v17, 0xffff0000, v17
	v_cmp_o_f32_e32 vcc, v10, v10
	v_cmp_o_f32_e64 s[0:1], v13, v13
	v_cmp_o_f32_e64 s[2:3], v14, v14
	v_lshrrev_b32_e32 v10, 16, v18
	v_cndmask_b32_e32 v13, v7, v17, vcc
	v_cndmask_b32_e64 v14, v7, v16, s[0:1]
	v_cndmask_b32_e64 v15, v8, v15, s[2:3]
	v_cmp_o_f32_e32 vcc, v9, v9
	v_cndmask_b32_e32 v9, v8, v10, vcc
	v_or_b32_e32 v14, v15, v14
	v_or3_b32 v10, 0, v9, v13
	v_or3_b32 v9, v14, 0, 0
	global_store_dwordx2 v[11:12], v[9:10], off
	s_andn2_b64 exec, exec, s[18:19]
	s_cbranch_execnz .LBB260_3
.LBB260_4:
	s_or_b64 exec, exec, s[16:17]
	s_mov_b64 s[0:1], 0
.LBB260_5:
	s_andn2_b64 vcc, exec, s[0:1]
	s_cbranch_vccnz .LBB260_25
; %bb.6:
	v_cmp_lt_i64_e64 s[0:1], s[12:13], 1
	s_and_b64 vcc, exec, s[0:1]
	s_cbranch_vccnz .LBB260_25
; %bb.7:
	v_mov_b32_e32 v1, 0x10000
	s_load_dword s2, s[4:5], 0xc5c
	v_mov_b32_e32 v2, 0
	v_cmp_lt_i64_e32 vcc, s[12:13], v[1:2]
	v_mov_b32_e32 v10, 0
	s_and_b64 s[0:1], vcc, exec
	v_cmp_lt_u64_e32 vcc, s[12:13], v[1:2]
	s_cselect_b32 s11, s13, 0
	s_cselect_b32 s10, s12, 0x10000
	s_waitcnt lgkmcnt(0)
	s_and_b32 s2, s2, 0xffff
	v_lshlrev_b32_e32 v9, 1, v0
	s_and_b64 s[0:1], vcc, exec
	v_mov_b32_e32 v2, s15
	v_add_co_u32_e32 v1, vcc, s14, v9
	v_mad_u64_u32 v[7:8], s[0:1], s2, 6, v[9:10]
	v_addc_co_u32_e32 v2, vcc, 0, v2, vcc
	v_mov_b32_e32 v4, s7
	v_add_co_u32_e32 v3, vcc, s6, v9
	v_addc_co_u32_e32 v4, vcc, 0, v4, vcc
	v_mov_b32_e32 v6, s15
	v_add_co_u32_e32 v5, vcc, s14, v7
	;; [unrolled: 3-line block ×3, first 2 shown]
	s_cselect_b32 s13, s13, 0
	s_cselect_b32 s12, s12, 0x10000
	s_lshl_b32 s18, s2, 2
	v_addc_co_u32_e32 v8, vcc, v10, v8, vcc
	v_add_co_u32_e32 v11, vcc, s18, v9
	v_addc_co_u32_e64 v12, s[0:1], 0, 0, vcc
	v_mov_b32_e32 v10, s15
	v_add_co_u32_e32 v9, vcc, s14, v11
	v_addc_co_u32_e32 v10, vcc, v10, v12, vcc
	v_mov_b32_e32 v13, s7
	v_add_co_u32_e32 v11, vcc, s6, v11
	v_addc_co_u32_e32 v12, vcc, v13, v12, vcc
	v_add_co_u32_e32 v13, vcc, s2, v0
	v_lshlrev_b32_e32 v17, 1, v13
	v_addc_co_u32_e64 v14, s[0:1], 0, 0, vcc
	v_mov_b32_e32 v16, s15
	v_add_co_u32_e32 v15, vcc, s14, v17
	v_addc_co_u32_e32 v16, vcc, 0, v16, vcc
	v_mov_b32_e32 v18, s7
	v_add_co_u32_e32 v17, vcc, s6, v17
	s_mul_i32 s4, s2, 3
	v_addc_co_u32_e32 v18, vcc, 0, v18, vcc
	s_lshl_b32 s3, s2, 1
	v_add_co_u32_e32 v19, vcc, s4, v0
	v_addc_co_u32_e64 v20, s[0:1], 0, 0, vcc
	v_add_co_u32_e32 v21, vcc, s3, v0
	s_lshl_b32 s19, s2, 3
	s_mov_b64 s[14:15], 0
	s_movk_i32 s20, 0x7fff
	v_addc_co_u32_e64 v22, s[0:1], 0, 0, vcc
	v_mov_b32_e32 v23, 0x7fc0
	s_branch .LBB260_9
.LBB260_8:                              ;   in Loop: Header=BB260_9 Depth=1
	s_or_b64 exec, exec, s[0:1]
	v_add_co_u32_e32 v1, vcc, s19, v1
	v_addc_co_u32_e32 v2, vcc, 0, v2, vcc
	v_add_co_u32_e32 v3, vcc, s19, v3
	v_addc_co_u32_e32 v4, vcc, 0, v4, vcc
	v_add_co_u32_e32 v5, vcc, s19, v5
	v_addc_co_u32_e32 v6, vcc, 0, v6, vcc
	v_add_co_u32_e32 v7, vcc, s19, v7
	v_addc_co_u32_e32 v8, vcc, 0, v8, vcc
	v_add_co_u32_e32 v9, vcc, s19, v9
	v_addc_co_u32_e32 v10, vcc, 0, v10, vcc
	v_add_co_u32_e32 v11, vcc, s19, v11
	v_addc_co_u32_e32 v12, vcc, 0, v12, vcc
	s_add_u32 s14, s14, s18
	v_add_co_u32_e32 v15, vcc, s19, v15
	v_mov_b32_e32 v25, s11
	s_addc_u32 s15, s15, 0
	v_addc_co_u32_e32 v16, vcc, 0, v16, vcc
	v_mov_b32_e32 v24, s10
	v_cmp_ge_i64_e32 vcc, s[14:15], v[24:25]
	v_add_co_u32_e64 v17, s[0:1], s19, v17
	v_addc_co_u32_e64 v18, s[0:1], 0, v18, s[0:1]
	s_cbranch_vccnz .LBB260_25
.LBB260_9:                              ; =>This Inner Loop Header: Depth=1
	v_mov_b32_e32 v25, s15
	v_add_co_u32_e32 v24, vcc, s14, v0
	v_addc_co_u32_e32 v25, vcc, 0, v25, vcc
	v_cmp_gt_u64_e32 vcc, s[12:13], v[24:25]
	v_mov_b32_e32 v25, 0
	s_and_saveexec_b64 s[2:3], vcc
	s_cbranch_execz .LBB260_11
; %bb.10:                               ;   in Loop: Header=BB260_9 Depth=1
	v_mov_b32_e32 v25, s9
	v_add_co_u32_e64 v24, s[0:1], s8, v1
	v_addc_co_u32_e64 v25, s[0:1], v2, v25, s[0:1]
	global_load_ushort v24, v[24:25], off
	s_waitcnt vmcnt(0)
	v_lshlrev_b32_e32 v24, 16, v24
	v_rndne_f32_e32 v25, v24
.LBB260_11:                             ;   in Loop: Header=BB260_9 Depth=1
	s_or_b64 exec, exec, s[2:3]
	v_mov_b32_e32 v24, s15
	v_add_co_u32_e64 v26, s[0:1], s14, v13
	v_addc_co_u32_e64 v27, s[0:1], v14, v24, s[0:1]
	v_cmp_gt_u64_e64 s[0:1], s[12:13], v[26:27]
	v_mov_b32_e32 v24, 0
	v_mov_b32_e32 v26, 0
	s_and_saveexec_b64 s[4:5], s[0:1]
	s_cbranch_execz .LBB260_13
; %bb.12:                               ;   in Loop: Header=BB260_9 Depth=1
	v_mov_b32_e32 v27, s9
	v_add_co_u32_e64 v26, s[2:3], s8, v15
	v_addc_co_u32_e64 v27, s[2:3], v16, v27, s[2:3]
	global_load_ushort v26, v[26:27], off
	s_waitcnt vmcnt(0)
	v_lshlrev_b32_e32 v26, 16, v26
	v_rndne_f32_e32 v26, v26
.LBB260_13:                             ;   in Loop: Header=BB260_9 Depth=1
	s_or_b64 exec, exec, s[4:5]
	v_mov_b32_e32 v28, s15
	v_add_co_u32_e64 v27, s[2:3], s14, v21
	v_addc_co_u32_e64 v28, s[2:3], v22, v28, s[2:3]
	v_cmp_gt_u64_e64 s[2:3], s[12:13], v[27:28]
	s_and_saveexec_b64 s[6:7], s[2:3]
	s_cbranch_execz .LBB260_15
; %bb.14:                               ;   in Loop: Header=BB260_9 Depth=1
	v_mov_b32_e32 v24, s9
	v_add_co_u32_e64 v27, s[4:5], s8, v9
	v_addc_co_u32_e64 v28, s[4:5], v10, v24, s[4:5]
	global_load_ushort v24, v[27:28], off
	s_waitcnt vmcnt(0)
	v_lshlrev_b32_e32 v24, 16, v24
	v_rndne_f32_e32 v24, v24
.LBB260_15:                             ;   in Loop: Header=BB260_9 Depth=1
	s_or_b64 exec, exec, s[6:7]
	v_mov_b32_e32 v28, s15
	v_add_co_u32_e64 v27, s[4:5], s14, v19
	v_addc_co_u32_e64 v28, s[4:5], v20, v28, s[4:5]
	v_cmp_gt_u64_e64 s[4:5], s[12:13], v[27:28]
	v_mov_b32_e32 v27, 0
	s_and_saveexec_b64 s[16:17], s[4:5]
	s_cbranch_execnz .LBB260_20
; %bb.16:                               ;   in Loop: Header=BB260_9 Depth=1
	s_or_b64 exec, exec, s[16:17]
	s_and_saveexec_b64 s[6:7], vcc
	s_cbranch_execnz .LBB260_21
.LBB260_17:                             ;   in Loop: Header=BB260_9 Depth=1
	s_or_b64 exec, exec, s[6:7]
	s_and_saveexec_b64 s[6:7], s[0:1]
	s_cbranch_execnz .LBB260_22
.LBB260_18:                             ;   in Loop: Header=BB260_9 Depth=1
	s_or_b64 exec, exec, s[6:7]
	s_and_saveexec_b64 s[0:1], s[2:3]
	s_cbranch_execnz .LBB260_23
.LBB260_19:                             ;   in Loop: Header=BB260_9 Depth=1
	s_or_b64 exec, exec, s[0:1]
	s_and_saveexec_b64 s[0:1], s[4:5]
	s_cbranch_execz .LBB260_8
	s_branch .LBB260_24
.LBB260_20:                             ;   in Loop: Header=BB260_9 Depth=1
	v_mov_b32_e32 v28, s9
	v_add_co_u32_e64 v27, s[6:7], s8, v5
	v_addc_co_u32_e64 v28, s[6:7], v6, v28, s[6:7]
	global_load_ushort v27, v[27:28], off
	s_waitcnt vmcnt(0)
	v_lshlrev_b32_e32 v27, 16, v27
	v_rndne_f32_e32 v27, v27
	s_or_b64 exec, exec, s[16:17]
	s_and_saveexec_b64 s[6:7], vcc
	s_cbranch_execz .LBB260_17
.LBB260_21:                             ;   in Loop: Header=BB260_9 Depth=1
	v_bfe_u32 v28, v25, 16, 1
	v_add3_u32 v28, v25, v28, s20
	v_cmp_o_f32_e32 vcc, v25, v25
	v_cndmask_b32_sdwa v25, v23, v28, vcc dst_sel:DWORD dst_unused:UNUSED_PAD src0_sel:DWORD src1_sel:WORD_1
	v_mov_b32_e32 v29, s9
	v_add_co_u32_e32 v28, vcc, s8, v3
	v_addc_co_u32_e32 v29, vcc, v4, v29, vcc
	global_store_short v[28:29], v25, off
	s_or_b64 exec, exec, s[6:7]
	s_and_saveexec_b64 s[6:7], s[0:1]
	s_cbranch_execz .LBB260_18
.LBB260_22:                             ;   in Loop: Header=BB260_9 Depth=1
	v_bfe_u32 v25, v26, 16, 1
	v_add3_u32 v25, v26, v25, s20
	v_cmp_o_f32_e32 vcc, v26, v26
	v_cndmask_b32_sdwa v28, v23, v25, vcc dst_sel:DWORD dst_unused:UNUSED_PAD src0_sel:DWORD src1_sel:WORD_1
	v_mov_b32_e32 v26, s9
	v_add_co_u32_e32 v25, vcc, s8, v17
	v_addc_co_u32_e32 v26, vcc, v18, v26, vcc
	global_store_short v[25:26], v28, off
	s_or_b64 exec, exec, s[6:7]
	s_and_saveexec_b64 s[0:1], s[2:3]
	s_cbranch_execz .LBB260_19
.LBB260_23:                             ;   in Loop: Header=BB260_9 Depth=1
	v_bfe_u32 v25, v24, 16, 1
	v_add3_u32 v25, v24, v25, s20
	v_cmp_o_f32_e32 vcc, v24, v24
	v_cndmask_b32_sdwa v26, v23, v25, vcc dst_sel:DWORD dst_unused:UNUSED_PAD src0_sel:DWORD src1_sel:WORD_1
	v_mov_b32_e32 v25, s9
	v_add_co_u32_e32 v24, vcc, s8, v11
	v_addc_co_u32_e32 v25, vcc, v12, v25, vcc
	global_store_short v[24:25], v26, off
	s_or_b64 exec, exec, s[0:1]
	s_and_saveexec_b64 s[0:1], s[4:5]
	s_cbranch_execz .LBB260_8
.LBB260_24:                             ;   in Loop: Header=BB260_9 Depth=1
	v_bfe_u32 v24, v27, 16, 1
	v_add3_u32 v24, v27, v24, s20
	v_cmp_o_f32_e32 vcc, v27, v27
	v_cndmask_b32_sdwa v26, v23, v24, vcc dst_sel:DWORD dst_unused:UNUSED_PAD src0_sel:DWORD src1_sel:WORD_1
	v_mov_b32_e32 v25, s9
	v_add_co_u32_e32 v24, vcc, s8, v7
	v_addc_co_u32_e32 v25, vcc, v8, v25, vcc
	global_store_short v[24:25], v26, off
	s_branch .LBB260_8
.LBB260_25:
	s_endpgm
	.section	.rodata,"a",@progbits
	.p2align	6, 0x0
	.amdhsa_kernel _ZN2at6native12_GLOBAL__N_125multi_tensor_apply_kernelINS1_18TensorListMetadataILi2EEENS1_14UnaryOpFunctorIN3c108BFloat16ELi2ELi1ELi1EEEJNS0_5RoundIfEEEEEvT_T0_DpT1_
		.amdhsa_group_segment_fixed_size 0
		.amdhsa_private_segment_fixed_size 0
		.amdhsa_kernarg_size 3408
		.amdhsa_user_sgpr_count 6
		.amdhsa_user_sgpr_private_segment_buffer 1
		.amdhsa_user_sgpr_dispatch_ptr 0
		.amdhsa_user_sgpr_queue_ptr 0
		.amdhsa_user_sgpr_kernarg_segment_ptr 1
		.amdhsa_user_sgpr_dispatch_id 0
		.amdhsa_user_sgpr_flat_scratch_init 0
		.amdhsa_user_sgpr_private_segment_size 0
		.amdhsa_uses_dynamic_stack 0
		.amdhsa_system_sgpr_private_segment_wavefront_offset 0
		.amdhsa_system_sgpr_workgroup_id_x 1
		.amdhsa_system_sgpr_workgroup_id_y 0
		.amdhsa_system_sgpr_workgroup_id_z 0
		.amdhsa_system_sgpr_workgroup_info 0
		.amdhsa_system_vgpr_workitem_id 0
		.amdhsa_next_free_vgpr 30
		.amdhsa_next_free_sgpr 23
		.amdhsa_reserve_vcc 1
		.amdhsa_reserve_flat_scratch 0
		.amdhsa_float_round_mode_32 0
		.amdhsa_float_round_mode_16_64 0
		.amdhsa_float_denorm_mode_32 3
		.amdhsa_float_denorm_mode_16_64 3
		.amdhsa_dx10_clamp 1
		.amdhsa_ieee_mode 1
		.amdhsa_fp16_overflow 0
		.amdhsa_exception_fp_ieee_invalid_op 0
		.amdhsa_exception_fp_denorm_src 0
		.amdhsa_exception_fp_ieee_div_zero 0
		.amdhsa_exception_fp_ieee_overflow 0
		.amdhsa_exception_fp_ieee_underflow 0
		.amdhsa_exception_fp_ieee_inexact 0
		.amdhsa_exception_int_div_zero 0
	.end_amdhsa_kernel
	.section	.text._ZN2at6native12_GLOBAL__N_125multi_tensor_apply_kernelINS1_18TensorListMetadataILi2EEENS1_14UnaryOpFunctorIN3c108BFloat16ELi2ELi1ELi1EEEJNS0_5RoundIfEEEEEvT_T0_DpT1_,"axG",@progbits,_ZN2at6native12_GLOBAL__N_125multi_tensor_apply_kernelINS1_18TensorListMetadataILi2EEENS1_14UnaryOpFunctorIN3c108BFloat16ELi2ELi1ELi1EEEJNS0_5RoundIfEEEEEvT_T0_DpT1_,comdat
.Lfunc_end260:
	.size	_ZN2at6native12_GLOBAL__N_125multi_tensor_apply_kernelINS1_18TensorListMetadataILi2EEENS1_14UnaryOpFunctorIN3c108BFloat16ELi2ELi1ELi1EEEJNS0_5RoundIfEEEEEvT_T0_DpT1_, .Lfunc_end260-_ZN2at6native12_GLOBAL__N_125multi_tensor_apply_kernelINS1_18TensorListMetadataILi2EEENS1_14UnaryOpFunctorIN3c108BFloat16ELi2ELi1ELi1EEEJNS0_5RoundIfEEEEEvT_T0_DpT1_
                                        ; -- End function
	.set _ZN2at6native12_GLOBAL__N_125multi_tensor_apply_kernelINS1_18TensorListMetadataILi2EEENS1_14UnaryOpFunctorIN3c108BFloat16ELi2ELi1ELi1EEEJNS0_5RoundIfEEEEEvT_T0_DpT1_.num_vgpr, 30
	.set _ZN2at6native12_GLOBAL__N_125multi_tensor_apply_kernelINS1_18TensorListMetadataILi2EEENS1_14UnaryOpFunctorIN3c108BFloat16ELi2ELi1ELi1EEEJNS0_5RoundIfEEEEEvT_T0_DpT1_.num_agpr, 0
	.set _ZN2at6native12_GLOBAL__N_125multi_tensor_apply_kernelINS1_18TensorListMetadataILi2EEENS1_14UnaryOpFunctorIN3c108BFloat16ELi2ELi1ELi1EEEJNS0_5RoundIfEEEEEvT_T0_DpT1_.numbered_sgpr, 23
	.set _ZN2at6native12_GLOBAL__N_125multi_tensor_apply_kernelINS1_18TensorListMetadataILi2EEENS1_14UnaryOpFunctorIN3c108BFloat16ELi2ELi1ELi1EEEJNS0_5RoundIfEEEEEvT_T0_DpT1_.num_named_barrier, 0
	.set _ZN2at6native12_GLOBAL__N_125multi_tensor_apply_kernelINS1_18TensorListMetadataILi2EEENS1_14UnaryOpFunctorIN3c108BFloat16ELi2ELi1ELi1EEEJNS0_5RoundIfEEEEEvT_T0_DpT1_.private_seg_size, 0
	.set _ZN2at6native12_GLOBAL__N_125multi_tensor_apply_kernelINS1_18TensorListMetadataILi2EEENS1_14UnaryOpFunctorIN3c108BFloat16ELi2ELi1ELi1EEEJNS0_5RoundIfEEEEEvT_T0_DpT1_.uses_vcc, 1
	.set _ZN2at6native12_GLOBAL__N_125multi_tensor_apply_kernelINS1_18TensorListMetadataILi2EEENS1_14UnaryOpFunctorIN3c108BFloat16ELi2ELi1ELi1EEEJNS0_5RoundIfEEEEEvT_T0_DpT1_.uses_flat_scratch, 0
	.set _ZN2at6native12_GLOBAL__N_125multi_tensor_apply_kernelINS1_18TensorListMetadataILi2EEENS1_14UnaryOpFunctorIN3c108BFloat16ELi2ELi1ELi1EEEJNS0_5RoundIfEEEEEvT_T0_DpT1_.has_dyn_sized_stack, 0
	.set _ZN2at6native12_GLOBAL__N_125multi_tensor_apply_kernelINS1_18TensorListMetadataILi2EEENS1_14UnaryOpFunctorIN3c108BFloat16ELi2ELi1ELi1EEEJNS0_5RoundIfEEEEEvT_T0_DpT1_.has_recursion, 0
	.set _ZN2at6native12_GLOBAL__N_125multi_tensor_apply_kernelINS1_18TensorListMetadataILi2EEENS1_14UnaryOpFunctorIN3c108BFloat16ELi2ELi1ELi1EEEJNS0_5RoundIfEEEEEvT_T0_DpT1_.has_indirect_call, 0
	.section	.AMDGPU.csdata,"",@progbits
; Kernel info:
; codeLenInByte = 1600
; TotalNumSgprs: 27
; NumVgprs: 30
; ScratchSize: 0
; MemoryBound: 0
; FloatMode: 240
; IeeeMode: 1
; LDSByteSize: 0 bytes/workgroup (compile time only)
; SGPRBlocks: 3
; VGPRBlocks: 7
; NumSGPRsForWavesPerEU: 27
; NumVGPRsForWavesPerEU: 30
; Occupancy: 8
; WaveLimiterHint : 0
; COMPUTE_PGM_RSRC2:SCRATCH_EN: 0
; COMPUTE_PGM_RSRC2:USER_SGPR: 6
; COMPUTE_PGM_RSRC2:TRAP_HANDLER: 0
; COMPUTE_PGM_RSRC2:TGID_X_EN: 1
; COMPUTE_PGM_RSRC2:TGID_Y_EN: 0
; COMPUTE_PGM_RSRC2:TGID_Z_EN: 0
; COMPUTE_PGM_RSRC2:TIDIG_COMP_CNT: 0
	.section	.text._ZN2at6native12_GLOBAL__N_125multi_tensor_apply_kernelINS1_18TensorListMetadataILi1EEENS1_14UnaryOpFunctorIdLi1ELi1ELi0EEEJNS0_5RoundIdEEEEEvT_T0_DpT1_,"axG",@progbits,_ZN2at6native12_GLOBAL__N_125multi_tensor_apply_kernelINS1_18TensorListMetadataILi1EEENS1_14UnaryOpFunctorIdLi1ELi1ELi0EEEJNS0_5RoundIdEEEEEvT_T0_DpT1_,comdat
	.globl	_ZN2at6native12_GLOBAL__N_125multi_tensor_apply_kernelINS1_18TensorListMetadataILi1EEENS1_14UnaryOpFunctorIdLi1ELi1ELi0EEEJNS0_5RoundIdEEEEEvT_T0_DpT1_ ; -- Begin function _ZN2at6native12_GLOBAL__N_125multi_tensor_apply_kernelINS1_18TensorListMetadataILi1EEENS1_14UnaryOpFunctorIdLi1ELi1ELi0EEEJNS0_5RoundIdEEEEEvT_T0_DpT1_
	.p2align	8
	.type	_ZN2at6native12_GLOBAL__N_125multi_tensor_apply_kernelINS1_18TensorListMetadataILi1EEENS1_14UnaryOpFunctorIdLi1ELi1ELi0EEEJNS0_5RoundIdEEEEEvT_T0_DpT1_,@function
_ZN2at6native12_GLOBAL__N_125multi_tensor_apply_kernelINS1_18TensorListMetadataILi1EEENS1_14UnaryOpFunctorIdLi1ELi1ELi0EEEJNS0_5RoundIdEEEEEvT_T0_DpT1_: ; @_ZN2at6native12_GLOBAL__N_125multi_tensor_apply_kernelINS1_18TensorListMetadataILi1EEENS1_14UnaryOpFunctorIdLi1ELi1ELi0EEEJNS0_5RoundIdEEEEEvT_T0_DpT1_
; %bb.0:
	v_mov_b32_e32 v1, s6
	global_load_ubyte v1, v1, s[4:5] offset:1760
	s_add_u32 s0, s4, s6
	s_mul_hi_u32 s1, s6, 3
	s_mul_i32 s6, s6, 3
	s_addc_u32 s2, s5, 0
	s_add_u32 s0, s0, s6
	s_addc_u32 s1, s2, s1
	s_load_dword s0, s[0:1], 0x820
	s_mov_b32 s7, 0
	s_waitcnt vmcnt(0)
	v_readfirstlane_b32 s1, v1
	s_lshl_b32 s1, s1, 3
	s_load_dwordx2 s[2:3], s[4:5], s1 offset:0x370
	s_load_dwordx2 s[10:11], s[4:5], s1 offset:0x0
	s_waitcnt lgkmcnt(0)
	s_ashr_i32 s1, s0, 31
	s_lshl_b64 s[12:13], s[0:1], 19
	s_lshl_b64 s[0:1], s[0:1], 16
	s_and_b32 s6, s10, 31
	s_sub_u32 s14, s2, s0
	s_subb_u32 s15, s3, s1
	s_and_b32 s0, s2, 3
	s_mov_b32 s1, s7
	s_or_b64 s[0:1], s[6:7], s[0:1]
	s_cmp_eq_u64 s[0:1], 0
	s_cbranch_scc1 .LBB261_21
; %bb.1:
	v_cmp_lt_i64_e64 s[0:1], s[14:15], 1
	s_and_b64 vcc, exec, s[0:1]
	s_cbranch_vccnz .LBB261_20
; %bb.2:
	v_mov_b32_e32 v1, 0x10000
	s_load_dword s2, s[4:5], 0xd3c
	v_mov_b32_e32 v2, 0
	v_cmp_lt_i64_e32 vcc, s[14:15], v[1:2]
	s_mov_b64 s[20:21], 0
	s_and_b64 s[0:1], vcc, exec
	v_cmp_lt_u64_e32 vcc, s[14:15], v[1:2]
	s_cselect_b32 s17, s15, 0
	s_cselect_b32 s16, s14, 0x10000
	s_waitcnt lgkmcnt(0)
	s_and_b32 s2, s2, 0xffff
	s_and_b64 s[0:1], vcc, exec
	s_cselect_b32 s19, s15, 0
	s_cselect_b32 s18, s14, 0x10000
	s_lshl_b32 s3, s2, 1
	s_lshl_b32 s24, s2, 2
	s_add_u32 s6, s10, s12
	v_lshlrev_b32_e32 v1, 3, v0
	s_addc_u32 s7, s11, s13
	v_mov_b32_e32 v2, s7
	v_add_co_u32_e32 v1, vcc, s6, v1
	s_mul_i32 s0, s2, 3
	v_addc_co_u32_e32 v2, vcc, 0, v2, vcc
	v_add_co_u32_e32 v13, vcc, s0, v0
	v_addc_co_u32_e64 v14, s[0:1], 0, 0, vcc
	v_add_co_u32_e32 v15, vcc, s3, v0
	v_addc_co_u32_e64 v16, s[0:1], 0, 0, vcc
	v_add_co_u32_e32 v17, vcc, s2, v0
	v_lshlrev_b32_e32 v3, 3, v17
	v_addc_co_u32_e64 v18, s[0:1], 0, 0, vcc
	v_mov_b32_e32 v4, s7
	v_add_co_u32_e32 v3, vcc, s6, v3
	s_lshl_b32 s25, s2, 5
	s_mul_i32 s26, s2, 24
	s_lshl_b32 s27, s2, 4
	v_addc_co_u32_e32 v4, vcc, 0, v4, vcc
	s_branch .LBB261_4
.LBB261_3:                              ;   in Loop: Header=BB261_4 Depth=1
	s_or_b64 exec, exec, s[0:1]
	s_add_u32 s20, s20, s24
	v_add_co_u32_e32 v1, vcc, s25, v1
	v_mov_b32_e32 v5, s16
	s_addc_u32 s21, s21, 0
	v_addc_co_u32_e32 v2, vcc, 0, v2, vcc
	v_mov_b32_e32 v6, s17
	v_cmp_lt_i64_e32 vcc, s[20:21], v[5:6]
	v_add_co_u32_e64 v3, s[0:1], s25, v3
	v_addc_co_u32_e64 v4, s[0:1], 0, v4, s[0:1]
	s_cbranch_vccz .LBB261_20
.LBB261_4:                              ; =>This Inner Loop Header: Depth=1
	v_mov_b32_e32 v6, s21
	v_add_co_u32_e32 v5, vcc, s20, v0
	v_addc_co_u32_e32 v6, vcc, 0, v6, vcc
	v_cmp_gt_u64_e32 vcc, s[18:19], v[5:6]
	v_mov_b32_e32 v5, 0
	v_mov_b32_e32 v7, 0
	v_mov_b32_e32 v6, 0
	v_mov_b32_e32 v8, 0
	s_and_saveexec_b64 s[0:1], vcc
	s_cbranch_execz .LBB261_6
; %bb.5:                                ;   in Loop: Header=BB261_4 Depth=1
	global_load_dwordx2 v[7:8], v[1:2], off
	s_waitcnt vmcnt(0)
	v_rndne_f64_e32 v[7:8], v[7:8]
.LBB261_6:                              ;   in Loop: Header=BB261_4 Depth=1
	s_or_b64 exec, exec, s[0:1]
	v_mov_b32_e32 v10, s21
	v_add_co_u32_e64 v9, s[0:1], s20, v17
	v_addc_co_u32_e64 v10, s[0:1], v18, v10, s[0:1]
	v_cmp_gt_u64_e64 s[0:1], s[18:19], v[9:10]
	s_and_saveexec_b64 s[2:3], s[0:1]
	s_cbranch_execz .LBB261_8
; %bb.7:                                ;   in Loop: Header=BB261_4 Depth=1
	global_load_dwordx2 v[5:6], v[3:4], off
	s_waitcnt vmcnt(0)
	v_rndne_f64_e32 v[5:6], v[5:6]
.LBB261_8:                              ;   in Loop: Header=BB261_4 Depth=1
	s_or_b64 exec, exec, s[2:3]
	v_mov_b32_e32 v10, s21
	v_add_co_u32_e64 v9, s[2:3], s20, v15
	v_addc_co_u32_e64 v10, s[2:3], v16, v10, s[2:3]
	v_cmp_gt_u64_e64 s[2:3], s[18:19], v[9:10]
	v_mov_b32_e32 v9, 0
	v_mov_b32_e32 v11, 0
	;; [unrolled: 1-line block ×4, first 2 shown]
	s_and_saveexec_b64 s[8:9], s[2:3]
	s_cbranch_execz .LBB261_10
; %bb.9:                                ;   in Loop: Header=BB261_4 Depth=1
	v_add_co_u32_e64 v11, s[6:7], s27, v1
	v_addc_co_u32_e64 v12, s[6:7], 0, v2, s[6:7]
	global_load_dwordx2 v[11:12], v[11:12], off
	s_waitcnt vmcnt(0)
	v_rndne_f64_e32 v[11:12], v[11:12]
.LBB261_10:                             ;   in Loop: Header=BB261_4 Depth=1
	s_or_b64 exec, exec, s[8:9]
	v_mov_b32_e32 v20, s21
	v_add_co_u32_e64 v19, s[6:7], s20, v13
	v_addc_co_u32_e64 v20, s[6:7], v14, v20, s[6:7]
	v_cmp_gt_u64_e64 s[6:7], s[18:19], v[19:20]
	s_and_saveexec_b64 s[22:23], s[6:7]
	s_cbranch_execnz .LBB261_15
; %bb.11:                               ;   in Loop: Header=BB261_4 Depth=1
	s_or_b64 exec, exec, s[22:23]
	s_and_saveexec_b64 s[8:9], vcc
	s_cbranch_execnz .LBB261_16
.LBB261_12:                             ;   in Loop: Header=BB261_4 Depth=1
	s_or_b64 exec, exec, s[8:9]
	s_and_saveexec_b64 s[8:9], s[0:1]
	s_cbranch_execnz .LBB261_17
.LBB261_13:                             ;   in Loop: Header=BB261_4 Depth=1
	s_or_b64 exec, exec, s[8:9]
	s_and_saveexec_b64 s[0:1], s[2:3]
	s_cbranch_execnz .LBB261_18
.LBB261_14:                             ;   in Loop: Header=BB261_4 Depth=1
	s_or_b64 exec, exec, s[0:1]
	s_and_saveexec_b64 s[0:1], s[6:7]
	s_cbranch_execz .LBB261_3
	s_branch .LBB261_19
.LBB261_15:                             ;   in Loop: Header=BB261_4 Depth=1
	v_add_co_u32_e64 v9, s[8:9], s26, v1
	v_addc_co_u32_e64 v10, s[8:9], 0, v2, s[8:9]
	global_load_dwordx2 v[9:10], v[9:10], off
	s_waitcnt vmcnt(0)
	v_rndne_f64_e32 v[9:10], v[9:10]
	s_or_b64 exec, exec, s[22:23]
	s_and_saveexec_b64 s[8:9], vcc
	s_cbranch_execz .LBB261_12
.LBB261_16:                             ;   in Loop: Header=BB261_4 Depth=1
	global_store_dwordx2 v[1:2], v[7:8], off
	s_or_b64 exec, exec, s[8:9]
	s_and_saveexec_b64 s[8:9], s[0:1]
	s_cbranch_execz .LBB261_13
.LBB261_17:                             ;   in Loop: Header=BB261_4 Depth=1
	global_store_dwordx2 v[3:4], v[5:6], off
	s_or_b64 exec, exec, s[8:9]
	s_and_saveexec_b64 s[0:1], s[2:3]
	s_cbranch_execz .LBB261_14
.LBB261_18:                             ;   in Loop: Header=BB261_4 Depth=1
	v_add_co_u32_e32 v5, vcc, s27, v1
	v_addc_co_u32_e32 v6, vcc, 0, v2, vcc
	global_store_dwordx2 v[5:6], v[11:12], off
	s_or_b64 exec, exec, s[0:1]
	s_and_saveexec_b64 s[0:1], s[6:7]
	s_cbranch_execz .LBB261_3
.LBB261_19:                             ;   in Loop: Header=BB261_4 Depth=1
	v_add_co_u32_e32 v5, vcc, s26, v1
	v_addc_co_u32_e32 v6, vcc, 0, v2, vcc
	global_store_dwordx2 v[5:6], v[9:10], off
	s_branch .LBB261_3
.LBB261_20:
	s_cbranch_execz .LBB261_22
	s_branch .LBB261_25
.LBB261_21:
.LBB261_22:
	v_mov_b32_e32 v1, 0x10000
	v_mov_b32_e32 v2, 0
	v_cmp_lt_i64_e32 vcc, s[14:15], v[1:2]
	v_mov_b32_e32 v2, 0
	s_and_b64 s[0:1], vcc, exec
	s_cselect_b32 s1, s15, 0
	s_cselect_b32 s0, s14, 0x10000
	v_lshlrev_b32_e32 v1, 2, v0
	v_cmp_gt_i64_e32 vcc, s[0:1], v[1:2]
	s_and_saveexec_b64 s[2:3], vcc
	s_cbranch_execz .LBB261_25
; %bb.23:
	s_load_dword s2, s[4:5], 0xd3c
	v_mov_b32_e32 v1, v2
	v_lshlrev_b32_e32 v2, 5, v0
	s_waitcnt lgkmcnt(0)
	s_and_b32 s4, s2, 0xffff
	s_add_u32 s2, s10, s12
	s_addc_u32 s3, s11, s13
	v_mov_b32_e32 v3, s3
	v_add_co_u32_e32 v2, vcc, s2, v2
	v_addc_co_u32_e32 v3, vcc, 0, v3, vcc
	v_add_co_u32_e32 v2, vcc, 16, v2
	v_addc_co_u32_e32 v3, vcc, 0, v3, vcc
	s_lshl_b32 s5, s4, 5
	s_mov_b64 s[2:3], 0
.LBB261_24:                             ; =>This Inner Loop Header: Depth=1
	global_load_dwordx4 v[4:7], v[2:3], off offset:-16
	global_load_dwordx4 v[8:11], v[2:3], off
	v_add_co_u32_e32 v0, vcc, s4, v0
	v_addc_co_u32_e32 v1, vcc, 0, v1, vcc
	v_lshlrev_b64 v[12:13], 2, v[0:1]
	v_cmp_le_i64_e32 vcc, s[0:1], v[12:13]
	s_or_b64 s[2:3], vcc, s[2:3]
	s_waitcnt vmcnt(1)
	v_rndne_f64_e32 v[4:5], v[4:5]
	v_rndne_f64_e32 v[6:7], v[6:7]
	s_waitcnt vmcnt(0)
	v_rndne_f64_e32 v[8:9], v[8:9]
	v_rndne_f64_e32 v[10:11], v[10:11]
	global_store_dwordx4 v[2:3], v[4:7], off offset:-16
	global_store_dwordx4 v[2:3], v[8:11], off
	v_add_co_u32_e32 v2, vcc, s5, v2
	v_addc_co_u32_e32 v3, vcc, 0, v3, vcc
	s_andn2_b64 exec, exec, s[2:3]
	s_cbranch_execnz .LBB261_24
.LBB261_25:
	s_endpgm
	.section	.rodata,"a",@progbits
	.p2align	6, 0x0
	.amdhsa_kernel _ZN2at6native12_GLOBAL__N_125multi_tensor_apply_kernelINS1_18TensorListMetadataILi1EEENS1_14UnaryOpFunctorIdLi1ELi1ELi0EEEJNS0_5RoundIdEEEEEvT_T0_DpT1_
		.amdhsa_group_segment_fixed_size 0
		.amdhsa_private_segment_fixed_size 0
		.amdhsa_kernarg_size 3632
		.amdhsa_user_sgpr_count 6
		.amdhsa_user_sgpr_private_segment_buffer 1
		.amdhsa_user_sgpr_dispatch_ptr 0
		.amdhsa_user_sgpr_queue_ptr 0
		.amdhsa_user_sgpr_kernarg_segment_ptr 1
		.amdhsa_user_sgpr_dispatch_id 0
		.amdhsa_user_sgpr_flat_scratch_init 0
		.amdhsa_user_sgpr_private_segment_size 0
		.amdhsa_uses_dynamic_stack 0
		.amdhsa_system_sgpr_private_segment_wavefront_offset 0
		.amdhsa_system_sgpr_workgroup_id_x 1
		.amdhsa_system_sgpr_workgroup_id_y 0
		.amdhsa_system_sgpr_workgroup_id_z 0
		.amdhsa_system_sgpr_workgroup_info 0
		.amdhsa_system_vgpr_workitem_id 0
		.amdhsa_next_free_vgpr 21
		.amdhsa_next_free_sgpr 28
		.amdhsa_reserve_vcc 1
		.amdhsa_reserve_flat_scratch 0
		.amdhsa_float_round_mode_32 0
		.amdhsa_float_round_mode_16_64 0
		.amdhsa_float_denorm_mode_32 3
		.amdhsa_float_denorm_mode_16_64 3
		.amdhsa_dx10_clamp 1
		.amdhsa_ieee_mode 1
		.amdhsa_fp16_overflow 0
		.amdhsa_exception_fp_ieee_invalid_op 0
		.amdhsa_exception_fp_denorm_src 0
		.amdhsa_exception_fp_ieee_div_zero 0
		.amdhsa_exception_fp_ieee_overflow 0
		.amdhsa_exception_fp_ieee_underflow 0
		.amdhsa_exception_fp_ieee_inexact 0
		.amdhsa_exception_int_div_zero 0
	.end_amdhsa_kernel
	.section	.text._ZN2at6native12_GLOBAL__N_125multi_tensor_apply_kernelINS1_18TensorListMetadataILi1EEENS1_14UnaryOpFunctorIdLi1ELi1ELi0EEEJNS0_5RoundIdEEEEEvT_T0_DpT1_,"axG",@progbits,_ZN2at6native12_GLOBAL__N_125multi_tensor_apply_kernelINS1_18TensorListMetadataILi1EEENS1_14UnaryOpFunctorIdLi1ELi1ELi0EEEJNS0_5RoundIdEEEEEvT_T0_DpT1_,comdat
.Lfunc_end261:
	.size	_ZN2at6native12_GLOBAL__N_125multi_tensor_apply_kernelINS1_18TensorListMetadataILi1EEENS1_14UnaryOpFunctorIdLi1ELi1ELi0EEEJNS0_5RoundIdEEEEEvT_T0_DpT1_, .Lfunc_end261-_ZN2at6native12_GLOBAL__N_125multi_tensor_apply_kernelINS1_18TensorListMetadataILi1EEENS1_14UnaryOpFunctorIdLi1ELi1ELi0EEEJNS0_5RoundIdEEEEEvT_T0_DpT1_
                                        ; -- End function
	.set _ZN2at6native12_GLOBAL__N_125multi_tensor_apply_kernelINS1_18TensorListMetadataILi1EEENS1_14UnaryOpFunctorIdLi1ELi1ELi0EEEJNS0_5RoundIdEEEEEvT_T0_DpT1_.num_vgpr, 21
	.set _ZN2at6native12_GLOBAL__N_125multi_tensor_apply_kernelINS1_18TensorListMetadataILi1EEENS1_14UnaryOpFunctorIdLi1ELi1ELi0EEEJNS0_5RoundIdEEEEEvT_T0_DpT1_.num_agpr, 0
	.set _ZN2at6native12_GLOBAL__N_125multi_tensor_apply_kernelINS1_18TensorListMetadataILi1EEENS1_14UnaryOpFunctorIdLi1ELi1ELi0EEEJNS0_5RoundIdEEEEEvT_T0_DpT1_.numbered_sgpr, 28
	.set _ZN2at6native12_GLOBAL__N_125multi_tensor_apply_kernelINS1_18TensorListMetadataILi1EEENS1_14UnaryOpFunctorIdLi1ELi1ELi0EEEJNS0_5RoundIdEEEEEvT_T0_DpT1_.num_named_barrier, 0
	.set _ZN2at6native12_GLOBAL__N_125multi_tensor_apply_kernelINS1_18TensorListMetadataILi1EEENS1_14UnaryOpFunctorIdLi1ELi1ELi0EEEJNS0_5RoundIdEEEEEvT_T0_DpT1_.private_seg_size, 0
	.set _ZN2at6native12_GLOBAL__N_125multi_tensor_apply_kernelINS1_18TensorListMetadataILi1EEENS1_14UnaryOpFunctorIdLi1ELi1ELi0EEEJNS0_5RoundIdEEEEEvT_T0_DpT1_.uses_vcc, 1
	.set _ZN2at6native12_GLOBAL__N_125multi_tensor_apply_kernelINS1_18TensorListMetadataILi1EEENS1_14UnaryOpFunctorIdLi1ELi1ELi0EEEJNS0_5RoundIdEEEEEvT_T0_DpT1_.uses_flat_scratch, 0
	.set _ZN2at6native12_GLOBAL__N_125multi_tensor_apply_kernelINS1_18TensorListMetadataILi1EEENS1_14UnaryOpFunctorIdLi1ELi1ELi0EEEJNS0_5RoundIdEEEEEvT_T0_DpT1_.has_dyn_sized_stack, 0
	.set _ZN2at6native12_GLOBAL__N_125multi_tensor_apply_kernelINS1_18TensorListMetadataILi1EEENS1_14UnaryOpFunctorIdLi1ELi1ELi0EEEJNS0_5RoundIdEEEEEvT_T0_DpT1_.has_recursion, 0
	.set _ZN2at6native12_GLOBAL__N_125multi_tensor_apply_kernelINS1_18TensorListMetadataILi1EEENS1_14UnaryOpFunctorIdLi1ELi1ELi0EEEJNS0_5RoundIdEEEEEvT_T0_DpT1_.has_indirect_call, 0
	.section	.AMDGPU.csdata,"",@progbits
; Kernel info:
; codeLenInByte = 1020
; TotalNumSgprs: 32
; NumVgprs: 21
; ScratchSize: 0
; MemoryBound: 1
; FloatMode: 240
; IeeeMode: 1
; LDSByteSize: 0 bytes/workgroup (compile time only)
; SGPRBlocks: 3
; VGPRBlocks: 5
; NumSGPRsForWavesPerEU: 32
; NumVGPRsForWavesPerEU: 21
; Occupancy: 10
; WaveLimiterHint : 0
; COMPUTE_PGM_RSRC2:SCRATCH_EN: 0
; COMPUTE_PGM_RSRC2:USER_SGPR: 6
; COMPUTE_PGM_RSRC2:TRAP_HANDLER: 0
; COMPUTE_PGM_RSRC2:TGID_X_EN: 1
; COMPUTE_PGM_RSRC2:TGID_Y_EN: 0
; COMPUTE_PGM_RSRC2:TGID_Z_EN: 0
; COMPUTE_PGM_RSRC2:TIDIG_COMP_CNT: 0
	.section	.text._ZN2at6native12_GLOBAL__N_125multi_tensor_apply_kernelINS1_18TensorListMetadataILi1EEENS1_14UnaryOpFunctorIfLi1ELi1ELi0EEEJNS0_5RoundIfEEEEEvT_T0_DpT1_,"axG",@progbits,_ZN2at6native12_GLOBAL__N_125multi_tensor_apply_kernelINS1_18TensorListMetadataILi1EEENS1_14UnaryOpFunctorIfLi1ELi1ELi0EEEJNS0_5RoundIfEEEEEvT_T0_DpT1_,comdat
	.globl	_ZN2at6native12_GLOBAL__N_125multi_tensor_apply_kernelINS1_18TensorListMetadataILi1EEENS1_14UnaryOpFunctorIfLi1ELi1ELi0EEEJNS0_5RoundIfEEEEEvT_T0_DpT1_ ; -- Begin function _ZN2at6native12_GLOBAL__N_125multi_tensor_apply_kernelINS1_18TensorListMetadataILi1EEENS1_14UnaryOpFunctorIfLi1ELi1ELi0EEEJNS0_5RoundIfEEEEEvT_T0_DpT1_
	.p2align	8
	.type	_ZN2at6native12_GLOBAL__N_125multi_tensor_apply_kernelINS1_18TensorListMetadataILi1EEENS1_14UnaryOpFunctorIfLi1ELi1ELi0EEEJNS0_5RoundIfEEEEEvT_T0_DpT1_,@function
_ZN2at6native12_GLOBAL__N_125multi_tensor_apply_kernelINS1_18TensorListMetadataILi1EEENS1_14UnaryOpFunctorIfLi1ELi1ELi0EEEJNS0_5RoundIfEEEEEvT_T0_DpT1_: ; @_ZN2at6native12_GLOBAL__N_125multi_tensor_apply_kernelINS1_18TensorListMetadataILi1EEENS1_14UnaryOpFunctorIfLi1ELi1ELi0EEEJNS0_5RoundIfEEEEEvT_T0_DpT1_
; %bb.0:
	v_mov_b32_e32 v1, s6
	global_load_ubyte v1, v1, s[4:5] offset:1760
	s_add_u32 s0, s4, s6
	s_mul_hi_u32 s1, s6, 3
	s_mul_i32 s6, s6, 3
	s_addc_u32 s2, s5, 0
	s_add_u32 s0, s0, s6
	s_addc_u32 s1, s2, s1
	s_load_dword s0, s[0:1], 0x820
	s_mov_b32 s7, 0
	s_waitcnt vmcnt(0)
	v_readfirstlane_b32 s1, v1
	s_lshl_b32 s1, s1, 3
	s_load_dwordx2 s[2:3], s[4:5], s1 offset:0x370
	s_load_dwordx2 s[10:11], s[4:5], s1 offset:0x0
	s_waitcnt lgkmcnt(0)
	s_ashr_i32 s1, s0, 31
	s_lshl_b64 s[12:13], s[0:1], 18
	s_lshl_b64 s[0:1], s[0:1], 16
	s_and_b32 s6, s10, 15
	s_sub_u32 s14, s2, s0
	s_subb_u32 s15, s3, s1
	s_and_b32 s0, s2, 3
	s_mov_b32 s1, s7
	s_or_b64 s[0:1], s[6:7], s[0:1]
	s_cmp_eq_u64 s[0:1], 0
	s_cbranch_scc1 .LBB262_21
; %bb.1:
	v_cmp_lt_i64_e64 s[0:1], s[14:15], 1
	s_and_b64 vcc, exec, s[0:1]
	s_cbranch_vccnz .LBB262_20
; %bb.2:
	v_mov_b32_e32 v1, 0x10000
	s_load_dword s2, s[4:5], 0xd3c
	v_mov_b32_e32 v2, 0
	v_cmp_lt_i64_e32 vcc, s[14:15], v[1:2]
	s_mov_b64 s[20:21], 0
	s_and_b64 s[0:1], vcc, exec
	v_cmp_lt_u64_e32 vcc, s[14:15], v[1:2]
	s_cselect_b32 s17, s15, 0
	s_cselect_b32 s16, s14, 0x10000
	s_waitcnt lgkmcnt(0)
	s_and_b32 s2, s2, 0xffff
	s_and_b64 s[0:1], vcc, exec
	s_cselect_b32 s19, s15, 0
	s_cselect_b32 s18, s14, 0x10000
	s_lshl_b32 s3, s2, 1
	s_lshl_b32 s24, s2, 2
	s_add_u32 s6, s10, s12
	v_lshlrev_b32_e32 v1, 2, v0
	s_addc_u32 s7, s11, s13
	v_mov_b32_e32 v2, s7
	v_add_co_u32_e32 v1, vcc, s6, v1
	s_mul_i32 s0, s2, 3
	v_addc_co_u32_e32 v2, vcc, 0, v2, vcc
	v_add_co_u32_e32 v5, vcc, s0, v0
	v_addc_co_u32_e64 v6, s[0:1], 0, 0, vcc
	v_add_co_u32_e32 v7, vcc, s3, v0
	v_addc_co_u32_e64 v8, s[0:1], 0, 0, vcc
	v_add_co_u32_e32 v9, vcc, s2, v0
	v_lshlrev_b32_e32 v3, 2, v9
	v_addc_co_u32_e64 v10, s[0:1], 0, 0, vcc
	v_mov_b32_e32 v4, s7
	v_add_co_u32_e32 v3, vcc, s6, v3
	s_lshl_b32 s25, s2, 4
	s_mul_i32 s26, s2, 12
	s_lshl_b32 s27, s2, 3
	v_addc_co_u32_e32 v4, vcc, 0, v4, vcc
	s_branch .LBB262_4
.LBB262_3:                              ;   in Loop: Header=BB262_4 Depth=1
	s_or_b64 exec, exec, s[0:1]
	s_add_u32 s20, s20, s24
	v_add_co_u32_e32 v1, vcc, s25, v1
	v_mov_b32_e32 v11, s16
	s_addc_u32 s21, s21, 0
	v_addc_co_u32_e32 v2, vcc, 0, v2, vcc
	v_mov_b32_e32 v12, s17
	v_cmp_lt_i64_e32 vcc, s[20:21], v[11:12]
	v_add_co_u32_e64 v3, s[0:1], s25, v3
	v_addc_co_u32_e64 v4, s[0:1], 0, v4, s[0:1]
	s_cbranch_vccz .LBB262_20
.LBB262_4:                              ; =>This Inner Loop Header: Depth=1
	v_mov_b32_e32 v12, s21
	v_add_co_u32_e32 v11, vcc, s20, v0
	v_addc_co_u32_e32 v12, vcc, 0, v12, vcc
	v_cmp_gt_u64_e32 vcc, s[18:19], v[11:12]
	v_mov_b32_e32 v11, 0
	s_and_saveexec_b64 s[0:1], vcc
	s_cbranch_execz .LBB262_6
; %bb.5:                                ;   in Loop: Header=BB262_4 Depth=1
	global_load_dword v11, v[1:2], off
	s_waitcnt vmcnt(0)
	v_rndne_f32_e32 v11, v11
.LBB262_6:                              ;   in Loop: Header=BB262_4 Depth=1
	s_or_b64 exec, exec, s[0:1]
	v_mov_b32_e32 v13, s21
	v_add_co_u32_e64 v12, s[0:1], s20, v9
	v_addc_co_u32_e64 v13, s[0:1], v10, v13, s[0:1]
	v_cmp_gt_u64_e64 s[0:1], s[18:19], v[12:13]
	v_mov_b32_e32 v12, 0
	v_mov_b32_e32 v13, 0
	s_and_saveexec_b64 s[2:3], s[0:1]
	s_cbranch_execz .LBB262_8
; %bb.7:                                ;   in Loop: Header=BB262_4 Depth=1
	global_load_dword v13, v[3:4], off
	s_waitcnt vmcnt(0)
	v_rndne_f32_e32 v13, v13
.LBB262_8:                              ;   in Loop: Header=BB262_4 Depth=1
	s_or_b64 exec, exec, s[2:3]
	v_mov_b32_e32 v15, s21
	v_add_co_u32_e64 v14, s[2:3], s20, v7
	v_addc_co_u32_e64 v15, s[2:3], v8, v15, s[2:3]
	v_cmp_gt_u64_e64 s[2:3], s[18:19], v[14:15]
	s_and_saveexec_b64 s[8:9], s[2:3]
	s_cbranch_execz .LBB262_10
; %bb.9:                                ;   in Loop: Header=BB262_4 Depth=1
	v_add_co_u32_e64 v14, s[6:7], s27, v1
	v_addc_co_u32_e64 v15, s[6:7], 0, v2, s[6:7]
	global_load_dword v12, v[14:15], off
	s_waitcnt vmcnt(0)
	v_rndne_f32_e32 v12, v12
.LBB262_10:                             ;   in Loop: Header=BB262_4 Depth=1
	s_or_b64 exec, exec, s[8:9]
	v_mov_b32_e32 v15, s21
	v_add_co_u32_e64 v14, s[6:7], s20, v5
	v_addc_co_u32_e64 v15, s[6:7], v6, v15, s[6:7]
	v_cmp_gt_u64_e64 s[6:7], s[18:19], v[14:15]
	v_mov_b32_e32 v14, 0
	s_and_saveexec_b64 s[22:23], s[6:7]
	s_cbranch_execnz .LBB262_15
; %bb.11:                               ;   in Loop: Header=BB262_4 Depth=1
	s_or_b64 exec, exec, s[22:23]
	s_and_saveexec_b64 s[8:9], vcc
	s_cbranch_execnz .LBB262_16
.LBB262_12:                             ;   in Loop: Header=BB262_4 Depth=1
	s_or_b64 exec, exec, s[8:9]
	s_and_saveexec_b64 s[8:9], s[0:1]
	s_cbranch_execnz .LBB262_17
.LBB262_13:                             ;   in Loop: Header=BB262_4 Depth=1
	s_or_b64 exec, exec, s[8:9]
	s_and_saveexec_b64 s[0:1], s[2:3]
	s_cbranch_execnz .LBB262_18
.LBB262_14:                             ;   in Loop: Header=BB262_4 Depth=1
	s_or_b64 exec, exec, s[0:1]
	s_and_saveexec_b64 s[0:1], s[6:7]
	s_cbranch_execz .LBB262_3
	s_branch .LBB262_19
.LBB262_15:                             ;   in Loop: Header=BB262_4 Depth=1
	v_add_co_u32_e64 v14, s[8:9], s26, v1
	v_addc_co_u32_e64 v15, s[8:9], 0, v2, s[8:9]
	global_load_dword v14, v[14:15], off
	s_waitcnt vmcnt(0)
	v_rndne_f32_e32 v14, v14
	s_or_b64 exec, exec, s[22:23]
	s_and_saveexec_b64 s[8:9], vcc
	s_cbranch_execz .LBB262_12
.LBB262_16:                             ;   in Loop: Header=BB262_4 Depth=1
	global_store_dword v[1:2], v11, off
	s_or_b64 exec, exec, s[8:9]
	s_and_saveexec_b64 s[8:9], s[0:1]
	s_cbranch_execz .LBB262_13
.LBB262_17:                             ;   in Loop: Header=BB262_4 Depth=1
	global_store_dword v[3:4], v13, off
	s_or_b64 exec, exec, s[8:9]
	s_and_saveexec_b64 s[0:1], s[2:3]
	s_cbranch_execz .LBB262_14
.LBB262_18:                             ;   in Loop: Header=BB262_4 Depth=1
	v_add_co_u32_e32 v15, vcc, s27, v1
	v_addc_co_u32_e32 v16, vcc, 0, v2, vcc
	global_store_dword v[15:16], v12, off
	s_or_b64 exec, exec, s[0:1]
	s_and_saveexec_b64 s[0:1], s[6:7]
	s_cbranch_execz .LBB262_3
.LBB262_19:                             ;   in Loop: Header=BB262_4 Depth=1
	v_add_co_u32_e32 v11, vcc, s26, v1
	v_addc_co_u32_e32 v12, vcc, 0, v2, vcc
	global_store_dword v[11:12], v14, off
	s_branch .LBB262_3
.LBB262_20:
	s_cbranch_execz .LBB262_22
	s_branch .LBB262_25
.LBB262_21:
.LBB262_22:
	v_mov_b32_e32 v1, 0x10000
	v_mov_b32_e32 v2, 0
	v_cmp_lt_i64_e32 vcc, s[14:15], v[1:2]
	v_mov_b32_e32 v2, 0
	s_and_b64 s[0:1], vcc, exec
	s_cselect_b32 s1, s15, 0
	s_cselect_b32 s0, s14, 0x10000
	v_lshlrev_b32_e32 v1, 2, v0
	v_cmp_gt_i64_e32 vcc, s[0:1], v[1:2]
	s_and_saveexec_b64 s[2:3], vcc
	s_cbranch_execz .LBB262_25
; %bb.23:
	s_load_dword s2, s[4:5], 0xd3c
	v_mov_b32_e32 v1, v2
	v_lshlrev_b32_e32 v2, 4, v0
	s_waitcnt lgkmcnt(0)
	s_and_b32 s4, s2, 0xffff
	s_add_u32 s2, s10, s12
	s_addc_u32 s3, s11, s13
	v_mov_b32_e32 v3, s3
	v_add_co_u32_e32 v2, vcc, s2, v2
	v_addc_co_u32_e32 v3, vcc, 0, v3, vcc
	v_add_co_u32_e32 v2, vcc, 8, v2
	v_addc_co_u32_e32 v3, vcc, 0, v3, vcc
	s_lshl_b32 s5, s4, 4
	s_mov_b64 s[2:3], 0
.LBB262_24:                             ; =>This Inner Loop Header: Depth=1
	global_load_dwordx4 v[4:7], v[2:3], off offset:-8
	v_add_co_u32_e32 v0, vcc, s4, v0
	v_addc_co_u32_e32 v1, vcc, 0, v1, vcc
	v_lshlrev_b64 v[8:9], 2, v[0:1]
	v_cmp_le_i64_e32 vcc, s[0:1], v[8:9]
	s_or_b64 s[2:3], vcc, s[2:3]
	s_waitcnt vmcnt(0)
	v_rndne_f32_e32 v4, v4
	v_rndne_f32_e32 v5, v5
	;; [unrolled: 1-line block ×4, first 2 shown]
	global_store_dwordx4 v[2:3], v[4:7], off offset:-8
	v_add_co_u32_e32 v2, vcc, s5, v2
	v_addc_co_u32_e32 v3, vcc, 0, v3, vcc
	s_andn2_b64 exec, exec, s[2:3]
	s_cbranch_execnz .LBB262_24
.LBB262_25:
	s_endpgm
	.section	.rodata,"a",@progbits
	.p2align	6, 0x0
	.amdhsa_kernel _ZN2at6native12_GLOBAL__N_125multi_tensor_apply_kernelINS1_18TensorListMetadataILi1EEENS1_14UnaryOpFunctorIfLi1ELi1ELi0EEEJNS0_5RoundIfEEEEEvT_T0_DpT1_
		.amdhsa_group_segment_fixed_size 0
		.amdhsa_private_segment_fixed_size 0
		.amdhsa_kernarg_size 3632
		.amdhsa_user_sgpr_count 6
		.amdhsa_user_sgpr_private_segment_buffer 1
		.amdhsa_user_sgpr_dispatch_ptr 0
		.amdhsa_user_sgpr_queue_ptr 0
		.amdhsa_user_sgpr_kernarg_segment_ptr 1
		.amdhsa_user_sgpr_dispatch_id 0
		.amdhsa_user_sgpr_flat_scratch_init 0
		.amdhsa_user_sgpr_private_segment_size 0
		.amdhsa_uses_dynamic_stack 0
		.amdhsa_system_sgpr_private_segment_wavefront_offset 0
		.amdhsa_system_sgpr_workgroup_id_x 1
		.amdhsa_system_sgpr_workgroup_id_y 0
		.amdhsa_system_sgpr_workgroup_id_z 0
		.amdhsa_system_sgpr_workgroup_info 0
		.amdhsa_system_vgpr_workitem_id 0
		.amdhsa_next_free_vgpr 17
		.amdhsa_next_free_sgpr 28
		.amdhsa_reserve_vcc 1
		.amdhsa_reserve_flat_scratch 0
		.amdhsa_float_round_mode_32 0
		.amdhsa_float_round_mode_16_64 0
		.amdhsa_float_denorm_mode_32 3
		.amdhsa_float_denorm_mode_16_64 3
		.amdhsa_dx10_clamp 1
		.amdhsa_ieee_mode 1
		.amdhsa_fp16_overflow 0
		.amdhsa_exception_fp_ieee_invalid_op 0
		.amdhsa_exception_fp_denorm_src 0
		.amdhsa_exception_fp_ieee_div_zero 0
		.amdhsa_exception_fp_ieee_overflow 0
		.amdhsa_exception_fp_ieee_underflow 0
		.amdhsa_exception_fp_ieee_inexact 0
		.amdhsa_exception_int_div_zero 0
	.end_amdhsa_kernel
	.section	.text._ZN2at6native12_GLOBAL__N_125multi_tensor_apply_kernelINS1_18TensorListMetadataILi1EEENS1_14UnaryOpFunctorIfLi1ELi1ELi0EEEJNS0_5RoundIfEEEEEvT_T0_DpT1_,"axG",@progbits,_ZN2at6native12_GLOBAL__N_125multi_tensor_apply_kernelINS1_18TensorListMetadataILi1EEENS1_14UnaryOpFunctorIfLi1ELi1ELi0EEEJNS0_5RoundIfEEEEEvT_T0_DpT1_,comdat
.Lfunc_end262:
	.size	_ZN2at6native12_GLOBAL__N_125multi_tensor_apply_kernelINS1_18TensorListMetadataILi1EEENS1_14UnaryOpFunctorIfLi1ELi1ELi0EEEJNS0_5RoundIfEEEEEvT_T0_DpT1_, .Lfunc_end262-_ZN2at6native12_GLOBAL__N_125multi_tensor_apply_kernelINS1_18TensorListMetadataILi1EEENS1_14UnaryOpFunctorIfLi1ELi1ELi0EEEJNS0_5RoundIfEEEEEvT_T0_DpT1_
                                        ; -- End function
	.set _ZN2at6native12_GLOBAL__N_125multi_tensor_apply_kernelINS1_18TensorListMetadataILi1EEENS1_14UnaryOpFunctorIfLi1ELi1ELi0EEEJNS0_5RoundIfEEEEEvT_T0_DpT1_.num_vgpr, 17
	.set _ZN2at6native12_GLOBAL__N_125multi_tensor_apply_kernelINS1_18TensorListMetadataILi1EEENS1_14UnaryOpFunctorIfLi1ELi1ELi0EEEJNS0_5RoundIfEEEEEvT_T0_DpT1_.num_agpr, 0
	.set _ZN2at6native12_GLOBAL__N_125multi_tensor_apply_kernelINS1_18TensorListMetadataILi1EEENS1_14UnaryOpFunctorIfLi1ELi1ELi0EEEJNS0_5RoundIfEEEEEvT_T0_DpT1_.numbered_sgpr, 28
	.set _ZN2at6native12_GLOBAL__N_125multi_tensor_apply_kernelINS1_18TensorListMetadataILi1EEENS1_14UnaryOpFunctorIfLi1ELi1ELi0EEEJNS0_5RoundIfEEEEEvT_T0_DpT1_.num_named_barrier, 0
	.set _ZN2at6native12_GLOBAL__N_125multi_tensor_apply_kernelINS1_18TensorListMetadataILi1EEENS1_14UnaryOpFunctorIfLi1ELi1ELi0EEEJNS0_5RoundIfEEEEEvT_T0_DpT1_.private_seg_size, 0
	.set _ZN2at6native12_GLOBAL__N_125multi_tensor_apply_kernelINS1_18TensorListMetadataILi1EEENS1_14UnaryOpFunctorIfLi1ELi1ELi0EEEJNS0_5RoundIfEEEEEvT_T0_DpT1_.uses_vcc, 1
	.set _ZN2at6native12_GLOBAL__N_125multi_tensor_apply_kernelINS1_18TensorListMetadataILi1EEENS1_14UnaryOpFunctorIfLi1ELi1ELi0EEEJNS0_5RoundIfEEEEEvT_T0_DpT1_.uses_flat_scratch, 0
	.set _ZN2at6native12_GLOBAL__N_125multi_tensor_apply_kernelINS1_18TensorListMetadataILi1EEENS1_14UnaryOpFunctorIfLi1ELi1ELi0EEEJNS0_5RoundIfEEEEEvT_T0_DpT1_.has_dyn_sized_stack, 0
	.set _ZN2at6native12_GLOBAL__N_125multi_tensor_apply_kernelINS1_18TensorListMetadataILi1EEENS1_14UnaryOpFunctorIfLi1ELi1ELi0EEEJNS0_5RoundIfEEEEEvT_T0_DpT1_.has_recursion, 0
	.set _ZN2at6native12_GLOBAL__N_125multi_tensor_apply_kernelINS1_18TensorListMetadataILi1EEENS1_14UnaryOpFunctorIfLi1ELi1ELi0EEEJNS0_5RoundIfEEEEEvT_T0_DpT1_.has_indirect_call, 0
	.section	.AMDGPU.csdata,"",@progbits
; Kernel info:
; codeLenInByte = 984
; TotalNumSgprs: 32
; NumVgprs: 17
; ScratchSize: 0
; MemoryBound: 0
; FloatMode: 240
; IeeeMode: 1
; LDSByteSize: 0 bytes/workgroup (compile time only)
; SGPRBlocks: 3
; VGPRBlocks: 4
; NumSGPRsForWavesPerEU: 32
; NumVGPRsForWavesPerEU: 17
; Occupancy: 10
; WaveLimiterHint : 0
; COMPUTE_PGM_RSRC2:SCRATCH_EN: 0
; COMPUTE_PGM_RSRC2:USER_SGPR: 6
; COMPUTE_PGM_RSRC2:TRAP_HANDLER: 0
; COMPUTE_PGM_RSRC2:TGID_X_EN: 1
; COMPUTE_PGM_RSRC2:TGID_Y_EN: 0
; COMPUTE_PGM_RSRC2:TGID_Z_EN: 0
; COMPUTE_PGM_RSRC2:TIDIG_COMP_CNT: 0
	.section	.text._ZN2at6native12_GLOBAL__N_125multi_tensor_apply_kernelINS1_18TensorListMetadataILi1EEENS1_14UnaryOpFunctorIN3c104HalfELi1ELi1ELi0EEEJNS0_5RoundIfEEEEEvT_T0_DpT1_,"axG",@progbits,_ZN2at6native12_GLOBAL__N_125multi_tensor_apply_kernelINS1_18TensorListMetadataILi1EEENS1_14UnaryOpFunctorIN3c104HalfELi1ELi1ELi0EEEJNS0_5RoundIfEEEEEvT_T0_DpT1_,comdat
	.globl	_ZN2at6native12_GLOBAL__N_125multi_tensor_apply_kernelINS1_18TensorListMetadataILi1EEENS1_14UnaryOpFunctorIN3c104HalfELi1ELi1ELi0EEEJNS0_5RoundIfEEEEEvT_T0_DpT1_ ; -- Begin function _ZN2at6native12_GLOBAL__N_125multi_tensor_apply_kernelINS1_18TensorListMetadataILi1EEENS1_14UnaryOpFunctorIN3c104HalfELi1ELi1ELi0EEEJNS0_5RoundIfEEEEEvT_T0_DpT1_
	.p2align	8
	.type	_ZN2at6native12_GLOBAL__N_125multi_tensor_apply_kernelINS1_18TensorListMetadataILi1EEENS1_14UnaryOpFunctorIN3c104HalfELi1ELi1ELi0EEEJNS0_5RoundIfEEEEEvT_T0_DpT1_,@function
_ZN2at6native12_GLOBAL__N_125multi_tensor_apply_kernelINS1_18TensorListMetadataILi1EEENS1_14UnaryOpFunctorIN3c104HalfELi1ELi1ELi0EEEJNS0_5RoundIfEEEEEvT_T0_DpT1_: ; @_ZN2at6native12_GLOBAL__N_125multi_tensor_apply_kernelINS1_18TensorListMetadataILi1EEENS1_14UnaryOpFunctorIN3c104HalfELi1ELi1ELi0EEEJNS0_5RoundIfEEEEEvT_T0_DpT1_
; %bb.0:
	v_mov_b32_e32 v1, s6
	global_load_ubyte v1, v1, s[4:5] offset:1760
	s_add_u32 s0, s4, s6
	s_mul_hi_u32 s1, s6, 3
	s_mul_i32 s6, s6, 3
	s_addc_u32 s2, s5, 0
	s_add_u32 s0, s0, s6
	s_addc_u32 s1, s2, s1
	s_load_dword s0, s[0:1], 0x820
	s_mov_b32 s7, 0
	s_waitcnt vmcnt(0)
	v_readfirstlane_b32 s1, v1
	s_lshl_b32 s1, s1, 3
	s_load_dwordx2 s[2:3], s[4:5], s1 offset:0x370
	s_load_dwordx2 s[10:11], s[4:5], s1 offset:0x0
	s_waitcnt lgkmcnt(0)
	s_ashr_i32 s1, s0, 31
	s_lshl_b64 s[12:13], s[0:1], 17
	s_lshl_b64 s[0:1], s[0:1], 16
	s_and_b32 s6, s10, 7
	s_sub_u32 s14, s2, s0
	s_subb_u32 s15, s3, s1
	s_and_b32 s0, s2, 3
	s_mov_b32 s1, s7
	s_or_b64 s[0:1], s[6:7], s[0:1]
	s_cmp_eq_u64 s[0:1], 0
	s_cbranch_scc1 .LBB263_21
; %bb.1:
	v_cmp_lt_i64_e64 s[0:1], s[14:15], 1
	s_and_b64 vcc, exec, s[0:1]
	s_cbranch_vccnz .LBB263_20
; %bb.2:
	v_mov_b32_e32 v1, 0x10000
	s_load_dword s2, s[4:5], 0xd3c
	v_mov_b32_e32 v2, 0
	v_cmp_lt_i64_e32 vcc, s[14:15], v[1:2]
	s_mov_b64 s[20:21], 0
	s_and_b64 s[0:1], vcc, exec
	v_cmp_lt_u64_e32 vcc, s[14:15], v[1:2]
	s_cselect_b32 s17, s15, 0
	s_cselect_b32 s16, s14, 0x10000
	s_waitcnt lgkmcnt(0)
	s_and_b32 s2, s2, 0xffff
	s_and_b64 s[0:1], vcc, exec
	s_cselect_b32 s19, s15, 0
	s_cselect_b32 s18, s14, 0x10000
	s_lshl_b32 s3, s2, 1
	s_lshl_b32 s24, s2, 2
	s_add_u32 s6, s10, s12
	v_lshlrev_b32_e32 v1, 1, v0
	s_addc_u32 s7, s11, s13
	v_mov_b32_e32 v2, s7
	v_add_co_u32_e32 v1, vcc, s6, v1
	s_mul_i32 s0, s2, 3
	v_addc_co_u32_e32 v2, vcc, 0, v2, vcc
	v_add_co_u32_e32 v5, vcc, s0, v0
	v_addc_co_u32_e64 v6, s[0:1], 0, 0, vcc
	v_add_co_u32_e32 v7, vcc, s3, v0
	v_addc_co_u32_e64 v8, s[0:1], 0, 0, vcc
	v_add_co_u32_e32 v9, vcc, s2, v0
	v_lshlrev_b32_e32 v3, 1, v9
	v_addc_co_u32_e64 v10, s[0:1], 0, 0, vcc
	v_mov_b32_e32 v4, s7
	v_add_co_u32_e32 v3, vcc, s6, v3
	s_lshl_b32 s25, s2, 3
	s_mul_i32 s26, s2, 6
	v_addc_co_u32_e32 v4, vcc, 0, v4, vcc
	s_branch .LBB263_4
.LBB263_3:                              ;   in Loop: Header=BB263_4 Depth=1
	s_or_b64 exec, exec, s[0:1]
	s_add_u32 s20, s20, s24
	v_add_co_u32_e32 v1, vcc, s25, v1
	v_mov_b32_e32 v11, s16
	s_addc_u32 s21, s21, 0
	v_addc_co_u32_e32 v2, vcc, 0, v2, vcc
	v_mov_b32_e32 v12, s17
	v_cmp_lt_i64_e32 vcc, s[20:21], v[11:12]
	v_add_co_u32_e64 v3, s[0:1], s25, v3
	v_addc_co_u32_e64 v4, s[0:1], 0, v4, s[0:1]
	s_cbranch_vccz .LBB263_20
.LBB263_4:                              ; =>This Inner Loop Header: Depth=1
	v_mov_b32_e32 v12, s21
	v_add_co_u32_e32 v11, vcc, s20, v0
	v_addc_co_u32_e32 v12, vcc, 0, v12, vcc
	v_cmp_gt_u64_e32 vcc, s[18:19], v[11:12]
	v_mov_b32_e32 v11, 0
	s_and_saveexec_b64 s[0:1], vcc
	s_cbranch_execz .LBB263_6
; %bb.5:                                ;   in Loop: Header=BB263_4 Depth=1
	global_load_ushort v11, v[1:2], off
	s_waitcnt vmcnt(0)
	v_rndne_f16_e32 v11, v11
.LBB263_6:                              ;   in Loop: Header=BB263_4 Depth=1
	s_or_b64 exec, exec, s[0:1]
	v_mov_b32_e32 v13, s21
	v_add_co_u32_e64 v12, s[0:1], s20, v9
	v_addc_co_u32_e64 v13, s[0:1], v10, v13, s[0:1]
	v_cmp_gt_u64_e64 s[0:1], s[18:19], v[12:13]
	v_mov_b32_e32 v12, 0
	v_mov_b32_e32 v13, 0
	s_and_saveexec_b64 s[2:3], s[0:1]
	s_cbranch_execz .LBB263_8
; %bb.7:                                ;   in Loop: Header=BB263_4 Depth=1
	global_load_ushort v13, v[3:4], off
	s_waitcnt vmcnt(0)
	v_rndne_f16_e32 v13, v13
.LBB263_8:                              ;   in Loop: Header=BB263_4 Depth=1
	s_or_b64 exec, exec, s[2:3]
	v_mov_b32_e32 v15, s21
	v_add_co_u32_e64 v14, s[2:3], s20, v7
	v_addc_co_u32_e64 v15, s[2:3], v8, v15, s[2:3]
	v_cmp_gt_u64_e64 s[2:3], s[18:19], v[14:15]
	s_and_saveexec_b64 s[8:9], s[2:3]
	s_cbranch_execz .LBB263_10
; %bb.9:                                ;   in Loop: Header=BB263_4 Depth=1
	v_add_co_u32_e64 v14, s[6:7], s24, v1
	v_addc_co_u32_e64 v15, s[6:7], 0, v2, s[6:7]
	global_load_ushort v12, v[14:15], off
	s_waitcnt vmcnt(0)
	v_rndne_f16_e32 v12, v12
.LBB263_10:                             ;   in Loop: Header=BB263_4 Depth=1
	s_or_b64 exec, exec, s[8:9]
	v_mov_b32_e32 v15, s21
	v_add_co_u32_e64 v14, s[6:7], s20, v5
	v_addc_co_u32_e64 v15, s[6:7], v6, v15, s[6:7]
	v_cmp_gt_u64_e64 s[6:7], s[18:19], v[14:15]
	v_mov_b32_e32 v14, 0
	s_and_saveexec_b64 s[22:23], s[6:7]
	s_cbranch_execnz .LBB263_15
; %bb.11:                               ;   in Loop: Header=BB263_4 Depth=1
	s_or_b64 exec, exec, s[22:23]
	s_and_saveexec_b64 s[8:9], vcc
	s_cbranch_execnz .LBB263_16
.LBB263_12:                             ;   in Loop: Header=BB263_4 Depth=1
	s_or_b64 exec, exec, s[8:9]
	s_and_saveexec_b64 s[8:9], s[0:1]
	s_cbranch_execnz .LBB263_17
.LBB263_13:                             ;   in Loop: Header=BB263_4 Depth=1
	s_or_b64 exec, exec, s[8:9]
	s_and_saveexec_b64 s[0:1], s[2:3]
	s_cbranch_execnz .LBB263_18
.LBB263_14:                             ;   in Loop: Header=BB263_4 Depth=1
	s_or_b64 exec, exec, s[0:1]
	s_and_saveexec_b64 s[0:1], s[6:7]
	s_cbranch_execz .LBB263_3
	s_branch .LBB263_19
.LBB263_15:                             ;   in Loop: Header=BB263_4 Depth=1
	v_add_co_u32_e64 v14, s[8:9], s26, v1
	v_addc_co_u32_e64 v15, s[8:9], 0, v2, s[8:9]
	global_load_ushort v14, v[14:15], off
	s_waitcnt vmcnt(0)
	v_rndne_f16_e32 v14, v14
	s_or_b64 exec, exec, s[22:23]
	s_and_saveexec_b64 s[8:9], vcc
	s_cbranch_execz .LBB263_12
.LBB263_16:                             ;   in Loop: Header=BB263_4 Depth=1
	global_store_short v[1:2], v11, off
	s_or_b64 exec, exec, s[8:9]
	s_and_saveexec_b64 s[8:9], s[0:1]
	s_cbranch_execz .LBB263_13
.LBB263_17:                             ;   in Loop: Header=BB263_4 Depth=1
	global_store_short v[3:4], v13, off
	s_or_b64 exec, exec, s[8:9]
	s_and_saveexec_b64 s[0:1], s[2:3]
	s_cbranch_execz .LBB263_14
.LBB263_18:                             ;   in Loop: Header=BB263_4 Depth=1
	v_add_co_u32_e32 v15, vcc, s24, v1
	v_addc_co_u32_e32 v16, vcc, 0, v2, vcc
	global_store_short v[15:16], v12, off
	s_or_b64 exec, exec, s[0:1]
	s_and_saveexec_b64 s[0:1], s[6:7]
	s_cbranch_execz .LBB263_3
.LBB263_19:                             ;   in Loop: Header=BB263_4 Depth=1
	v_add_co_u32_e32 v11, vcc, s26, v1
	v_addc_co_u32_e32 v12, vcc, 0, v2, vcc
	global_store_short v[11:12], v14, off
	s_branch .LBB263_3
.LBB263_20:
	s_cbranch_execz .LBB263_22
	s_branch .LBB263_25
.LBB263_21:
.LBB263_22:
	v_mov_b32_e32 v1, 0x10000
	v_mov_b32_e32 v2, 0
	v_cmp_lt_i64_e32 vcc, s[14:15], v[1:2]
	v_mov_b32_e32 v2, 0
	s_and_b64 s[0:1], vcc, exec
	s_cselect_b32 s1, s15, 0
	s_cselect_b32 s0, s14, 0x10000
	v_lshlrev_b32_e32 v1, 2, v0
	v_cmp_gt_i64_e32 vcc, s[0:1], v[1:2]
	s_and_saveexec_b64 s[2:3], vcc
	s_cbranch_execz .LBB263_25
; %bb.23:
	s_load_dword s2, s[4:5], 0xd3c
	v_mov_b32_e32 v1, v2
	v_lshlrev_b32_e32 v2, 3, v0
	s_waitcnt lgkmcnt(0)
	s_and_b32 s4, s2, 0xffff
	s_add_u32 s2, s10, s12
	s_addc_u32 s3, s11, s13
	v_mov_b32_e32 v3, s3
	v_add_co_u32_e32 v2, vcc, s2, v2
	v_addc_co_u32_e32 v3, vcc, 0, v3, vcc
	v_add_co_u32_e32 v2, vcc, 4, v2
	v_addc_co_u32_e32 v3, vcc, 0, v3, vcc
	s_lshl_b32 s5, s4, 3
	s_mov_b64 s[2:3], 0
.LBB263_24:                             ; =>This Inner Loop Header: Depth=1
	global_load_dwordx2 v[4:5], v[2:3], off offset:-4
	v_add_co_u32_e32 v0, vcc, s4, v0
	v_addc_co_u32_e32 v1, vcc, 0, v1, vcc
	v_lshlrev_b64 v[6:7], 2, v[0:1]
	v_cmp_le_i64_e32 vcc, s[0:1], v[6:7]
	s_or_b64 s[2:3], vcc, s[2:3]
	s_waitcnt vmcnt(0)
	v_rndne_f16_e32 v6, v4
	v_rndne_f16_sdwa v4, v4 dst_sel:DWORD dst_unused:UNUSED_PAD src0_sel:WORD_1
	v_rndne_f16_e32 v7, v5
	v_rndne_f16_sdwa v5, v5 dst_sel:DWORD dst_unused:UNUSED_PAD src0_sel:WORD_1
	v_pack_b32_f16 v5, v7, v5
	v_pack_b32_f16 v4, v6, v4
	global_store_dwordx2 v[2:3], v[4:5], off offset:-4
	v_add_co_u32_e32 v2, vcc, s5, v2
	v_addc_co_u32_e32 v3, vcc, 0, v3, vcc
	s_andn2_b64 exec, exec, s[2:3]
	s_cbranch_execnz .LBB263_24
.LBB263_25:
	s_endpgm
	.section	.rodata,"a",@progbits
	.p2align	6, 0x0
	.amdhsa_kernel _ZN2at6native12_GLOBAL__N_125multi_tensor_apply_kernelINS1_18TensorListMetadataILi1EEENS1_14UnaryOpFunctorIN3c104HalfELi1ELi1ELi0EEEJNS0_5RoundIfEEEEEvT_T0_DpT1_
		.amdhsa_group_segment_fixed_size 0
		.amdhsa_private_segment_fixed_size 0
		.amdhsa_kernarg_size 3632
		.amdhsa_user_sgpr_count 6
		.amdhsa_user_sgpr_private_segment_buffer 1
		.amdhsa_user_sgpr_dispatch_ptr 0
		.amdhsa_user_sgpr_queue_ptr 0
		.amdhsa_user_sgpr_kernarg_segment_ptr 1
		.amdhsa_user_sgpr_dispatch_id 0
		.amdhsa_user_sgpr_flat_scratch_init 0
		.amdhsa_user_sgpr_private_segment_size 0
		.amdhsa_uses_dynamic_stack 0
		.amdhsa_system_sgpr_private_segment_wavefront_offset 0
		.amdhsa_system_sgpr_workgroup_id_x 1
		.amdhsa_system_sgpr_workgroup_id_y 0
		.amdhsa_system_sgpr_workgroup_id_z 0
		.amdhsa_system_sgpr_workgroup_info 0
		.amdhsa_system_vgpr_workitem_id 0
		.amdhsa_next_free_vgpr 17
		.amdhsa_next_free_sgpr 27
		.amdhsa_reserve_vcc 1
		.amdhsa_reserve_flat_scratch 0
		.amdhsa_float_round_mode_32 0
		.amdhsa_float_round_mode_16_64 0
		.amdhsa_float_denorm_mode_32 3
		.amdhsa_float_denorm_mode_16_64 3
		.amdhsa_dx10_clamp 1
		.amdhsa_ieee_mode 1
		.amdhsa_fp16_overflow 0
		.amdhsa_exception_fp_ieee_invalid_op 0
		.amdhsa_exception_fp_denorm_src 0
		.amdhsa_exception_fp_ieee_div_zero 0
		.amdhsa_exception_fp_ieee_overflow 0
		.amdhsa_exception_fp_ieee_underflow 0
		.amdhsa_exception_fp_ieee_inexact 0
		.amdhsa_exception_int_div_zero 0
	.end_amdhsa_kernel
	.section	.text._ZN2at6native12_GLOBAL__N_125multi_tensor_apply_kernelINS1_18TensorListMetadataILi1EEENS1_14UnaryOpFunctorIN3c104HalfELi1ELi1ELi0EEEJNS0_5RoundIfEEEEEvT_T0_DpT1_,"axG",@progbits,_ZN2at6native12_GLOBAL__N_125multi_tensor_apply_kernelINS1_18TensorListMetadataILi1EEENS1_14UnaryOpFunctorIN3c104HalfELi1ELi1ELi0EEEJNS0_5RoundIfEEEEEvT_T0_DpT1_,comdat
.Lfunc_end263:
	.size	_ZN2at6native12_GLOBAL__N_125multi_tensor_apply_kernelINS1_18TensorListMetadataILi1EEENS1_14UnaryOpFunctorIN3c104HalfELi1ELi1ELi0EEEJNS0_5RoundIfEEEEEvT_T0_DpT1_, .Lfunc_end263-_ZN2at6native12_GLOBAL__N_125multi_tensor_apply_kernelINS1_18TensorListMetadataILi1EEENS1_14UnaryOpFunctorIN3c104HalfELi1ELi1ELi0EEEJNS0_5RoundIfEEEEEvT_T0_DpT1_
                                        ; -- End function
	.set _ZN2at6native12_GLOBAL__N_125multi_tensor_apply_kernelINS1_18TensorListMetadataILi1EEENS1_14UnaryOpFunctorIN3c104HalfELi1ELi1ELi0EEEJNS0_5RoundIfEEEEEvT_T0_DpT1_.num_vgpr, 17
	.set _ZN2at6native12_GLOBAL__N_125multi_tensor_apply_kernelINS1_18TensorListMetadataILi1EEENS1_14UnaryOpFunctorIN3c104HalfELi1ELi1ELi0EEEJNS0_5RoundIfEEEEEvT_T0_DpT1_.num_agpr, 0
	.set _ZN2at6native12_GLOBAL__N_125multi_tensor_apply_kernelINS1_18TensorListMetadataILi1EEENS1_14UnaryOpFunctorIN3c104HalfELi1ELi1ELi0EEEJNS0_5RoundIfEEEEEvT_T0_DpT1_.numbered_sgpr, 27
	.set _ZN2at6native12_GLOBAL__N_125multi_tensor_apply_kernelINS1_18TensorListMetadataILi1EEENS1_14UnaryOpFunctorIN3c104HalfELi1ELi1ELi0EEEJNS0_5RoundIfEEEEEvT_T0_DpT1_.num_named_barrier, 0
	.set _ZN2at6native12_GLOBAL__N_125multi_tensor_apply_kernelINS1_18TensorListMetadataILi1EEENS1_14UnaryOpFunctorIN3c104HalfELi1ELi1ELi0EEEJNS0_5RoundIfEEEEEvT_T0_DpT1_.private_seg_size, 0
	.set _ZN2at6native12_GLOBAL__N_125multi_tensor_apply_kernelINS1_18TensorListMetadataILi1EEENS1_14UnaryOpFunctorIN3c104HalfELi1ELi1ELi0EEEJNS0_5RoundIfEEEEEvT_T0_DpT1_.uses_vcc, 1
	.set _ZN2at6native12_GLOBAL__N_125multi_tensor_apply_kernelINS1_18TensorListMetadataILi1EEENS1_14UnaryOpFunctorIN3c104HalfELi1ELi1ELi0EEEJNS0_5RoundIfEEEEEvT_T0_DpT1_.uses_flat_scratch, 0
	.set _ZN2at6native12_GLOBAL__N_125multi_tensor_apply_kernelINS1_18TensorListMetadataILi1EEENS1_14UnaryOpFunctorIN3c104HalfELi1ELi1ELi0EEEJNS0_5RoundIfEEEEEvT_T0_DpT1_.has_dyn_sized_stack, 0
	.set _ZN2at6native12_GLOBAL__N_125multi_tensor_apply_kernelINS1_18TensorListMetadataILi1EEENS1_14UnaryOpFunctorIN3c104HalfELi1ELi1ELi0EEEJNS0_5RoundIfEEEEEvT_T0_DpT1_.has_recursion, 0
	.set _ZN2at6native12_GLOBAL__N_125multi_tensor_apply_kernelINS1_18TensorListMetadataILi1EEENS1_14UnaryOpFunctorIN3c104HalfELi1ELi1ELi0EEEJNS0_5RoundIfEEEEEvT_T0_DpT1_.has_indirect_call, 0
	.section	.AMDGPU.csdata,"",@progbits
; Kernel info:
; codeLenInByte = 1004
; TotalNumSgprs: 31
; NumVgprs: 17
; ScratchSize: 0
; MemoryBound: 0
; FloatMode: 240
; IeeeMode: 1
; LDSByteSize: 0 bytes/workgroup (compile time only)
; SGPRBlocks: 3
; VGPRBlocks: 4
; NumSGPRsForWavesPerEU: 31
; NumVGPRsForWavesPerEU: 17
; Occupancy: 10
; WaveLimiterHint : 0
; COMPUTE_PGM_RSRC2:SCRATCH_EN: 0
; COMPUTE_PGM_RSRC2:USER_SGPR: 6
; COMPUTE_PGM_RSRC2:TRAP_HANDLER: 0
; COMPUTE_PGM_RSRC2:TGID_X_EN: 1
; COMPUTE_PGM_RSRC2:TGID_Y_EN: 0
; COMPUTE_PGM_RSRC2:TGID_Z_EN: 0
; COMPUTE_PGM_RSRC2:TIDIG_COMP_CNT: 0
	.section	.text._ZN2at6native12_GLOBAL__N_125multi_tensor_apply_kernelINS1_18TensorListMetadataILi1EEENS1_14UnaryOpFunctorIN3c108BFloat16ELi1ELi1ELi0EEEJNS0_5RoundIfEEEEEvT_T0_DpT1_,"axG",@progbits,_ZN2at6native12_GLOBAL__N_125multi_tensor_apply_kernelINS1_18TensorListMetadataILi1EEENS1_14UnaryOpFunctorIN3c108BFloat16ELi1ELi1ELi0EEEJNS0_5RoundIfEEEEEvT_T0_DpT1_,comdat
	.globl	_ZN2at6native12_GLOBAL__N_125multi_tensor_apply_kernelINS1_18TensorListMetadataILi1EEENS1_14UnaryOpFunctorIN3c108BFloat16ELi1ELi1ELi0EEEJNS0_5RoundIfEEEEEvT_T0_DpT1_ ; -- Begin function _ZN2at6native12_GLOBAL__N_125multi_tensor_apply_kernelINS1_18TensorListMetadataILi1EEENS1_14UnaryOpFunctorIN3c108BFloat16ELi1ELi1ELi0EEEJNS0_5RoundIfEEEEEvT_T0_DpT1_
	.p2align	8
	.type	_ZN2at6native12_GLOBAL__N_125multi_tensor_apply_kernelINS1_18TensorListMetadataILi1EEENS1_14UnaryOpFunctorIN3c108BFloat16ELi1ELi1ELi0EEEJNS0_5RoundIfEEEEEvT_T0_DpT1_,@function
_ZN2at6native12_GLOBAL__N_125multi_tensor_apply_kernelINS1_18TensorListMetadataILi1EEENS1_14UnaryOpFunctorIN3c108BFloat16ELi1ELi1ELi0EEEJNS0_5RoundIfEEEEEvT_T0_DpT1_: ; @_ZN2at6native12_GLOBAL__N_125multi_tensor_apply_kernelINS1_18TensorListMetadataILi1EEENS1_14UnaryOpFunctorIN3c108BFloat16ELi1ELi1ELi0EEEJNS0_5RoundIfEEEEEvT_T0_DpT1_
; %bb.0:
	v_mov_b32_e32 v1, s6
	global_load_ubyte v1, v1, s[4:5] offset:1760
	s_add_u32 s0, s4, s6
	s_mul_hi_u32 s1, s6, 3
	s_mul_i32 s6, s6, 3
	s_addc_u32 s2, s5, 0
	s_add_u32 s0, s0, s6
	s_addc_u32 s1, s2, s1
	s_load_dword s0, s[0:1], 0x820
	s_mov_b32 s7, 0
	s_waitcnt vmcnt(0)
	v_readfirstlane_b32 s1, v1
	s_lshl_b32 s1, s1, 3
	s_load_dwordx2 s[2:3], s[4:5], s1 offset:0x370
	s_load_dwordx2 s[10:11], s[4:5], s1 offset:0x0
	s_waitcnt lgkmcnt(0)
	s_ashr_i32 s1, s0, 31
	s_lshl_b64 s[12:13], s[0:1], 17
	s_lshl_b64 s[0:1], s[0:1], 16
	s_and_b32 s6, s10, 7
	s_sub_u32 s14, s2, s0
	s_subb_u32 s15, s3, s1
	s_and_b32 s0, s2, 3
	s_mov_b32 s1, s7
	s_or_b64 s[0:1], s[6:7], s[0:1]
	s_cmp_eq_u64 s[0:1], 0
	s_cbranch_scc1 .LBB264_21
; %bb.1:
	v_cmp_lt_i64_e64 s[0:1], s[14:15], 1
	s_and_b64 vcc, exec, s[0:1]
	s_cbranch_vccnz .LBB264_20
; %bb.2:
	v_mov_b32_e32 v1, 0x10000
	s_load_dword s2, s[4:5], 0xd3c
	v_mov_b32_e32 v2, 0
	v_cmp_lt_i64_e32 vcc, s[14:15], v[1:2]
	s_mov_b64 s[20:21], 0
	s_and_b64 s[0:1], vcc, exec
	v_cmp_lt_u64_e32 vcc, s[14:15], v[1:2]
	s_cselect_b32 s17, s15, 0
	s_cselect_b32 s16, s14, 0x10000
	s_waitcnt lgkmcnt(0)
	s_and_b32 s2, s2, 0xffff
	s_and_b64 s[0:1], vcc, exec
	s_cselect_b32 s19, s15, 0
	s_cselect_b32 s18, s14, 0x10000
	s_lshl_b32 s3, s2, 1
	s_lshl_b32 s24, s2, 2
	s_add_u32 s6, s10, s12
	v_lshlrev_b32_e32 v1, 1, v0
	s_addc_u32 s7, s11, s13
	v_mov_b32_e32 v2, s7
	v_add_co_u32_e32 v1, vcc, s6, v1
	s_mul_i32 s0, s2, 3
	v_addc_co_u32_e32 v2, vcc, 0, v2, vcc
	v_add_co_u32_e32 v5, vcc, s0, v0
	v_addc_co_u32_e64 v6, s[0:1], 0, 0, vcc
	v_add_co_u32_e32 v7, vcc, s3, v0
	v_addc_co_u32_e64 v8, s[0:1], 0, 0, vcc
	v_add_co_u32_e32 v9, vcc, s2, v0
	v_lshlrev_b32_e32 v3, 1, v9
	v_addc_co_u32_e64 v10, s[0:1], 0, 0, vcc
	v_mov_b32_e32 v4, s7
	v_add_co_u32_e32 v3, vcc, s6, v3
	s_lshl_b32 s25, s2, 3
	s_mul_i32 s26, s2, 6
	v_addc_co_u32_e32 v4, vcc, 0, v4, vcc
	s_movk_i32 s27, 0x7fff
	v_mov_b32_e32 v11, 0x7fc0
	s_branch .LBB264_4
.LBB264_3:                              ;   in Loop: Header=BB264_4 Depth=1
	s_or_b64 exec, exec, s[0:1]
	s_add_u32 s20, s20, s24
	v_add_co_u32_e32 v1, vcc, s25, v1
	v_mov_b32_e32 v12, s16
	s_addc_u32 s21, s21, 0
	v_addc_co_u32_e32 v2, vcc, 0, v2, vcc
	v_mov_b32_e32 v13, s17
	v_cmp_lt_i64_e32 vcc, s[20:21], v[12:13]
	v_add_co_u32_e64 v3, s[0:1], s25, v3
	v_addc_co_u32_e64 v4, s[0:1], 0, v4, s[0:1]
	s_cbranch_vccz .LBB264_20
.LBB264_4:                              ; =>This Inner Loop Header: Depth=1
	v_mov_b32_e32 v13, s21
	v_add_co_u32_e32 v12, vcc, s20, v0
	v_addc_co_u32_e32 v13, vcc, 0, v13, vcc
	v_cmp_gt_u64_e32 vcc, s[18:19], v[12:13]
	v_mov_b32_e32 v13, 0
	s_and_saveexec_b64 s[0:1], vcc
	s_cbranch_execz .LBB264_6
; %bb.5:                                ;   in Loop: Header=BB264_4 Depth=1
	global_load_ushort v12, v[1:2], off
	s_waitcnt vmcnt(0)
	v_lshlrev_b32_e32 v12, 16, v12
	v_rndne_f32_e32 v13, v12
.LBB264_6:                              ;   in Loop: Header=BB264_4 Depth=1
	s_or_b64 exec, exec, s[0:1]
	v_mov_b32_e32 v12, s21
	v_add_co_u32_e64 v14, s[0:1], s20, v9
	v_addc_co_u32_e64 v15, s[0:1], v10, v12, s[0:1]
	v_cmp_gt_u64_e64 s[0:1], s[18:19], v[14:15]
	v_mov_b32_e32 v12, 0
	v_mov_b32_e32 v14, 0
	s_and_saveexec_b64 s[2:3], s[0:1]
	s_cbranch_execz .LBB264_8
; %bb.7:                                ;   in Loop: Header=BB264_4 Depth=1
	global_load_ushort v14, v[3:4], off
	s_waitcnt vmcnt(0)
	v_lshlrev_b32_e32 v14, 16, v14
	v_rndne_f32_e32 v14, v14
.LBB264_8:                              ;   in Loop: Header=BB264_4 Depth=1
	s_or_b64 exec, exec, s[2:3]
	v_mov_b32_e32 v16, s21
	v_add_co_u32_e64 v15, s[2:3], s20, v7
	v_addc_co_u32_e64 v16, s[2:3], v8, v16, s[2:3]
	v_cmp_gt_u64_e64 s[2:3], s[18:19], v[15:16]
	s_and_saveexec_b64 s[8:9], s[2:3]
	s_cbranch_execz .LBB264_10
; %bb.9:                                ;   in Loop: Header=BB264_4 Depth=1
	v_add_co_u32_e64 v15, s[6:7], s24, v1
	v_addc_co_u32_e64 v16, s[6:7], 0, v2, s[6:7]
	global_load_ushort v12, v[15:16], off
	s_waitcnt vmcnt(0)
	v_lshlrev_b32_e32 v12, 16, v12
	v_rndne_f32_e32 v12, v12
.LBB264_10:                             ;   in Loop: Header=BB264_4 Depth=1
	s_or_b64 exec, exec, s[8:9]
	v_mov_b32_e32 v16, s21
	v_add_co_u32_e64 v15, s[6:7], s20, v5
	v_addc_co_u32_e64 v16, s[6:7], v6, v16, s[6:7]
	v_cmp_gt_u64_e64 s[6:7], s[18:19], v[15:16]
	v_mov_b32_e32 v15, 0
	s_and_saveexec_b64 s[22:23], s[6:7]
	s_cbranch_execnz .LBB264_15
; %bb.11:                               ;   in Loop: Header=BB264_4 Depth=1
	s_or_b64 exec, exec, s[22:23]
	s_and_saveexec_b64 s[8:9], vcc
	s_cbranch_execnz .LBB264_16
.LBB264_12:                             ;   in Loop: Header=BB264_4 Depth=1
	s_or_b64 exec, exec, s[8:9]
	s_and_saveexec_b64 s[8:9], s[0:1]
	s_cbranch_execnz .LBB264_17
.LBB264_13:                             ;   in Loop: Header=BB264_4 Depth=1
	s_or_b64 exec, exec, s[8:9]
	s_and_saveexec_b64 s[0:1], s[2:3]
	s_cbranch_execnz .LBB264_18
.LBB264_14:                             ;   in Loop: Header=BB264_4 Depth=1
	s_or_b64 exec, exec, s[0:1]
	s_and_saveexec_b64 s[0:1], s[6:7]
	s_cbranch_execz .LBB264_3
	s_branch .LBB264_19
.LBB264_15:                             ;   in Loop: Header=BB264_4 Depth=1
	v_add_co_u32_e64 v15, s[8:9], s26, v1
	v_addc_co_u32_e64 v16, s[8:9], 0, v2, s[8:9]
	global_load_ushort v15, v[15:16], off
	s_waitcnt vmcnt(0)
	v_lshlrev_b32_e32 v15, 16, v15
	v_rndne_f32_e32 v15, v15
	s_or_b64 exec, exec, s[22:23]
	s_and_saveexec_b64 s[8:9], vcc
	s_cbranch_execz .LBB264_12
.LBB264_16:                             ;   in Loop: Header=BB264_4 Depth=1
	v_bfe_u32 v16, v13, 16, 1
	v_add3_u32 v16, v13, v16, s27
	v_cmp_o_f32_e32 vcc, v13, v13
	v_cndmask_b32_sdwa v13, v11, v16, vcc dst_sel:DWORD dst_unused:UNUSED_PAD src0_sel:DWORD src1_sel:WORD_1
	global_store_short v[1:2], v13, off
	s_or_b64 exec, exec, s[8:9]
	s_and_saveexec_b64 s[8:9], s[0:1]
	s_cbranch_execz .LBB264_13
.LBB264_17:                             ;   in Loop: Header=BB264_4 Depth=1
	v_bfe_u32 v13, v14, 16, 1
	v_add3_u32 v13, v14, v13, s27
	v_cmp_o_f32_e32 vcc, v14, v14
	v_cndmask_b32_sdwa v13, v11, v13, vcc dst_sel:DWORD dst_unused:UNUSED_PAD src0_sel:DWORD src1_sel:WORD_1
	global_store_short v[3:4], v13, off
	s_or_b64 exec, exec, s[8:9]
	s_and_saveexec_b64 s[0:1], s[2:3]
	s_cbranch_execz .LBB264_14
.LBB264_18:                             ;   in Loop: Header=BB264_4 Depth=1
	v_bfe_u32 v13, v12, 16, 1
	v_add3_u32 v13, v12, v13, s27
	v_cmp_o_f32_e32 vcc, v12, v12
	v_cndmask_b32_sdwa v14, v11, v13, vcc dst_sel:DWORD dst_unused:UNUSED_PAD src0_sel:DWORD src1_sel:WORD_1
	v_add_co_u32_e32 v12, vcc, s24, v1
	v_addc_co_u32_e32 v13, vcc, 0, v2, vcc
	global_store_short v[12:13], v14, off
	s_or_b64 exec, exec, s[0:1]
	s_and_saveexec_b64 s[0:1], s[6:7]
	s_cbranch_execz .LBB264_3
.LBB264_19:                             ;   in Loop: Header=BB264_4 Depth=1
	v_bfe_u32 v12, v15, 16, 1
	v_add3_u32 v12, v15, v12, s27
	v_cmp_o_f32_e32 vcc, v15, v15
	v_cndmask_b32_sdwa v14, v11, v12, vcc dst_sel:DWORD dst_unused:UNUSED_PAD src0_sel:DWORD src1_sel:WORD_1
	v_add_co_u32_e32 v12, vcc, s26, v1
	v_addc_co_u32_e32 v13, vcc, 0, v2, vcc
	global_store_short v[12:13], v14, off
	s_branch .LBB264_3
.LBB264_20:
	s_cbranch_execz .LBB264_22
	s_branch .LBB264_25
.LBB264_21:
.LBB264_22:
	v_mov_b32_e32 v1, 0x10000
	v_mov_b32_e32 v2, 0
	v_cmp_lt_i64_e32 vcc, s[14:15], v[1:2]
	v_mov_b32_e32 v2, 0
	s_and_b64 s[0:1], vcc, exec
	s_cselect_b32 s1, s15, 0
	s_cselect_b32 s0, s14, 0x10000
	v_lshlrev_b32_e32 v1, 2, v0
	v_cmp_gt_i64_e32 vcc, s[0:1], v[1:2]
	s_and_saveexec_b64 s[2:3], vcc
	s_cbranch_execz .LBB264_25
; %bb.23:
	s_load_dword s2, s[4:5], 0xd3c
	v_mov_b32_e32 v1, v2
	v_lshlrev_b32_e32 v2, 3, v0
	s_movk_i32 s6, 0x7fff
	v_mov_b32_e32 v4, 0x7fc00000
	s_waitcnt lgkmcnt(0)
	s_and_b32 s4, s2, 0xffff
	s_add_u32 s2, s10, s12
	s_addc_u32 s3, s11, s13
	v_mov_b32_e32 v3, s3
	v_add_co_u32_e32 v2, vcc, s2, v2
	v_addc_co_u32_e32 v3, vcc, 0, v3, vcc
	s_lshl_b32 s5, s4, 3
	s_mov_b64 s[2:3], 0
	v_mov_b32_e32 v5, 0x7fc0
.LBB264_24:                             ; =>This Inner Loop Header: Depth=1
	global_load_dwordx2 v[6:7], v[2:3], off
	v_add_co_u32_e32 v0, vcc, s4, v0
	v_addc_co_u32_e32 v1, vcc, 0, v1, vcc
	v_lshlrev_b64 v[8:9], 2, v[0:1]
	v_cmp_le_i64_e32 vcc, s[0:1], v[8:9]
	s_or_b64 s[2:3], vcc, s[2:3]
	s_waitcnt vmcnt(0)
	v_and_b32_e32 v8, 0xffff0000, v6
	v_lshlrev_b32_e32 v9, 16, v6
	v_alignbit_b32 v6, v7, v6, 16
	v_and_b32_e32 v7, 0xffff0000, v7
	v_rndne_f32_e32 v7, v7
	v_rndne_f32_e32 v8, v8
	v_bfe_u32 v12, v7, 16, 1
	v_rndne_f32_e32 v9, v9
	v_and_b32_e32 v6, 0xffff0000, v6
	v_bfe_u32 v11, v8, 16, 1
	v_add3_u32 v12, v7, v12, s6
	v_bfe_u32 v10, v9, 16, 1
	v_rndne_f32_e32 v6, v6
	v_add3_u32 v11, v8, v11, s6
	v_and_b32_e32 v12, 0xffff0000, v12
	v_cmp_o_f32_e32 vcc, v7, v7
	v_add3_u32 v10, v9, v10, s6
	v_bfe_u32 v13, v6, 16, 1
	v_and_b32_e32 v11, 0xffff0000, v11
	v_cndmask_b32_e32 v7, v4, v12, vcc
	v_cmp_o_f32_e32 vcc, v8, v8
	v_lshrrev_b32_e32 v10, 16, v10
	v_add3_u32 v13, v6, v13, s6
	v_cndmask_b32_e32 v8, v4, v11, vcc
	v_cmp_o_f32_e32 vcc, v9, v9
	v_lshrrev_b32_e32 v13, 16, v13
	v_cndmask_b32_e32 v9, v5, v10, vcc
	v_cmp_o_f32_e32 vcc, v6, v6
	v_cndmask_b32_e32 v6, v5, v13, vcc
	v_or_b32_e32 v8, v9, v8
	v_or3_b32 v7, 0, v6, v7
	v_or3_b32 v6, v8, 0, 0
	global_store_dwordx2 v[2:3], v[6:7], off
	v_add_co_u32_e32 v2, vcc, s5, v2
	v_addc_co_u32_e32 v3, vcc, 0, v3, vcc
	s_andn2_b64 exec, exec, s[2:3]
	s_cbranch_execnz .LBB264_24
.LBB264_25:
	s_endpgm
	.section	.rodata,"a",@progbits
	.p2align	6, 0x0
	.amdhsa_kernel _ZN2at6native12_GLOBAL__N_125multi_tensor_apply_kernelINS1_18TensorListMetadataILi1EEENS1_14UnaryOpFunctorIN3c108BFloat16ELi1ELi1ELi0EEEJNS0_5RoundIfEEEEEvT_T0_DpT1_
		.amdhsa_group_segment_fixed_size 0
		.amdhsa_private_segment_fixed_size 0
		.amdhsa_kernarg_size 3632
		.amdhsa_user_sgpr_count 6
		.amdhsa_user_sgpr_private_segment_buffer 1
		.amdhsa_user_sgpr_dispatch_ptr 0
		.amdhsa_user_sgpr_queue_ptr 0
		.amdhsa_user_sgpr_kernarg_segment_ptr 1
		.amdhsa_user_sgpr_dispatch_id 0
		.amdhsa_user_sgpr_flat_scratch_init 0
		.amdhsa_user_sgpr_private_segment_size 0
		.amdhsa_uses_dynamic_stack 0
		.amdhsa_system_sgpr_private_segment_wavefront_offset 0
		.amdhsa_system_sgpr_workgroup_id_x 1
		.amdhsa_system_sgpr_workgroup_id_y 0
		.amdhsa_system_sgpr_workgroup_id_z 0
		.amdhsa_system_sgpr_workgroup_info 0
		.amdhsa_system_vgpr_workitem_id 0
		.amdhsa_next_free_vgpr 17
		.amdhsa_next_free_sgpr 28
		.amdhsa_reserve_vcc 1
		.amdhsa_reserve_flat_scratch 0
		.amdhsa_float_round_mode_32 0
		.amdhsa_float_round_mode_16_64 0
		.amdhsa_float_denorm_mode_32 3
		.amdhsa_float_denorm_mode_16_64 3
		.amdhsa_dx10_clamp 1
		.amdhsa_ieee_mode 1
		.amdhsa_fp16_overflow 0
		.amdhsa_exception_fp_ieee_invalid_op 0
		.amdhsa_exception_fp_denorm_src 0
		.amdhsa_exception_fp_ieee_div_zero 0
		.amdhsa_exception_fp_ieee_overflow 0
		.amdhsa_exception_fp_ieee_underflow 0
		.amdhsa_exception_fp_ieee_inexact 0
		.amdhsa_exception_int_div_zero 0
	.end_amdhsa_kernel
	.section	.text._ZN2at6native12_GLOBAL__N_125multi_tensor_apply_kernelINS1_18TensorListMetadataILi1EEENS1_14UnaryOpFunctorIN3c108BFloat16ELi1ELi1ELi0EEEJNS0_5RoundIfEEEEEvT_T0_DpT1_,"axG",@progbits,_ZN2at6native12_GLOBAL__N_125multi_tensor_apply_kernelINS1_18TensorListMetadataILi1EEENS1_14UnaryOpFunctorIN3c108BFloat16ELi1ELi1ELi0EEEJNS0_5RoundIfEEEEEvT_T0_DpT1_,comdat
.Lfunc_end264:
	.size	_ZN2at6native12_GLOBAL__N_125multi_tensor_apply_kernelINS1_18TensorListMetadataILi1EEENS1_14UnaryOpFunctorIN3c108BFloat16ELi1ELi1ELi0EEEJNS0_5RoundIfEEEEEvT_T0_DpT1_, .Lfunc_end264-_ZN2at6native12_GLOBAL__N_125multi_tensor_apply_kernelINS1_18TensorListMetadataILi1EEENS1_14UnaryOpFunctorIN3c108BFloat16ELi1ELi1ELi0EEEJNS0_5RoundIfEEEEEvT_T0_DpT1_
                                        ; -- End function
	.set _ZN2at6native12_GLOBAL__N_125multi_tensor_apply_kernelINS1_18TensorListMetadataILi1EEENS1_14UnaryOpFunctorIN3c108BFloat16ELi1ELi1ELi0EEEJNS0_5RoundIfEEEEEvT_T0_DpT1_.num_vgpr, 17
	.set _ZN2at6native12_GLOBAL__N_125multi_tensor_apply_kernelINS1_18TensorListMetadataILi1EEENS1_14UnaryOpFunctorIN3c108BFloat16ELi1ELi1ELi0EEEJNS0_5RoundIfEEEEEvT_T0_DpT1_.num_agpr, 0
	.set _ZN2at6native12_GLOBAL__N_125multi_tensor_apply_kernelINS1_18TensorListMetadataILi1EEENS1_14UnaryOpFunctorIN3c108BFloat16ELi1ELi1ELi0EEEJNS0_5RoundIfEEEEEvT_T0_DpT1_.numbered_sgpr, 28
	.set _ZN2at6native12_GLOBAL__N_125multi_tensor_apply_kernelINS1_18TensorListMetadataILi1EEENS1_14UnaryOpFunctorIN3c108BFloat16ELi1ELi1ELi0EEEJNS0_5RoundIfEEEEEvT_T0_DpT1_.num_named_barrier, 0
	.set _ZN2at6native12_GLOBAL__N_125multi_tensor_apply_kernelINS1_18TensorListMetadataILi1EEENS1_14UnaryOpFunctorIN3c108BFloat16ELi1ELi1ELi0EEEJNS0_5RoundIfEEEEEvT_T0_DpT1_.private_seg_size, 0
	.set _ZN2at6native12_GLOBAL__N_125multi_tensor_apply_kernelINS1_18TensorListMetadataILi1EEENS1_14UnaryOpFunctorIN3c108BFloat16ELi1ELi1ELi0EEEJNS0_5RoundIfEEEEEvT_T0_DpT1_.uses_vcc, 1
	.set _ZN2at6native12_GLOBAL__N_125multi_tensor_apply_kernelINS1_18TensorListMetadataILi1EEENS1_14UnaryOpFunctorIN3c108BFloat16ELi1ELi1ELi0EEEJNS0_5RoundIfEEEEEvT_T0_DpT1_.uses_flat_scratch, 0
	.set _ZN2at6native12_GLOBAL__N_125multi_tensor_apply_kernelINS1_18TensorListMetadataILi1EEENS1_14UnaryOpFunctorIN3c108BFloat16ELi1ELi1ELi0EEEJNS0_5RoundIfEEEEEvT_T0_DpT1_.has_dyn_sized_stack, 0
	.set _ZN2at6native12_GLOBAL__N_125multi_tensor_apply_kernelINS1_18TensorListMetadataILi1EEENS1_14UnaryOpFunctorIN3c108BFloat16ELi1ELi1ELi0EEEJNS0_5RoundIfEEEEEvT_T0_DpT1_.has_recursion, 0
	.set _ZN2at6native12_GLOBAL__N_125multi_tensor_apply_kernelINS1_18TensorListMetadataILi1EEENS1_14UnaryOpFunctorIN3c108BFloat16ELi1ELi1ELi0EEEJNS0_5RoundIfEEEEEvT_T0_DpT1_.has_indirect_call, 0
	.section	.AMDGPU.csdata,"",@progbits
; Kernel info:
; codeLenInByte = 1308
; TotalNumSgprs: 32
; NumVgprs: 17
; ScratchSize: 0
; MemoryBound: 0
; FloatMode: 240
; IeeeMode: 1
; LDSByteSize: 0 bytes/workgroup (compile time only)
; SGPRBlocks: 3
; VGPRBlocks: 4
; NumSGPRsForWavesPerEU: 32
; NumVGPRsForWavesPerEU: 17
; Occupancy: 10
; WaveLimiterHint : 0
; COMPUTE_PGM_RSRC2:SCRATCH_EN: 0
; COMPUTE_PGM_RSRC2:USER_SGPR: 6
; COMPUTE_PGM_RSRC2:TRAP_HANDLER: 0
; COMPUTE_PGM_RSRC2:TGID_X_EN: 1
; COMPUTE_PGM_RSRC2:TGID_Y_EN: 0
; COMPUTE_PGM_RSRC2:TGID_Z_EN: 0
; COMPUTE_PGM_RSRC2:TIDIG_COMP_CNT: 0
	.section	.text._ZN2at6native12_GLOBAL__N_125multi_tensor_apply_kernelINS1_18TensorListMetadataILi2EEENS1_14UnaryOpFunctorIdLi2ELi1ELi1EEEJNS0_5TruncIdEEEEEvT_T0_DpT1_,"axG",@progbits,_ZN2at6native12_GLOBAL__N_125multi_tensor_apply_kernelINS1_18TensorListMetadataILi2EEENS1_14UnaryOpFunctorIdLi2ELi1ELi1EEEJNS0_5TruncIdEEEEEvT_T0_DpT1_,comdat
	.globl	_ZN2at6native12_GLOBAL__N_125multi_tensor_apply_kernelINS1_18TensorListMetadataILi2EEENS1_14UnaryOpFunctorIdLi2ELi1ELi1EEEJNS0_5TruncIdEEEEEvT_T0_DpT1_ ; -- Begin function _ZN2at6native12_GLOBAL__N_125multi_tensor_apply_kernelINS1_18TensorListMetadataILi2EEENS1_14UnaryOpFunctorIdLi2ELi1ELi1EEEJNS0_5TruncIdEEEEEvT_T0_DpT1_
	.p2align	8
	.type	_ZN2at6native12_GLOBAL__N_125multi_tensor_apply_kernelINS1_18TensorListMetadataILi2EEENS1_14UnaryOpFunctorIdLi2ELi1ELi1EEEJNS0_5TruncIdEEEEEvT_T0_DpT1_,@function
_ZN2at6native12_GLOBAL__N_125multi_tensor_apply_kernelINS1_18TensorListMetadataILi2EEENS1_14UnaryOpFunctorIdLi2ELi1ELi1EEEJNS0_5TruncIdEEEEEvT_T0_DpT1_: ; @_ZN2at6native12_GLOBAL__N_125multi_tensor_apply_kernelINS1_18TensorListMetadataILi2EEENS1_14UnaryOpFunctorIdLi2ELi1ELi1EEEJNS0_5TruncIdEEEEEvT_T0_DpT1_
; %bb.0:
	v_mov_b32_e32 v1, s6
	global_load_ubyte v1, v1, s[4:5] offset:1536
	s_add_u32 s0, s4, s6
	s_mul_hi_u32 s1, s6, 3
	s_mul_i32 s6, s6, 3
	s_addc_u32 s2, s5, 0
	s_add_u32 s0, s0, s6
	s_addc_u32 s1, s2, s1
	s_load_dword s6, s[0:1], 0x740
	s_mov_b32 s11, 0
	s_mov_b32 s13, s11
	s_waitcnt vmcnt(0)
	v_readfirstlane_b32 s0, v1
	s_lshl_b32 s7, s0, 3
	s_load_dwordx2 s[14:15], s[4:5], s7 offset:0x400
	s_load_dwordx2 s[2:3], s[4:5], s7 offset:0x0
	;; [unrolled: 1-line block ×3, first 2 shown]
	s_waitcnt lgkmcnt(0)
	s_ashr_i32 s7, s6, 31
	s_lshl_b64 s[8:9], s[6:7], 19
	s_lshl_b64 s[6:7], s[6:7], 16
	s_add_u32 s10, s2, s8
	s_and_b32 s12, s0, 31
	s_and_b32 s10, s10, 31
	s_sub_u32 s6, s14, s6
	s_subb_u32 s7, s15, s7
	s_and_b32 s14, s14, 3
	s_mov_b32 s15, s11
	s_or_b64 s[12:13], s[12:13], s[14:15]
	s_or_b64 s[10:11], s[12:13], s[10:11]
	s_cmp_eq_u64 s[10:11], 0
	s_mov_b64 s[10:11], -1
	s_cbranch_scc0 .LBB265_5
; %bb.1:
	v_mov_b32_e32 v1, 0x10000
	v_mov_b32_e32 v2, 0
	v_cmp_lt_i64_e32 vcc, s[6:7], v[1:2]
	v_mov_b32_e32 v2, 0
	s_and_b64 s[10:11], vcc, exec
	s_cselect_b32 s11, s7, 0
	s_cselect_b32 s10, s6, 0x10000
	v_lshlrev_b32_e32 v1, 2, v0
	v_cmp_gt_i64_e32 vcc, s[10:11], v[1:2]
	s_and_saveexec_b64 s[12:13], vcc
	s_cbranch_execz .LBB265_4
; %bb.2:
	s_load_dword s14, s[4:5], 0xc5c
	v_mov_b32_e32 v1, v2
	v_lshlrev_b32_e32 v2, 5, v0
	v_mov_b32_e32 v4, s9
	v_add_co_u32_e32 v3, vcc, s8, v2
	s_waitcnt lgkmcnt(0)
	s_and_b32 s16, s14, 0xffff
	v_mov_b32_e32 v2, v1
	v_addc_co_u32_e32 v4, vcc, 0, v4, vcc
	s_lshl_b32 s17, s16, 5
	s_mov_b64 s[14:15], 0
	v_mov_b32_e32 v5, s3
	v_mov_b32_e32 v6, s1
	;; [unrolled: 1-line block ×3, first 2 shown]
.LBB265_3:                              ; =>This Inner Loop Header: Depth=1
	v_add_co_u32_e32 v15, vcc, s2, v3
	v_addc_co_u32_e32 v16, vcc, v5, v4, vcc
	global_load_dwordx4 v[7:10], v[15:16], off
	global_load_dwordx4 v[11:14], v[15:16], off offset:16
	v_add_co_u32_e32 v15, vcc, s0, v3
	v_addc_co_u32_e32 v16, vcc, v6, v4, vcc
	v_add_co_u32_e32 v1, vcc, s16, v1
	v_addc_co_u32_e32 v2, vcc, 0, v2, vcc
	;; [unrolled: 2-line block ×3, first 2 shown]
	s_waitcnt vmcnt(1)
	v_trunc_f64_e32 v[17:18], v[7:8]
	v_trunc_f64_e32 v[19:20], v[9:10]
	s_waitcnt vmcnt(0)
	v_trunc_f64_e32 v[21:22], v[11:12]
	v_trunc_f64_e32 v[23:24], v[13:14]
	v_add_f64 v[7:8], v[7:8], -v[17:18]
	v_add_f64 v[9:10], v[9:10], -v[19:20]
	;; [unrolled: 1-line block ×4, first 2 shown]
	v_lshlrev_b64 v[17:18], 2, v[1:2]
	global_store_dwordx4 v[15:16], v[7:10], off
	global_store_dwordx4 v[15:16], v[11:14], off offset:16
	v_cmp_le_i64_e32 vcc, s[10:11], v[17:18]
	s_or_b64 s[14:15], vcc, s[14:15]
	s_andn2_b64 exec, exec, s[14:15]
	s_cbranch_execnz .LBB265_3
.LBB265_4:
	s_or_b64 exec, exec, s[12:13]
	s_mov_b64 s[10:11], 0
.LBB265_5:
	s_andn2_b64 vcc, exec, s[10:11]
	s_cbranch_vccnz .LBB265_25
; %bb.6:
	v_cmp_lt_i64_e64 s[10:11], s[6:7], 1
	s_and_b64 vcc, exec, s[10:11]
	s_cbranch_vccnz .LBB265_25
; %bb.7:
	v_mov_b32_e32 v1, 0x10000
	s_load_dword s12, s[4:5], 0xc5c
	v_mov_b32_e32 v2, 0
	v_cmp_lt_i64_e32 vcc, s[6:7], v[1:2]
	v_mov_b32_e32 v3, 0
	s_and_b64 s[4:5], vcc, exec
	v_cmp_lt_u64_e32 vcc, s[6:7], v[1:2]
	s_cselect_b32 s11, s7, 0
	s_cselect_b32 s10, s6, 0x10000
	s_waitcnt lgkmcnt(0)
	s_and_b32 s14, s12, 0xffff
	v_lshlrev_b32_e32 v2, 3, v0
	s_and_b64 s[4:5], vcc, exec
	v_mov_b32_e32 v1, s3
	v_add_co_u32_e32 v9, vcc, s2, v2
	v_mad_u64_u32 v[3:4], s[4:5], s14, 24, v[2:3]
	v_addc_co_u32_e32 v10, vcc, 0, v1, vcc
	v_mov_b32_e32 v1, s1
	v_add_co_u32_e32 v11, vcc, s0, v2
	v_addc_co_u32_e32 v12, vcc, 0, v1, vcc
	v_mov_b32_e32 v1, s3
	v_add_co_u32_e32 v13, vcc, s2, v3
	;; [unrolled: 3-line block ×3, first 2 shown]
	s_cselect_b32 s13, s7, 0
	s_cselect_b32 s12, s6, 0x10000
	v_addc_co_u32_e32 v16, vcc, v1, v4, vcc
	s_lshl_b32 s4, s14, 4
	v_add_co_u32_e32 v1, vcc, s4, v2
	v_addc_co_u32_e64 v2, s[4:5], 0, 0, vcc
	v_mov_b32_e32 v3, s3
	v_add_co_u32_e32 v17, vcc, s2, v1
	v_addc_co_u32_e32 v18, vcc, v3, v2, vcc
	v_mov_b32_e32 v3, s1
	v_add_co_u32_e32 v19, vcc, s0, v1
	v_addc_co_u32_e32 v20, vcc, v3, v2, vcc
	v_add_co_u32_e32 v21, vcc, s14, v0
	v_lshlrev_b32_e32 v1, 3, v21
	v_addc_co_u32_e64 v22, s[4:5], 0, 0, vcc
	v_mov_b32_e32 v2, s3
	v_add_co_u32_e32 v23, vcc, s2, v1
	v_addc_co_u32_e32 v24, vcc, 0, v2, vcc
	v_mov_b32_e32 v2, s1
	v_add_co_u32_e32 v25, vcc, s0, v1
	s_mul_i32 s7, s14, 3
	v_addc_co_u32_e32 v26, vcc, 0, v2, vcc
	s_lshl_b32 s6, s14, 1
	v_add_co_u32_e32 v27, vcc, s7, v0
	v_addc_co_u32_e64 v28, s[0:1], 0, 0, vcc
	v_add_co_u32_e32 v29, vcc, s6, v0
	s_lshl_b32 s18, s14, 2
	s_lshl_b32 s19, s14, 5
	s_mov_b64 s[14:15], 0
	v_addc_co_u32_e64 v30, s[0:1], 0, 0, vcc
	s_branch .LBB265_9
.LBB265_8:                              ;   in Loop: Header=BB265_9 Depth=1
	s_or_b64 exec, exec, s[0:1]
	v_add_co_u32_e32 v9, vcc, s19, v9
	v_addc_co_u32_e32 v10, vcc, 0, v10, vcc
	v_add_co_u32_e32 v11, vcc, s19, v11
	v_addc_co_u32_e32 v12, vcc, 0, v12, vcc
	;; [unrolled: 2-line block ×6, first 2 shown]
	s_add_u32 s14, s14, s18
	v_add_co_u32_e32 v23, vcc, s19, v23
	s_waitcnt vmcnt(0)
	v_mov_b32_e32 v1, s10
	s_addc_u32 s15, s15, 0
	v_addc_co_u32_e32 v24, vcc, 0, v24, vcc
	v_mov_b32_e32 v2, s11
	v_cmp_ge_i64_e32 vcc, s[14:15], v[1:2]
	v_add_co_u32_e64 v25, s[0:1], s19, v25
	v_addc_co_u32_e64 v26, s[0:1], 0, v26, s[0:1]
	s_cbranch_vccnz .LBB265_25
.LBB265_9:                              ; =>This Inner Loop Header: Depth=1
	v_mov_b32_e32 v2, s15
	v_add_co_u32_e32 v1, vcc, s14, v0
	v_addc_co_u32_e32 v2, vcc, 0, v2, vcc
	v_cmp_gt_u64_e32 vcc, s[12:13], v[1:2]
	v_mov_b32_e32 v1, 0
	v_mov_b32_e32 v3, 0
	;; [unrolled: 1-line block ×4, first 2 shown]
	s_and_saveexec_b64 s[2:3], vcc
	s_cbranch_execz .LBB265_11
; %bb.10:                               ;   in Loop: Header=BB265_9 Depth=1
	v_mov_b32_e32 v4, s9
	v_add_co_u32_e64 v3, s[0:1], s8, v9
	v_addc_co_u32_e64 v4, s[0:1], v10, v4, s[0:1]
	global_load_dwordx2 v[3:4], v[3:4], off
.LBB265_11:                             ;   in Loop: Header=BB265_9 Depth=1
	s_or_b64 exec, exec, s[2:3]
	v_mov_b32_e32 v6, s15
	v_add_co_u32_e64 v5, s[0:1], s14, v21
	v_addc_co_u32_e64 v6, s[0:1], v22, v6, s[0:1]
	v_cmp_gt_u64_e64 s[0:1], s[12:13], v[5:6]
	s_and_saveexec_b64 s[4:5], s[0:1]
	s_cbranch_execz .LBB265_13
; %bb.12:                               ;   in Loop: Header=BB265_9 Depth=1
	v_mov_b32_e32 v2, s9
	v_add_co_u32_e64 v1, s[2:3], s8, v23
	v_addc_co_u32_e64 v2, s[2:3], v24, v2, s[2:3]
	global_load_dwordx2 v[1:2], v[1:2], off
.LBB265_13:                             ;   in Loop: Header=BB265_9 Depth=1
	s_or_b64 exec, exec, s[4:5]
	v_mov_b32_e32 v6, s15
	v_add_co_u32_e64 v5, s[2:3], s14, v29
	v_addc_co_u32_e64 v6, s[2:3], v30, v6, s[2:3]
	v_cmp_gt_u64_e64 s[2:3], s[12:13], v[5:6]
	v_mov_b32_e32 v5, 0
	v_mov_b32_e32 v7, 0
	;; [unrolled: 1-line block ×4, first 2 shown]
	s_and_saveexec_b64 s[6:7], s[2:3]
	s_cbranch_execz .LBB265_15
; %bb.14:                               ;   in Loop: Header=BB265_9 Depth=1
	v_mov_b32_e32 v8, s9
	v_add_co_u32_e64 v7, s[4:5], s8, v17
	v_addc_co_u32_e64 v8, s[4:5], v18, v8, s[4:5]
	global_load_dwordx2 v[7:8], v[7:8], off
.LBB265_15:                             ;   in Loop: Header=BB265_9 Depth=1
	s_or_b64 exec, exec, s[6:7]
	v_mov_b32_e32 v32, s15
	v_add_co_u32_e64 v31, s[4:5], s14, v27
	v_addc_co_u32_e64 v32, s[4:5], v28, v32, s[4:5]
	v_cmp_gt_u64_e64 s[4:5], s[12:13], v[31:32]
	s_and_saveexec_b64 s[16:17], s[4:5]
	s_cbranch_execnz .LBB265_20
; %bb.16:                               ;   in Loop: Header=BB265_9 Depth=1
	s_or_b64 exec, exec, s[16:17]
	s_and_saveexec_b64 s[6:7], vcc
	s_cbranch_execnz .LBB265_21
.LBB265_17:                             ;   in Loop: Header=BB265_9 Depth=1
	s_or_b64 exec, exec, s[6:7]
	s_and_saveexec_b64 s[6:7], s[0:1]
	s_cbranch_execnz .LBB265_22
.LBB265_18:                             ;   in Loop: Header=BB265_9 Depth=1
	s_or_b64 exec, exec, s[6:7]
	s_and_saveexec_b64 s[0:1], s[2:3]
	s_cbranch_execnz .LBB265_23
.LBB265_19:                             ;   in Loop: Header=BB265_9 Depth=1
	s_or_b64 exec, exec, s[0:1]
	s_and_saveexec_b64 s[0:1], s[4:5]
	s_cbranch_execz .LBB265_8
	s_branch .LBB265_24
.LBB265_20:                             ;   in Loop: Header=BB265_9 Depth=1
	v_mov_b32_e32 v6, s9
	v_add_co_u32_e64 v5, s[6:7], s8, v13
	v_addc_co_u32_e64 v6, s[6:7], v14, v6, s[6:7]
	global_load_dwordx2 v[5:6], v[5:6], off
	s_or_b64 exec, exec, s[16:17]
	s_and_saveexec_b64 s[6:7], vcc
	s_cbranch_execz .LBB265_17
.LBB265_21:                             ;   in Loop: Header=BB265_9 Depth=1
	s_waitcnt vmcnt(0)
	v_trunc_f64_e32 v[31:32], v[3:4]
	v_add_f64 v[3:4], v[3:4], -v[31:32]
	v_mov_b32_e32 v32, s9
	v_add_co_u32_e32 v31, vcc, s8, v11
	v_addc_co_u32_e32 v32, vcc, v12, v32, vcc
	global_store_dwordx2 v[31:32], v[3:4], off
	s_or_b64 exec, exec, s[6:7]
	s_and_saveexec_b64 s[6:7], s[0:1]
	s_cbranch_execz .LBB265_18
.LBB265_22:                             ;   in Loop: Header=BB265_9 Depth=1
	s_waitcnt vmcnt(0)
	v_trunc_f64_e32 v[3:4], v[1:2]
	v_add_f64 v[1:2], v[1:2], -v[3:4]
	v_mov_b32_e32 v4, s9
	v_add_co_u32_e32 v3, vcc, s8, v25
	v_addc_co_u32_e32 v4, vcc, v26, v4, vcc
	global_store_dwordx2 v[3:4], v[1:2], off
	s_or_b64 exec, exec, s[6:7]
	s_and_saveexec_b64 s[0:1], s[2:3]
	s_cbranch_execz .LBB265_19
.LBB265_23:                             ;   in Loop: Header=BB265_9 Depth=1
	s_waitcnt vmcnt(0)
	v_trunc_f64_e32 v[1:2], v[7:8]
	v_mov_b32_e32 v4, s9
	v_add_co_u32_e32 v3, vcc, s8, v19
	v_addc_co_u32_e32 v4, vcc, v20, v4, vcc
	v_add_f64 v[1:2], v[7:8], -v[1:2]
	global_store_dwordx2 v[3:4], v[1:2], off
	s_or_b64 exec, exec, s[0:1]
	s_and_saveexec_b64 s[0:1], s[4:5]
	s_cbranch_execz .LBB265_8
.LBB265_24:                             ;   in Loop: Header=BB265_9 Depth=1
	s_waitcnt vmcnt(0)
	v_trunc_f64_e32 v[1:2], v[5:6]
	v_mov_b32_e32 v4, s9
	v_add_co_u32_e32 v3, vcc, s8, v15
	v_addc_co_u32_e32 v4, vcc, v16, v4, vcc
	v_add_f64 v[1:2], v[5:6], -v[1:2]
	global_store_dwordx2 v[3:4], v[1:2], off
	s_branch .LBB265_8
.LBB265_25:
	s_endpgm
	.section	.rodata,"a",@progbits
	.p2align	6, 0x0
	.amdhsa_kernel _ZN2at6native12_GLOBAL__N_125multi_tensor_apply_kernelINS1_18TensorListMetadataILi2EEENS1_14UnaryOpFunctorIdLi2ELi1ELi1EEEJNS0_5TruncIdEEEEEvT_T0_DpT1_
		.amdhsa_group_segment_fixed_size 0
		.amdhsa_private_segment_fixed_size 0
		.amdhsa_kernarg_size 3408
		.amdhsa_user_sgpr_count 6
		.amdhsa_user_sgpr_private_segment_buffer 1
		.amdhsa_user_sgpr_dispatch_ptr 0
		.amdhsa_user_sgpr_queue_ptr 0
		.amdhsa_user_sgpr_kernarg_segment_ptr 1
		.amdhsa_user_sgpr_dispatch_id 0
		.amdhsa_user_sgpr_flat_scratch_init 0
		.amdhsa_user_sgpr_private_segment_size 0
		.amdhsa_uses_dynamic_stack 0
		.amdhsa_system_sgpr_private_segment_wavefront_offset 0
		.amdhsa_system_sgpr_workgroup_id_x 1
		.amdhsa_system_sgpr_workgroup_id_y 0
		.amdhsa_system_sgpr_workgroup_id_z 0
		.amdhsa_system_sgpr_workgroup_info 0
		.amdhsa_system_vgpr_workitem_id 0
		.amdhsa_next_free_vgpr 33
		.amdhsa_next_free_sgpr 20
		.amdhsa_reserve_vcc 1
		.amdhsa_reserve_flat_scratch 0
		.amdhsa_float_round_mode_32 0
		.amdhsa_float_round_mode_16_64 0
		.amdhsa_float_denorm_mode_32 3
		.amdhsa_float_denorm_mode_16_64 3
		.amdhsa_dx10_clamp 1
		.amdhsa_ieee_mode 1
		.amdhsa_fp16_overflow 0
		.amdhsa_exception_fp_ieee_invalid_op 0
		.amdhsa_exception_fp_denorm_src 0
		.amdhsa_exception_fp_ieee_div_zero 0
		.amdhsa_exception_fp_ieee_overflow 0
		.amdhsa_exception_fp_ieee_underflow 0
		.amdhsa_exception_fp_ieee_inexact 0
		.amdhsa_exception_int_div_zero 0
	.end_amdhsa_kernel
	.section	.text._ZN2at6native12_GLOBAL__N_125multi_tensor_apply_kernelINS1_18TensorListMetadataILi2EEENS1_14UnaryOpFunctorIdLi2ELi1ELi1EEEJNS0_5TruncIdEEEEEvT_T0_DpT1_,"axG",@progbits,_ZN2at6native12_GLOBAL__N_125multi_tensor_apply_kernelINS1_18TensorListMetadataILi2EEENS1_14UnaryOpFunctorIdLi2ELi1ELi1EEEJNS0_5TruncIdEEEEEvT_T0_DpT1_,comdat
.Lfunc_end265:
	.size	_ZN2at6native12_GLOBAL__N_125multi_tensor_apply_kernelINS1_18TensorListMetadataILi2EEENS1_14UnaryOpFunctorIdLi2ELi1ELi1EEEJNS0_5TruncIdEEEEEvT_T0_DpT1_, .Lfunc_end265-_ZN2at6native12_GLOBAL__N_125multi_tensor_apply_kernelINS1_18TensorListMetadataILi2EEENS1_14UnaryOpFunctorIdLi2ELi1ELi1EEEJNS0_5TruncIdEEEEEvT_T0_DpT1_
                                        ; -- End function
	.set _ZN2at6native12_GLOBAL__N_125multi_tensor_apply_kernelINS1_18TensorListMetadataILi2EEENS1_14UnaryOpFunctorIdLi2ELi1ELi1EEEJNS0_5TruncIdEEEEEvT_T0_DpT1_.num_vgpr, 33
	.set _ZN2at6native12_GLOBAL__N_125multi_tensor_apply_kernelINS1_18TensorListMetadataILi2EEENS1_14UnaryOpFunctorIdLi2ELi1ELi1EEEJNS0_5TruncIdEEEEEvT_T0_DpT1_.num_agpr, 0
	.set _ZN2at6native12_GLOBAL__N_125multi_tensor_apply_kernelINS1_18TensorListMetadataILi2EEENS1_14UnaryOpFunctorIdLi2ELi1ELi1EEEJNS0_5TruncIdEEEEEvT_T0_DpT1_.numbered_sgpr, 20
	.set _ZN2at6native12_GLOBAL__N_125multi_tensor_apply_kernelINS1_18TensorListMetadataILi2EEENS1_14UnaryOpFunctorIdLi2ELi1ELi1EEEJNS0_5TruncIdEEEEEvT_T0_DpT1_.num_named_barrier, 0
	.set _ZN2at6native12_GLOBAL__N_125multi_tensor_apply_kernelINS1_18TensorListMetadataILi2EEENS1_14UnaryOpFunctorIdLi2ELi1ELi1EEEJNS0_5TruncIdEEEEEvT_T0_DpT1_.private_seg_size, 0
	.set _ZN2at6native12_GLOBAL__N_125multi_tensor_apply_kernelINS1_18TensorListMetadataILi2EEENS1_14UnaryOpFunctorIdLi2ELi1ELi1EEEJNS0_5TruncIdEEEEEvT_T0_DpT1_.uses_vcc, 1
	.set _ZN2at6native12_GLOBAL__N_125multi_tensor_apply_kernelINS1_18TensorListMetadataILi2EEENS1_14UnaryOpFunctorIdLi2ELi1ELi1EEEJNS0_5TruncIdEEEEEvT_T0_DpT1_.uses_flat_scratch, 0
	.set _ZN2at6native12_GLOBAL__N_125multi_tensor_apply_kernelINS1_18TensorListMetadataILi2EEENS1_14UnaryOpFunctorIdLi2ELi1ELi1EEEJNS0_5TruncIdEEEEEvT_T0_DpT1_.has_dyn_sized_stack, 0
	.set _ZN2at6native12_GLOBAL__N_125multi_tensor_apply_kernelINS1_18TensorListMetadataILi2EEENS1_14UnaryOpFunctorIdLi2ELi1ELi1EEEJNS0_5TruncIdEEEEEvT_T0_DpT1_.has_recursion, 0
	.set _ZN2at6native12_GLOBAL__N_125multi_tensor_apply_kernelINS1_18TensorListMetadataILi2EEENS1_14UnaryOpFunctorIdLi2ELi1ELi1EEEJNS0_5TruncIdEEEEEvT_T0_DpT1_.has_indirect_call, 0
	.section	.AMDGPU.csdata,"",@progbits
; Kernel info:
; codeLenInByte = 1352
; TotalNumSgprs: 24
; NumVgprs: 33
; ScratchSize: 0
; MemoryBound: 0
; FloatMode: 240
; IeeeMode: 1
; LDSByteSize: 0 bytes/workgroup (compile time only)
; SGPRBlocks: 2
; VGPRBlocks: 8
; NumSGPRsForWavesPerEU: 24
; NumVGPRsForWavesPerEU: 33
; Occupancy: 7
; WaveLimiterHint : 0
; COMPUTE_PGM_RSRC2:SCRATCH_EN: 0
; COMPUTE_PGM_RSRC2:USER_SGPR: 6
; COMPUTE_PGM_RSRC2:TRAP_HANDLER: 0
; COMPUTE_PGM_RSRC2:TGID_X_EN: 1
; COMPUTE_PGM_RSRC2:TGID_Y_EN: 0
; COMPUTE_PGM_RSRC2:TGID_Z_EN: 0
; COMPUTE_PGM_RSRC2:TIDIG_COMP_CNT: 0
	.section	.text._ZN2at6native12_GLOBAL__N_125multi_tensor_apply_kernelINS1_18TensorListMetadataILi2EEENS1_14UnaryOpFunctorIfLi2ELi1ELi1EEEJNS0_5TruncIfEEEEEvT_T0_DpT1_,"axG",@progbits,_ZN2at6native12_GLOBAL__N_125multi_tensor_apply_kernelINS1_18TensorListMetadataILi2EEENS1_14UnaryOpFunctorIfLi2ELi1ELi1EEEJNS0_5TruncIfEEEEEvT_T0_DpT1_,comdat
	.globl	_ZN2at6native12_GLOBAL__N_125multi_tensor_apply_kernelINS1_18TensorListMetadataILi2EEENS1_14UnaryOpFunctorIfLi2ELi1ELi1EEEJNS0_5TruncIfEEEEEvT_T0_DpT1_ ; -- Begin function _ZN2at6native12_GLOBAL__N_125multi_tensor_apply_kernelINS1_18TensorListMetadataILi2EEENS1_14UnaryOpFunctorIfLi2ELi1ELi1EEEJNS0_5TruncIfEEEEEvT_T0_DpT1_
	.p2align	8
	.type	_ZN2at6native12_GLOBAL__N_125multi_tensor_apply_kernelINS1_18TensorListMetadataILi2EEENS1_14UnaryOpFunctorIfLi2ELi1ELi1EEEJNS0_5TruncIfEEEEEvT_T0_DpT1_,@function
_ZN2at6native12_GLOBAL__N_125multi_tensor_apply_kernelINS1_18TensorListMetadataILi2EEENS1_14UnaryOpFunctorIfLi2ELi1ELi1EEEJNS0_5TruncIfEEEEEvT_T0_DpT1_: ; @_ZN2at6native12_GLOBAL__N_125multi_tensor_apply_kernelINS1_18TensorListMetadataILi2EEENS1_14UnaryOpFunctorIfLi2ELi1ELi1EEEJNS0_5TruncIfEEEEEvT_T0_DpT1_
; %bb.0:
	v_mov_b32_e32 v1, s6
	global_load_ubyte v1, v1, s[4:5] offset:1536
	s_add_u32 s0, s4, s6
	s_mul_hi_u32 s1, s6, 3
	s_mul_i32 s6, s6, 3
	s_addc_u32 s2, s5, 0
	s_add_u32 s0, s0, s6
	s_addc_u32 s1, s2, s1
	s_load_dword s6, s[0:1], 0x740
	s_mov_b32 s11, 0
	s_mov_b32 s13, s11
	s_waitcnt vmcnt(0)
	v_readfirstlane_b32 s0, v1
	s_lshl_b32 s7, s0, 3
	s_load_dwordx2 s[14:15], s[4:5], s7 offset:0x400
	s_load_dwordx2 s[2:3], s[4:5], s7 offset:0x0
	;; [unrolled: 1-line block ×3, first 2 shown]
	s_waitcnt lgkmcnt(0)
	s_ashr_i32 s7, s6, 31
	s_lshl_b64 s[8:9], s[6:7], 18
	s_lshl_b64 s[6:7], s[6:7], 16
	s_add_u32 s10, s2, s8
	s_and_b32 s12, s0, 15
	s_and_b32 s10, s10, 15
	s_sub_u32 s6, s14, s6
	s_subb_u32 s7, s15, s7
	s_and_b32 s14, s14, 3
	s_mov_b32 s15, s11
	s_or_b64 s[12:13], s[12:13], s[14:15]
	s_or_b64 s[10:11], s[12:13], s[10:11]
	s_cmp_eq_u64 s[10:11], 0
	s_mov_b64 s[10:11], -1
	s_cbranch_scc0 .LBB266_5
; %bb.1:
	v_mov_b32_e32 v1, 0x10000
	v_mov_b32_e32 v2, 0
	v_cmp_lt_i64_e32 vcc, s[6:7], v[1:2]
	v_mov_b32_e32 v2, 0
	s_and_b64 s[10:11], vcc, exec
	s_cselect_b32 s11, s7, 0
	s_cselect_b32 s10, s6, 0x10000
	v_lshlrev_b32_e32 v1, 2, v0
	v_cmp_gt_i64_e32 vcc, s[10:11], v[1:2]
	s_and_saveexec_b64 s[12:13], vcc
	s_cbranch_execz .LBB266_4
; %bb.2:
	s_load_dword s14, s[4:5], 0xc5c
	v_mov_b32_e32 v1, v2
	v_lshlrev_b32_e32 v2, 4, v0
	v_mov_b32_e32 v4, s9
	v_add_co_u32_e32 v3, vcc, s8, v2
	s_waitcnt lgkmcnt(0)
	s_and_b32 s16, s14, 0xffff
	v_mov_b32_e32 v2, v1
	v_addc_co_u32_e32 v4, vcc, 0, v4, vcc
	s_lshl_b32 s17, s16, 4
	s_mov_b64 s[14:15], 0
	v_mov_b32_e32 v5, s3
	v_mov_b32_e32 v6, s1
	;; [unrolled: 1-line block ×3, first 2 shown]
.LBB266_3:                              ; =>This Inner Loop Header: Depth=1
	v_add_co_u32_e32 v7, vcc, s2, v3
	v_addc_co_u32_e32 v8, vcc, v5, v4, vcc
	global_load_dwordx4 v[7:10], v[7:8], off
	v_add_co_u32_e32 v11, vcc, s0, v3
	v_addc_co_u32_e32 v12, vcc, v6, v4, vcc
	v_add_co_u32_e32 v1, vcc, s16, v1
	v_addc_co_u32_e32 v2, vcc, 0, v2, vcc
	v_add_co_u32_e32 v3, vcc, s17, v3
	v_lshlrev_b64 v[13:14], 2, v[1:2]
	v_addc_co_u32_e32 v4, vcc, 0, v4, vcc
	v_cmp_le_i64_e32 vcc, s[10:11], v[13:14]
	s_or_b64 s[14:15], vcc, s[14:15]
	s_waitcnt vmcnt(0)
	v_trunc_f32_e32 v13, v7
	v_trunc_f32_e32 v14, v8
	v_trunc_f32_e32 v15, v9
	v_trunc_f32_e32 v16, v10
	v_sub_f32_e32 v7, v7, v13
	v_sub_f32_e32 v8, v8, v14
	;; [unrolled: 1-line block ×4, first 2 shown]
	global_store_dwordx4 v[11:12], v[7:10], off
	s_andn2_b64 exec, exec, s[14:15]
	s_cbranch_execnz .LBB266_3
.LBB266_4:
	s_or_b64 exec, exec, s[12:13]
	s_mov_b64 s[10:11], 0
.LBB266_5:
	s_andn2_b64 vcc, exec, s[10:11]
	s_cbranch_vccnz .LBB266_25
; %bb.6:
	v_cmp_lt_i64_e64 s[10:11], s[6:7], 1
	s_and_b64 vcc, exec, s[10:11]
	s_cbranch_vccnz .LBB266_25
; %bb.7:
	v_mov_b32_e32 v1, 0x10000
	s_load_dword s12, s[4:5], 0xc5c
	v_mov_b32_e32 v2, 0
	v_cmp_lt_i64_e32 vcc, s[6:7], v[1:2]
	v_mov_b32_e32 v10, 0
	s_and_b64 s[4:5], vcc, exec
	v_cmp_lt_u64_e32 vcc, s[6:7], v[1:2]
	s_cselect_b32 s11, s7, 0
	s_cselect_b32 s10, s6, 0x10000
	s_waitcnt lgkmcnt(0)
	s_and_b32 s14, s12, 0xffff
	v_lshlrev_b32_e32 v9, 2, v0
	s_and_b64 s[4:5], vcc, exec
	v_mov_b32_e32 v2, s3
	v_add_co_u32_e32 v1, vcc, s2, v9
	v_mad_u64_u32 v[7:8], s[4:5], s14, 12, v[9:10]
	v_addc_co_u32_e32 v2, vcc, 0, v2, vcc
	v_mov_b32_e32 v4, s1
	v_add_co_u32_e32 v3, vcc, s0, v9
	v_addc_co_u32_e32 v4, vcc, 0, v4, vcc
	v_mov_b32_e32 v6, s3
	v_add_co_u32_e32 v5, vcc, s2, v7
	;; [unrolled: 3-line block ×3, first 2 shown]
	s_cselect_b32 s13, s7, 0
	s_cselect_b32 s12, s6, 0x10000
	v_addc_co_u32_e32 v8, vcc, v10, v8, vcc
	s_lshl_b32 s4, s14, 3
	v_add_co_u32_e32 v11, vcc, s4, v9
	v_addc_co_u32_e64 v12, s[4:5], 0, 0, vcc
	v_mov_b32_e32 v10, s3
	v_add_co_u32_e32 v9, vcc, s2, v11
	v_addc_co_u32_e32 v10, vcc, v10, v12, vcc
	v_mov_b32_e32 v13, s1
	v_add_co_u32_e32 v11, vcc, s0, v11
	v_addc_co_u32_e32 v12, vcc, v13, v12, vcc
	v_add_co_u32_e32 v13, vcc, s14, v0
	v_lshlrev_b32_e32 v17, 2, v13
	v_addc_co_u32_e64 v14, s[4:5], 0, 0, vcc
	v_mov_b32_e32 v16, s3
	v_add_co_u32_e32 v15, vcc, s2, v17
	v_addc_co_u32_e32 v16, vcc, 0, v16, vcc
	v_mov_b32_e32 v18, s1
	v_add_co_u32_e32 v17, vcc, s0, v17
	s_mul_i32 s7, s14, 3
	v_addc_co_u32_e32 v18, vcc, 0, v18, vcc
	s_lshl_b32 s6, s14, 1
	v_add_co_u32_e32 v19, vcc, s7, v0
	v_addc_co_u32_e64 v20, s[0:1], 0, 0, vcc
	v_add_co_u32_e32 v21, vcc, s6, v0
	s_lshl_b32 s18, s14, 2
	s_lshl_b32 s19, s14, 4
	s_mov_b64 s[14:15], 0
	v_addc_co_u32_e64 v22, s[0:1], 0, 0, vcc
	s_branch .LBB266_9
.LBB266_8:                              ;   in Loop: Header=BB266_9 Depth=1
	s_or_b64 exec, exec, s[0:1]
	v_add_co_u32_e32 v1, vcc, s19, v1
	v_addc_co_u32_e32 v2, vcc, 0, v2, vcc
	v_add_co_u32_e32 v3, vcc, s19, v3
	v_addc_co_u32_e32 v4, vcc, 0, v4, vcc
	;; [unrolled: 2-line block ×6, first 2 shown]
	s_add_u32 s14, s14, s18
	v_add_co_u32_e32 v15, vcc, s19, v15
	s_waitcnt vmcnt(0)
	v_mov_b32_e32 v24, s11
	s_addc_u32 s15, s15, 0
	v_addc_co_u32_e32 v16, vcc, 0, v16, vcc
	v_mov_b32_e32 v23, s10
	v_cmp_ge_i64_e32 vcc, s[14:15], v[23:24]
	v_add_co_u32_e64 v17, s[0:1], s19, v17
	v_addc_co_u32_e64 v18, s[0:1], 0, v18, s[0:1]
	s_cbranch_vccnz .LBB266_25
.LBB266_9:                              ; =>This Inner Loop Header: Depth=1
	v_mov_b32_e32 v24, s15
	v_add_co_u32_e32 v23, vcc, s14, v0
	v_addc_co_u32_e32 v24, vcc, 0, v24, vcc
	v_cmp_gt_u64_e32 vcc, s[12:13], v[23:24]
	v_mov_b32_e32 v24, 0
	s_and_saveexec_b64 s[2:3], vcc
	s_cbranch_execz .LBB266_11
; %bb.10:                               ;   in Loop: Header=BB266_9 Depth=1
	v_mov_b32_e32 v24, s9
	v_add_co_u32_e64 v23, s[0:1], s8, v1
	v_addc_co_u32_e64 v24, s[0:1], v2, v24, s[0:1]
	global_load_dword v24, v[23:24], off
.LBB266_11:                             ;   in Loop: Header=BB266_9 Depth=1
	s_or_b64 exec, exec, s[2:3]
	v_mov_b32_e32 v23, s15
	v_add_co_u32_e64 v25, s[0:1], s14, v13
	v_addc_co_u32_e64 v26, s[0:1], v14, v23, s[0:1]
	v_cmp_gt_u64_e64 s[0:1], s[12:13], v[25:26]
	v_mov_b32_e32 v23, 0
	v_mov_b32_e32 v25, 0
	s_and_saveexec_b64 s[4:5], s[0:1]
	s_cbranch_execz .LBB266_13
; %bb.12:                               ;   in Loop: Header=BB266_9 Depth=1
	v_mov_b32_e32 v26, s9
	v_add_co_u32_e64 v25, s[2:3], s8, v15
	v_addc_co_u32_e64 v26, s[2:3], v16, v26, s[2:3]
	global_load_dword v25, v[25:26], off
.LBB266_13:                             ;   in Loop: Header=BB266_9 Depth=1
	s_or_b64 exec, exec, s[4:5]
	v_mov_b32_e32 v27, s15
	v_add_co_u32_e64 v26, s[2:3], s14, v21
	v_addc_co_u32_e64 v27, s[2:3], v22, v27, s[2:3]
	v_cmp_gt_u64_e64 s[2:3], s[12:13], v[26:27]
	s_and_saveexec_b64 s[6:7], s[2:3]
	s_cbranch_execz .LBB266_15
; %bb.14:                               ;   in Loop: Header=BB266_9 Depth=1
	v_mov_b32_e32 v23, s9
	v_add_co_u32_e64 v26, s[4:5], s8, v9
	v_addc_co_u32_e64 v27, s[4:5], v10, v23, s[4:5]
	global_load_dword v23, v[26:27], off
.LBB266_15:                             ;   in Loop: Header=BB266_9 Depth=1
	s_or_b64 exec, exec, s[6:7]
	v_mov_b32_e32 v27, s15
	v_add_co_u32_e64 v26, s[4:5], s14, v19
	v_addc_co_u32_e64 v27, s[4:5], v20, v27, s[4:5]
	v_cmp_gt_u64_e64 s[4:5], s[12:13], v[26:27]
	v_mov_b32_e32 v26, 0
	s_and_saveexec_b64 s[16:17], s[4:5]
	s_cbranch_execnz .LBB266_20
; %bb.16:                               ;   in Loop: Header=BB266_9 Depth=1
	s_or_b64 exec, exec, s[16:17]
	s_and_saveexec_b64 s[6:7], vcc
	s_cbranch_execnz .LBB266_21
.LBB266_17:                             ;   in Loop: Header=BB266_9 Depth=1
	s_or_b64 exec, exec, s[6:7]
	s_and_saveexec_b64 s[6:7], s[0:1]
	s_cbranch_execnz .LBB266_22
.LBB266_18:                             ;   in Loop: Header=BB266_9 Depth=1
	s_or_b64 exec, exec, s[6:7]
	s_and_saveexec_b64 s[0:1], s[2:3]
	s_cbranch_execnz .LBB266_23
.LBB266_19:                             ;   in Loop: Header=BB266_9 Depth=1
	s_or_b64 exec, exec, s[0:1]
	s_and_saveexec_b64 s[0:1], s[4:5]
	s_cbranch_execz .LBB266_8
	s_branch .LBB266_24
.LBB266_20:                             ;   in Loop: Header=BB266_9 Depth=1
	v_mov_b32_e32 v27, s9
	v_add_co_u32_e64 v26, s[6:7], s8, v5
	v_addc_co_u32_e64 v27, s[6:7], v6, v27, s[6:7]
	global_load_dword v26, v[26:27], off
	s_or_b64 exec, exec, s[16:17]
	s_and_saveexec_b64 s[6:7], vcc
	s_cbranch_execz .LBB266_17
.LBB266_21:                             ;   in Loop: Header=BB266_9 Depth=1
	v_mov_b32_e32 v28, s9
	v_add_co_u32_e32 v27, vcc, s8, v3
	s_waitcnt vmcnt(0)
	v_trunc_f32_e32 v29, v24
	v_addc_co_u32_e32 v28, vcc, v4, v28, vcc
	v_sub_f32_e32 v24, v24, v29
	global_store_dword v[27:28], v24, off
	s_or_b64 exec, exec, s[6:7]
	s_and_saveexec_b64 s[6:7], s[0:1]
	s_cbranch_execz .LBB266_18
.LBB266_22:                             ;   in Loop: Header=BB266_9 Depth=1
	s_waitcnt vmcnt(0)
	v_trunc_f32_e32 v24, v25
	v_sub_f32_e32 v27, v25, v24
	v_mov_b32_e32 v25, s9
	v_add_co_u32_e32 v24, vcc, s8, v17
	v_addc_co_u32_e32 v25, vcc, v18, v25, vcc
	global_store_dword v[24:25], v27, off
	s_or_b64 exec, exec, s[6:7]
	s_and_saveexec_b64 s[0:1], s[2:3]
	s_cbranch_execz .LBB266_19
.LBB266_23:                             ;   in Loop: Header=BB266_9 Depth=1
	s_waitcnt vmcnt(0)
	v_trunc_f32_e32 v24, v23
	v_sub_f32_e32 v25, v23, v24
	v_mov_b32_e32 v24, s9
	v_add_co_u32_e32 v23, vcc, s8, v11
	v_addc_co_u32_e32 v24, vcc, v12, v24, vcc
	global_store_dword v[23:24], v25, off
	s_or_b64 exec, exec, s[0:1]
	s_and_saveexec_b64 s[0:1], s[4:5]
	s_cbranch_execz .LBB266_8
.LBB266_24:                             ;   in Loop: Header=BB266_9 Depth=1
	s_waitcnt vmcnt(0)
	v_trunc_f32_e32 v23, v26
	v_sub_f32_e32 v25, v26, v23
	v_mov_b32_e32 v24, s9
	v_add_co_u32_e32 v23, vcc, s8, v7
	v_addc_co_u32_e32 v24, vcc, v8, v24, vcc
	global_store_dword v[23:24], v25, off
	s_branch .LBB266_8
.LBB266_25:
	s_endpgm
	.section	.rodata,"a",@progbits
	.p2align	6, 0x0
	.amdhsa_kernel _ZN2at6native12_GLOBAL__N_125multi_tensor_apply_kernelINS1_18TensorListMetadataILi2EEENS1_14UnaryOpFunctorIfLi2ELi1ELi1EEEJNS0_5TruncIfEEEEEvT_T0_DpT1_
		.amdhsa_group_segment_fixed_size 0
		.amdhsa_private_segment_fixed_size 0
		.amdhsa_kernarg_size 3408
		.amdhsa_user_sgpr_count 6
		.amdhsa_user_sgpr_private_segment_buffer 1
		.amdhsa_user_sgpr_dispatch_ptr 0
		.amdhsa_user_sgpr_queue_ptr 0
		.amdhsa_user_sgpr_kernarg_segment_ptr 1
		.amdhsa_user_sgpr_dispatch_id 0
		.amdhsa_user_sgpr_flat_scratch_init 0
		.amdhsa_user_sgpr_private_segment_size 0
		.amdhsa_uses_dynamic_stack 0
		.amdhsa_system_sgpr_private_segment_wavefront_offset 0
		.amdhsa_system_sgpr_workgroup_id_x 1
		.amdhsa_system_sgpr_workgroup_id_y 0
		.amdhsa_system_sgpr_workgroup_id_z 0
		.amdhsa_system_sgpr_workgroup_info 0
		.amdhsa_system_vgpr_workitem_id 0
		.amdhsa_next_free_vgpr 30
		.amdhsa_next_free_sgpr 20
		.amdhsa_reserve_vcc 1
		.amdhsa_reserve_flat_scratch 0
		.amdhsa_float_round_mode_32 0
		.amdhsa_float_round_mode_16_64 0
		.amdhsa_float_denorm_mode_32 3
		.amdhsa_float_denorm_mode_16_64 3
		.amdhsa_dx10_clamp 1
		.amdhsa_ieee_mode 1
		.amdhsa_fp16_overflow 0
		.amdhsa_exception_fp_ieee_invalid_op 0
		.amdhsa_exception_fp_denorm_src 0
		.amdhsa_exception_fp_ieee_div_zero 0
		.amdhsa_exception_fp_ieee_overflow 0
		.amdhsa_exception_fp_ieee_underflow 0
		.amdhsa_exception_fp_ieee_inexact 0
		.amdhsa_exception_int_div_zero 0
	.end_amdhsa_kernel
	.section	.text._ZN2at6native12_GLOBAL__N_125multi_tensor_apply_kernelINS1_18TensorListMetadataILi2EEENS1_14UnaryOpFunctorIfLi2ELi1ELi1EEEJNS0_5TruncIfEEEEEvT_T0_DpT1_,"axG",@progbits,_ZN2at6native12_GLOBAL__N_125multi_tensor_apply_kernelINS1_18TensorListMetadataILi2EEENS1_14UnaryOpFunctorIfLi2ELi1ELi1EEEJNS0_5TruncIfEEEEEvT_T0_DpT1_,comdat
.Lfunc_end266:
	.size	_ZN2at6native12_GLOBAL__N_125multi_tensor_apply_kernelINS1_18TensorListMetadataILi2EEENS1_14UnaryOpFunctorIfLi2ELi1ELi1EEEJNS0_5TruncIfEEEEEvT_T0_DpT1_, .Lfunc_end266-_ZN2at6native12_GLOBAL__N_125multi_tensor_apply_kernelINS1_18TensorListMetadataILi2EEENS1_14UnaryOpFunctorIfLi2ELi1ELi1EEEJNS0_5TruncIfEEEEEvT_T0_DpT1_
                                        ; -- End function
	.set _ZN2at6native12_GLOBAL__N_125multi_tensor_apply_kernelINS1_18TensorListMetadataILi2EEENS1_14UnaryOpFunctorIfLi2ELi1ELi1EEEJNS0_5TruncIfEEEEEvT_T0_DpT1_.num_vgpr, 30
	.set _ZN2at6native12_GLOBAL__N_125multi_tensor_apply_kernelINS1_18TensorListMetadataILi2EEENS1_14UnaryOpFunctorIfLi2ELi1ELi1EEEJNS0_5TruncIfEEEEEvT_T0_DpT1_.num_agpr, 0
	.set _ZN2at6native12_GLOBAL__N_125multi_tensor_apply_kernelINS1_18TensorListMetadataILi2EEENS1_14UnaryOpFunctorIfLi2ELi1ELi1EEEJNS0_5TruncIfEEEEEvT_T0_DpT1_.numbered_sgpr, 20
	.set _ZN2at6native12_GLOBAL__N_125multi_tensor_apply_kernelINS1_18TensorListMetadataILi2EEENS1_14UnaryOpFunctorIfLi2ELi1ELi1EEEJNS0_5TruncIfEEEEEvT_T0_DpT1_.num_named_barrier, 0
	.set _ZN2at6native12_GLOBAL__N_125multi_tensor_apply_kernelINS1_18TensorListMetadataILi2EEENS1_14UnaryOpFunctorIfLi2ELi1ELi1EEEJNS0_5TruncIfEEEEEvT_T0_DpT1_.private_seg_size, 0
	.set _ZN2at6native12_GLOBAL__N_125multi_tensor_apply_kernelINS1_18TensorListMetadataILi2EEENS1_14UnaryOpFunctorIfLi2ELi1ELi1EEEJNS0_5TruncIfEEEEEvT_T0_DpT1_.uses_vcc, 1
	.set _ZN2at6native12_GLOBAL__N_125multi_tensor_apply_kernelINS1_18TensorListMetadataILi2EEENS1_14UnaryOpFunctorIfLi2ELi1ELi1EEEJNS0_5TruncIfEEEEEvT_T0_DpT1_.uses_flat_scratch, 0
	.set _ZN2at6native12_GLOBAL__N_125multi_tensor_apply_kernelINS1_18TensorListMetadataILi2EEENS1_14UnaryOpFunctorIfLi2ELi1ELi1EEEJNS0_5TruncIfEEEEEvT_T0_DpT1_.has_dyn_sized_stack, 0
	.set _ZN2at6native12_GLOBAL__N_125multi_tensor_apply_kernelINS1_18TensorListMetadataILi2EEENS1_14UnaryOpFunctorIfLi2ELi1ELi1EEEJNS0_5TruncIfEEEEEvT_T0_DpT1_.has_recursion, 0
	.set _ZN2at6native12_GLOBAL__N_125multi_tensor_apply_kernelINS1_18TensorListMetadataILi2EEENS1_14UnaryOpFunctorIfLi2ELi1ELi1EEEJNS0_5TruncIfEEEEEvT_T0_DpT1_.has_indirect_call, 0
	.section	.AMDGPU.csdata,"",@progbits
; Kernel info:
; codeLenInByte = 1284
; TotalNumSgprs: 24
; NumVgprs: 30
; ScratchSize: 0
; MemoryBound: 0
; FloatMode: 240
; IeeeMode: 1
; LDSByteSize: 0 bytes/workgroup (compile time only)
; SGPRBlocks: 2
; VGPRBlocks: 7
; NumSGPRsForWavesPerEU: 24
; NumVGPRsForWavesPerEU: 30
; Occupancy: 8
; WaveLimiterHint : 0
; COMPUTE_PGM_RSRC2:SCRATCH_EN: 0
; COMPUTE_PGM_RSRC2:USER_SGPR: 6
; COMPUTE_PGM_RSRC2:TRAP_HANDLER: 0
; COMPUTE_PGM_RSRC2:TGID_X_EN: 1
; COMPUTE_PGM_RSRC2:TGID_Y_EN: 0
; COMPUTE_PGM_RSRC2:TGID_Z_EN: 0
; COMPUTE_PGM_RSRC2:TIDIG_COMP_CNT: 0
	.section	.text._ZN2at6native12_GLOBAL__N_125multi_tensor_apply_kernelINS1_18TensorListMetadataILi2EEENS1_14UnaryOpFunctorIN3c104HalfELi2ELi1ELi1EEEJNS0_5TruncIfEEEEEvT_T0_DpT1_,"axG",@progbits,_ZN2at6native12_GLOBAL__N_125multi_tensor_apply_kernelINS1_18TensorListMetadataILi2EEENS1_14UnaryOpFunctorIN3c104HalfELi2ELi1ELi1EEEJNS0_5TruncIfEEEEEvT_T0_DpT1_,comdat
	.globl	_ZN2at6native12_GLOBAL__N_125multi_tensor_apply_kernelINS1_18TensorListMetadataILi2EEENS1_14UnaryOpFunctorIN3c104HalfELi2ELi1ELi1EEEJNS0_5TruncIfEEEEEvT_T0_DpT1_ ; -- Begin function _ZN2at6native12_GLOBAL__N_125multi_tensor_apply_kernelINS1_18TensorListMetadataILi2EEENS1_14UnaryOpFunctorIN3c104HalfELi2ELi1ELi1EEEJNS0_5TruncIfEEEEEvT_T0_DpT1_
	.p2align	8
	.type	_ZN2at6native12_GLOBAL__N_125multi_tensor_apply_kernelINS1_18TensorListMetadataILi2EEENS1_14UnaryOpFunctorIN3c104HalfELi2ELi1ELi1EEEJNS0_5TruncIfEEEEEvT_T0_DpT1_,@function
_ZN2at6native12_GLOBAL__N_125multi_tensor_apply_kernelINS1_18TensorListMetadataILi2EEENS1_14UnaryOpFunctorIN3c104HalfELi2ELi1ELi1EEEJNS0_5TruncIfEEEEEvT_T0_DpT1_: ; @_ZN2at6native12_GLOBAL__N_125multi_tensor_apply_kernelINS1_18TensorListMetadataILi2EEENS1_14UnaryOpFunctorIN3c104HalfELi2ELi1ELi1EEEJNS0_5TruncIfEEEEEvT_T0_DpT1_
; %bb.0:
	v_mov_b32_e32 v1, s6
	global_load_ubyte v1, v1, s[4:5] offset:1536
	s_add_u32 s0, s4, s6
	s_mul_hi_u32 s1, s6, 3
	s_mul_i32 s6, s6, 3
	s_addc_u32 s2, s5, 0
	s_add_u32 s0, s0, s6
	s_addc_u32 s1, s2, s1
	s_load_dword s6, s[0:1], 0x740
	s_mov_b32 s11, 0
	s_mov_b32 s13, s11
	s_waitcnt vmcnt(0)
	v_readfirstlane_b32 s0, v1
	s_lshl_b32 s7, s0, 3
	s_load_dwordx2 s[14:15], s[4:5], s7 offset:0x400
	s_load_dwordx2 s[2:3], s[4:5], s7 offset:0x0
	;; [unrolled: 1-line block ×3, first 2 shown]
	s_waitcnt lgkmcnt(0)
	s_ashr_i32 s7, s6, 31
	s_lshl_b64 s[8:9], s[6:7], 17
	s_lshl_b64 s[6:7], s[6:7], 16
	s_add_u32 s10, s2, s8
	s_and_b32 s12, s0, 7
	s_and_b32 s10, s10, 7
	s_sub_u32 s6, s14, s6
	s_subb_u32 s7, s15, s7
	s_and_b32 s14, s14, 3
	s_mov_b32 s15, s11
	s_or_b64 s[12:13], s[12:13], s[14:15]
	s_or_b64 s[10:11], s[12:13], s[10:11]
	s_cmp_eq_u64 s[10:11], 0
	s_mov_b64 s[10:11], -1
	s_cbranch_scc0 .LBB267_5
; %bb.1:
	v_mov_b32_e32 v1, 0x10000
	v_mov_b32_e32 v2, 0
	v_cmp_lt_i64_e32 vcc, s[6:7], v[1:2]
	v_mov_b32_e32 v2, 0
	s_and_b64 s[10:11], vcc, exec
	s_cselect_b32 s11, s7, 0
	s_cselect_b32 s10, s6, 0x10000
	v_lshlrev_b32_e32 v1, 2, v0
	v_cmp_gt_i64_e32 vcc, s[10:11], v[1:2]
	s_and_saveexec_b64 s[12:13], vcc
	s_cbranch_execz .LBB267_4
; %bb.2:
	s_load_dword s14, s[4:5], 0xc5c
	v_mov_b32_e32 v1, v2
	v_lshlrev_b32_e32 v2, 3, v0
	v_mov_b32_e32 v4, s9
	v_add_co_u32_e32 v3, vcc, s8, v2
	s_waitcnt lgkmcnt(0)
	s_and_b32 s16, s14, 0xffff
	v_mov_b32_e32 v2, v1
	v_addc_co_u32_e32 v4, vcc, 0, v4, vcc
	s_lshl_b32 s17, s16, 3
	s_mov_b64 s[14:15], 0
	v_mov_b32_e32 v5, s3
	v_mov_b32_e32 v6, s1
	;; [unrolled: 1-line block ×3, first 2 shown]
.LBB267_3:                              ; =>This Inner Loop Header: Depth=1
	v_add_co_u32_e32 v7, vcc, s2, v3
	v_addc_co_u32_e32 v8, vcc, v5, v4, vcc
	global_load_dwordx2 v[7:8], v[7:8], off
	v_add_co_u32_e32 v9, vcc, s0, v3
	v_addc_co_u32_e32 v10, vcc, v6, v4, vcc
	v_add_co_u32_e32 v1, vcc, s16, v1
	v_addc_co_u32_e32 v2, vcc, 0, v2, vcc
	v_add_co_u32_e32 v3, vcc, s17, v3
	v_lshlrev_b64 v[11:12], 2, v[1:2]
	v_addc_co_u32_e32 v4, vcc, 0, v4, vcc
	v_cmp_le_i64_e32 vcc, s[10:11], v[11:12]
	s_or_b64 s[14:15], vcc, s[14:15]
	s_waitcnt vmcnt(0)
	v_cvt_f32_f16_e32 v13, v7
	v_cvt_f32_f16_sdwa v7, v7 dst_sel:DWORD dst_unused:UNUSED_PAD src0_sel:WORD_1
	v_cvt_f32_f16_e32 v14, v8
	v_cvt_f32_f16_sdwa v8, v8 dst_sel:DWORD dst_unused:UNUSED_PAD src0_sel:WORD_1
	v_trunc_f32_e32 v15, v13
	v_trunc_f32_e32 v16, v7
	;; [unrolled: 1-line block ×4, first 2 shown]
	v_sub_f32_e32 v13, v13, v15
	v_sub_f32_e32 v7, v7, v16
	;; [unrolled: 1-line block ×4, first 2 shown]
	v_cvt_f16_f32_e32 v13, v13
	v_cvt_f16_f32_e32 v7, v7
	;; [unrolled: 1-line block ×4, first 2 shown]
	v_pack_b32_f16 v7, v13, v7
	v_pack_b32_f16 v8, v14, v8
	global_store_dwordx2 v[9:10], v[7:8], off
	s_andn2_b64 exec, exec, s[14:15]
	s_cbranch_execnz .LBB267_3
.LBB267_4:
	s_or_b64 exec, exec, s[12:13]
	s_mov_b64 s[10:11], 0
.LBB267_5:
	s_andn2_b64 vcc, exec, s[10:11]
	s_cbranch_vccnz .LBB267_25
; %bb.6:
	v_cmp_lt_i64_e64 s[10:11], s[6:7], 1
	s_and_b64 vcc, exec, s[10:11]
	s_cbranch_vccnz .LBB267_25
; %bb.7:
	v_mov_b32_e32 v1, 0x10000
	s_load_dword s12, s[4:5], 0xc5c
	v_mov_b32_e32 v2, 0
	v_cmp_lt_i64_e32 vcc, s[6:7], v[1:2]
	v_mov_b32_e32 v10, 0
	s_and_b64 s[4:5], vcc, exec
	v_cmp_lt_u64_e32 vcc, s[6:7], v[1:2]
	s_cselect_b32 s11, s7, 0
	s_cselect_b32 s10, s6, 0x10000
	s_waitcnt lgkmcnt(0)
	s_and_b32 s14, s12, 0xffff
	v_lshlrev_b32_e32 v9, 1, v0
	s_and_b64 s[4:5], vcc, exec
	v_mov_b32_e32 v2, s3
	v_add_co_u32_e32 v1, vcc, s2, v9
	v_mad_u64_u32 v[7:8], s[4:5], s14, 6, v[9:10]
	v_addc_co_u32_e32 v2, vcc, 0, v2, vcc
	v_mov_b32_e32 v4, s1
	v_add_co_u32_e32 v3, vcc, s0, v9
	v_addc_co_u32_e32 v4, vcc, 0, v4, vcc
	v_mov_b32_e32 v6, s3
	v_add_co_u32_e32 v5, vcc, s2, v7
	;; [unrolled: 3-line block ×3, first 2 shown]
	s_cselect_b32 s13, s7, 0
	s_cselect_b32 s12, s6, 0x10000
	s_lshl_b32 s18, s14, 2
	v_addc_co_u32_e32 v8, vcc, v10, v8, vcc
	v_add_co_u32_e32 v11, vcc, s18, v9
	v_addc_co_u32_e64 v12, s[4:5], 0, 0, vcc
	v_mov_b32_e32 v10, s3
	v_add_co_u32_e32 v9, vcc, s2, v11
	v_addc_co_u32_e32 v10, vcc, v10, v12, vcc
	v_mov_b32_e32 v13, s1
	v_add_co_u32_e32 v11, vcc, s0, v11
	v_addc_co_u32_e32 v12, vcc, v13, v12, vcc
	v_add_co_u32_e32 v13, vcc, s14, v0
	v_lshlrev_b32_e32 v17, 1, v13
	v_addc_co_u32_e64 v14, s[4:5], 0, 0, vcc
	v_mov_b32_e32 v16, s3
	v_add_co_u32_e32 v15, vcc, s2, v17
	v_addc_co_u32_e32 v16, vcc, 0, v16, vcc
	v_mov_b32_e32 v18, s1
	v_add_co_u32_e32 v17, vcc, s0, v17
	s_mul_i32 s7, s14, 3
	v_addc_co_u32_e32 v18, vcc, 0, v18, vcc
	s_lshl_b32 s6, s14, 1
	v_add_co_u32_e32 v19, vcc, s7, v0
	v_addc_co_u32_e64 v20, s[0:1], 0, 0, vcc
	v_add_co_u32_e32 v21, vcc, s6, v0
	s_lshl_b32 s19, s14, 3
	s_mov_b64 s[14:15], 0
	v_addc_co_u32_e64 v22, s[0:1], 0, 0, vcc
	s_branch .LBB267_9
.LBB267_8:                              ;   in Loop: Header=BB267_9 Depth=1
	s_or_b64 exec, exec, s[0:1]
	v_add_co_u32_e32 v1, vcc, s19, v1
	v_addc_co_u32_e32 v2, vcc, 0, v2, vcc
	v_add_co_u32_e32 v3, vcc, s19, v3
	v_addc_co_u32_e32 v4, vcc, 0, v4, vcc
	;; [unrolled: 2-line block ×6, first 2 shown]
	s_add_u32 s14, s14, s18
	v_add_co_u32_e32 v15, vcc, s19, v15
	v_mov_b32_e32 v24, s11
	s_addc_u32 s15, s15, 0
	v_addc_co_u32_e32 v16, vcc, 0, v16, vcc
	v_mov_b32_e32 v23, s10
	v_cmp_ge_i64_e32 vcc, s[14:15], v[23:24]
	v_add_co_u32_e64 v17, s[0:1], s19, v17
	v_addc_co_u32_e64 v18, s[0:1], 0, v18, s[0:1]
	s_cbranch_vccnz .LBB267_25
.LBB267_9:                              ; =>This Inner Loop Header: Depth=1
	v_mov_b32_e32 v24, s15
	v_add_co_u32_e32 v23, vcc, s14, v0
	v_addc_co_u32_e32 v24, vcc, 0, v24, vcc
	v_cmp_gt_u64_e32 vcc, s[12:13], v[23:24]
	v_mov_b32_e32 v24, 0
	s_and_saveexec_b64 s[2:3], vcc
	s_cbranch_execz .LBB267_11
; %bb.10:                               ;   in Loop: Header=BB267_9 Depth=1
	v_mov_b32_e32 v24, s9
	v_add_co_u32_e64 v23, s[0:1], s8, v1
	v_addc_co_u32_e64 v24, s[0:1], v2, v24, s[0:1]
	global_load_ushort v23, v[23:24], off
	s_waitcnt vmcnt(0)
	v_cvt_f32_f16_e32 v24, v23
.LBB267_11:                             ;   in Loop: Header=BB267_9 Depth=1
	s_or_b64 exec, exec, s[2:3]
	v_mov_b32_e32 v23, s15
	v_add_co_u32_e64 v25, s[0:1], s14, v13
	v_addc_co_u32_e64 v26, s[0:1], v14, v23, s[0:1]
	v_cmp_gt_u64_e64 s[0:1], s[12:13], v[25:26]
	v_mov_b32_e32 v23, 0
	v_mov_b32_e32 v25, 0
	s_and_saveexec_b64 s[4:5], s[0:1]
	s_cbranch_execz .LBB267_13
; %bb.12:                               ;   in Loop: Header=BB267_9 Depth=1
	v_mov_b32_e32 v26, s9
	v_add_co_u32_e64 v25, s[2:3], s8, v15
	v_addc_co_u32_e64 v26, s[2:3], v16, v26, s[2:3]
	global_load_ushort v25, v[25:26], off
	s_waitcnt vmcnt(0)
	v_cvt_f32_f16_e32 v25, v25
.LBB267_13:                             ;   in Loop: Header=BB267_9 Depth=1
	s_or_b64 exec, exec, s[4:5]
	v_mov_b32_e32 v27, s15
	v_add_co_u32_e64 v26, s[2:3], s14, v21
	v_addc_co_u32_e64 v27, s[2:3], v22, v27, s[2:3]
	v_cmp_gt_u64_e64 s[2:3], s[12:13], v[26:27]
	s_and_saveexec_b64 s[6:7], s[2:3]
	s_cbranch_execz .LBB267_15
; %bb.14:                               ;   in Loop: Header=BB267_9 Depth=1
	v_mov_b32_e32 v23, s9
	v_add_co_u32_e64 v26, s[4:5], s8, v9
	v_addc_co_u32_e64 v27, s[4:5], v10, v23, s[4:5]
	global_load_ushort v23, v[26:27], off
	s_waitcnt vmcnt(0)
	v_cvt_f32_f16_e32 v23, v23
.LBB267_15:                             ;   in Loop: Header=BB267_9 Depth=1
	s_or_b64 exec, exec, s[6:7]
	v_mov_b32_e32 v27, s15
	v_add_co_u32_e64 v26, s[4:5], s14, v19
	v_addc_co_u32_e64 v27, s[4:5], v20, v27, s[4:5]
	v_cmp_gt_u64_e64 s[4:5], s[12:13], v[26:27]
	v_mov_b32_e32 v26, 0
	s_and_saveexec_b64 s[16:17], s[4:5]
	s_cbranch_execnz .LBB267_20
; %bb.16:                               ;   in Loop: Header=BB267_9 Depth=1
	s_or_b64 exec, exec, s[16:17]
	s_and_saveexec_b64 s[6:7], vcc
	s_cbranch_execnz .LBB267_21
.LBB267_17:                             ;   in Loop: Header=BB267_9 Depth=1
	s_or_b64 exec, exec, s[6:7]
	s_and_saveexec_b64 s[6:7], s[0:1]
	s_cbranch_execnz .LBB267_22
.LBB267_18:                             ;   in Loop: Header=BB267_9 Depth=1
	s_or_b64 exec, exec, s[6:7]
	s_and_saveexec_b64 s[0:1], s[2:3]
	s_cbranch_execnz .LBB267_23
.LBB267_19:                             ;   in Loop: Header=BB267_9 Depth=1
	s_or_b64 exec, exec, s[0:1]
	s_and_saveexec_b64 s[0:1], s[4:5]
	s_cbranch_execz .LBB267_8
	s_branch .LBB267_24
.LBB267_20:                             ;   in Loop: Header=BB267_9 Depth=1
	v_mov_b32_e32 v27, s9
	v_add_co_u32_e64 v26, s[6:7], s8, v5
	v_addc_co_u32_e64 v27, s[6:7], v6, v27, s[6:7]
	global_load_ushort v26, v[26:27], off
	s_waitcnt vmcnt(0)
	v_cvt_f32_f16_e32 v26, v26
	s_or_b64 exec, exec, s[16:17]
	s_and_saveexec_b64 s[6:7], vcc
	s_cbranch_execz .LBB267_17
.LBB267_21:                             ;   in Loop: Header=BB267_9 Depth=1
	v_trunc_f32_e32 v27, v24
	v_sub_f32_e32 v24, v24, v27
	v_cvt_f16_f32_e32 v24, v24
	v_mov_b32_e32 v28, s9
	v_add_co_u32_e32 v27, vcc, s8, v3
	v_addc_co_u32_e32 v28, vcc, v4, v28, vcc
	global_store_short v[27:28], v24, off
	s_or_b64 exec, exec, s[6:7]
	s_and_saveexec_b64 s[6:7], s[0:1]
	s_cbranch_execz .LBB267_18
.LBB267_22:                             ;   in Loop: Header=BB267_9 Depth=1
	v_trunc_f32_e32 v24, v25
	v_sub_f32_e32 v24, v25, v24
	v_cvt_f16_f32_e32 v27, v24
	v_mov_b32_e32 v25, s9
	v_add_co_u32_e32 v24, vcc, s8, v17
	v_addc_co_u32_e32 v25, vcc, v18, v25, vcc
	global_store_short v[24:25], v27, off
	s_or_b64 exec, exec, s[6:7]
	s_and_saveexec_b64 s[0:1], s[2:3]
	s_cbranch_execz .LBB267_19
.LBB267_23:                             ;   in Loop: Header=BB267_9 Depth=1
	v_trunc_f32_e32 v24, v23
	v_sub_f32_e32 v23, v23, v24
	v_cvt_f16_f32_e32 v25, v23
	v_mov_b32_e32 v24, s9
	v_add_co_u32_e32 v23, vcc, s8, v11
	v_addc_co_u32_e32 v24, vcc, v12, v24, vcc
	global_store_short v[23:24], v25, off
	s_or_b64 exec, exec, s[0:1]
	s_and_saveexec_b64 s[0:1], s[4:5]
	s_cbranch_execz .LBB267_8
.LBB267_24:                             ;   in Loop: Header=BB267_9 Depth=1
	v_trunc_f32_e32 v23, v26
	v_sub_f32_e32 v23, v26, v23
	v_cvt_f16_f32_e32 v25, v23
	v_mov_b32_e32 v24, s9
	v_add_co_u32_e32 v23, vcc, s8, v7
	v_addc_co_u32_e32 v24, vcc, v8, v24, vcc
	global_store_short v[23:24], v25, off
	s_branch .LBB267_8
.LBB267_25:
	s_endpgm
	.section	.rodata,"a",@progbits
	.p2align	6, 0x0
	.amdhsa_kernel _ZN2at6native12_GLOBAL__N_125multi_tensor_apply_kernelINS1_18TensorListMetadataILi2EEENS1_14UnaryOpFunctorIN3c104HalfELi2ELi1ELi1EEEJNS0_5TruncIfEEEEEvT_T0_DpT1_
		.amdhsa_group_segment_fixed_size 0
		.amdhsa_private_segment_fixed_size 0
		.amdhsa_kernarg_size 3408
		.amdhsa_user_sgpr_count 6
		.amdhsa_user_sgpr_private_segment_buffer 1
		.amdhsa_user_sgpr_dispatch_ptr 0
		.amdhsa_user_sgpr_queue_ptr 0
		.amdhsa_user_sgpr_kernarg_segment_ptr 1
		.amdhsa_user_sgpr_dispatch_id 0
		.amdhsa_user_sgpr_flat_scratch_init 0
		.amdhsa_user_sgpr_private_segment_size 0
		.amdhsa_uses_dynamic_stack 0
		.amdhsa_system_sgpr_private_segment_wavefront_offset 0
		.amdhsa_system_sgpr_workgroup_id_x 1
		.amdhsa_system_sgpr_workgroup_id_y 0
		.amdhsa_system_sgpr_workgroup_id_z 0
		.amdhsa_system_sgpr_workgroup_info 0
		.amdhsa_system_vgpr_workitem_id 0
		.amdhsa_next_free_vgpr 29
		.amdhsa_next_free_sgpr 20
		.amdhsa_reserve_vcc 1
		.amdhsa_reserve_flat_scratch 0
		.amdhsa_float_round_mode_32 0
		.amdhsa_float_round_mode_16_64 0
		.amdhsa_float_denorm_mode_32 3
		.amdhsa_float_denorm_mode_16_64 3
		.amdhsa_dx10_clamp 1
		.amdhsa_ieee_mode 1
		.amdhsa_fp16_overflow 0
		.amdhsa_exception_fp_ieee_invalid_op 0
		.amdhsa_exception_fp_denorm_src 0
		.amdhsa_exception_fp_ieee_div_zero 0
		.amdhsa_exception_fp_ieee_overflow 0
		.amdhsa_exception_fp_ieee_underflow 0
		.amdhsa_exception_fp_ieee_inexact 0
		.amdhsa_exception_int_div_zero 0
	.end_amdhsa_kernel
	.section	.text._ZN2at6native12_GLOBAL__N_125multi_tensor_apply_kernelINS1_18TensorListMetadataILi2EEENS1_14UnaryOpFunctorIN3c104HalfELi2ELi1ELi1EEEJNS0_5TruncIfEEEEEvT_T0_DpT1_,"axG",@progbits,_ZN2at6native12_GLOBAL__N_125multi_tensor_apply_kernelINS1_18TensorListMetadataILi2EEENS1_14UnaryOpFunctorIN3c104HalfELi2ELi1ELi1EEEJNS0_5TruncIfEEEEEvT_T0_DpT1_,comdat
.Lfunc_end267:
	.size	_ZN2at6native12_GLOBAL__N_125multi_tensor_apply_kernelINS1_18TensorListMetadataILi2EEENS1_14UnaryOpFunctorIN3c104HalfELi2ELi1ELi1EEEJNS0_5TruncIfEEEEEvT_T0_DpT1_, .Lfunc_end267-_ZN2at6native12_GLOBAL__N_125multi_tensor_apply_kernelINS1_18TensorListMetadataILi2EEENS1_14UnaryOpFunctorIN3c104HalfELi2ELi1ELi1EEEJNS0_5TruncIfEEEEEvT_T0_DpT1_
                                        ; -- End function
	.set _ZN2at6native12_GLOBAL__N_125multi_tensor_apply_kernelINS1_18TensorListMetadataILi2EEENS1_14UnaryOpFunctorIN3c104HalfELi2ELi1ELi1EEEJNS0_5TruncIfEEEEEvT_T0_DpT1_.num_vgpr, 29
	.set _ZN2at6native12_GLOBAL__N_125multi_tensor_apply_kernelINS1_18TensorListMetadataILi2EEENS1_14UnaryOpFunctorIN3c104HalfELi2ELi1ELi1EEEJNS0_5TruncIfEEEEEvT_T0_DpT1_.num_agpr, 0
	.set _ZN2at6native12_GLOBAL__N_125multi_tensor_apply_kernelINS1_18TensorListMetadataILi2EEENS1_14UnaryOpFunctorIN3c104HalfELi2ELi1ELi1EEEJNS0_5TruncIfEEEEEvT_T0_DpT1_.numbered_sgpr, 20
	.set _ZN2at6native12_GLOBAL__N_125multi_tensor_apply_kernelINS1_18TensorListMetadataILi2EEENS1_14UnaryOpFunctorIN3c104HalfELi2ELi1ELi1EEEJNS0_5TruncIfEEEEEvT_T0_DpT1_.num_named_barrier, 0
	.set _ZN2at6native12_GLOBAL__N_125multi_tensor_apply_kernelINS1_18TensorListMetadataILi2EEENS1_14UnaryOpFunctorIN3c104HalfELi2ELi1ELi1EEEJNS0_5TruncIfEEEEEvT_T0_DpT1_.private_seg_size, 0
	.set _ZN2at6native12_GLOBAL__N_125multi_tensor_apply_kernelINS1_18TensorListMetadataILi2EEENS1_14UnaryOpFunctorIN3c104HalfELi2ELi1ELi1EEEJNS0_5TruncIfEEEEEvT_T0_DpT1_.uses_vcc, 1
	.set _ZN2at6native12_GLOBAL__N_125multi_tensor_apply_kernelINS1_18TensorListMetadataILi2EEENS1_14UnaryOpFunctorIN3c104HalfELi2ELi1ELi1EEEJNS0_5TruncIfEEEEEvT_T0_DpT1_.uses_flat_scratch, 0
	.set _ZN2at6native12_GLOBAL__N_125multi_tensor_apply_kernelINS1_18TensorListMetadataILi2EEENS1_14UnaryOpFunctorIN3c104HalfELi2ELi1ELi1EEEJNS0_5TruncIfEEEEEvT_T0_DpT1_.has_dyn_sized_stack, 0
	.set _ZN2at6native12_GLOBAL__N_125multi_tensor_apply_kernelINS1_18TensorListMetadataILi2EEENS1_14UnaryOpFunctorIN3c104HalfELi2ELi1ELi1EEEJNS0_5TruncIfEEEEEvT_T0_DpT1_.has_recursion, 0
	.set _ZN2at6native12_GLOBAL__N_125multi_tensor_apply_kernelINS1_18TensorListMetadataILi2EEENS1_14UnaryOpFunctorIN3c104HalfELi2ELi1ELi1EEEJNS0_5TruncIfEEEEEvT_T0_DpT1_.has_indirect_call, 0
	.section	.AMDGPU.csdata,"",@progbits
; Kernel info:
; codeLenInByte = 1364
; TotalNumSgprs: 24
; NumVgprs: 29
; ScratchSize: 0
; MemoryBound: 0
; FloatMode: 240
; IeeeMode: 1
; LDSByteSize: 0 bytes/workgroup (compile time only)
; SGPRBlocks: 2
; VGPRBlocks: 7
; NumSGPRsForWavesPerEU: 24
; NumVGPRsForWavesPerEU: 29
; Occupancy: 8
; WaveLimiterHint : 0
; COMPUTE_PGM_RSRC2:SCRATCH_EN: 0
; COMPUTE_PGM_RSRC2:USER_SGPR: 6
; COMPUTE_PGM_RSRC2:TRAP_HANDLER: 0
; COMPUTE_PGM_RSRC2:TGID_X_EN: 1
; COMPUTE_PGM_RSRC2:TGID_Y_EN: 0
; COMPUTE_PGM_RSRC2:TGID_Z_EN: 0
; COMPUTE_PGM_RSRC2:TIDIG_COMP_CNT: 0
	.section	.text._ZN2at6native12_GLOBAL__N_125multi_tensor_apply_kernelINS1_18TensorListMetadataILi2EEENS1_14UnaryOpFunctorIN3c108BFloat16ELi2ELi1ELi1EEEJNS0_5TruncIfEEEEEvT_T0_DpT1_,"axG",@progbits,_ZN2at6native12_GLOBAL__N_125multi_tensor_apply_kernelINS1_18TensorListMetadataILi2EEENS1_14UnaryOpFunctorIN3c108BFloat16ELi2ELi1ELi1EEEJNS0_5TruncIfEEEEEvT_T0_DpT1_,comdat
	.globl	_ZN2at6native12_GLOBAL__N_125multi_tensor_apply_kernelINS1_18TensorListMetadataILi2EEENS1_14UnaryOpFunctorIN3c108BFloat16ELi2ELi1ELi1EEEJNS0_5TruncIfEEEEEvT_T0_DpT1_ ; -- Begin function _ZN2at6native12_GLOBAL__N_125multi_tensor_apply_kernelINS1_18TensorListMetadataILi2EEENS1_14UnaryOpFunctorIN3c108BFloat16ELi2ELi1ELi1EEEJNS0_5TruncIfEEEEEvT_T0_DpT1_
	.p2align	8
	.type	_ZN2at6native12_GLOBAL__N_125multi_tensor_apply_kernelINS1_18TensorListMetadataILi2EEENS1_14UnaryOpFunctorIN3c108BFloat16ELi2ELi1ELi1EEEJNS0_5TruncIfEEEEEvT_T0_DpT1_,@function
_ZN2at6native12_GLOBAL__N_125multi_tensor_apply_kernelINS1_18TensorListMetadataILi2EEENS1_14UnaryOpFunctorIN3c108BFloat16ELi2ELi1ELi1EEEJNS0_5TruncIfEEEEEvT_T0_DpT1_: ; @_ZN2at6native12_GLOBAL__N_125multi_tensor_apply_kernelINS1_18TensorListMetadataILi2EEENS1_14UnaryOpFunctorIN3c108BFloat16ELi2ELi1ELi1EEEJNS0_5TruncIfEEEEEvT_T0_DpT1_
; %bb.0:
	v_mov_b32_e32 v1, s6
	global_load_ubyte v1, v1, s[4:5] offset:1536
	s_add_u32 s0, s4, s6
	s_mul_hi_u32 s2, s6, 3
	s_mul_i32 s6, s6, 3
	s_addc_u32 s7, s5, 0
	s_add_u32 s6, s0, s6
	s_addc_u32 s7, s7, s2
	s_load_dword s10, s[6:7], 0x740
	s_mov_b32 s1, 0
	s_mov_b32 s3, s1
	s_waitcnt lgkmcnt(0)
	s_ashr_i32 s11, s10, 31
	s_lshl_b64 s[8:9], s[10:11], 17
	s_lshl_b64 s[10:11], s[10:11], 16
	s_waitcnt vmcnt(0)
	v_readfirstlane_b32 s0, v1
	s_lshl_b32 s0, s0, 3
	s_load_dwordx2 s[16:17], s[4:5], s0 offset:0x400
	s_load_dwordx2 s[14:15], s[4:5], s0 offset:0x0
	;; [unrolled: 1-line block ×3, first 2 shown]
	s_waitcnt lgkmcnt(0)
	s_add_u32 s0, s14, s8
	s_and_b32 s2, s6, 7
	s_and_b32 s0, s0, 7
	s_sub_u32 s12, s16, s10
	s_subb_u32 s13, s17, s11
	s_and_b32 s10, s16, 3
	s_mov_b32 s11, s1
	s_or_b64 s[2:3], s[2:3], s[10:11]
	s_or_b64 s[0:1], s[2:3], s[0:1]
	s_cmp_eq_u64 s[0:1], 0
	s_mov_b64 s[0:1], -1
	s_cbranch_scc0 .LBB268_5
; %bb.1:
	v_mov_b32_e32 v1, 0x10000
	v_mov_b32_e32 v2, 0
	v_cmp_lt_i64_e32 vcc, s[12:13], v[1:2]
	v_mov_b32_e32 v2, 0
	s_and_b64 s[0:1], vcc, exec
	s_cselect_b32 s11, s13, 0
	s_cselect_b32 s10, s12, 0x10000
	v_lshlrev_b32_e32 v1, 2, v0
	v_cmp_gt_i64_e32 vcc, s[10:11], v[1:2]
	s_and_saveexec_b64 s[16:17], vcc
	s_cbranch_execz .LBB268_4
; %bb.2:
	s_load_dword s0, s[4:5], 0xc5c
	v_mov_b32_e32 v1, v2
	v_lshlrev_b32_e32 v2, 3, v0
	v_mov_b32_e32 v4, s9
	v_add_co_u32_e32 v3, vcc, s8, v2
	s_waitcnt lgkmcnt(0)
	s_and_b32 s20, s0, 0xffff
	v_mov_b32_e32 v2, v1
	v_addc_co_u32_e32 v4, vcc, 0, v4, vcc
	s_lshl_b32 s21, s20, 3
	s_mov_b64 s[18:19], 0
	v_mov_b32_e32 v5, s15
	s_movk_i32 s22, 0x7fff
	v_mov_b32_e32 v6, s7
	v_mov_b32_e32 v7, 0x7fc00000
	;; [unrolled: 1-line block ×4, first 2 shown]
.LBB268_3:                              ; =>This Inner Loop Header: Depth=1
	v_add_co_u32_e32 v9, vcc, s14, v3
	v_addc_co_u32_e32 v10, vcc, v5, v4, vcc
	global_load_dwordx2 v[9:10], v[9:10], off
	v_add_co_u32_e32 v11, vcc, s6, v3
	v_addc_co_u32_e32 v12, vcc, v6, v4, vcc
	v_add_co_u32_e32 v1, vcc, s20, v1
	v_addc_co_u32_e32 v2, vcc, 0, v2, vcc
	v_add_co_u32_e32 v3, vcc, s21, v3
	v_lshlrev_b64 v[13:14], 2, v[1:2]
	v_addc_co_u32_e32 v4, vcc, 0, v4, vcc
	v_cmp_le_i64_e32 vcc, s[10:11], v[13:14]
	s_or_b64 s[18:19], vcc, s[18:19]
	s_waitcnt vmcnt(0)
	v_and_b32_e32 v13, 0xffff0000, v9
	v_lshlrev_b32_e32 v14, 16, v9
	v_alignbit_b32 v9, v10, v9, 16
	v_and_b32_e32 v10, 0xffff0000, v10
	v_trunc_f32_e32 v15, v14
	v_trunc_f32_e32 v16, v13
	v_and_b32_e32 v9, 0xffff0000, v9
	v_trunc_f32_e32 v17, v10
	v_sub_f32_e32 v14, v14, v15
	v_sub_f32_e32 v13, v13, v16
	v_trunc_f32_e32 v15, v9
	v_sub_f32_e32 v10, v10, v17
	v_bfe_u32 v16, v14, 16, 1
	v_bfe_u32 v17, v13, 16, 1
	v_sub_f32_e32 v9, v9, v15
	v_bfe_u32 v15, v10, 16, 1
	v_add3_u32 v16, v14, v16, s22
	v_add3_u32 v17, v13, v17, s22
	v_bfe_u32 v18, v9, 16, 1
	v_add3_u32 v15, v10, v15, s22
	v_lshrrev_b32_e32 v16, 16, v16
	v_and_b32_e32 v17, 0xffff0000, v17
	v_add3_u32 v18, v9, v18, s22
	v_and_b32_e32 v15, 0xffff0000, v15
	v_cmp_o_f32_e32 vcc, v10, v10
	v_cmp_o_f32_e64 s[0:1], v13, v13
	v_cmp_o_f32_e64 s[2:3], v14, v14
	v_lshrrev_b32_e32 v10, 16, v18
	v_cndmask_b32_e32 v13, v7, v15, vcc
	v_cndmask_b32_e64 v14, v7, v17, s[0:1]
	v_cndmask_b32_e64 v15, v8, v16, s[2:3]
	v_cmp_o_f32_e32 vcc, v9, v9
	v_cndmask_b32_e32 v9, v8, v10, vcc
	v_or_b32_e32 v14, v15, v14
	v_or3_b32 v10, 0, v9, v13
	v_or3_b32 v9, v14, 0, 0
	global_store_dwordx2 v[11:12], v[9:10], off
	s_andn2_b64 exec, exec, s[18:19]
	s_cbranch_execnz .LBB268_3
.LBB268_4:
	s_or_b64 exec, exec, s[16:17]
	s_mov_b64 s[0:1], 0
.LBB268_5:
	s_andn2_b64 vcc, exec, s[0:1]
	s_cbranch_vccnz .LBB268_25
; %bb.6:
	v_cmp_lt_i64_e64 s[0:1], s[12:13], 1
	s_and_b64 vcc, exec, s[0:1]
	s_cbranch_vccnz .LBB268_25
; %bb.7:
	v_mov_b32_e32 v1, 0x10000
	s_load_dword s2, s[4:5], 0xc5c
	v_mov_b32_e32 v2, 0
	v_cmp_lt_i64_e32 vcc, s[12:13], v[1:2]
	v_mov_b32_e32 v10, 0
	s_and_b64 s[0:1], vcc, exec
	v_cmp_lt_u64_e32 vcc, s[12:13], v[1:2]
	s_cselect_b32 s11, s13, 0
	s_cselect_b32 s10, s12, 0x10000
	s_waitcnt lgkmcnt(0)
	s_and_b32 s2, s2, 0xffff
	v_lshlrev_b32_e32 v9, 1, v0
	s_and_b64 s[0:1], vcc, exec
	v_mov_b32_e32 v2, s15
	v_add_co_u32_e32 v1, vcc, s14, v9
	v_mad_u64_u32 v[7:8], s[0:1], s2, 6, v[9:10]
	v_addc_co_u32_e32 v2, vcc, 0, v2, vcc
	v_mov_b32_e32 v4, s7
	v_add_co_u32_e32 v3, vcc, s6, v9
	v_addc_co_u32_e32 v4, vcc, 0, v4, vcc
	v_mov_b32_e32 v6, s15
	v_add_co_u32_e32 v5, vcc, s14, v7
	;; [unrolled: 3-line block ×3, first 2 shown]
	s_cselect_b32 s13, s13, 0
	s_cselect_b32 s12, s12, 0x10000
	s_lshl_b32 s18, s2, 2
	v_addc_co_u32_e32 v8, vcc, v10, v8, vcc
	v_add_co_u32_e32 v11, vcc, s18, v9
	v_addc_co_u32_e64 v12, s[0:1], 0, 0, vcc
	v_mov_b32_e32 v10, s15
	v_add_co_u32_e32 v9, vcc, s14, v11
	v_addc_co_u32_e32 v10, vcc, v10, v12, vcc
	v_mov_b32_e32 v13, s7
	v_add_co_u32_e32 v11, vcc, s6, v11
	v_addc_co_u32_e32 v12, vcc, v13, v12, vcc
	v_add_co_u32_e32 v13, vcc, s2, v0
	v_lshlrev_b32_e32 v17, 1, v13
	v_addc_co_u32_e64 v14, s[0:1], 0, 0, vcc
	v_mov_b32_e32 v16, s15
	v_add_co_u32_e32 v15, vcc, s14, v17
	v_addc_co_u32_e32 v16, vcc, 0, v16, vcc
	v_mov_b32_e32 v18, s7
	v_add_co_u32_e32 v17, vcc, s6, v17
	s_mul_i32 s4, s2, 3
	v_addc_co_u32_e32 v18, vcc, 0, v18, vcc
	s_lshl_b32 s3, s2, 1
	v_add_co_u32_e32 v19, vcc, s4, v0
	v_addc_co_u32_e64 v20, s[0:1], 0, 0, vcc
	v_add_co_u32_e32 v21, vcc, s3, v0
	s_lshl_b32 s19, s2, 3
	s_mov_b64 s[14:15], 0
	s_movk_i32 s20, 0x7fff
	v_addc_co_u32_e64 v22, s[0:1], 0, 0, vcc
	v_mov_b32_e32 v23, 0x7fc0
	s_branch .LBB268_9
.LBB268_8:                              ;   in Loop: Header=BB268_9 Depth=1
	s_or_b64 exec, exec, s[0:1]
	v_add_co_u32_e32 v1, vcc, s19, v1
	v_addc_co_u32_e32 v2, vcc, 0, v2, vcc
	v_add_co_u32_e32 v3, vcc, s19, v3
	v_addc_co_u32_e32 v4, vcc, 0, v4, vcc
	;; [unrolled: 2-line block ×6, first 2 shown]
	s_add_u32 s14, s14, s18
	v_add_co_u32_e32 v15, vcc, s19, v15
	v_mov_b32_e32 v25, s11
	s_addc_u32 s15, s15, 0
	v_addc_co_u32_e32 v16, vcc, 0, v16, vcc
	v_mov_b32_e32 v24, s10
	v_cmp_ge_i64_e32 vcc, s[14:15], v[24:25]
	v_add_co_u32_e64 v17, s[0:1], s19, v17
	v_addc_co_u32_e64 v18, s[0:1], 0, v18, s[0:1]
	s_cbranch_vccnz .LBB268_25
.LBB268_9:                              ; =>This Inner Loop Header: Depth=1
	v_mov_b32_e32 v25, s15
	v_add_co_u32_e32 v24, vcc, s14, v0
	v_addc_co_u32_e32 v25, vcc, 0, v25, vcc
	v_cmp_gt_u64_e32 vcc, s[12:13], v[24:25]
	v_mov_b32_e32 v25, 0
	s_and_saveexec_b64 s[2:3], vcc
	s_cbranch_execz .LBB268_11
; %bb.10:                               ;   in Loop: Header=BB268_9 Depth=1
	v_mov_b32_e32 v25, s9
	v_add_co_u32_e64 v24, s[0:1], s8, v1
	v_addc_co_u32_e64 v25, s[0:1], v2, v25, s[0:1]
	global_load_ushort v24, v[24:25], off
	s_waitcnt vmcnt(0)
	v_lshlrev_b32_e32 v25, 16, v24
.LBB268_11:                             ;   in Loop: Header=BB268_9 Depth=1
	s_or_b64 exec, exec, s[2:3]
	v_mov_b32_e32 v24, s15
	v_add_co_u32_e64 v26, s[0:1], s14, v13
	v_addc_co_u32_e64 v27, s[0:1], v14, v24, s[0:1]
	v_cmp_gt_u64_e64 s[0:1], s[12:13], v[26:27]
	v_mov_b32_e32 v24, 0
	v_mov_b32_e32 v26, 0
	s_and_saveexec_b64 s[4:5], s[0:1]
	s_cbranch_execz .LBB268_13
; %bb.12:                               ;   in Loop: Header=BB268_9 Depth=1
	v_mov_b32_e32 v27, s9
	v_add_co_u32_e64 v26, s[2:3], s8, v15
	v_addc_co_u32_e64 v27, s[2:3], v16, v27, s[2:3]
	global_load_ushort v26, v[26:27], off
	s_waitcnt vmcnt(0)
	v_lshlrev_b32_e32 v26, 16, v26
.LBB268_13:                             ;   in Loop: Header=BB268_9 Depth=1
	s_or_b64 exec, exec, s[4:5]
	v_mov_b32_e32 v28, s15
	v_add_co_u32_e64 v27, s[2:3], s14, v21
	v_addc_co_u32_e64 v28, s[2:3], v22, v28, s[2:3]
	v_cmp_gt_u64_e64 s[2:3], s[12:13], v[27:28]
	s_and_saveexec_b64 s[6:7], s[2:3]
	s_cbranch_execz .LBB268_15
; %bb.14:                               ;   in Loop: Header=BB268_9 Depth=1
	v_mov_b32_e32 v24, s9
	v_add_co_u32_e64 v27, s[4:5], s8, v9
	v_addc_co_u32_e64 v28, s[4:5], v10, v24, s[4:5]
	global_load_ushort v24, v[27:28], off
	s_waitcnt vmcnt(0)
	v_lshlrev_b32_e32 v24, 16, v24
.LBB268_15:                             ;   in Loop: Header=BB268_9 Depth=1
	s_or_b64 exec, exec, s[6:7]
	v_mov_b32_e32 v28, s15
	v_add_co_u32_e64 v27, s[4:5], s14, v19
	v_addc_co_u32_e64 v28, s[4:5], v20, v28, s[4:5]
	v_cmp_gt_u64_e64 s[4:5], s[12:13], v[27:28]
	v_mov_b32_e32 v27, 0
	s_and_saveexec_b64 s[16:17], s[4:5]
	s_cbranch_execnz .LBB268_20
; %bb.16:                               ;   in Loop: Header=BB268_9 Depth=1
	s_or_b64 exec, exec, s[16:17]
	s_and_saveexec_b64 s[6:7], vcc
	s_cbranch_execnz .LBB268_21
.LBB268_17:                             ;   in Loop: Header=BB268_9 Depth=1
	s_or_b64 exec, exec, s[6:7]
	s_and_saveexec_b64 s[6:7], s[0:1]
	s_cbranch_execnz .LBB268_22
.LBB268_18:                             ;   in Loop: Header=BB268_9 Depth=1
	s_or_b64 exec, exec, s[6:7]
	s_and_saveexec_b64 s[0:1], s[2:3]
	s_cbranch_execnz .LBB268_23
.LBB268_19:                             ;   in Loop: Header=BB268_9 Depth=1
	s_or_b64 exec, exec, s[0:1]
	s_and_saveexec_b64 s[0:1], s[4:5]
	s_cbranch_execz .LBB268_8
	s_branch .LBB268_24
.LBB268_20:                             ;   in Loop: Header=BB268_9 Depth=1
	v_mov_b32_e32 v28, s9
	v_add_co_u32_e64 v27, s[6:7], s8, v5
	v_addc_co_u32_e64 v28, s[6:7], v6, v28, s[6:7]
	global_load_ushort v27, v[27:28], off
	s_waitcnt vmcnt(0)
	v_lshlrev_b32_e32 v27, 16, v27
	s_or_b64 exec, exec, s[16:17]
	s_and_saveexec_b64 s[6:7], vcc
	s_cbranch_execz .LBB268_17
.LBB268_21:                             ;   in Loop: Header=BB268_9 Depth=1
	v_trunc_f32_e32 v28, v25
	v_sub_f32_e32 v25, v25, v28
	v_bfe_u32 v28, v25, 16, 1
	v_add3_u32 v28, v25, v28, s20
	v_cmp_o_f32_e32 vcc, v25, v25
	v_cndmask_b32_sdwa v25, v23, v28, vcc dst_sel:DWORD dst_unused:UNUSED_PAD src0_sel:DWORD src1_sel:WORD_1
	v_mov_b32_e32 v29, s9
	v_add_co_u32_e32 v28, vcc, s8, v3
	v_addc_co_u32_e32 v29, vcc, v4, v29, vcc
	global_store_short v[28:29], v25, off
	s_or_b64 exec, exec, s[6:7]
	s_and_saveexec_b64 s[6:7], s[0:1]
	s_cbranch_execz .LBB268_18
.LBB268_22:                             ;   in Loop: Header=BB268_9 Depth=1
	v_trunc_f32_e32 v25, v26
	v_sub_f32_e32 v25, v26, v25
	v_bfe_u32 v26, v25, 16, 1
	v_add3_u32 v26, v25, v26, s20
	v_cmp_o_f32_e32 vcc, v25, v25
	v_cndmask_b32_sdwa v28, v23, v26, vcc dst_sel:DWORD dst_unused:UNUSED_PAD src0_sel:DWORD src1_sel:WORD_1
	v_mov_b32_e32 v26, s9
	v_add_co_u32_e32 v25, vcc, s8, v17
	v_addc_co_u32_e32 v26, vcc, v18, v26, vcc
	global_store_short v[25:26], v28, off
	s_or_b64 exec, exec, s[6:7]
	s_and_saveexec_b64 s[0:1], s[2:3]
	s_cbranch_execz .LBB268_19
.LBB268_23:                             ;   in Loop: Header=BB268_9 Depth=1
	v_trunc_f32_e32 v25, v24
	v_sub_f32_e32 v24, v24, v25
	v_bfe_u32 v25, v24, 16, 1
	v_add3_u32 v25, v24, v25, s20
	v_cmp_o_f32_e32 vcc, v24, v24
	v_cndmask_b32_sdwa v26, v23, v25, vcc dst_sel:DWORD dst_unused:UNUSED_PAD src0_sel:DWORD src1_sel:WORD_1
	v_mov_b32_e32 v25, s9
	v_add_co_u32_e32 v24, vcc, s8, v11
	v_addc_co_u32_e32 v25, vcc, v12, v25, vcc
	global_store_short v[24:25], v26, off
	s_or_b64 exec, exec, s[0:1]
	s_and_saveexec_b64 s[0:1], s[4:5]
	s_cbranch_execz .LBB268_8
.LBB268_24:                             ;   in Loop: Header=BB268_9 Depth=1
	v_trunc_f32_e32 v24, v27
	v_sub_f32_e32 v24, v27, v24
	v_bfe_u32 v25, v24, 16, 1
	v_add3_u32 v25, v24, v25, s20
	v_cmp_o_f32_e32 vcc, v24, v24
	v_cndmask_b32_sdwa v26, v23, v25, vcc dst_sel:DWORD dst_unused:UNUSED_PAD src0_sel:DWORD src1_sel:WORD_1
	v_mov_b32_e32 v25, s9
	v_add_co_u32_e32 v24, vcc, s8, v7
	v_addc_co_u32_e32 v25, vcc, v8, v25, vcc
	global_store_short v[24:25], v26, off
	s_branch .LBB268_8
.LBB268_25:
	s_endpgm
	.section	.rodata,"a",@progbits
	.p2align	6, 0x0
	.amdhsa_kernel _ZN2at6native12_GLOBAL__N_125multi_tensor_apply_kernelINS1_18TensorListMetadataILi2EEENS1_14UnaryOpFunctorIN3c108BFloat16ELi2ELi1ELi1EEEJNS0_5TruncIfEEEEEvT_T0_DpT1_
		.amdhsa_group_segment_fixed_size 0
		.amdhsa_private_segment_fixed_size 0
		.amdhsa_kernarg_size 3408
		.amdhsa_user_sgpr_count 6
		.amdhsa_user_sgpr_private_segment_buffer 1
		.amdhsa_user_sgpr_dispatch_ptr 0
		.amdhsa_user_sgpr_queue_ptr 0
		.amdhsa_user_sgpr_kernarg_segment_ptr 1
		.amdhsa_user_sgpr_dispatch_id 0
		.amdhsa_user_sgpr_flat_scratch_init 0
		.amdhsa_user_sgpr_private_segment_size 0
		.amdhsa_uses_dynamic_stack 0
		.amdhsa_system_sgpr_private_segment_wavefront_offset 0
		.amdhsa_system_sgpr_workgroup_id_x 1
		.amdhsa_system_sgpr_workgroup_id_y 0
		.amdhsa_system_sgpr_workgroup_id_z 0
		.amdhsa_system_sgpr_workgroup_info 0
		.amdhsa_system_vgpr_workitem_id 0
		.amdhsa_next_free_vgpr 30
		.amdhsa_next_free_sgpr 23
		.amdhsa_reserve_vcc 1
		.amdhsa_reserve_flat_scratch 0
		.amdhsa_float_round_mode_32 0
		.amdhsa_float_round_mode_16_64 0
		.amdhsa_float_denorm_mode_32 3
		.amdhsa_float_denorm_mode_16_64 3
		.amdhsa_dx10_clamp 1
		.amdhsa_ieee_mode 1
		.amdhsa_fp16_overflow 0
		.amdhsa_exception_fp_ieee_invalid_op 0
		.amdhsa_exception_fp_denorm_src 0
		.amdhsa_exception_fp_ieee_div_zero 0
		.amdhsa_exception_fp_ieee_overflow 0
		.amdhsa_exception_fp_ieee_underflow 0
		.amdhsa_exception_fp_ieee_inexact 0
		.amdhsa_exception_int_div_zero 0
	.end_amdhsa_kernel
	.section	.text._ZN2at6native12_GLOBAL__N_125multi_tensor_apply_kernelINS1_18TensorListMetadataILi2EEENS1_14UnaryOpFunctorIN3c108BFloat16ELi2ELi1ELi1EEEJNS0_5TruncIfEEEEEvT_T0_DpT1_,"axG",@progbits,_ZN2at6native12_GLOBAL__N_125multi_tensor_apply_kernelINS1_18TensorListMetadataILi2EEENS1_14UnaryOpFunctorIN3c108BFloat16ELi2ELi1ELi1EEEJNS0_5TruncIfEEEEEvT_T0_DpT1_,comdat
.Lfunc_end268:
	.size	_ZN2at6native12_GLOBAL__N_125multi_tensor_apply_kernelINS1_18TensorListMetadataILi2EEENS1_14UnaryOpFunctorIN3c108BFloat16ELi2ELi1ELi1EEEJNS0_5TruncIfEEEEEvT_T0_DpT1_, .Lfunc_end268-_ZN2at6native12_GLOBAL__N_125multi_tensor_apply_kernelINS1_18TensorListMetadataILi2EEENS1_14UnaryOpFunctorIN3c108BFloat16ELi2ELi1ELi1EEEJNS0_5TruncIfEEEEEvT_T0_DpT1_
                                        ; -- End function
	.set _ZN2at6native12_GLOBAL__N_125multi_tensor_apply_kernelINS1_18TensorListMetadataILi2EEENS1_14UnaryOpFunctorIN3c108BFloat16ELi2ELi1ELi1EEEJNS0_5TruncIfEEEEEvT_T0_DpT1_.num_vgpr, 30
	.set _ZN2at6native12_GLOBAL__N_125multi_tensor_apply_kernelINS1_18TensorListMetadataILi2EEENS1_14UnaryOpFunctorIN3c108BFloat16ELi2ELi1ELi1EEEJNS0_5TruncIfEEEEEvT_T0_DpT1_.num_agpr, 0
	.set _ZN2at6native12_GLOBAL__N_125multi_tensor_apply_kernelINS1_18TensorListMetadataILi2EEENS1_14UnaryOpFunctorIN3c108BFloat16ELi2ELi1ELi1EEEJNS0_5TruncIfEEEEEvT_T0_DpT1_.numbered_sgpr, 23
	.set _ZN2at6native12_GLOBAL__N_125multi_tensor_apply_kernelINS1_18TensorListMetadataILi2EEENS1_14UnaryOpFunctorIN3c108BFloat16ELi2ELi1ELi1EEEJNS0_5TruncIfEEEEEvT_T0_DpT1_.num_named_barrier, 0
	.set _ZN2at6native12_GLOBAL__N_125multi_tensor_apply_kernelINS1_18TensorListMetadataILi2EEENS1_14UnaryOpFunctorIN3c108BFloat16ELi2ELi1ELi1EEEJNS0_5TruncIfEEEEEvT_T0_DpT1_.private_seg_size, 0
	.set _ZN2at6native12_GLOBAL__N_125multi_tensor_apply_kernelINS1_18TensorListMetadataILi2EEENS1_14UnaryOpFunctorIN3c108BFloat16ELi2ELi1ELi1EEEJNS0_5TruncIfEEEEEvT_T0_DpT1_.uses_vcc, 1
	.set _ZN2at6native12_GLOBAL__N_125multi_tensor_apply_kernelINS1_18TensorListMetadataILi2EEENS1_14UnaryOpFunctorIN3c108BFloat16ELi2ELi1ELi1EEEJNS0_5TruncIfEEEEEvT_T0_DpT1_.uses_flat_scratch, 0
	.set _ZN2at6native12_GLOBAL__N_125multi_tensor_apply_kernelINS1_18TensorListMetadataILi2EEENS1_14UnaryOpFunctorIN3c108BFloat16ELi2ELi1ELi1EEEJNS0_5TruncIfEEEEEvT_T0_DpT1_.has_dyn_sized_stack, 0
	.set _ZN2at6native12_GLOBAL__N_125multi_tensor_apply_kernelINS1_18TensorListMetadataILi2EEENS1_14UnaryOpFunctorIN3c108BFloat16ELi2ELi1ELi1EEEJNS0_5TruncIfEEEEEvT_T0_DpT1_.has_recursion, 0
	.set _ZN2at6native12_GLOBAL__N_125multi_tensor_apply_kernelINS1_18TensorListMetadataILi2EEENS1_14UnaryOpFunctorIN3c108BFloat16ELi2ELi1ELi1EEEJNS0_5TruncIfEEEEEvT_T0_DpT1_.has_indirect_call, 0
	.section	.AMDGPU.csdata,"",@progbits
; Kernel info:
; codeLenInByte = 1632
; TotalNumSgprs: 27
; NumVgprs: 30
; ScratchSize: 0
; MemoryBound: 0
; FloatMode: 240
; IeeeMode: 1
; LDSByteSize: 0 bytes/workgroup (compile time only)
; SGPRBlocks: 3
; VGPRBlocks: 7
; NumSGPRsForWavesPerEU: 27
; NumVGPRsForWavesPerEU: 30
; Occupancy: 8
; WaveLimiterHint : 0
; COMPUTE_PGM_RSRC2:SCRATCH_EN: 0
; COMPUTE_PGM_RSRC2:USER_SGPR: 6
; COMPUTE_PGM_RSRC2:TRAP_HANDLER: 0
; COMPUTE_PGM_RSRC2:TGID_X_EN: 1
; COMPUTE_PGM_RSRC2:TGID_Y_EN: 0
; COMPUTE_PGM_RSRC2:TGID_Z_EN: 0
; COMPUTE_PGM_RSRC2:TIDIG_COMP_CNT: 0
	.section	.text._ZN2at6native12_GLOBAL__N_125multi_tensor_apply_kernelINS1_18TensorListMetadataILi1EEENS1_14UnaryOpFunctorIdLi1ELi1ELi0EEEJNS0_5TruncIdEEEEEvT_T0_DpT1_,"axG",@progbits,_ZN2at6native12_GLOBAL__N_125multi_tensor_apply_kernelINS1_18TensorListMetadataILi1EEENS1_14UnaryOpFunctorIdLi1ELi1ELi0EEEJNS0_5TruncIdEEEEEvT_T0_DpT1_,comdat
	.globl	_ZN2at6native12_GLOBAL__N_125multi_tensor_apply_kernelINS1_18TensorListMetadataILi1EEENS1_14UnaryOpFunctorIdLi1ELi1ELi0EEEJNS0_5TruncIdEEEEEvT_T0_DpT1_ ; -- Begin function _ZN2at6native12_GLOBAL__N_125multi_tensor_apply_kernelINS1_18TensorListMetadataILi1EEENS1_14UnaryOpFunctorIdLi1ELi1ELi0EEEJNS0_5TruncIdEEEEEvT_T0_DpT1_
	.p2align	8
	.type	_ZN2at6native12_GLOBAL__N_125multi_tensor_apply_kernelINS1_18TensorListMetadataILi1EEENS1_14UnaryOpFunctorIdLi1ELi1ELi0EEEJNS0_5TruncIdEEEEEvT_T0_DpT1_,@function
_ZN2at6native12_GLOBAL__N_125multi_tensor_apply_kernelINS1_18TensorListMetadataILi1EEENS1_14UnaryOpFunctorIdLi1ELi1ELi0EEEJNS0_5TruncIdEEEEEvT_T0_DpT1_: ; @_ZN2at6native12_GLOBAL__N_125multi_tensor_apply_kernelINS1_18TensorListMetadataILi1EEENS1_14UnaryOpFunctorIdLi1ELi1ELi0EEEJNS0_5TruncIdEEEEEvT_T0_DpT1_
; %bb.0:
	v_mov_b32_e32 v1, s6
	global_load_ubyte v1, v1, s[4:5] offset:1760
	s_add_u32 s0, s4, s6
	s_mul_hi_u32 s1, s6, 3
	s_mul_i32 s6, s6, 3
	s_addc_u32 s2, s5, 0
	s_add_u32 s0, s0, s6
	s_addc_u32 s1, s2, s1
	s_load_dword s0, s[0:1], 0x820
	s_mov_b32 s7, 0
	s_waitcnt vmcnt(0)
	v_readfirstlane_b32 s1, v1
	s_lshl_b32 s1, s1, 3
	s_load_dwordx2 s[2:3], s[4:5], s1 offset:0x370
	s_load_dwordx2 s[10:11], s[4:5], s1 offset:0x0
	s_waitcnt lgkmcnt(0)
	s_ashr_i32 s1, s0, 31
	s_lshl_b64 s[12:13], s[0:1], 19
	s_lshl_b64 s[0:1], s[0:1], 16
	s_and_b32 s6, s10, 31
	s_sub_u32 s14, s2, s0
	s_subb_u32 s15, s3, s1
	s_and_b32 s0, s2, 3
	s_mov_b32 s1, s7
	s_or_b64 s[0:1], s[6:7], s[0:1]
	s_cmp_eq_u64 s[0:1], 0
	s_cbranch_scc1 .LBB269_21
; %bb.1:
	v_cmp_lt_i64_e64 s[0:1], s[14:15], 1
	s_and_b64 vcc, exec, s[0:1]
	s_cbranch_vccnz .LBB269_20
; %bb.2:
	v_mov_b32_e32 v1, 0x10000
	s_load_dword s2, s[4:5], 0xd3c
	v_mov_b32_e32 v2, 0
	v_cmp_lt_i64_e32 vcc, s[14:15], v[1:2]
	s_mov_b64 s[20:21], 0
	s_and_b64 s[0:1], vcc, exec
	v_cmp_lt_u64_e32 vcc, s[14:15], v[1:2]
	s_cselect_b32 s17, s15, 0
	s_cselect_b32 s16, s14, 0x10000
	s_waitcnt lgkmcnt(0)
	s_and_b32 s2, s2, 0xffff
	s_and_b64 s[0:1], vcc, exec
	s_cselect_b32 s19, s15, 0
	s_cselect_b32 s18, s14, 0x10000
	s_lshl_b32 s3, s2, 1
	s_lshl_b32 s24, s2, 2
	s_add_u32 s6, s10, s12
	v_lshlrev_b32_e32 v1, 3, v0
	s_addc_u32 s7, s11, s13
	v_mov_b32_e32 v2, s7
	v_add_co_u32_e32 v1, vcc, s6, v1
	s_mul_i32 s0, s2, 3
	v_addc_co_u32_e32 v2, vcc, 0, v2, vcc
	v_add_co_u32_e32 v13, vcc, s0, v0
	v_addc_co_u32_e64 v14, s[0:1], 0, 0, vcc
	v_add_co_u32_e32 v15, vcc, s3, v0
	v_addc_co_u32_e64 v16, s[0:1], 0, 0, vcc
	v_add_co_u32_e32 v17, vcc, s2, v0
	v_lshlrev_b32_e32 v3, 3, v17
	v_addc_co_u32_e64 v18, s[0:1], 0, 0, vcc
	v_mov_b32_e32 v4, s7
	v_add_co_u32_e32 v3, vcc, s6, v3
	s_lshl_b32 s25, s2, 5
	s_mul_i32 s26, s2, 24
	s_lshl_b32 s27, s2, 4
	v_addc_co_u32_e32 v4, vcc, 0, v4, vcc
	s_branch .LBB269_4
.LBB269_3:                              ;   in Loop: Header=BB269_4 Depth=1
	s_or_b64 exec, exec, s[0:1]
	s_add_u32 s20, s20, s24
	v_add_co_u32_e32 v1, vcc, s25, v1
	s_waitcnt vmcnt(0)
	v_mov_b32_e32 v5, s16
	s_addc_u32 s21, s21, 0
	v_addc_co_u32_e32 v2, vcc, 0, v2, vcc
	v_mov_b32_e32 v6, s17
	v_cmp_lt_i64_e32 vcc, s[20:21], v[5:6]
	v_add_co_u32_e64 v3, s[0:1], s25, v3
	v_addc_co_u32_e64 v4, s[0:1], 0, v4, s[0:1]
	s_cbranch_vccz .LBB269_20
.LBB269_4:                              ; =>This Inner Loop Header: Depth=1
	v_mov_b32_e32 v6, s21
	v_add_co_u32_e32 v5, vcc, s20, v0
	v_addc_co_u32_e32 v6, vcc, 0, v6, vcc
	v_cmp_gt_u64_e32 vcc, s[18:19], v[5:6]
	v_mov_b32_e32 v5, 0
	v_mov_b32_e32 v7, 0
	;; [unrolled: 1-line block ×4, first 2 shown]
	s_and_saveexec_b64 s[0:1], vcc
	s_cbranch_execz .LBB269_6
; %bb.5:                                ;   in Loop: Header=BB269_4 Depth=1
	global_load_dwordx2 v[7:8], v[1:2], off
.LBB269_6:                              ;   in Loop: Header=BB269_4 Depth=1
	s_or_b64 exec, exec, s[0:1]
	v_mov_b32_e32 v10, s21
	v_add_co_u32_e64 v9, s[0:1], s20, v17
	v_addc_co_u32_e64 v10, s[0:1], v18, v10, s[0:1]
	v_cmp_gt_u64_e64 s[0:1], s[18:19], v[9:10]
	s_and_saveexec_b64 s[2:3], s[0:1]
	s_cbranch_execz .LBB269_8
; %bb.7:                                ;   in Loop: Header=BB269_4 Depth=1
	global_load_dwordx2 v[5:6], v[3:4], off
.LBB269_8:                              ;   in Loop: Header=BB269_4 Depth=1
	s_or_b64 exec, exec, s[2:3]
	v_mov_b32_e32 v10, s21
	v_add_co_u32_e64 v9, s[2:3], s20, v15
	v_addc_co_u32_e64 v10, s[2:3], v16, v10, s[2:3]
	v_cmp_gt_u64_e64 s[2:3], s[18:19], v[9:10]
	v_mov_b32_e32 v9, 0
	v_mov_b32_e32 v11, 0
	;; [unrolled: 1-line block ×4, first 2 shown]
	s_and_saveexec_b64 s[8:9], s[2:3]
	s_cbranch_execz .LBB269_10
; %bb.9:                                ;   in Loop: Header=BB269_4 Depth=1
	v_add_co_u32_e64 v11, s[6:7], s27, v1
	v_addc_co_u32_e64 v12, s[6:7], 0, v2, s[6:7]
	global_load_dwordx2 v[11:12], v[11:12], off
.LBB269_10:                             ;   in Loop: Header=BB269_4 Depth=1
	s_or_b64 exec, exec, s[8:9]
	v_mov_b32_e32 v20, s21
	v_add_co_u32_e64 v19, s[6:7], s20, v13
	v_addc_co_u32_e64 v20, s[6:7], v14, v20, s[6:7]
	v_cmp_gt_u64_e64 s[6:7], s[18:19], v[19:20]
	s_and_saveexec_b64 s[22:23], s[6:7]
	s_cbranch_execnz .LBB269_15
; %bb.11:                               ;   in Loop: Header=BB269_4 Depth=1
	s_or_b64 exec, exec, s[22:23]
	s_and_saveexec_b64 s[8:9], vcc
	s_cbranch_execnz .LBB269_16
.LBB269_12:                             ;   in Loop: Header=BB269_4 Depth=1
	s_or_b64 exec, exec, s[8:9]
	s_and_saveexec_b64 s[8:9], s[0:1]
	s_cbranch_execnz .LBB269_17
.LBB269_13:                             ;   in Loop: Header=BB269_4 Depth=1
	s_or_b64 exec, exec, s[8:9]
	s_and_saveexec_b64 s[0:1], s[2:3]
	s_cbranch_execnz .LBB269_18
.LBB269_14:                             ;   in Loop: Header=BB269_4 Depth=1
	s_or_b64 exec, exec, s[0:1]
	s_and_saveexec_b64 s[0:1], s[6:7]
	s_cbranch_execz .LBB269_3
	s_branch .LBB269_19
.LBB269_15:                             ;   in Loop: Header=BB269_4 Depth=1
	v_add_co_u32_e64 v9, s[8:9], s26, v1
	v_addc_co_u32_e64 v10, s[8:9], 0, v2, s[8:9]
	global_load_dwordx2 v[9:10], v[9:10], off
	s_or_b64 exec, exec, s[22:23]
	s_and_saveexec_b64 s[8:9], vcc
	s_cbranch_execz .LBB269_12
.LBB269_16:                             ;   in Loop: Header=BB269_4 Depth=1
	s_waitcnt vmcnt(0)
	v_trunc_f64_e32 v[19:20], v[7:8]
	v_add_f64 v[7:8], v[7:8], -v[19:20]
	global_store_dwordx2 v[1:2], v[7:8], off
	s_or_b64 exec, exec, s[8:9]
	s_and_saveexec_b64 s[8:9], s[0:1]
	s_cbranch_execz .LBB269_13
.LBB269_17:                             ;   in Loop: Header=BB269_4 Depth=1
	s_waitcnt vmcnt(0)
	v_trunc_f64_e32 v[7:8], v[5:6]
	v_add_f64 v[5:6], v[5:6], -v[7:8]
	global_store_dwordx2 v[3:4], v[5:6], off
	s_or_b64 exec, exec, s[8:9]
	s_and_saveexec_b64 s[0:1], s[2:3]
	s_cbranch_execz .LBB269_14
.LBB269_18:                             ;   in Loop: Header=BB269_4 Depth=1
	s_waitcnt vmcnt(0)
	v_trunc_f64_e32 v[5:6], v[11:12]
	v_add_co_u32_e32 v7, vcc, s27, v1
	v_addc_co_u32_e32 v8, vcc, 0, v2, vcc
	v_add_f64 v[5:6], v[11:12], -v[5:6]
	global_store_dwordx2 v[7:8], v[5:6], off
	s_or_b64 exec, exec, s[0:1]
	s_and_saveexec_b64 s[0:1], s[6:7]
	s_cbranch_execz .LBB269_3
.LBB269_19:                             ;   in Loop: Header=BB269_4 Depth=1
	s_waitcnt vmcnt(0)
	v_trunc_f64_e32 v[5:6], v[9:10]
	v_add_co_u32_e32 v7, vcc, s26, v1
	v_addc_co_u32_e32 v8, vcc, 0, v2, vcc
	v_add_f64 v[5:6], v[9:10], -v[5:6]
	global_store_dwordx2 v[7:8], v[5:6], off
	s_branch .LBB269_3
.LBB269_20:
	s_cbranch_execz .LBB269_22
	s_branch .LBB269_25
.LBB269_21:
.LBB269_22:
	v_mov_b32_e32 v1, 0x10000
	v_mov_b32_e32 v2, 0
	v_cmp_lt_i64_e32 vcc, s[14:15], v[1:2]
	v_mov_b32_e32 v2, 0
	s_and_b64 s[0:1], vcc, exec
	s_cselect_b32 s1, s15, 0
	s_cselect_b32 s0, s14, 0x10000
	v_lshlrev_b32_e32 v1, 2, v0
	v_cmp_gt_i64_e32 vcc, s[0:1], v[1:2]
	s_and_saveexec_b64 s[2:3], vcc
	s_cbranch_execz .LBB269_25
; %bb.23:
	s_load_dword s2, s[4:5], 0xd3c
	v_mov_b32_e32 v1, v2
	v_lshlrev_b32_e32 v2, 5, v0
	s_waitcnt lgkmcnt(0)
	s_and_b32 s4, s2, 0xffff
	s_add_u32 s2, s10, s12
	s_addc_u32 s3, s11, s13
	v_mov_b32_e32 v3, s3
	v_add_co_u32_e32 v2, vcc, s2, v2
	v_addc_co_u32_e32 v3, vcc, 0, v3, vcc
	v_add_co_u32_e32 v2, vcc, 16, v2
	v_addc_co_u32_e32 v3, vcc, 0, v3, vcc
	s_lshl_b32 s5, s4, 5
	s_mov_b64 s[2:3], 0
.LBB269_24:                             ; =>This Inner Loop Header: Depth=1
	global_load_dwordx4 v[4:7], v[2:3], off offset:-16
	global_load_dwordx4 v[8:11], v[2:3], off
	v_add_co_u32_e32 v0, vcc, s4, v0
	v_addc_co_u32_e32 v1, vcc, 0, v1, vcc
	s_waitcnt vmcnt(1)
	v_trunc_f64_e32 v[12:13], v[4:5]
	v_trunc_f64_e32 v[14:15], v[6:7]
	s_waitcnt vmcnt(0)
	v_trunc_f64_e32 v[16:17], v[8:9]
	v_add_f64 v[4:5], v[4:5], -v[12:13]
	v_trunc_f64_e32 v[12:13], v[10:11]
	v_add_f64 v[6:7], v[6:7], -v[14:15]
	v_add_f64 v[8:9], v[8:9], -v[16:17]
	v_add_f64 v[10:11], v[10:11], -v[12:13]
	v_lshlrev_b64 v[12:13], 2, v[0:1]
	global_store_dwordx4 v[2:3], v[4:7], off offset:-16
	global_store_dwordx4 v[2:3], v[8:11], off
	v_cmp_le_i64_e32 vcc, s[0:1], v[12:13]
	s_or_b64 s[2:3], vcc, s[2:3]
	v_add_co_u32_e32 v2, vcc, s5, v2
	v_addc_co_u32_e32 v3, vcc, 0, v3, vcc
	s_andn2_b64 exec, exec, s[2:3]
	s_cbranch_execnz .LBB269_24
.LBB269_25:
	s_endpgm
	.section	.rodata,"a",@progbits
	.p2align	6, 0x0
	.amdhsa_kernel _ZN2at6native12_GLOBAL__N_125multi_tensor_apply_kernelINS1_18TensorListMetadataILi1EEENS1_14UnaryOpFunctorIdLi1ELi1ELi0EEEJNS0_5TruncIdEEEEEvT_T0_DpT1_
		.amdhsa_group_segment_fixed_size 0
		.amdhsa_private_segment_fixed_size 0
		.amdhsa_kernarg_size 3632
		.amdhsa_user_sgpr_count 6
		.amdhsa_user_sgpr_private_segment_buffer 1
		.amdhsa_user_sgpr_dispatch_ptr 0
		.amdhsa_user_sgpr_queue_ptr 0
		.amdhsa_user_sgpr_kernarg_segment_ptr 1
		.amdhsa_user_sgpr_dispatch_id 0
		.amdhsa_user_sgpr_flat_scratch_init 0
		.amdhsa_user_sgpr_private_segment_size 0
		.amdhsa_uses_dynamic_stack 0
		.amdhsa_system_sgpr_private_segment_wavefront_offset 0
		.amdhsa_system_sgpr_workgroup_id_x 1
		.amdhsa_system_sgpr_workgroup_id_y 0
		.amdhsa_system_sgpr_workgroup_id_z 0
		.amdhsa_system_sgpr_workgroup_info 0
		.amdhsa_system_vgpr_workitem_id 0
		.amdhsa_next_free_vgpr 21
		.amdhsa_next_free_sgpr 28
		.amdhsa_reserve_vcc 1
		.amdhsa_reserve_flat_scratch 0
		.amdhsa_float_round_mode_32 0
		.amdhsa_float_round_mode_16_64 0
		.amdhsa_float_denorm_mode_32 3
		.amdhsa_float_denorm_mode_16_64 3
		.amdhsa_dx10_clamp 1
		.amdhsa_ieee_mode 1
		.amdhsa_fp16_overflow 0
		.amdhsa_exception_fp_ieee_invalid_op 0
		.amdhsa_exception_fp_denorm_src 0
		.amdhsa_exception_fp_ieee_div_zero 0
		.amdhsa_exception_fp_ieee_overflow 0
		.amdhsa_exception_fp_ieee_underflow 0
		.amdhsa_exception_fp_ieee_inexact 0
		.amdhsa_exception_int_div_zero 0
	.end_amdhsa_kernel
	.section	.text._ZN2at6native12_GLOBAL__N_125multi_tensor_apply_kernelINS1_18TensorListMetadataILi1EEENS1_14UnaryOpFunctorIdLi1ELi1ELi0EEEJNS0_5TruncIdEEEEEvT_T0_DpT1_,"axG",@progbits,_ZN2at6native12_GLOBAL__N_125multi_tensor_apply_kernelINS1_18TensorListMetadataILi1EEENS1_14UnaryOpFunctorIdLi1ELi1ELi0EEEJNS0_5TruncIdEEEEEvT_T0_DpT1_,comdat
.Lfunc_end269:
	.size	_ZN2at6native12_GLOBAL__N_125multi_tensor_apply_kernelINS1_18TensorListMetadataILi1EEENS1_14UnaryOpFunctorIdLi1ELi1ELi0EEEJNS0_5TruncIdEEEEEvT_T0_DpT1_, .Lfunc_end269-_ZN2at6native12_GLOBAL__N_125multi_tensor_apply_kernelINS1_18TensorListMetadataILi1EEENS1_14UnaryOpFunctorIdLi1ELi1ELi0EEEJNS0_5TruncIdEEEEEvT_T0_DpT1_
                                        ; -- End function
	.set _ZN2at6native12_GLOBAL__N_125multi_tensor_apply_kernelINS1_18TensorListMetadataILi1EEENS1_14UnaryOpFunctorIdLi1ELi1ELi0EEEJNS0_5TruncIdEEEEEvT_T0_DpT1_.num_vgpr, 21
	.set _ZN2at6native12_GLOBAL__N_125multi_tensor_apply_kernelINS1_18TensorListMetadataILi1EEENS1_14UnaryOpFunctorIdLi1ELi1ELi0EEEJNS0_5TruncIdEEEEEvT_T0_DpT1_.num_agpr, 0
	.set _ZN2at6native12_GLOBAL__N_125multi_tensor_apply_kernelINS1_18TensorListMetadataILi1EEENS1_14UnaryOpFunctorIdLi1ELi1ELi0EEEJNS0_5TruncIdEEEEEvT_T0_DpT1_.numbered_sgpr, 28
	.set _ZN2at6native12_GLOBAL__N_125multi_tensor_apply_kernelINS1_18TensorListMetadataILi1EEENS1_14UnaryOpFunctorIdLi1ELi1ELi0EEEJNS0_5TruncIdEEEEEvT_T0_DpT1_.num_named_barrier, 0
	.set _ZN2at6native12_GLOBAL__N_125multi_tensor_apply_kernelINS1_18TensorListMetadataILi1EEENS1_14UnaryOpFunctorIdLi1ELi1ELi0EEEJNS0_5TruncIdEEEEEvT_T0_DpT1_.private_seg_size, 0
	.set _ZN2at6native12_GLOBAL__N_125multi_tensor_apply_kernelINS1_18TensorListMetadataILi1EEENS1_14UnaryOpFunctorIdLi1ELi1ELi0EEEJNS0_5TruncIdEEEEEvT_T0_DpT1_.uses_vcc, 1
	.set _ZN2at6native12_GLOBAL__N_125multi_tensor_apply_kernelINS1_18TensorListMetadataILi1EEENS1_14UnaryOpFunctorIdLi1ELi1ELi0EEEJNS0_5TruncIdEEEEEvT_T0_DpT1_.uses_flat_scratch, 0
	.set _ZN2at6native12_GLOBAL__N_125multi_tensor_apply_kernelINS1_18TensorListMetadataILi1EEENS1_14UnaryOpFunctorIdLi1ELi1ELi0EEEJNS0_5TruncIdEEEEEvT_T0_DpT1_.has_dyn_sized_stack, 0
	.set _ZN2at6native12_GLOBAL__N_125multi_tensor_apply_kernelINS1_18TensorListMetadataILi1EEENS1_14UnaryOpFunctorIdLi1ELi1ELi0EEEJNS0_5TruncIdEEEEEvT_T0_DpT1_.has_recursion, 0
	.set _ZN2at6native12_GLOBAL__N_125multi_tensor_apply_kernelINS1_18TensorListMetadataILi1EEENS1_14UnaryOpFunctorIdLi1ELi1ELi0EEEJNS0_5TruncIdEEEEEvT_T0_DpT1_.has_indirect_call, 0
	.section	.AMDGPU.csdata,"",@progbits
; Kernel info:
; codeLenInByte = 1088
; TotalNumSgprs: 32
; NumVgprs: 21
; ScratchSize: 0
; MemoryBound: 0
; FloatMode: 240
; IeeeMode: 1
; LDSByteSize: 0 bytes/workgroup (compile time only)
; SGPRBlocks: 3
; VGPRBlocks: 5
; NumSGPRsForWavesPerEU: 32
; NumVGPRsForWavesPerEU: 21
; Occupancy: 10
; WaveLimiterHint : 0
; COMPUTE_PGM_RSRC2:SCRATCH_EN: 0
; COMPUTE_PGM_RSRC2:USER_SGPR: 6
; COMPUTE_PGM_RSRC2:TRAP_HANDLER: 0
; COMPUTE_PGM_RSRC2:TGID_X_EN: 1
; COMPUTE_PGM_RSRC2:TGID_Y_EN: 0
; COMPUTE_PGM_RSRC2:TGID_Z_EN: 0
; COMPUTE_PGM_RSRC2:TIDIG_COMP_CNT: 0
	.section	.text._ZN2at6native12_GLOBAL__N_125multi_tensor_apply_kernelINS1_18TensorListMetadataILi1EEENS1_14UnaryOpFunctorIfLi1ELi1ELi0EEEJNS0_5TruncIfEEEEEvT_T0_DpT1_,"axG",@progbits,_ZN2at6native12_GLOBAL__N_125multi_tensor_apply_kernelINS1_18TensorListMetadataILi1EEENS1_14UnaryOpFunctorIfLi1ELi1ELi0EEEJNS0_5TruncIfEEEEEvT_T0_DpT1_,comdat
	.globl	_ZN2at6native12_GLOBAL__N_125multi_tensor_apply_kernelINS1_18TensorListMetadataILi1EEENS1_14UnaryOpFunctorIfLi1ELi1ELi0EEEJNS0_5TruncIfEEEEEvT_T0_DpT1_ ; -- Begin function _ZN2at6native12_GLOBAL__N_125multi_tensor_apply_kernelINS1_18TensorListMetadataILi1EEENS1_14UnaryOpFunctorIfLi1ELi1ELi0EEEJNS0_5TruncIfEEEEEvT_T0_DpT1_
	.p2align	8
	.type	_ZN2at6native12_GLOBAL__N_125multi_tensor_apply_kernelINS1_18TensorListMetadataILi1EEENS1_14UnaryOpFunctorIfLi1ELi1ELi0EEEJNS0_5TruncIfEEEEEvT_T0_DpT1_,@function
_ZN2at6native12_GLOBAL__N_125multi_tensor_apply_kernelINS1_18TensorListMetadataILi1EEENS1_14UnaryOpFunctorIfLi1ELi1ELi0EEEJNS0_5TruncIfEEEEEvT_T0_DpT1_: ; @_ZN2at6native12_GLOBAL__N_125multi_tensor_apply_kernelINS1_18TensorListMetadataILi1EEENS1_14UnaryOpFunctorIfLi1ELi1ELi0EEEJNS0_5TruncIfEEEEEvT_T0_DpT1_
; %bb.0:
	v_mov_b32_e32 v1, s6
	global_load_ubyte v1, v1, s[4:5] offset:1760
	s_add_u32 s0, s4, s6
	s_mul_hi_u32 s1, s6, 3
	s_mul_i32 s6, s6, 3
	s_addc_u32 s2, s5, 0
	s_add_u32 s0, s0, s6
	s_addc_u32 s1, s2, s1
	s_load_dword s0, s[0:1], 0x820
	s_mov_b32 s7, 0
	s_waitcnt vmcnt(0)
	v_readfirstlane_b32 s1, v1
	s_lshl_b32 s1, s1, 3
	s_load_dwordx2 s[2:3], s[4:5], s1 offset:0x370
	s_load_dwordx2 s[10:11], s[4:5], s1 offset:0x0
	s_waitcnt lgkmcnt(0)
	s_ashr_i32 s1, s0, 31
	s_lshl_b64 s[12:13], s[0:1], 18
	s_lshl_b64 s[0:1], s[0:1], 16
	s_and_b32 s6, s10, 15
	s_sub_u32 s14, s2, s0
	s_subb_u32 s15, s3, s1
	s_and_b32 s0, s2, 3
	s_mov_b32 s1, s7
	s_or_b64 s[0:1], s[6:7], s[0:1]
	s_cmp_eq_u64 s[0:1], 0
	s_cbranch_scc1 .LBB270_21
; %bb.1:
	v_cmp_lt_i64_e64 s[0:1], s[14:15], 1
	s_and_b64 vcc, exec, s[0:1]
	s_cbranch_vccnz .LBB270_20
; %bb.2:
	v_mov_b32_e32 v1, 0x10000
	s_load_dword s2, s[4:5], 0xd3c
	v_mov_b32_e32 v2, 0
	v_cmp_lt_i64_e32 vcc, s[14:15], v[1:2]
	s_mov_b64 s[20:21], 0
	s_and_b64 s[0:1], vcc, exec
	v_cmp_lt_u64_e32 vcc, s[14:15], v[1:2]
	s_cselect_b32 s17, s15, 0
	s_cselect_b32 s16, s14, 0x10000
	s_waitcnt lgkmcnt(0)
	s_and_b32 s2, s2, 0xffff
	s_and_b64 s[0:1], vcc, exec
	s_cselect_b32 s19, s15, 0
	s_cselect_b32 s18, s14, 0x10000
	s_lshl_b32 s3, s2, 1
	s_lshl_b32 s24, s2, 2
	s_add_u32 s6, s10, s12
	v_lshlrev_b32_e32 v1, 2, v0
	s_addc_u32 s7, s11, s13
	v_mov_b32_e32 v2, s7
	v_add_co_u32_e32 v1, vcc, s6, v1
	s_mul_i32 s0, s2, 3
	v_addc_co_u32_e32 v2, vcc, 0, v2, vcc
	v_add_co_u32_e32 v5, vcc, s0, v0
	v_addc_co_u32_e64 v6, s[0:1], 0, 0, vcc
	v_add_co_u32_e32 v7, vcc, s3, v0
	v_addc_co_u32_e64 v8, s[0:1], 0, 0, vcc
	v_add_co_u32_e32 v9, vcc, s2, v0
	v_lshlrev_b32_e32 v3, 2, v9
	v_addc_co_u32_e64 v10, s[0:1], 0, 0, vcc
	v_mov_b32_e32 v4, s7
	v_add_co_u32_e32 v3, vcc, s6, v3
	s_lshl_b32 s25, s2, 4
	s_mul_i32 s26, s2, 12
	s_lshl_b32 s27, s2, 3
	v_addc_co_u32_e32 v4, vcc, 0, v4, vcc
	s_branch .LBB270_4
.LBB270_3:                              ;   in Loop: Header=BB270_4 Depth=1
	s_or_b64 exec, exec, s[0:1]
	s_add_u32 s20, s20, s24
	v_add_co_u32_e32 v1, vcc, s25, v1
	s_waitcnt vmcnt(0)
	v_mov_b32_e32 v11, s16
	s_addc_u32 s21, s21, 0
	v_addc_co_u32_e32 v2, vcc, 0, v2, vcc
	v_mov_b32_e32 v12, s17
	v_cmp_lt_i64_e32 vcc, s[20:21], v[11:12]
	v_add_co_u32_e64 v3, s[0:1], s25, v3
	v_addc_co_u32_e64 v4, s[0:1], 0, v4, s[0:1]
	s_cbranch_vccz .LBB270_20
.LBB270_4:                              ; =>This Inner Loop Header: Depth=1
	v_mov_b32_e32 v12, s21
	v_add_co_u32_e32 v11, vcc, s20, v0
	v_addc_co_u32_e32 v12, vcc, 0, v12, vcc
	v_cmp_gt_u64_e32 vcc, s[18:19], v[11:12]
	v_mov_b32_e32 v11, 0
	s_and_saveexec_b64 s[0:1], vcc
	s_cbranch_execz .LBB270_6
; %bb.5:                                ;   in Loop: Header=BB270_4 Depth=1
	global_load_dword v11, v[1:2], off
.LBB270_6:                              ;   in Loop: Header=BB270_4 Depth=1
	s_or_b64 exec, exec, s[0:1]
	v_mov_b32_e32 v13, s21
	v_add_co_u32_e64 v12, s[0:1], s20, v9
	v_addc_co_u32_e64 v13, s[0:1], v10, v13, s[0:1]
	v_cmp_gt_u64_e64 s[0:1], s[18:19], v[12:13]
	v_mov_b32_e32 v12, 0
	v_mov_b32_e32 v13, 0
	s_and_saveexec_b64 s[2:3], s[0:1]
	s_cbranch_execz .LBB270_8
; %bb.7:                                ;   in Loop: Header=BB270_4 Depth=1
	global_load_dword v13, v[3:4], off
.LBB270_8:                              ;   in Loop: Header=BB270_4 Depth=1
	s_or_b64 exec, exec, s[2:3]
	v_mov_b32_e32 v15, s21
	v_add_co_u32_e64 v14, s[2:3], s20, v7
	v_addc_co_u32_e64 v15, s[2:3], v8, v15, s[2:3]
	v_cmp_gt_u64_e64 s[2:3], s[18:19], v[14:15]
	s_and_saveexec_b64 s[8:9], s[2:3]
	s_cbranch_execz .LBB270_10
; %bb.9:                                ;   in Loop: Header=BB270_4 Depth=1
	v_add_co_u32_e64 v14, s[6:7], s27, v1
	v_addc_co_u32_e64 v15, s[6:7], 0, v2, s[6:7]
	global_load_dword v12, v[14:15], off
.LBB270_10:                             ;   in Loop: Header=BB270_4 Depth=1
	s_or_b64 exec, exec, s[8:9]
	v_mov_b32_e32 v15, s21
	v_add_co_u32_e64 v14, s[6:7], s20, v5
	v_addc_co_u32_e64 v15, s[6:7], v6, v15, s[6:7]
	v_cmp_gt_u64_e64 s[6:7], s[18:19], v[14:15]
	v_mov_b32_e32 v14, 0
	s_and_saveexec_b64 s[22:23], s[6:7]
	s_cbranch_execnz .LBB270_15
; %bb.11:                               ;   in Loop: Header=BB270_4 Depth=1
	s_or_b64 exec, exec, s[22:23]
	s_and_saveexec_b64 s[8:9], vcc
	s_cbranch_execnz .LBB270_16
.LBB270_12:                             ;   in Loop: Header=BB270_4 Depth=1
	s_or_b64 exec, exec, s[8:9]
	s_and_saveexec_b64 s[8:9], s[0:1]
	s_cbranch_execnz .LBB270_17
.LBB270_13:                             ;   in Loop: Header=BB270_4 Depth=1
	s_or_b64 exec, exec, s[8:9]
	s_and_saveexec_b64 s[0:1], s[2:3]
	s_cbranch_execnz .LBB270_18
.LBB270_14:                             ;   in Loop: Header=BB270_4 Depth=1
	s_or_b64 exec, exec, s[0:1]
	s_and_saveexec_b64 s[0:1], s[6:7]
	s_cbranch_execz .LBB270_3
	s_branch .LBB270_19
.LBB270_15:                             ;   in Loop: Header=BB270_4 Depth=1
	v_add_co_u32_e64 v14, s[8:9], s26, v1
	v_addc_co_u32_e64 v15, s[8:9], 0, v2, s[8:9]
	global_load_dword v14, v[14:15], off
	s_or_b64 exec, exec, s[22:23]
	s_and_saveexec_b64 s[8:9], vcc
	s_cbranch_execz .LBB270_12
.LBB270_16:                             ;   in Loop: Header=BB270_4 Depth=1
	s_waitcnt vmcnt(0)
	v_trunc_f32_e32 v15, v11
	v_sub_f32_e32 v11, v11, v15
	global_store_dword v[1:2], v11, off
	s_or_b64 exec, exec, s[8:9]
	s_and_saveexec_b64 s[8:9], s[0:1]
	s_cbranch_execz .LBB270_13
.LBB270_17:                             ;   in Loop: Header=BB270_4 Depth=1
	s_waitcnt vmcnt(0)
	v_trunc_f32_e32 v11, v13
	v_sub_f32_e32 v11, v13, v11
	global_store_dword v[3:4], v11, off
	s_or_b64 exec, exec, s[8:9]
	s_and_saveexec_b64 s[0:1], s[2:3]
	s_cbranch_execz .LBB270_14
.LBB270_18:                             ;   in Loop: Header=BB270_4 Depth=1
	s_waitcnt vmcnt(0)
	v_trunc_f32_e32 v11, v12
	v_sub_f32_e32 v13, v12, v11
	v_add_co_u32_e32 v11, vcc, s27, v1
	v_addc_co_u32_e32 v12, vcc, 0, v2, vcc
	global_store_dword v[11:12], v13, off
	s_or_b64 exec, exec, s[0:1]
	s_and_saveexec_b64 s[0:1], s[6:7]
	s_cbranch_execz .LBB270_3
.LBB270_19:                             ;   in Loop: Header=BB270_4 Depth=1
	s_waitcnt vmcnt(0)
	v_trunc_f32_e32 v11, v14
	v_sub_f32_e32 v13, v14, v11
	v_add_co_u32_e32 v11, vcc, s26, v1
	v_addc_co_u32_e32 v12, vcc, 0, v2, vcc
	global_store_dword v[11:12], v13, off
	s_branch .LBB270_3
.LBB270_20:
	s_cbranch_execz .LBB270_22
	s_branch .LBB270_25
.LBB270_21:
.LBB270_22:
	v_mov_b32_e32 v1, 0x10000
	v_mov_b32_e32 v2, 0
	v_cmp_lt_i64_e32 vcc, s[14:15], v[1:2]
	v_mov_b32_e32 v2, 0
	s_and_b64 s[0:1], vcc, exec
	s_cselect_b32 s1, s15, 0
	s_cselect_b32 s0, s14, 0x10000
	v_lshlrev_b32_e32 v1, 2, v0
	v_cmp_gt_i64_e32 vcc, s[0:1], v[1:2]
	s_and_saveexec_b64 s[2:3], vcc
	s_cbranch_execz .LBB270_25
; %bb.23:
	s_load_dword s2, s[4:5], 0xd3c
	v_mov_b32_e32 v1, v2
	v_lshlrev_b32_e32 v2, 4, v0
	s_waitcnt lgkmcnt(0)
	s_and_b32 s4, s2, 0xffff
	s_add_u32 s2, s10, s12
	s_addc_u32 s3, s11, s13
	v_mov_b32_e32 v3, s3
	v_add_co_u32_e32 v2, vcc, s2, v2
	v_addc_co_u32_e32 v3, vcc, 0, v3, vcc
	v_add_co_u32_e32 v2, vcc, 8, v2
	v_addc_co_u32_e32 v3, vcc, 0, v3, vcc
	s_lshl_b32 s5, s4, 4
	s_mov_b64 s[2:3], 0
.LBB270_24:                             ; =>This Inner Loop Header: Depth=1
	global_load_dwordx4 v[4:7], v[2:3], off offset:-8
	v_add_co_u32_e32 v0, vcc, s4, v0
	v_addc_co_u32_e32 v1, vcc, 0, v1, vcc
	v_lshlrev_b64 v[8:9], 2, v[0:1]
	v_cmp_le_i64_e32 vcc, s[0:1], v[8:9]
	s_or_b64 s[2:3], vcc, s[2:3]
	s_waitcnt vmcnt(0)
	v_trunc_f32_e32 v8, v4
	v_trunc_f32_e32 v9, v5
	;; [unrolled: 1-line block ×4, first 2 shown]
	v_sub_f32_e32 v4, v4, v8
	v_sub_f32_e32 v5, v5, v9
	;; [unrolled: 1-line block ×4, first 2 shown]
	global_store_dwordx4 v[2:3], v[4:7], off offset:-8
	v_add_co_u32_e32 v2, vcc, s5, v2
	v_addc_co_u32_e32 v3, vcc, 0, v3, vcc
	s_andn2_b64 exec, exec, s[2:3]
	s_cbranch_execnz .LBB270_24
.LBB270_25:
	s_endpgm
	.section	.rodata,"a",@progbits
	.p2align	6, 0x0
	.amdhsa_kernel _ZN2at6native12_GLOBAL__N_125multi_tensor_apply_kernelINS1_18TensorListMetadataILi1EEENS1_14UnaryOpFunctorIfLi1ELi1ELi0EEEJNS0_5TruncIfEEEEEvT_T0_DpT1_
		.amdhsa_group_segment_fixed_size 0
		.amdhsa_private_segment_fixed_size 0
		.amdhsa_kernarg_size 3632
		.amdhsa_user_sgpr_count 6
		.amdhsa_user_sgpr_private_segment_buffer 1
		.amdhsa_user_sgpr_dispatch_ptr 0
		.amdhsa_user_sgpr_queue_ptr 0
		.amdhsa_user_sgpr_kernarg_segment_ptr 1
		.amdhsa_user_sgpr_dispatch_id 0
		.amdhsa_user_sgpr_flat_scratch_init 0
		.amdhsa_user_sgpr_private_segment_size 0
		.amdhsa_uses_dynamic_stack 0
		.amdhsa_system_sgpr_private_segment_wavefront_offset 0
		.amdhsa_system_sgpr_workgroup_id_x 1
		.amdhsa_system_sgpr_workgroup_id_y 0
		.amdhsa_system_sgpr_workgroup_id_z 0
		.amdhsa_system_sgpr_workgroup_info 0
		.amdhsa_system_vgpr_workitem_id 0
		.amdhsa_next_free_vgpr 16
		.amdhsa_next_free_sgpr 28
		.amdhsa_reserve_vcc 1
		.amdhsa_reserve_flat_scratch 0
		.amdhsa_float_round_mode_32 0
		.amdhsa_float_round_mode_16_64 0
		.amdhsa_float_denorm_mode_32 3
		.amdhsa_float_denorm_mode_16_64 3
		.amdhsa_dx10_clamp 1
		.amdhsa_ieee_mode 1
		.amdhsa_fp16_overflow 0
		.amdhsa_exception_fp_ieee_invalid_op 0
		.amdhsa_exception_fp_denorm_src 0
		.amdhsa_exception_fp_ieee_div_zero 0
		.amdhsa_exception_fp_ieee_overflow 0
		.amdhsa_exception_fp_ieee_underflow 0
		.amdhsa_exception_fp_ieee_inexact 0
		.amdhsa_exception_int_div_zero 0
	.end_amdhsa_kernel
	.section	.text._ZN2at6native12_GLOBAL__N_125multi_tensor_apply_kernelINS1_18TensorListMetadataILi1EEENS1_14UnaryOpFunctorIfLi1ELi1ELi0EEEJNS0_5TruncIfEEEEEvT_T0_DpT1_,"axG",@progbits,_ZN2at6native12_GLOBAL__N_125multi_tensor_apply_kernelINS1_18TensorListMetadataILi1EEENS1_14UnaryOpFunctorIfLi1ELi1ELi0EEEJNS0_5TruncIfEEEEEvT_T0_DpT1_,comdat
.Lfunc_end270:
	.size	_ZN2at6native12_GLOBAL__N_125multi_tensor_apply_kernelINS1_18TensorListMetadataILi1EEENS1_14UnaryOpFunctorIfLi1ELi1ELi0EEEJNS0_5TruncIfEEEEEvT_T0_DpT1_, .Lfunc_end270-_ZN2at6native12_GLOBAL__N_125multi_tensor_apply_kernelINS1_18TensorListMetadataILi1EEENS1_14UnaryOpFunctorIfLi1ELi1ELi0EEEJNS0_5TruncIfEEEEEvT_T0_DpT1_
                                        ; -- End function
	.set _ZN2at6native12_GLOBAL__N_125multi_tensor_apply_kernelINS1_18TensorListMetadataILi1EEENS1_14UnaryOpFunctorIfLi1ELi1ELi0EEEJNS0_5TruncIfEEEEEvT_T0_DpT1_.num_vgpr, 16
	.set _ZN2at6native12_GLOBAL__N_125multi_tensor_apply_kernelINS1_18TensorListMetadataILi1EEENS1_14UnaryOpFunctorIfLi1ELi1ELi0EEEJNS0_5TruncIfEEEEEvT_T0_DpT1_.num_agpr, 0
	.set _ZN2at6native12_GLOBAL__N_125multi_tensor_apply_kernelINS1_18TensorListMetadataILi1EEENS1_14UnaryOpFunctorIfLi1ELi1ELi0EEEJNS0_5TruncIfEEEEEvT_T0_DpT1_.numbered_sgpr, 28
	.set _ZN2at6native12_GLOBAL__N_125multi_tensor_apply_kernelINS1_18TensorListMetadataILi1EEENS1_14UnaryOpFunctorIfLi1ELi1ELi0EEEJNS0_5TruncIfEEEEEvT_T0_DpT1_.num_named_barrier, 0
	.set _ZN2at6native12_GLOBAL__N_125multi_tensor_apply_kernelINS1_18TensorListMetadataILi1EEENS1_14UnaryOpFunctorIfLi1ELi1ELi0EEEJNS0_5TruncIfEEEEEvT_T0_DpT1_.private_seg_size, 0
	.set _ZN2at6native12_GLOBAL__N_125multi_tensor_apply_kernelINS1_18TensorListMetadataILi1EEENS1_14UnaryOpFunctorIfLi1ELi1ELi0EEEJNS0_5TruncIfEEEEEvT_T0_DpT1_.uses_vcc, 1
	.set _ZN2at6native12_GLOBAL__N_125multi_tensor_apply_kernelINS1_18TensorListMetadataILi1EEENS1_14UnaryOpFunctorIfLi1ELi1ELi0EEEJNS0_5TruncIfEEEEEvT_T0_DpT1_.uses_flat_scratch, 0
	.set _ZN2at6native12_GLOBAL__N_125multi_tensor_apply_kernelINS1_18TensorListMetadataILi1EEENS1_14UnaryOpFunctorIfLi1ELi1ELi0EEEJNS0_5TruncIfEEEEEvT_T0_DpT1_.has_dyn_sized_stack, 0
	.set _ZN2at6native12_GLOBAL__N_125multi_tensor_apply_kernelINS1_18TensorListMetadataILi1EEENS1_14UnaryOpFunctorIfLi1ELi1ELi0EEEJNS0_5TruncIfEEEEEvT_T0_DpT1_.has_recursion, 0
	.set _ZN2at6native12_GLOBAL__N_125multi_tensor_apply_kernelINS1_18TensorListMetadataILi1EEENS1_14UnaryOpFunctorIfLi1ELi1ELi0EEEJNS0_5TruncIfEEEEEvT_T0_DpT1_.has_indirect_call, 0
	.section	.AMDGPU.csdata,"",@progbits
; Kernel info:
; codeLenInByte = 1020
; TotalNumSgprs: 32
; NumVgprs: 16
; ScratchSize: 0
; MemoryBound: 0
; FloatMode: 240
; IeeeMode: 1
; LDSByteSize: 0 bytes/workgroup (compile time only)
; SGPRBlocks: 3
; VGPRBlocks: 3
; NumSGPRsForWavesPerEU: 32
; NumVGPRsForWavesPerEU: 16
; Occupancy: 10
; WaveLimiterHint : 0
; COMPUTE_PGM_RSRC2:SCRATCH_EN: 0
; COMPUTE_PGM_RSRC2:USER_SGPR: 6
; COMPUTE_PGM_RSRC2:TRAP_HANDLER: 0
; COMPUTE_PGM_RSRC2:TGID_X_EN: 1
; COMPUTE_PGM_RSRC2:TGID_Y_EN: 0
; COMPUTE_PGM_RSRC2:TGID_Z_EN: 0
; COMPUTE_PGM_RSRC2:TIDIG_COMP_CNT: 0
	.section	.text._ZN2at6native12_GLOBAL__N_125multi_tensor_apply_kernelINS1_18TensorListMetadataILi1EEENS1_14UnaryOpFunctorIN3c104HalfELi1ELi1ELi0EEEJNS0_5TruncIfEEEEEvT_T0_DpT1_,"axG",@progbits,_ZN2at6native12_GLOBAL__N_125multi_tensor_apply_kernelINS1_18TensorListMetadataILi1EEENS1_14UnaryOpFunctorIN3c104HalfELi1ELi1ELi0EEEJNS0_5TruncIfEEEEEvT_T0_DpT1_,comdat
	.globl	_ZN2at6native12_GLOBAL__N_125multi_tensor_apply_kernelINS1_18TensorListMetadataILi1EEENS1_14UnaryOpFunctorIN3c104HalfELi1ELi1ELi0EEEJNS0_5TruncIfEEEEEvT_T0_DpT1_ ; -- Begin function _ZN2at6native12_GLOBAL__N_125multi_tensor_apply_kernelINS1_18TensorListMetadataILi1EEENS1_14UnaryOpFunctorIN3c104HalfELi1ELi1ELi0EEEJNS0_5TruncIfEEEEEvT_T0_DpT1_
	.p2align	8
	.type	_ZN2at6native12_GLOBAL__N_125multi_tensor_apply_kernelINS1_18TensorListMetadataILi1EEENS1_14UnaryOpFunctorIN3c104HalfELi1ELi1ELi0EEEJNS0_5TruncIfEEEEEvT_T0_DpT1_,@function
_ZN2at6native12_GLOBAL__N_125multi_tensor_apply_kernelINS1_18TensorListMetadataILi1EEENS1_14UnaryOpFunctorIN3c104HalfELi1ELi1ELi0EEEJNS0_5TruncIfEEEEEvT_T0_DpT1_: ; @_ZN2at6native12_GLOBAL__N_125multi_tensor_apply_kernelINS1_18TensorListMetadataILi1EEENS1_14UnaryOpFunctorIN3c104HalfELi1ELi1ELi0EEEJNS0_5TruncIfEEEEEvT_T0_DpT1_
; %bb.0:
	v_mov_b32_e32 v1, s6
	global_load_ubyte v1, v1, s[4:5] offset:1760
	s_add_u32 s0, s4, s6
	s_mul_hi_u32 s1, s6, 3
	s_mul_i32 s6, s6, 3
	s_addc_u32 s2, s5, 0
	s_add_u32 s0, s0, s6
	s_addc_u32 s1, s2, s1
	s_load_dword s0, s[0:1], 0x820
	s_mov_b32 s7, 0
	s_waitcnt vmcnt(0)
	v_readfirstlane_b32 s1, v1
	s_lshl_b32 s1, s1, 3
	s_load_dwordx2 s[2:3], s[4:5], s1 offset:0x370
	s_load_dwordx2 s[10:11], s[4:5], s1 offset:0x0
	s_waitcnt lgkmcnt(0)
	s_ashr_i32 s1, s0, 31
	s_lshl_b64 s[12:13], s[0:1], 17
	s_lshl_b64 s[0:1], s[0:1], 16
	s_and_b32 s6, s10, 7
	s_sub_u32 s14, s2, s0
	s_subb_u32 s15, s3, s1
	s_and_b32 s0, s2, 3
	s_mov_b32 s1, s7
	s_or_b64 s[0:1], s[6:7], s[0:1]
	s_cmp_eq_u64 s[0:1], 0
	s_cbranch_scc1 .LBB271_21
; %bb.1:
	v_cmp_lt_i64_e64 s[0:1], s[14:15], 1
	s_and_b64 vcc, exec, s[0:1]
	s_cbranch_vccnz .LBB271_20
; %bb.2:
	v_mov_b32_e32 v1, 0x10000
	s_load_dword s2, s[4:5], 0xd3c
	v_mov_b32_e32 v2, 0
	v_cmp_lt_i64_e32 vcc, s[14:15], v[1:2]
	s_mov_b64 s[20:21], 0
	s_and_b64 s[0:1], vcc, exec
	v_cmp_lt_u64_e32 vcc, s[14:15], v[1:2]
	s_cselect_b32 s17, s15, 0
	s_cselect_b32 s16, s14, 0x10000
	s_waitcnt lgkmcnt(0)
	s_and_b32 s2, s2, 0xffff
	s_and_b64 s[0:1], vcc, exec
	s_cselect_b32 s19, s15, 0
	s_cselect_b32 s18, s14, 0x10000
	s_lshl_b32 s3, s2, 1
	s_lshl_b32 s24, s2, 2
	s_add_u32 s6, s10, s12
	v_lshlrev_b32_e32 v1, 1, v0
	s_addc_u32 s7, s11, s13
	v_mov_b32_e32 v2, s7
	v_add_co_u32_e32 v1, vcc, s6, v1
	s_mul_i32 s0, s2, 3
	v_addc_co_u32_e32 v2, vcc, 0, v2, vcc
	v_add_co_u32_e32 v5, vcc, s0, v0
	v_addc_co_u32_e64 v6, s[0:1], 0, 0, vcc
	v_add_co_u32_e32 v7, vcc, s3, v0
	v_addc_co_u32_e64 v8, s[0:1], 0, 0, vcc
	v_add_co_u32_e32 v9, vcc, s2, v0
	v_lshlrev_b32_e32 v3, 1, v9
	v_addc_co_u32_e64 v10, s[0:1], 0, 0, vcc
	v_mov_b32_e32 v4, s7
	v_add_co_u32_e32 v3, vcc, s6, v3
	s_lshl_b32 s25, s2, 3
	s_mul_i32 s26, s2, 6
	v_addc_co_u32_e32 v4, vcc, 0, v4, vcc
	s_branch .LBB271_4
.LBB271_3:                              ;   in Loop: Header=BB271_4 Depth=1
	s_or_b64 exec, exec, s[0:1]
	s_add_u32 s20, s20, s24
	v_add_co_u32_e32 v1, vcc, s25, v1
	v_mov_b32_e32 v11, s16
	s_addc_u32 s21, s21, 0
	v_addc_co_u32_e32 v2, vcc, 0, v2, vcc
	v_mov_b32_e32 v12, s17
	v_cmp_lt_i64_e32 vcc, s[20:21], v[11:12]
	v_add_co_u32_e64 v3, s[0:1], s25, v3
	v_addc_co_u32_e64 v4, s[0:1], 0, v4, s[0:1]
	s_cbranch_vccz .LBB271_20
.LBB271_4:                              ; =>This Inner Loop Header: Depth=1
	v_mov_b32_e32 v12, s21
	v_add_co_u32_e32 v11, vcc, s20, v0
	v_addc_co_u32_e32 v12, vcc, 0, v12, vcc
	v_cmp_gt_u64_e32 vcc, s[18:19], v[11:12]
	v_mov_b32_e32 v11, 0
	s_and_saveexec_b64 s[0:1], vcc
	s_cbranch_execz .LBB271_6
; %bb.5:                                ;   in Loop: Header=BB271_4 Depth=1
	global_load_ushort v11, v[1:2], off
	s_waitcnt vmcnt(0)
	v_cvt_f32_f16_e32 v11, v11
.LBB271_6:                              ;   in Loop: Header=BB271_4 Depth=1
	s_or_b64 exec, exec, s[0:1]
	v_mov_b32_e32 v13, s21
	v_add_co_u32_e64 v12, s[0:1], s20, v9
	v_addc_co_u32_e64 v13, s[0:1], v10, v13, s[0:1]
	v_cmp_gt_u64_e64 s[0:1], s[18:19], v[12:13]
	v_mov_b32_e32 v12, 0
	v_mov_b32_e32 v13, 0
	s_and_saveexec_b64 s[2:3], s[0:1]
	s_cbranch_execz .LBB271_8
; %bb.7:                                ;   in Loop: Header=BB271_4 Depth=1
	global_load_ushort v13, v[3:4], off
	s_waitcnt vmcnt(0)
	v_cvt_f32_f16_e32 v13, v13
.LBB271_8:                              ;   in Loop: Header=BB271_4 Depth=1
	s_or_b64 exec, exec, s[2:3]
	v_mov_b32_e32 v15, s21
	v_add_co_u32_e64 v14, s[2:3], s20, v7
	v_addc_co_u32_e64 v15, s[2:3], v8, v15, s[2:3]
	v_cmp_gt_u64_e64 s[2:3], s[18:19], v[14:15]
	s_and_saveexec_b64 s[8:9], s[2:3]
	s_cbranch_execz .LBB271_10
; %bb.9:                                ;   in Loop: Header=BB271_4 Depth=1
	v_add_co_u32_e64 v14, s[6:7], s24, v1
	v_addc_co_u32_e64 v15, s[6:7], 0, v2, s[6:7]
	global_load_ushort v12, v[14:15], off
	s_waitcnt vmcnt(0)
	v_cvt_f32_f16_e32 v12, v12
.LBB271_10:                             ;   in Loop: Header=BB271_4 Depth=1
	s_or_b64 exec, exec, s[8:9]
	v_mov_b32_e32 v15, s21
	v_add_co_u32_e64 v14, s[6:7], s20, v5
	v_addc_co_u32_e64 v15, s[6:7], v6, v15, s[6:7]
	v_cmp_gt_u64_e64 s[6:7], s[18:19], v[14:15]
	v_mov_b32_e32 v14, 0
	s_and_saveexec_b64 s[22:23], s[6:7]
	s_cbranch_execnz .LBB271_15
; %bb.11:                               ;   in Loop: Header=BB271_4 Depth=1
	s_or_b64 exec, exec, s[22:23]
	s_and_saveexec_b64 s[8:9], vcc
	s_cbranch_execnz .LBB271_16
.LBB271_12:                             ;   in Loop: Header=BB271_4 Depth=1
	s_or_b64 exec, exec, s[8:9]
	s_and_saveexec_b64 s[8:9], s[0:1]
	s_cbranch_execnz .LBB271_17
.LBB271_13:                             ;   in Loop: Header=BB271_4 Depth=1
	s_or_b64 exec, exec, s[8:9]
	s_and_saveexec_b64 s[0:1], s[2:3]
	s_cbranch_execnz .LBB271_18
.LBB271_14:                             ;   in Loop: Header=BB271_4 Depth=1
	s_or_b64 exec, exec, s[0:1]
	s_and_saveexec_b64 s[0:1], s[6:7]
	s_cbranch_execz .LBB271_3
	s_branch .LBB271_19
.LBB271_15:                             ;   in Loop: Header=BB271_4 Depth=1
	v_add_co_u32_e64 v14, s[8:9], s26, v1
	v_addc_co_u32_e64 v15, s[8:9], 0, v2, s[8:9]
	global_load_ushort v14, v[14:15], off
	s_waitcnt vmcnt(0)
	v_cvt_f32_f16_e32 v14, v14
	s_or_b64 exec, exec, s[22:23]
	s_and_saveexec_b64 s[8:9], vcc
	s_cbranch_execz .LBB271_12
.LBB271_16:                             ;   in Loop: Header=BB271_4 Depth=1
	v_trunc_f32_e32 v15, v11
	v_sub_f32_e32 v11, v11, v15
	v_cvt_f16_f32_e32 v11, v11
	global_store_short v[1:2], v11, off
	s_or_b64 exec, exec, s[8:9]
	s_and_saveexec_b64 s[8:9], s[0:1]
	s_cbranch_execz .LBB271_13
.LBB271_17:                             ;   in Loop: Header=BB271_4 Depth=1
	v_trunc_f32_e32 v11, v13
	v_sub_f32_e32 v11, v13, v11
	v_cvt_f16_f32_e32 v11, v11
	global_store_short v[3:4], v11, off
	s_or_b64 exec, exec, s[8:9]
	s_and_saveexec_b64 s[0:1], s[2:3]
	s_cbranch_execz .LBB271_14
.LBB271_18:                             ;   in Loop: Header=BB271_4 Depth=1
	v_trunc_f32_e32 v11, v12
	v_sub_f32_e32 v11, v12, v11
	v_cvt_f16_f32_e32 v13, v11
	v_add_co_u32_e32 v11, vcc, s24, v1
	v_addc_co_u32_e32 v12, vcc, 0, v2, vcc
	global_store_short v[11:12], v13, off
	s_or_b64 exec, exec, s[0:1]
	s_and_saveexec_b64 s[0:1], s[6:7]
	s_cbranch_execz .LBB271_3
.LBB271_19:                             ;   in Loop: Header=BB271_4 Depth=1
	v_trunc_f32_e32 v11, v14
	v_sub_f32_e32 v11, v14, v11
	v_cvt_f16_f32_e32 v13, v11
	v_add_co_u32_e32 v11, vcc, s26, v1
	v_addc_co_u32_e32 v12, vcc, 0, v2, vcc
	global_store_short v[11:12], v13, off
	s_branch .LBB271_3
.LBB271_20:
	s_cbranch_execz .LBB271_22
	s_branch .LBB271_25
.LBB271_21:
.LBB271_22:
	v_mov_b32_e32 v1, 0x10000
	v_mov_b32_e32 v2, 0
	v_cmp_lt_i64_e32 vcc, s[14:15], v[1:2]
	v_mov_b32_e32 v2, 0
	s_and_b64 s[0:1], vcc, exec
	s_cselect_b32 s1, s15, 0
	s_cselect_b32 s0, s14, 0x10000
	v_lshlrev_b32_e32 v1, 2, v0
	v_cmp_gt_i64_e32 vcc, s[0:1], v[1:2]
	s_and_saveexec_b64 s[2:3], vcc
	s_cbranch_execz .LBB271_25
; %bb.23:
	s_load_dword s2, s[4:5], 0xd3c
	v_mov_b32_e32 v1, v2
	v_lshlrev_b32_e32 v2, 3, v0
	s_waitcnt lgkmcnt(0)
	s_and_b32 s4, s2, 0xffff
	s_add_u32 s2, s10, s12
	s_addc_u32 s3, s11, s13
	v_mov_b32_e32 v3, s3
	v_add_co_u32_e32 v2, vcc, s2, v2
	v_addc_co_u32_e32 v3, vcc, 0, v3, vcc
	v_add_co_u32_e32 v2, vcc, 4, v2
	v_addc_co_u32_e32 v3, vcc, 0, v3, vcc
	s_lshl_b32 s5, s4, 3
	s_mov_b64 s[2:3], 0
.LBB271_24:                             ; =>This Inner Loop Header: Depth=1
	global_load_dwordx2 v[4:5], v[2:3], off offset:-4
	v_add_co_u32_e32 v0, vcc, s4, v0
	v_addc_co_u32_e32 v1, vcc, 0, v1, vcc
	v_lshlrev_b64 v[6:7], 2, v[0:1]
	v_cmp_le_i64_e32 vcc, s[0:1], v[6:7]
	s_or_b64 s[2:3], vcc, s[2:3]
	s_waitcnt vmcnt(0)
	v_cvt_f32_f16_e32 v6, v4
	v_cvt_f32_f16_sdwa v4, v4 dst_sel:DWORD dst_unused:UNUSED_PAD src0_sel:WORD_1
	v_cvt_f32_f16_e32 v7, v5
	v_cvt_f32_f16_sdwa v5, v5 dst_sel:DWORD dst_unused:UNUSED_PAD src0_sel:WORD_1
	v_trunc_f32_e32 v8, v6
	v_trunc_f32_e32 v9, v4
	;; [unrolled: 1-line block ×4, first 2 shown]
	v_sub_f32_e32 v6, v6, v8
	v_sub_f32_e32 v4, v4, v9
	;; [unrolled: 1-line block ×4, first 2 shown]
	v_cvt_f16_f32_e32 v6, v6
	v_cvt_f16_f32_e32 v7, v7
	;; [unrolled: 1-line block ×4, first 2 shown]
	v_pack_b32_f16 v5, v7, v5
	v_pack_b32_f16 v4, v6, v4
	global_store_dwordx2 v[2:3], v[4:5], off offset:-4
	v_add_co_u32_e32 v2, vcc, s5, v2
	v_addc_co_u32_e32 v3, vcc, 0, v3, vcc
	s_andn2_b64 exec, exec, s[2:3]
	s_cbranch_execnz .LBB271_24
.LBB271_25:
	s_endpgm
	.section	.rodata,"a",@progbits
	.p2align	6, 0x0
	.amdhsa_kernel _ZN2at6native12_GLOBAL__N_125multi_tensor_apply_kernelINS1_18TensorListMetadataILi1EEENS1_14UnaryOpFunctorIN3c104HalfELi1ELi1ELi0EEEJNS0_5TruncIfEEEEEvT_T0_DpT1_
		.amdhsa_group_segment_fixed_size 0
		.amdhsa_private_segment_fixed_size 0
		.amdhsa_kernarg_size 3632
		.amdhsa_user_sgpr_count 6
		.amdhsa_user_sgpr_private_segment_buffer 1
		.amdhsa_user_sgpr_dispatch_ptr 0
		.amdhsa_user_sgpr_queue_ptr 0
		.amdhsa_user_sgpr_kernarg_segment_ptr 1
		.amdhsa_user_sgpr_dispatch_id 0
		.amdhsa_user_sgpr_flat_scratch_init 0
		.amdhsa_user_sgpr_private_segment_size 0
		.amdhsa_uses_dynamic_stack 0
		.amdhsa_system_sgpr_private_segment_wavefront_offset 0
		.amdhsa_system_sgpr_workgroup_id_x 1
		.amdhsa_system_sgpr_workgroup_id_y 0
		.amdhsa_system_sgpr_workgroup_id_z 0
		.amdhsa_system_sgpr_workgroup_info 0
		.amdhsa_system_vgpr_workitem_id 0
		.amdhsa_next_free_vgpr 16
		.amdhsa_next_free_sgpr 27
		.amdhsa_reserve_vcc 1
		.amdhsa_reserve_flat_scratch 0
		.amdhsa_float_round_mode_32 0
		.amdhsa_float_round_mode_16_64 0
		.amdhsa_float_denorm_mode_32 3
		.amdhsa_float_denorm_mode_16_64 3
		.amdhsa_dx10_clamp 1
		.amdhsa_ieee_mode 1
		.amdhsa_fp16_overflow 0
		.amdhsa_exception_fp_ieee_invalid_op 0
		.amdhsa_exception_fp_denorm_src 0
		.amdhsa_exception_fp_ieee_div_zero 0
		.amdhsa_exception_fp_ieee_overflow 0
		.amdhsa_exception_fp_ieee_underflow 0
		.amdhsa_exception_fp_ieee_inexact 0
		.amdhsa_exception_int_div_zero 0
	.end_amdhsa_kernel
	.section	.text._ZN2at6native12_GLOBAL__N_125multi_tensor_apply_kernelINS1_18TensorListMetadataILi1EEENS1_14UnaryOpFunctorIN3c104HalfELi1ELi1ELi0EEEJNS0_5TruncIfEEEEEvT_T0_DpT1_,"axG",@progbits,_ZN2at6native12_GLOBAL__N_125multi_tensor_apply_kernelINS1_18TensorListMetadataILi1EEENS1_14UnaryOpFunctorIN3c104HalfELi1ELi1ELi0EEEJNS0_5TruncIfEEEEEvT_T0_DpT1_,comdat
.Lfunc_end271:
	.size	_ZN2at6native12_GLOBAL__N_125multi_tensor_apply_kernelINS1_18TensorListMetadataILi1EEENS1_14UnaryOpFunctorIN3c104HalfELi1ELi1ELi0EEEJNS0_5TruncIfEEEEEvT_T0_DpT1_, .Lfunc_end271-_ZN2at6native12_GLOBAL__N_125multi_tensor_apply_kernelINS1_18TensorListMetadataILi1EEENS1_14UnaryOpFunctorIN3c104HalfELi1ELi1ELi0EEEJNS0_5TruncIfEEEEEvT_T0_DpT1_
                                        ; -- End function
	.set _ZN2at6native12_GLOBAL__N_125multi_tensor_apply_kernelINS1_18TensorListMetadataILi1EEENS1_14UnaryOpFunctorIN3c104HalfELi1ELi1ELi0EEEJNS0_5TruncIfEEEEEvT_T0_DpT1_.num_vgpr, 16
	.set _ZN2at6native12_GLOBAL__N_125multi_tensor_apply_kernelINS1_18TensorListMetadataILi1EEENS1_14UnaryOpFunctorIN3c104HalfELi1ELi1ELi0EEEJNS0_5TruncIfEEEEEvT_T0_DpT1_.num_agpr, 0
	.set _ZN2at6native12_GLOBAL__N_125multi_tensor_apply_kernelINS1_18TensorListMetadataILi1EEENS1_14UnaryOpFunctorIN3c104HalfELi1ELi1ELi0EEEJNS0_5TruncIfEEEEEvT_T0_DpT1_.numbered_sgpr, 27
	.set _ZN2at6native12_GLOBAL__N_125multi_tensor_apply_kernelINS1_18TensorListMetadataILi1EEENS1_14UnaryOpFunctorIN3c104HalfELi1ELi1ELi0EEEJNS0_5TruncIfEEEEEvT_T0_DpT1_.num_named_barrier, 0
	.set _ZN2at6native12_GLOBAL__N_125multi_tensor_apply_kernelINS1_18TensorListMetadataILi1EEENS1_14UnaryOpFunctorIN3c104HalfELi1ELi1ELi0EEEJNS0_5TruncIfEEEEEvT_T0_DpT1_.private_seg_size, 0
	.set _ZN2at6native12_GLOBAL__N_125multi_tensor_apply_kernelINS1_18TensorListMetadataILi1EEENS1_14UnaryOpFunctorIN3c104HalfELi1ELi1ELi0EEEJNS0_5TruncIfEEEEEvT_T0_DpT1_.uses_vcc, 1
	.set _ZN2at6native12_GLOBAL__N_125multi_tensor_apply_kernelINS1_18TensorListMetadataILi1EEENS1_14UnaryOpFunctorIN3c104HalfELi1ELi1ELi0EEEJNS0_5TruncIfEEEEEvT_T0_DpT1_.uses_flat_scratch, 0
	.set _ZN2at6native12_GLOBAL__N_125multi_tensor_apply_kernelINS1_18TensorListMetadataILi1EEENS1_14UnaryOpFunctorIN3c104HalfELi1ELi1ELi0EEEJNS0_5TruncIfEEEEEvT_T0_DpT1_.has_dyn_sized_stack, 0
	.set _ZN2at6native12_GLOBAL__N_125multi_tensor_apply_kernelINS1_18TensorListMetadataILi1EEENS1_14UnaryOpFunctorIN3c104HalfELi1ELi1ELi0EEEJNS0_5TruncIfEEEEEvT_T0_DpT1_.has_recursion, 0
	.set _ZN2at6native12_GLOBAL__N_125multi_tensor_apply_kernelINS1_18TensorListMetadataILi1EEENS1_14UnaryOpFunctorIN3c104HalfELi1ELi1ELi0EEEJNS0_5TruncIfEEEEEvT_T0_DpT1_.has_indirect_call, 0
	.section	.AMDGPU.csdata,"",@progbits
; Kernel info:
; codeLenInByte = 1100
; TotalNumSgprs: 31
; NumVgprs: 16
; ScratchSize: 0
; MemoryBound: 0
; FloatMode: 240
; IeeeMode: 1
; LDSByteSize: 0 bytes/workgroup (compile time only)
; SGPRBlocks: 3
; VGPRBlocks: 3
; NumSGPRsForWavesPerEU: 31
; NumVGPRsForWavesPerEU: 16
; Occupancy: 10
; WaveLimiterHint : 0
; COMPUTE_PGM_RSRC2:SCRATCH_EN: 0
; COMPUTE_PGM_RSRC2:USER_SGPR: 6
; COMPUTE_PGM_RSRC2:TRAP_HANDLER: 0
; COMPUTE_PGM_RSRC2:TGID_X_EN: 1
; COMPUTE_PGM_RSRC2:TGID_Y_EN: 0
; COMPUTE_PGM_RSRC2:TGID_Z_EN: 0
; COMPUTE_PGM_RSRC2:TIDIG_COMP_CNT: 0
	.section	.text._ZN2at6native12_GLOBAL__N_125multi_tensor_apply_kernelINS1_18TensorListMetadataILi1EEENS1_14UnaryOpFunctorIN3c108BFloat16ELi1ELi1ELi0EEEJNS0_5TruncIfEEEEEvT_T0_DpT1_,"axG",@progbits,_ZN2at6native12_GLOBAL__N_125multi_tensor_apply_kernelINS1_18TensorListMetadataILi1EEENS1_14UnaryOpFunctorIN3c108BFloat16ELi1ELi1ELi0EEEJNS0_5TruncIfEEEEEvT_T0_DpT1_,comdat
	.globl	_ZN2at6native12_GLOBAL__N_125multi_tensor_apply_kernelINS1_18TensorListMetadataILi1EEENS1_14UnaryOpFunctorIN3c108BFloat16ELi1ELi1ELi0EEEJNS0_5TruncIfEEEEEvT_T0_DpT1_ ; -- Begin function _ZN2at6native12_GLOBAL__N_125multi_tensor_apply_kernelINS1_18TensorListMetadataILi1EEENS1_14UnaryOpFunctorIN3c108BFloat16ELi1ELi1ELi0EEEJNS0_5TruncIfEEEEEvT_T0_DpT1_
	.p2align	8
	.type	_ZN2at6native12_GLOBAL__N_125multi_tensor_apply_kernelINS1_18TensorListMetadataILi1EEENS1_14UnaryOpFunctorIN3c108BFloat16ELi1ELi1ELi0EEEJNS0_5TruncIfEEEEEvT_T0_DpT1_,@function
_ZN2at6native12_GLOBAL__N_125multi_tensor_apply_kernelINS1_18TensorListMetadataILi1EEENS1_14UnaryOpFunctorIN3c108BFloat16ELi1ELi1ELi0EEEJNS0_5TruncIfEEEEEvT_T0_DpT1_: ; @_ZN2at6native12_GLOBAL__N_125multi_tensor_apply_kernelINS1_18TensorListMetadataILi1EEENS1_14UnaryOpFunctorIN3c108BFloat16ELi1ELi1ELi0EEEJNS0_5TruncIfEEEEEvT_T0_DpT1_
; %bb.0:
	v_mov_b32_e32 v1, s6
	global_load_ubyte v1, v1, s[4:5] offset:1760
	s_add_u32 s0, s4, s6
	s_mul_hi_u32 s1, s6, 3
	s_mul_i32 s6, s6, 3
	s_addc_u32 s2, s5, 0
	s_add_u32 s0, s0, s6
	s_addc_u32 s1, s2, s1
	s_load_dword s0, s[0:1], 0x820
	s_mov_b32 s7, 0
	s_waitcnt vmcnt(0)
	v_readfirstlane_b32 s1, v1
	s_lshl_b32 s1, s1, 3
	s_load_dwordx2 s[2:3], s[4:5], s1 offset:0x370
	s_load_dwordx2 s[10:11], s[4:5], s1 offset:0x0
	s_waitcnt lgkmcnt(0)
	s_ashr_i32 s1, s0, 31
	s_lshl_b64 s[12:13], s[0:1], 17
	s_lshl_b64 s[0:1], s[0:1], 16
	s_and_b32 s6, s10, 7
	s_sub_u32 s14, s2, s0
	s_subb_u32 s15, s3, s1
	s_and_b32 s0, s2, 3
	s_mov_b32 s1, s7
	s_or_b64 s[0:1], s[6:7], s[0:1]
	s_cmp_eq_u64 s[0:1], 0
	s_cbranch_scc1 .LBB272_21
; %bb.1:
	v_cmp_lt_i64_e64 s[0:1], s[14:15], 1
	s_and_b64 vcc, exec, s[0:1]
	s_cbranch_vccnz .LBB272_20
; %bb.2:
	v_mov_b32_e32 v1, 0x10000
	s_load_dword s2, s[4:5], 0xd3c
	v_mov_b32_e32 v2, 0
	v_cmp_lt_i64_e32 vcc, s[14:15], v[1:2]
	s_mov_b64 s[20:21], 0
	s_and_b64 s[0:1], vcc, exec
	v_cmp_lt_u64_e32 vcc, s[14:15], v[1:2]
	s_cselect_b32 s17, s15, 0
	s_cselect_b32 s16, s14, 0x10000
	s_waitcnt lgkmcnt(0)
	s_and_b32 s2, s2, 0xffff
	s_and_b64 s[0:1], vcc, exec
	s_cselect_b32 s19, s15, 0
	s_cselect_b32 s18, s14, 0x10000
	s_lshl_b32 s3, s2, 1
	s_lshl_b32 s24, s2, 2
	s_add_u32 s6, s10, s12
	v_lshlrev_b32_e32 v1, 1, v0
	s_addc_u32 s7, s11, s13
	v_mov_b32_e32 v2, s7
	v_add_co_u32_e32 v1, vcc, s6, v1
	s_mul_i32 s0, s2, 3
	v_addc_co_u32_e32 v2, vcc, 0, v2, vcc
	v_add_co_u32_e32 v5, vcc, s0, v0
	v_addc_co_u32_e64 v6, s[0:1], 0, 0, vcc
	v_add_co_u32_e32 v7, vcc, s3, v0
	v_addc_co_u32_e64 v8, s[0:1], 0, 0, vcc
	v_add_co_u32_e32 v9, vcc, s2, v0
	v_lshlrev_b32_e32 v3, 1, v9
	v_addc_co_u32_e64 v10, s[0:1], 0, 0, vcc
	v_mov_b32_e32 v4, s7
	v_add_co_u32_e32 v3, vcc, s6, v3
	s_lshl_b32 s25, s2, 3
	s_mul_i32 s26, s2, 6
	v_addc_co_u32_e32 v4, vcc, 0, v4, vcc
	s_movk_i32 s27, 0x7fff
	v_mov_b32_e32 v11, 0x7fc0
	s_branch .LBB272_4
.LBB272_3:                              ;   in Loop: Header=BB272_4 Depth=1
	s_or_b64 exec, exec, s[0:1]
	s_add_u32 s20, s20, s24
	v_add_co_u32_e32 v1, vcc, s25, v1
	v_mov_b32_e32 v12, s16
	s_addc_u32 s21, s21, 0
	v_addc_co_u32_e32 v2, vcc, 0, v2, vcc
	v_mov_b32_e32 v13, s17
	v_cmp_lt_i64_e32 vcc, s[20:21], v[12:13]
	v_add_co_u32_e64 v3, s[0:1], s25, v3
	v_addc_co_u32_e64 v4, s[0:1], 0, v4, s[0:1]
	s_cbranch_vccz .LBB272_20
.LBB272_4:                              ; =>This Inner Loop Header: Depth=1
	v_mov_b32_e32 v13, s21
	v_add_co_u32_e32 v12, vcc, s20, v0
	v_addc_co_u32_e32 v13, vcc, 0, v13, vcc
	v_cmp_gt_u64_e32 vcc, s[18:19], v[12:13]
	v_mov_b32_e32 v13, 0
	s_and_saveexec_b64 s[0:1], vcc
	s_cbranch_execz .LBB272_6
; %bb.5:                                ;   in Loop: Header=BB272_4 Depth=1
	global_load_ushort v12, v[1:2], off
	s_waitcnt vmcnt(0)
	v_lshlrev_b32_e32 v13, 16, v12
.LBB272_6:                              ;   in Loop: Header=BB272_4 Depth=1
	s_or_b64 exec, exec, s[0:1]
	v_mov_b32_e32 v12, s21
	v_add_co_u32_e64 v14, s[0:1], s20, v9
	v_addc_co_u32_e64 v15, s[0:1], v10, v12, s[0:1]
	v_cmp_gt_u64_e64 s[0:1], s[18:19], v[14:15]
	v_mov_b32_e32 v12, 0
	v_mov_b32_e32 v14, 0
	s_and_saveexec_b64 s[2:3], s[0:1]
	s_cbranch_execz .LBB272_8
; %bb.7:                                ;   in Loop: Header=BB272_4 Depth=1
	global_load_ushort v14, v[3:4], off
	s_waitcnt vmcnt(0)
	v_lshlrev_b32_e32 v14, 16, v14
.LBB272_8:                              ;   in Loop: Header=BB272_4 Depth=1
	s_or_b64 exec, exec, s[2:3]
	v_mov_b32_e32 v16, s21
	v_add_co_u32_e64 v15, s[2:3], s20, v7
	v_addc_co_u32_e64 v16, s[2:3], v8, v16, s[2:3]
	v_cmp_gt_u64_e64 s[2:3], s[18:19], v[15:16]
	s_and_saveexec_b64 s[8:9], s[2:3]
	s_cbranch_execz .LBB272_10
; %bb.9:                                ;   in Loop: Header=BB272_4 Depth=1
	v_add_co_u32_e64 v15, s[6:7], s24, v1
	v_addc_co_u32_e64 v16, s[6:7], 0, v2, s[6:7]
	global_load_ushort v12, v[15:16], off
	s_waitcnt vmcnt(0)
	v_lshlrev_b32_e32 v12, 16, v12
.LBB272_10:                             ;   in Loop: Header=BB272_4 Depth=1
	s_or_b64 exec, exec, s[8:9]
	v_mov_b32_e32 v16, s21
	v_add_co_u32_e64 v15, s[6:7], s20, v5
	v_addc_co_u32_e64 v16, s[6:7], v6, v16, s[6:7]
	v_cmp_gt_u64_e64 s[6:7], s[18:19], v[15:16]
	v_mov_b32_e32 v15, 0
	s_and_saveexec_b64 s[22:23], s[6:7]
	s_cbranch_execnz .LBB272_15
; %bb.11:                               ;   in Loop: Header=BB272_4 Depth=1
	s_or_b64 exec, exec, s[22:23]
	s_and_saveexec_b64 s[8:9], vcc
	s_cbranch_execnz .LBB272_16
.LBB272_12:                             ;   in Loop: Header=BB272_4 Depth=1
	s_or_b64 exec, exec, s[8:9]
	s_and_saveexec_b64 s[8:9], s[0:1]
	s_cbranch_execnz .LBB272_17
.LBB272_13:                             ;   in Loop: Header=BB272_4 Depth=1
	s_or_b64 exec, exec, s[8:9]
	s_and_saveexec_b64 s[0:1], s[2:3]
	s_cbranch_execnz .LBB272_18
.LBB272_14:                             ;   in Loop: Header=BB272_4 Depth=1
	s_or_b64 exec, exec, s[0:1]
	s_and_saveexec_b64 s[0:1], s[6:7]
	s_cbranch_execz .LBB272_3
	s_branch .LBB272_19
.LBB272_15:                             ;   in Loop: Header=BB272_4 Depth=1
	v_add_co_u32_e64 v15, s[8:9], s26, v1
	v_addc_co_u32_e64 v16, s[8:9], 0, v2, s[8:9]
	global_load_ushort v15, v[15:16], off
	s_waitcnt vmcnt(0)
	v_lshlrev_b32_e32 v15, 16, v15
	s_or_b64 exec, exec, s[22:23]
	s_and_saveexec_b64 s[8:9], vcc
	s_cbranch_execz .LBB272_12
.LBB272_16:                             ;   in Loop: Header=BB272_4 Depth=1
	v_trunc_f32_e32 v16, v13
	v_sub_f32_e32 v13, v13, v16
	v_bfe_u32 v16, v13, 16, 1
	v_add3_u32 v16, v13, v16, s27
	v_cmp_o_f32_e32 vcc, v13, v13
	v_cndmask_b32_sdwa v13, v11, v16, vcc dst_sel:DWORD dst_unused:UNUSED_PAD src0_sel:DWORD src1_sel:WORD_1
	global_store_short v[1:2], v13, off
	s_or_b64 exec, exec, s[8:9]
	s_and_saveexec_b64 s[8:9], s[0:1]
	s_cbranch_execz .LBB272_13
.LBB272_17:                             ;   in Loop: Header=BB272_4 Depth=1
	v_trunc_f32_e32 v13, v14
	v_sub_f32_e32 v13, v14, v13
	v_bfe_u32 v14, v13, 16, 1
	v_add3_u32 v14, v13, v14, s27
	v_cmp_o_f32_e32 vcc, v13, v13
	v_cndmask_b32_sdwa v13, v11, v14, vcc dst_sel:DWORD dst_unused:UNUSED_PAD src0_sel:DWORD src1_sel:WORD_1
	global_store_short v[3:4], v13, off
	s_or_b64 exec, exec, s[8:9]
	s_and_saveexec_b64 s[0:1], s[2:3]
	s_cbranch_execz .LBB272_14
.LBB272_18:                             ;   in Loop: Header=BB272_4 Depth=1
	v_trunc_f32_e32 v13, v12
	v_sub_f32_e32 v12, v12, v13
	v_bfe_u32 v13, v12, 16, 1
	v_add3_u32 v13, v12, v13, s27
	v_cmp_o_f32_e32 vcc, v12, v12
	v_cndmask_b32_sdwa v14, v11, v13, vcc dst_sel:DWORD dst_unused:UNUSED_PAD src0_sel:DWORD src1_sel:WORD_1
	v_add_co_u32_e32 v12, vcc, s24, v1
	v_addc_co_u32_e32 v13, vcc, 0, v2, vcc
	global_store_short v[12:13], v14, off
	s_or_b64 exec, exec, s[0:1]
	s_and_saveexec_b64 s[0:1], s[6:7]
	s_cbranch_execz .LBB272_3
.LBB272_19:                             ;   in Loop: Header=BB272_4 Depth=1
	v_trunc_f32_e32 v12, v15
	v_sub_f32_e32 v12, v15, v12
	v_bfe_u32 v13, v12, 16, 1
	v_add3_u32 v13, v12, v13, s27
	v_cmp_o_f32_e32 vcc, v12, v12
	v_cndmask_b32_sdwa v14, v11, v13, vcc dst_sel:DWORD dst_unused:UNUSED_PAD src0_sel:DWORD src1_sel:WORD_1
	v_add_co_u32_e32 v12, vcc, s26, v1
	v_addc_co_u32_e32 v13, vcc, 0, v2, vcc
	global_store_short v[12:13], v14, off
	s_branch .LBB272_3
.LBB272_20:
	s_cbranch_execz .LBB272_22
	s_branch .LBB272_25
.LBB272_21:
.LBB272_22:
	v_mov_b32_e32 v1, 0x10000
	v_mov_b32_e32 v2, 0
	v_cmp_lt_i64_e32 vcc, s[14:15], v[1:2]
	v_mov_b32_e32 v2, 0
	s_and_b64 s[0:1], vcc, exec
	s_cselect_b32 s1, s15, 0
	s_cselect_b32 s0, s14, 0x10000
	v_lshlrev_b32_e32 v1, 2, v0
	v_cmp_gt_i64_e32 vcc, s[0:1], v[1:2]
	s_and_saveexec_b64 s[2:3], vcc
	s_cbranch_execz .LBB272_25
; %bb.23:
	s_load_dword s2, s[4:5], 0xd3c
	v_mov_b32_e32 v1, v2
	v_lshlrev_b32_e32 v2, 3, v0
	s_movk_i32 s6, 0x7fff
	v_mov_b32_e32 v4, 0x7fc00000
	s_waitcnt lgkmcnt(0)
	s_and_b32 s4, s2, 0xffff
	s_add_u32 s2, s10, s12
	s_addc_u32 s3, s11, s13
	v_mov_b32_e32 v3, s3
	v_add_co_u32_e32 v2, vcc, s2, v2
	v_addc_co_u32_e32 v3, vcc, 0, v3, vcc
	s_lshl_b32 s5, s4, 3
	s_mov_b64 s[2:3], 0
	v_mov_b32_e32 v5, 0x7fc0
.LBB272_24:                             ; =>This Inner Loop Header: Depth=1
	global_load_dwordx2 v[6:7], v[2:3], off
	v_add_co_u32_e32 v0, vcc, s4, v0
	v_addc_co_u32_e32 v1, vcc, 0, v1, vcc
	v_lshlrev_b64 v[8:9], 2, v[0:1]
	v_cmp_le_i64_e32 vcc, s[0:1], v[8:9]
	s_or_b64 s[2:3], vcc, s[2:3]
	s_waitcnt vmcnt(0)
	v_and_b32_e32 v8, 0xffff0000, v6
	v_lshlrev_b32_e32 v9, 16, v6
	v_alignbit_b32 v6, v7, v6, 16
	v_and_b32_e32 v7, 0xffff0000, v7
	v_trunc_f32_e32 v10, v9
	v_and_b32_e32 v6, 0xffff0000, v6
	v_trunc_f32_e32 v12, v7
	v_trunc_f32_e32 v11, v8
	v_sub_f32_e32 v9, v9, v10
	v_trunc_f32_e32 v10, v6
	v_sub_f32_e32 v7, v7, v12
	v_sub_f32_e32 v8, v8, v11
	;; [unrolled: 1-line block ×3, first 2 shown]
	v_bfe_u32 v10, v7, 16, 1
	v_bfe_u32 v12, v8, 16, 1
	v_add3_u32 v10, v7, v10, s6
	v_bfe_u32 v11, v9, 16, 1
	v_add3_u32 v12, v8, v12, s6
	v_and_b32_e32 v10, 0xffff0000, v10
	v_cmp_o_f32_e32 vcc, v7, v7
	v_add3_u32 v11, v9, v11, s6
	v_bfe_u32 v13, v6, 16, 1
	v_and_b32_e32 v12, 0xffff0000, v12
	v_cndmask_b32_e32 v7, v4, v10, vcc
	v_cmp_o_f32_e32 vcc, v8, v8
	v_lshrrev_b32_e32 v11, 16, v11
	v_add3_u32 v13, v6, v13, s6
	v_cndmask_b32_e32 v8, v4, v12, vcc
	v_cmp_o_f32_e32 vcc, v9, v9
	v_lshrrev_b32_e32 v13, 16, v13
	v_cndmask_b32_e32 v9, v5, v11, vcc
	v_cmp_o_f32_e32 vcc, v6, v6
	v_cndmask_b32_e32 v6, v5, v13, vcc
	v_or_b32_e32 v8, v9, v8
	v_or3_b32 v7, 0, v6, v7
	v_or3_b32 v6, v8, 0, 0
	global_store_dwordx2 v[2:3], v[6:7], off
	v_add_co_u32_e32 v2, vcc, s5, v2
	v_addc_co_u32_e32 v3, vcc, 0, v3, vcc
	s_andn2_b64 exec, exec, s[2:3]
	s_cbranch_execnz .LBB272_24
.LBB272_25:
	s_endpgm
	.section	.rodata,"a",@progbits
	.p2align	6, 0x0
	.amdhsa_kernel _ZN2at6native12_GLOBAL__N_125multi_tensor_apply_kernelINS1_18TensorListMetadataILi1EEENS1_14UnaryOpFunctorIN3c108BFloat16ELi1ELi1ELi0EEEJNS0_5TruncIfEEEEEvT_T0_DpT1_
		.amdhsa_group_segment_fixed_size 0
		.amdhsa_private_segment_fixed_size 0
		.amdhsa_kernarg_size 3632
		.amdhsa_user_sgpr_count 6
		.amdhsa_user_sgpr_private_segment_buffer 1
		.amdhsa_user_sgpr_dispatch_ptr 0
		.amdhsa_user_sgpr_queue_ptr 0
		.amdhsa_user_sgpr_kernarg_segment_ptr 1
		.amdhsa_user_sgpr_dispatch_id 0
		.amdhsa_user_sgpr_flat_scratch_init 0
		.amdhsa_user_sgpr_private_segment_size 0
		.amdhsa_uses_dynamic_stack 0
		.amdhsa_system_sgpr_private_segment_wavefront_offset 0
		.amdhsa_system_sgpr_workgroup_id_x 1
		.amdhsa_system_sgpr_workgroup_id_y 0
		.amdhsa_system_sgpr_workgroup_id_z 0
		.amdhsa_system_sgpr_workgroup_info 0
		.amdhsa_system_vgpr_workitem_id 0
		.amdhsa_next_free_vgpr 17
		.amdhsa_next_free_sgpr 28
		.amdhsa_reserve_vcc 1
		.amdhsa_reserve_flat_scratch 0
		.amdhsa_float_round_mode_32 0
		.amdhsa_float_round_mode_16_64 0
		.amdhsa_float_denorm_mode_32 3
		.amdhsa_float_denorm_mode_16_64 3
		.amdhsa_dx10_clamp 1
		.amdhsa_ieee_mode 1
		.amdhsa_fp16_overflow 0
		.amdhsa_exception_fp_ieee_invalid_op 0
		.amdhsa_exception_fp_denorm_src 0
		.amdhsa_exception_fp_ieee_div_zero 0
		.amdhsa_exception_fp_ieee_overflow 0
		.amdhsa_exception_fp_ieee_underflow 0
		.amdhsa_exception_fp_ieee_inexact 0
		.amdhsa_exception_int_div_zero 0
	.end_amdhsa_kernel
	.section	.text._ZN2at6native12_GLOBAL__N_125multi_tensor_apply_kernelINS1_18TensorListMetadataILi1EEENS1_14UnaryOpFunctorIN3c108BFloat16ELi1ELi1ELi0EEEJNS0_5TruncIfEEEEEvT_T0_DpT1_,"axG",@progbits,_ZN2at6native12_GLOBAL__N_125multi_tensor_apply_kernelINS1_18TensorListMetadataILi1EEENS1_14UnaryOpFunctorIN3c108BFloat16ELi1ELi1ELi0EEEJNS0_5TruncIfEEEEEvT_T0_DpT1_,comdat
.Lfunc_end272:
	.size	_ZN2at6native12_GLOBAL__N_125multi_tensor_apply_kernelINS1_18TensorListMetadataILi1EEENS1_14UnaryOpFunctorIN3c108BFloat16ELi1ELi1ELi0EEEJNS0_5TruncIfEEEEEvT_T0_DpT1_, .Lfunc_end272-_ZN2at6native12_GLOBAL__N_125multi_tensor_apply_kernelINS1_18TensorListMetadataILi1EEENS1_14UnaryOpFunctorIN3c108BFloat16ELi1ELi1ELi0EEEJNS0_5TruncIfEEEEEvT_T0_DpT1_
                                        ; -- End function
	.set _ZN2at6native12_GLOBAL__N_125multi_tensor_apply_kernelINS1_18TensorListMetadataILi1EEENS1_14UnaryOpFunctorIN3c108BFloat16ELi1ELi1ELi0EEEJNS0_5TruncIfEEEEEvT_T0_DpT1_.num_vgpr, 17
	.set _ZN2at6native12_GLOBAL__N_125multi_tensor_apply_kernelINS1_18TensorListMetadataILi1EEENS1_14UnaryOpFunctorIN3c108BFloat16ELi1ELi1ELi0EEEJNS0_5TruncIfEEEEEvT_T0_DpT1_.num_agpr, 0
	.set _ZN2at6native12_GLOBAL__N_125multi_tensor_apply_kernelINS1_18TensorListMetadataILi1EEENS1_14UnaryOpFunctorIN3c108BFloat16ELi1ELi1ELi0EEEJNS0_5TruncIfEEEEEvT_T0_DpT1_.numbered_sgpr, 28
	.set _ZN2at6native12_GLOBAL__N_125multi_tensor_apply_kernelINS1_18TensorListMetadataILi1EEENS1_14UnaryOpFunctorIN3c108BFloat16ELi1ELi1ELi0EEEJNS0_5TruncIfEEEEEvT_T0_DpT1_.num_named_barrier, 0
	.set _ZN2at6native12_GLOBAL__N_125multi_tensor_apply_kernelINS1_18TensorListMetadataILi1EEENS1_14UnaryOpFunctorIN3c108BFloat16ELi1ELi1ELi0EEEJNS0_5TruncIfEEEEEvT_T0_DpT1_.private_seg_size, 0
	.set _ZN2at6native12_GLOBAL__N_125multi_tensor_apply_kernelINS1_18TensorListMetadataILi1EEENS1_14UnaryOpFunctorIN3c108BFloat16ELi1ELi1ELi0EEEJNS0_5TruncIfEEEEEvT_T0_DpT1_.uses_vcc, 1
	.set _ZN2at6native12_GLOBAL__N_125multi_tensor_apply_kernelINS1_18TensorListMetadataILi1EEENS1_14UnaryOpFunctorIN3c108BFloat16ELi1ELi1ELi0EEEJNS0_5TruncIfEEEEEvT_T0_DpT1_.uses_flat_scratch, 0
	.set _ZN2at6native12_GLOBAL__N_125multi_tensor_apply_kernelINS1_18TensorListMetadataILi1EEENS1_14UnaryOpFunctorIN3c108BFloat16ELi1ELi1ELi0EEEJNS0_5TruncIfEEEEEvT_T0_DpT1_.has_dyn_sized_stack, 0
	.set _ZN2at6native12_GLOBAL__N_125multi_tensor_apply_kernelINS1_18TensorListMetadataILi1EEENS1_14UnaryOpFunctorIN3c108BFloat16ELi1ELi1ELi0EEEJNS0_5TruncIfEEEEEvT_T0_DpT1_.has_recursion, 0
	.set _ZN2at6native12_GLOBAL__N_125multi_tensor_apply_kernelINS1_18TensorListMetadataILi1EEENS1_14UnaryOpFunctorIN3c108BFloat16ELi1ELi1ELi0EEEJNS0_5TruncIfEEEEEvT_T0_DpT1_.has_indirect_call, 0
	.section	.AMDGPU.csdata,"",@progbits
; Kernel info:
; codeLenInByte = 1340
; TotalNumSgprs: 32
; NumVgprs: 17
; ScratchSize: 0
; MemoryBound: 0
; FloatMode: 240
; IeeeMode: 1
; LDSByteSize: 0 bytes/workgroup (compile time only)
; SGPRBlocks: 3
; VGPRBlocks: 4
; NumSGPRsForWavesPerEU: 32
; NumVGPRsForWavesPerEU: 17
; Occupancy: 10
; WaveLimiterHint : 0
; COMPUTE_PGM_RSRC2:SCRATCH_EN: 0
; COMPUTE_PGM_RSRC2:USER_SGPR: 6
; COMPUTE_PGM_RSRC2:TRAP_HANDLER: 0
; COMPUTE_PGM_RSRC2:TGID_X_EN: 1
; COMPUTE_PGM_RSRC2:TGID_Y_EN: 0
; COMPUTE_PGM_RSRC2:TGID_Z_EN: 0
; COMPUTE_PGM_RSRC2:TIDIG_COMP_CNT: 0
	.section	.text._ZN2at6native12_GLOBAL__N_125multi_tensor_apply_kernelINS1_18TensorListMetadataILi2EEENS1_14UnaryOpFunctorIdLi2ELi1ELi1EEEJNS0_10ReciprocalIdEEEEEvT_T0_DpT1_,"axG",@progbits,_ZN2at6native12_GLOBAL__N_125multi_tensor_apply_kernelINS1_18TensorListMetadataILi2EEENS1_14UnaryOpFunctorIdLi2ELi1ELi1EEEJNS0_10ReciprocalIdEEEEEvT_T0_DpT1_,comdat
	.globl	_ZN2at6native12_GLOBAL__N_125multi_tensor_apply_kernelINS1_18TensorListMetadataILi2EEENS1_14UnaryOpFunctorIdLi2ELi1ELi1EEEJNS0_10ReciprocalIdEEEEEvT_T0_DpT1_ ; -- Begin function _ZN2at6native12_GLOBAL__N_125multi_tensor_apply_kernelINS1_18TensorListMetadataILi2EEENS1_14UnaryOpFunctorIdLi2ELi1ELi1EEEJNS0_10ReciprocalIdEEEEEvT_T0_DpT1_
	.p2align	8
	.type	_ZN2at6native12_GLOBAL__N_125multi_tensor_apply_kernelINS1_18TensorListMetadataILi2EEENS1_14UnaryOpFunctorIdLi2ELi1ELi1EEEJNS0_10ReciprocalIdEEEEEvT_T0_DpT1_,@function
_ZN2at6native12_GLOBAL__N_125multi_tensor_apply_kernelINS1_18TensorListMetadataILi2EEENS1_14UnaryOpFunctorIdLi2ELi1ELi1EEEJNS0_10ReciprocalIdEEEEEvT_T0_DpT1_: ; @_ZN2at6native12_GLOBAL__N_125multi_tensor_apply_kernelINS1_18TensorListMetadataILi2EEENS1_14UnaryOpFunctorIdLi2ELi1ELi1EEEJNS0_10ReciprocalIdEEEEEvT_T0_DpT1_
; %bb.0:
	v_mov_b32_e32 v1, s6
	global_load_ubyte v1, v1, s[4:5] offset:1536
	s_add_u32 s0, s4, s6
	s_mul_hi_u32 s2, s6, 3
	s_mul_i32 s6, s6, 3
	s_addc_u32 s7, s5, 0
	s_add_u32 s6, s0, s6
	s_addc_u32 s7, s7, s2
	s_load_dword s6, s[6:7], 0x740
	s_mov_b32 s1, 0
	s_mov_b32 s3, s1
	s_waitcnt lgkmcnt(0)
	s_ashr_i32 s7, s6, 31
	s_lshl_b64 s[10:11], s[6:7], 19
	s_lshl_b64 s[6:7], s[6:7], 16
	s_waitcnt vmcnt(0)
	v_readfirstlane_b32 s0, v1
	s_lshl_b32 s0, s0, 3
	s_load_dwordx2 s[8:9], s[4:5], 0xc50
	s_load_dwordx2 s[12:13], s[4:5], s0 offset:0x400
	s_load_dwordx2 s[18:19], s[4:5], s0 offset:0x0
	;; [unrolled: 1-line block ×3, first 2 shown]
	s_waitcnt lgkmcnt(0)
	s_add_u32 s0, s18, s10
	s_and_b32 s2, s16, 31
	s_and_b32 s0, s0, 31
	s_sub_u32 s14, s12, s6
	s_subb_u32 s15, s13, s7
	s_and_b32 s6, s12, 3
	s_mov_b32 s7, s1
	s_or_b64 s[2:3], s[2:3], s[6:7]
	s_or_b64 s[0:1], s[2:3], s[0:1]
	s_cmp_eq_u64 s[0:1], 0
	s_mov_b64 s[0:1], -1
	s_cbranch_scc0 .LBB273_5
; %bb.1:
	v_mov_b32_e32 v1, 0x10000
	v_mov_b32_e32 v2, 0
	v_cmp_lt_i64_e32 vcc, s[14:15], v[1:2]
	v_mov_b32_e32 v2, 0
	s_and_b64 s[0:1], vcc, exec
	s_cselect_b32 s13, s15, 0
	s_cselect_b32 s12, s14, 0x10000
	v_lshlrev_b32_e32 v1, 2, v0
	v_cmp_gt_i64_e32 vcc, s[12:13], v[1:2]
	s_and_saveexec_b64 s[20:21], vcc
	s_cbranch_execz .LBB273_4
; %bb.2:
	s_load_dword s0, s[4:5], 0xc64
	v_mov_b32_e32 v1, v2
	v_lshlrev_b32_e32 v2, 5, v0
	v_mov_b32_e32 v4, s11
	v_add_co_u32_e32 v3, vcc, s10, v2
	s_waitcnt lgkmcnt(0)
	s_and_b32 s24, s0, 0xffff
	v_mov_b32_e32 v2, v1
	v_addc_co_u32_e32 v4, vcc, 0, v4, vcc
	s_lshl_b32 s25, s24, 5
	s_mov_b64 s[22:23], 0
	v_mov_b32_e32 v5, s19
	v_mov_b32_e32 v6, s17
	;; [unrolled: 1-line block ×3, first 2 shown]
.LBB273_3:                              ; =>This Inner Loop Header: Depth=1
	v_add_co_u32_e32 v15, vcc, s18, v3
	v_addc_co_u32_e32 v16, vcc, v5, v4, vcc
	global_load_dwordx4 v[7:10], v[15:16], off
	global_load_dwordx4 v[11:14], v[15:16], off offset:16
	s_waitcnt vmcnt(1)
	v_div_scale_f64 v[15:16], s[0:1], v[7:8], v[7:8], s[8:9]
	v_div_scale_f64 v[17:18], s[0:1], v[9:10], v[9:10], s[8:9]
	s_waitcnt vmcnt(0)
	v_div_scale_f64 v[19:20], s[0:1], v[11:12], v[11:12], s[8:9]
	v_div_scale_f64 v[21:22], s[0:1], v[13:14], v[13:14], s[8:9]
	v_div_scale_f64 v[23:24], vcc, s[8:9], v[7:8], s[8:9]
	v_div_scale_f64 v[25:26], s[0:1], s[8:9], v[9:10], s[8:9]
	v_div_scale_f64 v[27:28], s[2:3], s[8:9], v[11:12], s[8:9]
	;; [unrolled: 1-line block ×3, first 2 shown]
	v_rcp_f64_e32 v[29:30], v[15:16]
	v_rcp_f64_e32 v[31:32], v[17:18]
	;; [unrolled: 1-line block ×4, first 2 shown]
	v_fma_f64 v[39:40], -v[15:16], v[29:30], 1.0
	v_fma_f64 v[41:42], -v[17:18], v[31:32], 1.0
	;; [unrolled: 1-line block ×3, first 2 shown]
	v_fma_f64 v[29:30], v[29:30], v[39:40], v[29:30]
	v_fma_f64 v[39:40], -v[21:22], v[35:36], 1.0
	v_fma_f64 v[31:32], v[31:32], v[41:42], v[31:32]
	v_fma_f64 v[33:34], v[33:34], v[43:44], v[33:34]
	;; [unrolled: 1-line block ×3, first 2 shown]
	v_fma_f64 v[39:40], -v[15:16], v[29:30], 1.0
	v_fma_f64 v[41:42], -v[17:18], v[31:32], 1.0
	;; [unrolled: 1-line block ×3, first 2 shown]
	v_fma_f64 v[29:30], v[29:30], v[39:40], v[29:30]
	v_fma_f64 v[39:40], -v[21:22], v[35:36], 1.0
	v_fma_f64 v[31:32], v[31:32], v[41:42], v[31:32]
	v_fma_f64 v[33:34], v[33:34], v[43:44], v[33:34]
	;; [unrolled: 1-line block ×3, first 2 shown]
	v_mul_f64 v[39:40], v[23:24], v[29:30]
	v_mul_f64 v[41:42], v[25:26], v[31:32]
	;; [unrolled: 1-line block ×3, first 2 shown]
	v_fma_f64 v[15:16], -v[15:16], v[39:40], v[23:24]
	v_mul_f64 v[23:24], v[37:38], v[35:36]
	v_fma_f64 v[17:18], -v[17:18], v[41:42], v[25:26]
	v_fma_f64 v[19:20], -v[19:20], v[43:44], v[27:28]
	v_div_fmas_f64 v[15:16], v[15:16], v[29:30], v[39:40]
	v_fma_f64 v[21:22], -v[21:22], v[23:24], v[37:38]
	s_mov_b64 vcc, s[0:1]
	v_div_fmas_f64 v[17:18], v[17:18], v[31:32], v[41:42]
	s_mov_b64 vcc, s[2:3]
	v_div_fmas_f64 v[19:20], v[19:20], v[33:34], v[43:44]
	;; [unrolled: 2-line block ×3, first 2 shown]
	v_add_co_u32_e32 v23, vcc, s16, v3
	v_addc_co_u32_e32 v24, vcc, v6, v4, vcc
	v_add_co_u32_e32 v1, vcc, s24, v1
	v_div_fixup_f64 v[7:8], v[15:16], v[7:8], s[8:9]
	v_addc_co_u32_e32 v2, vcc, 0, v2, vcc
	v_div_fixup_f64 v[9:10], v[17:18], v[9:10], s[8:9]
	v_add_co_u32_e32 v3, vcc, s25, v3
	v_div_fixup_f64 v[11:12], v[19:20], v[11:12], s[8:9]
	v_lshlrev_b64 v[15:16], 2, v[1:2]
	v_addc_co_u32_e32 v4, vcc, 0, v4, vcc
	v_div_fixup_f64 v[13:14], v[21:22], v[13:14], s[8:9]
	v_cmp_le_i64_e32 vcc, s[12:13], v[15:16]
	global_store_dwordx4 v[23:24], v[7:10], off
	global_store_dwordx4 v[23:24], v[11:14], off offset:16
	s_or_b64 s[22:23], vcc, s[22:23]
	s_andn2_b64 exec, exec, s[22:23]
	s_cbranch_execnz .LBB273_3
.LBB273_4:
	s_or_b64 exec, exec, s[20:21]
	s_mov_b64 s[0:1], 0
.LBB273_5:
	s_andn2_b64 vcc, exec, s[0:1]
	s_cbranch_vccnz .LBB273_25
; %bb.6:
	v_cmp_lt_i64_e64 s[0:1], s[14:15], 1
	s_and_b64 vcc, exec, s[0:1]
	s_cbranch_vccnz .LBB273_25
; %bb.7:
	v_mov_b32_e32 v1, 0x10000
	s_load_dword s2, s[4:5], 0xc64
	v_mov_b32_e32 v2, 0
	v_cmp_lt_i64_e32 vcc, s[14:15], v[1:2]
	v_mov_b32_e32 v3, 0
	s_and_b64 s[0:1], vcc, exec
	v_cmp_lt_u64_e32 vcc, s[14:15], v[1:2]
	s_cselect_b32 s13, s15, 0
	s_cselect_b32 s12, s14, 0x10000
	s_waitcnt lgkmcnt(0)
	s_and_b32 s2, s2, 0xffff
	v_lshlrev_b32_e32 v2, 3, v0
	s_and_b64 s[0:1], vcc, exec
	v_mov_b32_e32 v1, s19
	v_add_co_u32_e32 v9, vcc, s18, v2
	v_mad_u64_u32 v[3:4], s[0:1], s2, 24, v[2:3]
	v_addc_co_u32_e32 v10, vcc, 0, v1, vcc
	v_mov_b32_e32 v1, s17
	v_add_co_u32_e32 v11, vcc, s16, v2
	v_addc_co_u32_e32 v12, vcc, 0, v1, vcc
	v_mov_b32_e32 v1, s19
	v_add_co_u32_e32 v13, vcc, s18, v3
	;; [unrolled: 3-line block ×3, first 2 shown]
	s_cselect_b32 s15, s15, 0
	s_cselect_b32 s14, s14, 0x10000
	v_addc_co_u32_e32 v16, vcc, v1, v4, vcc
	s_lshl_b32 s0, s2, 4
	v_add_co_u32_e32 v1, vcc, s0, v2
	v_addc_co_u32_e64 v2, s[0:1], 0, 0, vcc
	v_mov_b32_e32 v3, s19
	v_add_co_u32_e32 v17, vcc, s18, v1
	v_addc_co_u32_e32 v18, vcc, v3, v2, vcc
	v_mov_b32_e32 v3, s17
	v_add_co_u32_e32 v19, vcc, s16, v1
	v_addc_co_u32_e32 v20, vcc, v3, v2, vcc
	v_add_co_u32_e32 v21, vcc, s2, v0
	v_lshlrev_b32_e32 v1, 3, v21
	v_addc_co_u32_e64 v22, s[0:1], 0, 0, vcc
	v_mov_b32_e32 v2, s19
	v_add_co_u32_e32 v23, vcc, s18, v1
	v_addc_co_u32_e32 v24, vcc, 0, v2, vcc
	v_mov_b32_e32 v2, s17
	v_add_co_u32_e32 v25, vcc, s16, v1
	s_mul_i32 s4, s2, 3
	v_addc_co_u32_e32 v26, vcc, 0, v2, vcc
	s_lshl_b32 s3, s2, 1
	v_add_co_u32_e32 v27, vcc, s4, v0
	v_addc_co_u32_e64 v28, s[0:1], 0, 0, vcc
	v_add_co_u32_e32 v29, vcc, s3, v0
	s_lshl_b32 s20, s2, 2
	s_lshl_b32 s21, s2, 5
	s_mov_b64 s[16:17], 0
	v_addc_co_u32_e64 v30, s[0:1], 0, 0, vcc
	s_branch .LBB273_9
.LBB273_8:                              ;   in Loop: Header=BB273_9 Depth=1
	s_or_b64 exec, exec, s[2:3]
	v_add_co_u32_e32 v9, vcc, s21, v9
	v_addc_co_u32_e32 v10, vcc, 0, v10, vcc
	v_add_co_u32_e32 v11, vcc, s21, v11
	v_addc_co_u32_e32 v12, vcc, 0, v12, vcc
	;; [unrolled: 2-line block ×6, first 2 shown]
	s_add_u32 s16, s16, s20
	v_add_co_u32_e32 v23, vcc, s21, v23
	s_waitcnt vmcnt(0)
	v_mov_b32_e32 v1, s12
	s_addc_u32 s17, s17, 0
	v_addc_co_u32_e32 v24, vcc, 0, v24, vcc
	v_mov_b32_e32 v2, s13
	v_cmp_ge_i64_e32 vcc, s[16:17], v[1:2]
	v_add_co_u32_e64 v25, s[0:1], s21, v25
	v_addc_co_u32_e64 v26, s[0:1], 0, v26, s[0:1]
	s_cbranch_vccnz .LBB273_25
.LBB273_9:                              ; =>This Inner Loop Header: Depth=1
	v_mov_b32_e32 v2, s17
	v_add_co_u32_e32 v1, vcc, s16, v0
	v_addc_co_u32_e32 v2, vcc, 0, v2, vcc
	v_cmp_gt_u64_e32 vcc, s[14:15], v[1:2]
	v_mov_b32_e32 v3, 0
	v_mov_b32_e32 v7, 0
	;; [unrolled: 1-line block ×4, first 2 shown]
	s_and_saveexec_b64 s[2:3], vcc
	s_cbranch_execz .LBB273_11
; %bb.10:                               ;   in Loop: Header=BB273_9 Depth=1
	v_mov_b32_e32 v2, s11
	v_add_co_u32_e64 v1, s[0:1], s10, v9
	v_addc_co_u32_e64 v2, s[0:1], v10, v2, s[0:1]
	global_load_dwordx2 v[7:8], v[1:2], off
.LBB273_11:                             ;   in Loop: Header=BB273_9 Depth=1
	s_or_b64 exec, exec, s[2:3]
	v_mov_b32_e32 v2, s17
	v_add_co_u32_e64 v1, s[0:1], s16, v21
	v_addc_co_u32_e64 v2, s[0:1], v22, v2, s[0:1]
	v_cmp_gt_u64_e64 s[4:5], s[14:15], v[1:2]
	s_and_saveexec_b64 s[2:3], s[4:5]
	s_cbranch_execz .LBB273_13
; %bb.12:                               ;   in Loop: Header=BB273_9 Depth=1
	v_mov_b32_e32 v2, s11
	v_add_co_u32_e64 v1, s[0:1], s10, v23
	v_addc_co_u32_e64 v2, s[0:1], v24, v2, s[0:1]
	global_load_dwordx2 v[3:4], v[1:2], off
.LBB273_13:                             ;   in Loop: Header=BB273_9 Depth=1
	s_or_b64 exec, exec, s[2:3]
	v_mov_b32_e32 v2, s17
	v_add_co_u32_e64 v1, s[0:1], s16, v29
	v_addc_co_u32_e64 v2, s[0:1], v30, v2, s[0:1]
	v_cmp_gt_u64_e64 s[2:3], s[14:15], v[1:2]
	v_mov_b32_e32 v1, 0
	v_mov_b32_e32 v5, 0
	;; [unrolled: 1-line block ×4, first 2 shown]
	s_and_saveexec_b64 s[6:7], s[2:3]
	s_cbranch_execz .LBB273_15
; %bb.14:                               ;   in Loop: Header=BB273_9 Depth=1
	v_mov_b32_e32 v6, s11
	v_add_co_u32_e64 v5, s[0:1], s10, v17
	v_addc_co_u32_e64 v6, s[0:1], v18, v6, s[0:1]
	global_load_dwordx2 v[5:6], v[5:6], off
.LBB273_15:                             ;   in Loop: Header=BB273_9 Depth=1
	s_or_b64 exec, exec, s[6:7]
	v_mov_b32_e32 v32, s17
	v_add_co_u32_e64 v31, s[0:1], s16, v27
	v_addc_co_u32_e64 v32, s[0:1], v28, v32, s[0:1]
	v_cmp_gt_u64_e64 s[0:1], s[14:15], v[31:32]
	s_and_saveexec_b64 s[18:19], s[0:1]
	s_cbranch_execnz .LBB273_20
; %bb.16:                               ;   in Loop: Header=BB273_9 Depth=1
	s_or_b64 exec, exec, s[18:19]
	s_and_saveexec_b64 s[6:7], vcc
	s_cbranch_execnz .LBB273_21
.LBB273_17:                             ;   in Loop: Header=BB273_9 Depth=1
	s_or_b64 exec, exec, s[6:7]
	s_and_saveexec_b64 s[6:7], s[4:5]
	s_cbranch_execnz .LBB273_22
.LBB273_18:                             ;   in Loop: Header=BB273_9 Depth=1
	s_or_b64 exec, exec, s[6:7]
	s_and_saveexec_b64 s[4:5], s[2:3]
	s_cbranch_execnz .LBB273_23
.LBB273_19:                             ;   in Loop: Header=BB273_9 Depth=1
	s_or_b64 exec, exec, s[4:5]
	s_and_saveexec_b64 s[2:3], s[0:1]
	s_cbranch_execz .LBB273_8
	s_branch .LBB273_24
.LBB273_20:                             ;   in Loop: Header=BB273_9 Depth=1
	v_mov_b32_e32 v2, s11
	v_add_co_u32_e64 v1, s[6:7], s10, v13
	v_addc_co_u32_e64 v2, s[6:7], v14, v2, s[6:7]
	global_load_dwordx2 v[1:2], v[1:2], off
	s_or_b64 exec, exec, s[18:19]
	s_and_saveexec_b64 s[6:7], vcc
	s_cbranch_execz .LBB273_17
.LBB273_21:                             ;   in Loop: Header=BB273_9 Depth=1
	s_waitcnt vmcnt(0)
	v_div_scale_f64 v[31:32], s[18:19], v[7:8], v[7:8], s[8:9]
	v_div_scale_f64 v[37:38], vcc, s[8:9], v[7:8], s[8:9]
	v_rcp_f64_e32 v[33:34], v[31:32]
	v_fma_f64 v[35:36], -v[31:32], v[33:34], 1.0
	v_fma_f64 v[33:34], v[33:34], v[35:36], v[33:34]
	v_fma_f64 v[35:36], -v[31:32], v[33:34], 1.0
	v_fma_f64 v[33:34], v[33:34], v[35:36], v[33:34]
	v_mul_f64 v[35:36], v[37:38], v[33:34]
	v_fma_f64 v[31:32], -v[31:32], v[35:36], v[37:38]
	v_div_fmas_f64 v[31:32], v[31:32], v[33:34], v[35:36]
	v_div_fixup_f64 v[7:8], v[31:32], v[7:8], s[8:9]
	v_mov_b32_e32 v32, s11
	v_add_co_u32_e32 v31, vcc, s10, v11
	v_addc_co_u32_e32 v32, vcc, v12, v32, vcc
	global_store_dwordx2 v[31:32], v[7:8], off
	s_or_b64 exec, exec, s[6:7]
	s_and_saveexec_b64 s[6:7], s[4:5]
	s_cbranch_execz .LBB273_18
.LBB273_22:                             ;   in Loop: Header=BB273_9 Depth=1
	s_waitcnt vmcnt(0)
	v_div_scale_f64 v[7:8], s[4:5], v[3:4], v[3:4], s[8:9]
	v_div_scale_f64 v[35:36], vcc, s[8:9], v[3:4], s[8:9]
	v_rcp_f64_e32 v[31:32], v[7:8]
	v_fma_f64 v[33:34], -v[7:8], v[31:32], 1.0
	v_fma_f64 v[31:32], v[31:32], v[33:34], v[31:32]
	v_fma_f64 v[33:34], -v[7:8], v[31:32], 1.0
	v_fma_f64 v[31:32], v[31:32], v[33:34], v[31:32]
	v_mul_f64 v[33:34], v[35:36], v[31:32]
	v_fma_f64 v[7:8], -v[7:8], v[33:34], v[35:36]
	v_div_fmas_f64 v[7:8], v[7:8], v[31:32], v[33:34]
	v_div_fixup_f64 v[3:4], v[7:8], v[3:4], s[8:9]
	v_mov_b32_e32 v8, s11
	v_add_co_u32_e32 v7, vcc, s10, v25
	v_addc_co_u32_e32 v8, vcc, v26, v8, vcc
	global_store_dwordx2 v[7:8], v[3:4], off
	s_or_b64 exec, exec, s[6:7]
	s_and_saveexec_b64 s[4:5], s[2:3]
	s_cbranch_execz .LBB273_19
.LBB273_23:                             ;   in Loop: Header=BB273_9 Depth=1
	s_waitcnt vmcnt(0)
	v_div_scale_f64 v[3:4], s[2:3], v[5:6], v[5:6], s[8:9]
	v_div_scale_f64 v[33:34], vcc, s[8:9], v[5:6], s[8:9]
	v_rcp_f64_e32 v[7:8], v[3:4]
	v_fma_f64 v[31:32], -v[3:4], v[7:8], 1.0
	v_fma_f64 v[7:8], v[7:8], v[31:32], v[7:8]
	v_fma_f64 v[31:32], -v[3:4], v[7:8], 1.0
	v_fma_f64 v[7:8], v[7:8], v[31:32], v[7:8]
	v_mul_f64 v[31:32], v[33:34], v[7:8]
	v_fma_f64 v[3:4], -v[3:4], v[31:32], v[33:34]
	v_div_fmas_f64 v[3:4], v[3:4], v[7:8], v[31:32]
	v_div_fixup_f64 v[3:4], v[3:4], v[5:6], s[8:9]
	v_mov_b32_e32 v6, s11
	v_add_co_u32_e32 v5, vcc, s10, v19
	v_addc_co_u32_e32 v6, vcc, v20, v6, vcc
	global_store_dwordx2 v[5:6], v[3:4], off
	s_or_b64 exec, exec, s[4:5]
	s_and_saveexec_b64 s[2:3], s[0:1]
	s_cbranch_execz .LBB273_8
.LBB273_24:                             ;   in Loop: Header=BB273_9 Depth=1
	s_waitcnt vmcnt(0)
	v_div_scale_f64 v[3:4], s[0:1], v[1:2], v[1:2], s[8:9]
	v_div_scale_f64 v[31:32], vcc, s[8:9], v[1:2], s[8:9]
	v_rcp_f64_e32 v[5:6], v[3:4]
	v_fma_f64 v[7:8], -v[3:4], v[5:6], 1.0
	v_fma_f64 v[5:6], v[5:6], v[7:8], v[5:6]
	v_fma_f64 v[7:8], -v[3:4], v[5:6], 1.0
	v_fma_f64 v[5:6], v[5:6], v[7:8], v[5:6]
	v_mul_f64 v[7:8], v[31:32], v[5:6]
	v_fma_f64 v[3:4], -v[3:4], v[7:8], v[31:32]
	v_div_fmas_f64 v[3:4], v[3:4], v[5:6], v[7:8]
	v_div_fixup_f64 v[1:2], v[3:4], v[1:2], s[8:9]
	v_mov_b32_e32 v4, s11
	v_add_co_u32_e32 v3, vcc, s10, v15
	v_addc_co_u32_e32 v4, vcc, v16, v4, vcc
	global_store_dwordx2 v[3:4], v[1:2], off
	s_branch .LBB273_8
.LBB273_25:
	s_endpgm
	.section	.rodata,"a",@progbits
	.p2align	6, 0x0
	.amdhsa_kernel _ZN2at6native12_GLOBAL__N_125multi_tensor_apply_kernelINS1_18TensorListMetadataILi2EEENS1_14UnaryOpFunctorIdLi2ELi1ELi1EEEJNS0_10ReciprocalIdEEEEEvT_T0_DpT1_
		.amdhsa_group_segment_fixed_size 0
		.amdhsa_private_segment_fixed_size 0
		.amdhsa_kernarg_size 3416
		.amdhsa_user_sgpr_count 6
		.amdhsa_user_sgpr_private_segment_buffer 1
		.amdhsa_user_sgpr_dispatch_ptr 0
		.amdhsa_user_sgpr_queue_ptr 0
		.amdhsa_user_sgpr_kernarg_segment_ptr 1
		.amdhsa_user_sgpr_dispatch_id 0
		.amdhsa_user_sgpr_flat_scratch_init 0
		.amdhsa_user_sgpr_private_segment_size 0
		.amdhsa_uses_dynamic_stack 0
		.amdhsa_system_sgpr_private_segment_wavefront_offset 0
		.amdhsa_system_sgpr_workgroup_id_x 1
		.amdhsa_system_sgpr_workgroup_id_y 0
		.amdhsa_system_sgpr_workgroup_id_z 0
		.amdhsa_system_sgpr_workgroup_info 0
		.amdhsa_system_vgpr_workitem_id 0
		.amdhsa_next_free_vgpr 45
		.amdhsa_next_free_sgpr 26
		.amdhsa_reserve_vcc 1
		.amdhsa_reserve_flat_scratch 0
		.amdhsa_float_round_mode_32 0
		.amdhsa_float_round_mode_16_64 0
		.amdhsa_float_denorm_mode_32 3
		.amdhsa_float_denorm_mode_16_64 3
		.amdhsa_dx10_clamp 1
		.amdhsa_ieee_mode 1
		.amdhsa_fp16_overflow 0
		.amdhsa_exception_fp_ieee_invalid_op 0
		.amdhsa_exception_fp_denorm_src 0
		.amdhsa_exception_fp_ieee_div_zero 0
		.amdhsa_exception_fp_ieee_overflow 0
		.amdhsa_exception_fp_ieee_underflow 0
		.amdhsa_exception_fp_ieee_inexact 0
		.amdhsa_exception_int_div_zero 0
	.end_amdhsa_kernel
	.section	.text._ZN2at6native12_GLOBAL__N_125multi_tensor_apply_kernelINS1_18TensorListMetadataILi2EEENS1_14UnaryOpFunctorIdLi2ELi1ELi1EEEJNS0_10ReciprocalIdEEEEEvT_T0_DpT1_,"axG",@progbits,_ZN2at6native12_GLOBAL__N_125multi_tensor_apply_kernelINS1_18TensorListMetadataILi2EEENS1_14UnaryOpFunctorIdLi2ELi1ELi1EEEJNS0_10ReciprocalIdEEEEEvT_T0_DpT1_,comdat
.Lfunc_end273:
	.size	_ZN2at6native12_GLOBAL__N_125multi_tensor_apply_kernelINS1_18TensorListMetadataILi2EEENS1_14UnaryOpFunctorIdLi2ELi1ELi1EEEJNS0_10ReciprocalIdEEEEEvT_T0_DpT1_, .Lfunc_end273-_ZN2at6native12_GLOBAL__N_125multi_tensor_apply_kernelINS1_18TensorListMetadataILi2EEENS1_14UnaryOpFunctorIdLi2ELi1ELi1EEEJNS0_10ReciprocalIdEEEEEvT_T0_DpT1_
                                        ; -- End function
	.set _ZN2at6native12_GLOBAL__N_125multi_tensor_apply_kernelINS1_18TensorListMetadataILi2EEENS1_14UnaryOpFunctorIdLi2ELi1ELi1EEEJNS0_10ReciprocalIdEEEEEvT_T0_DpT1_.num_vgpr, 45
	.set _ZN2at6native12_GLOBAL__N_125multi_tensor_apply_kernelINS1_18TensorListMetadataILi2EEENS1_14UnaryOpFunctorIdLi2ELi1ELi1EEEJNS0_10ReciprocalIdEEEEEvT_T0_DpT1_.num_agpr, 0
	.set _ZN2at6native12_GLOBAL__N_125multi_tensor_apply_kernelINS1_18TensorListMetadataILi2EEENS1_14UnaryOpFunctorIdLi2ELi1ELi1EEEJNS0_10ReciprocalIdEEEEEvT_T0_DpT1_.numbered_sgpr, 26
	.set _ZN2at6native12_GLOBAL__N_125multi_tensor_apply_kernelINS1_18TensorListMetadataILi2EEENS1_14UnaryOpFunctorIdLi2ELi1ELi1EEEJNS0_10ReciprocalIdEEEEEvT_T0_DpT1_.num_named_barrier, 0
	.set _ZN2at6native12_GLOBAL__N_125multi_tensor_apply_kernelINS1_18TensorListMetadataILi2EEENS1_14UnaryOpFunctorIdLi2ELi1ELi1EEEJNS0_10ReciprocalIdEEEEEvT_T0_DpT1_.private_seg_size, 0
	.set _ZN2at6native12_GLOBAL__N_125multi_tensor_apply_kernelINS1_18TensorListMetadataILi2EEENS1_14UnaryOpFunctorIdLi2ELi1ELi1EEEJNS0_10ReciprocalIdEEEEEvT_T0_DpT1_.uses_vcc, 1
	.set _ZN2at6native12_GLOBAL__N_125multi_tensor_apply_kernelINS1_18TensorListMetadataILi2EEENS1_14UnaryOpFunctorIdLi2ELi1ELi1EEEJNS0_10ReciprocalIdEEEEEvT_T0_DpT1_.uses_flat_scratch, 0
	.set _ZN2at6native12_GLOBAL__N_125multi_tensor_apply_kernelINS1_18TensorListMetadataILi2EEENS1_14UnaryOpFunctorIdLi2ELi1ELi1EEEJNS0_10ReciprocalIdEEEEEvT_T0_DpT1_.has_dyn_sized_stack, 0
	.set _ZN2at6native12_GLOBAL__N_125multi_tensor_apply_kernelINS1_18TensorListMetadataILi2EEENS1_14UnaryOpFunctorIdLi2ELi1ELi1EEEJNS0_10ReciprocalIdEEEEEvT_T0_DpT1_.has_recursion, 0
	.set _ZN2at6native12_GLOBAL__N_125multi_tensor_apply_kernelINS1_18TensorListMetadataILi2EEENS1_14UnaryOpFunctorIdLi2ELi1ELi1EEEJNS0_10ReciprocalIdEEEEEvT_T0_DpT1_.has_indirect_call, 0
	.section	.AMDGPU.csdata,"",@progbits
; Kernel info:
; codeLenInByte = 1952
; TotalNumSgprs: 30
; NumVgprs: 45
; ScratchSize: 0
; MemoryBound: 0
; FloatMode: 240
; IeeeMode: 1
; LDSByteSize: 0 bytes/workgroup (compile time only)
; SGPRBlocks: 3
; VGPRBlocks: 11
; NumSGPRsForWavesPerEU: 30
; NumVGPRsForWavesPerEU: 45
; Occupancy: 5
; WaveLimiterHint : 0
; COMPUTE_PGM_RSRC2:SCRATCH_EN: 0
; COMPUTE_PGM_RSRC2:USER_SGPR: 6
; COMPUTE_PGM_RSRC2:TRAP_HANDLER: 0
; COMPUTE_PGM_RSRC2:TGID_X_EN: 1
; COMPUTE_PGM_RSRC2:TGID_Y_EN: 0
; COMPUTE_PGM_RSRC2:TGID_Z_EN: 0
; COMPUTE_PGM_RSRC2:TIDIG_COMP_CNT: 0
	.section	.text._ZN2at6native12_GLOBAL__N_125multi_tensor_apply_kernelINS1_18TensorListMetadataILi2EEENS1_14UnaryOpFunctorIfLi2ELi1ELi1EEEJNS0_10ReciprocalIfEEEEEvT_T0_DpT1_,"axG",@progbits,_ZN2at6native12_GLOBAL__N_125multi_tensor_apply_kernelINS1_18TensorListMetadataILi2EEENS1_14UnaryOpFunctorIfLi2ELi1ELi1EEEJNS0_10ReciprocalIfEEEEEvT_T0_DpT1_,comdat
	.globl	_ZN2at6native12_GLOBAL__N_125multi_tensor_apply_kernelINS1_18TensorListMetadataILi2EEENS1_14UnaryOpFunctorIfLi2ELi1ELi1EEEJNS0_10ReciprocalIfEEEEEvT_T0_DpT1_ ; -- Begin function _ZN2at6native12_GLOBAL__N_125multi_tensor_apply_kernelINS1_18TensorListMetadataILi2EEENS1_14UnaryOpFunctorIfLi2ELi1ELi1EEEJNS0_10ReciprocalIfEEEEEvT_T0_DpT1_
	.p2align	8
	.type	_ZN2at6native12_GLOBAL__N_125multi_tensor_apply_kernelINS1_18TensorListMetadataILi2EEENS1_14UnaryOpFunctorIfLi2ELi1ELi1EEEJNS0_10ReciprocalIfEEEEEvT_T0_DpT1_,@function
_ZN2at6native12_GLOBAL__N_125multi_tensor_apply_kernelINS1_18TensorListMetadataILi2EEENS1_14UnaryOpFunctorIfLi2ELi1ELi1EEEJNS0_10ReciprocalIfEEEEEvT_T0_DpT1_: ; @_ZN2at6native12_GLOBAL__N_125multi_tensor_apply_kernelINS1_18TensorListMetadataILi2EEENS1_14UnaryOpFunctorIfLi2ELi1ELi1EEEJNS0_10ReciprocalIfEEEEEvT_T0_DpT1_
; %bb.0:
	v_mov_b32_e32 v1, s6
	global_load_ubyte v1, v1, s[4:5] offset:1536
	s_add_u32 s0, s4, s6
	s_mul_hi_u32 s2, s6, 3
	s_mul_i32 s6, s6, 3
	s_addc_u32 s7, s5, 0
	s_add_u32 s6, s0, s6
	s_addc_u32 s7, s7, s2
	s_load_dword s6, s[6:7], 0x740
	s_mov_b32 s1, 0
	s_mov_b32 s3, s1
	s_waitcnt lgkmcnt(0)
	s_ashr_i32 s7, s6, 31
	s_lshl_b64 s[10:11], s[6:7], 18
	s_lshl_b64 s[6:7], s[6:7], 16
	s_waitcnt vmcnt(0)
	v_readfirstlane_b32 s0, v1
	s_lshl_b32 s0, s0, 3
	s_load_dword s24, s[4:5], 0xc4c
	s_load_dwordx2 s[8:9], s[4:5], s0 offset:0x400
	s_load_dwordx2 s[16:17], s[4:5], s0 offset:0x0
	;; [unrolled: 1-line block ×3, first 2 shown]
	s_waitcnt lgkmcnt(0)
	s_add_u32 s0, s16, s10
	s_and_b32 s2, s14, 15
	s_and_b32 s0, s0, 15
	s_sub_u32 s12, s8, s6
	s_subb_u32 s13, s9, s7
	s_and_b32 s6, s8, 3
	s_mov_b32 s7, s1
	s_or_b64 s[2:3], s[2:3], s[6:7]
	s_or_b64 s[0:1], s[2:3], s[0:1]
	s_cmp_eq_u64 s[0:1], 0
	s_mov_b64 s[0:1], -1
	s_cbranch_scc0 .LBB274_5
; %bb.1:
	v_mov_b32_e32 v1, 0x10000
	v_mov_b32_e32 v2, 0
	v_cmp_lt_i64_e32 vcc, s[12:13], v[1:2]
	v_mov_b32_e32 v2, 0
	s_and_b64 s[0:1], vcc, exec
	s_cselect_b32 s19, s13, 0
	s_cselect_b32 s18, s12, 0x10000
	v_lshlrev_b32_e32 v1, 2, v0
	v_cmp_gt_i64_e32 vcc, s[18:19], v[1:2]
	s_and_saveexec_b64 s[20:21], vcc
	s_cbranch_execz .LBB274_4
; %bb.2:
	s_load_dword s0, s[4:5], 0xc5c
	v_mov_b32_e32 v1, v2
	v_lshlrev_b32_e32 v2, 4, v0
	v_mov_b32_e32 v4, s11
	v_add_co_u32_e32 v3, vcc, s10, v2
	s_waitcnt lgkmcnt(0)
	s_and_b32 s25, s0, 0xffff
	v_mov_b32_e32 v2, v1
	v_addc_co_u32_e32 v4, vcc, 0, v4, vcc
	s_lshl_b32 s26, s25, 4
	s_mov_b64 s[22:23], 0
	v_mov_b32_e32 v5, s17
	v_mov_b32_e32 v6, s15
	;; [unrolled: 1-line block ×3, first 2 shown]
.LBB274_3:                              ; =>This Inner Loop Header: Depth=1
	v_add_co_u32_e32 v7, vcc, s16, v3
	v_addc_co_u32_e32 v8, vcc, v5, v4, vcc
	global_load_dwordx4 v[7:10], v[7:8], off
	s_waitcnt vmcnt(0)
	v_div_scale_f32 v13, s[0:1], v7, v7, s24
	v_div_scale_f32 v14, s[0:1], v8, v8, s24
	;; [unrolled: 1-line block ×4, first 2 shown]
	v_div_scale_f32 v17, vcc, s24, v7, s24
	v_div_scale_f32 v18, s[0:1], s24, v8, s24
	v_div_scale_f32 v19, s[2:3], s24, v9, s24
	;; [unrolled: 1-line block ×3, first 2 shown]
	v_rcp_f32_e32 v21, v13
	v_rcp_f32_e32 v22, v14
	;; [unrolled: 1-line block ×3, first 2 shown]
	v_fma_f32 v11, -v13, v21, 1.0
	v_rcp_f32_e32 v24, v16
	v_fma_f32 v12, -v14, v22, 1.0
	v_fma_f32 v25, -v15, v23, 1.0
	v_fmac_f32_e32 v21, v11, v21
	v_fma_f32 v26, -v16, v24, 1.0
	v_fmac_f32_e32 v22, v12, v22
	v_fmac_f32_e32 v23, v25, v23
	v_mul_f32_e32 v25, v17, v21
	v_fmac_f32_e32 v24, v26, v24
	v_mul_f32_e32 v26, v18, v22
	v_fma_f32 v11, -v13, v25, v17
	v_mul_f32_e32 v27, v19, v23
	v_fma_f32 v12, -v14, v26, v18
	v_fmac_f32_e32 v25, v11, v21
	v_mul_f32_e32 v28, v20, v24
	v_fma_f32 v11, -v15, v27, v19
	v_fmac_f32_e32 v26, v12, v22
	v_fma_f32 v13, -v13, v25, v17
	v_fma_f32 v12, -v16, v28, v20
	v_fmac_f32_e32 v27, v11, v23
	v_fma_f32 v14, -v14, v26, v18
	v_div_fmas_f32 v17, v13, v21, v25
	s_mov_b64 vcc, s[0:1]
	v_fmac_f32_e32 v28, v12, v24
	v_fma_f32 v15, -v15, v27, v19
	v_div_fmas_f32 v18, v14, v22, v26
	s_mov_b64 vcc, s[2:3]
	v_fma_f32 v16, -v16, v28, v20
	v_div_fmas_f32 v15, v15, v23, v27
	s_mov_b64 vcc, s[6:7]
	v_div_fmas_f32 v16, v16, v24, v28
	v_add_co_u32_e32 v1, vcc, s25, v1
	v_addc_co_u32_e32 v2, vcc, 0, v2, vcc
	v_add_co_u32_e64 v11, s[8:9], s14, v3
	v_add_co_u32_e32 v3, vcc, s26, v3
	v_lshlrev_b64 v[13:14], 2, v[1:2]
	v_addc_co_u32_e64 v12, s[8:9], v6, v4, s[8:9]
	v_addc_co_u32_e32 v4, vcc, 0, v4, vcc
	v_cmp_le_i64_e32 vcc, s[18:19], v[13:14]
	v_div_fixup_f32 v7, v17, v7, s24
	s_or_b64 s[22:23], vcc, s[22:23]
	v_div_fixup_f32 v8, v18, v8, s24
	v_div_fixup_f32 v9, v15, v9, s24
	;; [unrolled: 1-line block ×3, first 2 shown]
	global_store_dwordx4 v[11:12], v[7:10], off
	s_andn2_b64 exec, exec, s[22:23]
	s_cbranch_execnz .LBB274_3
.LBB274_4:
	s_or_b64 exec, exec, s[20:21]
	s_mov_b64 s[0:1], 0
.LBB274_5:
	s_andn2_b64 vcc, exec, s[0:1]
	s_cbranch_vccnz .LBB274_25
; %bb.6:
	v_cmp_lt_i64_e64 s[0:1], s[12:13], 1
	s_and_b64 vcc, exec, s[0:1]
	s_cbranch_vccnz .LBB274_25
; %bb.7:
	v_mov_b32_e32 v1, 0x10000
	s_load_dword s2, s[4:5], 0xc5c
	v_mov_b32_e32 v2, 0
	v_cmp_lt_i64_e32 vcc, s[12:13], v[1:2]
	v_mov_b32_e32 v10, 0
	s_and_b64 s[0:1], vcc, exec
	v_cmp_lt_u64_e32 vcc, s[12:13], v[1:2]
	s_cselect_b32 s9, s13, 0
	s_cselect_b32 s8, s12, 0x10000
	s_waitcnt lgkmcnt(0)
	s_and_b32 s2, s2, 0xffff
	v_lshlrev_b32_e32 v9, 2, v0
	s_and_b64 s[0:1], vcc, exec
	v_mov_b32_e32 v2, s17
	v_add_co_u32_e32 v1, vcc, s16, v9
	v_mad_u64_u32 v[7:8], s[0:1], s2, 12, v[9:10]
	v_addc_co_u32_e32 v2, vcc, 0, v2, vcc
	v_mov_b32_e32 v4, s15
	v_add_co_u32_e32 v3, vcc, s14, v9
	v_addc_co_u32_e32 v4, vcc, 0, v4, vcc
	v_mov_b32_e32 v6, s17
	v_add_co_u32_e32 v5, vcc, s16, v7
	;; [unrolled: 3-line block ×3, first 2 shown]
	s_cselect_b32 s13, s13, 0
	s_cselect_b32 s12, s12, 0x10000
	v_addc_co_u32_e32 v8, vcc, v10, v8, vcc
	s_lshl_b32 s0, s2, 3
	v_add_co_u32_e32 v11, vcc, s0, v9
	v_addc_co_u32_e64 v12, s[0:1], 0, 0, vcc
	v_mov_b32_e32 v10, s17
	v_add_co_u32_e32 v9, vcc, s16, v11
	v_addc_co_u32_e32 v10, vcc, v10, v12, vcc
	v_mov_b32_e32 v13, s15
	v_add_co_u32_e32 v11, vcc, s14, v11
	v_addc_co_u32_e32 v12, vcc, v13, v12, vcc
	v_add_co_u32_e32 v13, vcc, s2, v0
	v_lshlrev_b32_e32 v17, 2, v13
	v_addc_co_u32_e64 v14, s[0:1], 0, 0, vcc
	v_mov_b32_e32 v16, s17
	v_add_co_u32_e32 v15, vcc, s16, v17
	v_addc_co_u32_e32 v16, vcc, 0, v16, vcc
	v_mov_b32_e32 v18, s15
	v_add_co_u32_e32 v17, vcc, s14, v17
	s_mul_i32 s4, s2, 3
	v_addc_co_u32_e32 v18, vcc, 0, v18, vcc
	s_lshl_b32 s3, s2, 1
	v_add_co_u32_e32 v19, vcc, s4, v0
	v_addc_co_u32_e64 v20, s[0:1], 0, 0, vcc
	v_add_co_u32_e32 v21, vcc, s3, v0
	s_lshl_b32 s18, s2, 2
	s_lshl_b32 s19, s2, 4
	s_mov_b64 s[14:15], 0
	v_addc_co_u32_e64 v22, s[0:1], 0, 0, vcc
	s_branch .LBB274_9
.LBB274_8:                              ;   in Loop: Header=BB274_9 Depth=1
	s_or_b64 exec, exec, s[2:3]
	v_add_co_u32_e32 v1, vcc, s19, v1
	v_addc_co_u32_e32 v2, vcc, 0, v2, vcc
	v_add_co_u32_e32 v3, vcc, s19, v3
	v_addc_co_u32_e32 v4, vcc, 0, v4, vcc
	v_add_co_u32_e32 v5, vcc, s19, v5
	v_addc_co_u32_e32 v6, vcc, 0, v6, vcc
	v_add_co_u32_e32 v7, vcc, s19, v7
	v_addc_co_u32_e32 v8, vcc, 0, v8, vcc
	v_add_co_u32_e32 v9, vcc, s19, v9
	v_addc_co_u32_e32 v10, vcc, 0, v10, vcc
	v_add_co_u32_e32 v11, vcc, s19, v11
	v_addc_co_u32_e32 v12, vcc, 0, v12, vcc
	s_add_u32 s14, s14, s18
	v_add_co_u32_e32 v15, vcc, s19, v15
	s_waitcnt vmcnt(0)
	v_mov_b32_e32 v24, s9
	s_addc_u32 s15, s15, 0
	v_addc_co_u32_e32 v16, vcc, 0, v16, vcc
	v_mov_b32_e32 v23, s8
	v_cmp_ge_i64_e32 vcc, s[14:15], v[23:24]
	v_add_co_u32_e64 v17, s[0:1], s19, v17
	v_addc_co_u32_e64 v18, s[0:1], 0, v18, s[0:1]
	s_cbranch_vccnz .LBB274_25
.LBB274_9:                              ; =>This Inner Loop Header: Depth=1
	v_mov_b32_e32 v24, s15
	v_add_co_u32_e32 v23, vcc, s14, v0
	v_addc_co_u32_e32 v24, vcc, 0, v24, vcc
	v_cmp_gt_u64_e32 vcc, s[12:13], v[23:24]
	v_mov_b32_e32 v26, 0
	s_and_saveexec_b64 s[2:3], vcc
	s_cbranch_execz .LBB274_11
; %bb.10:                               ;   in Loop: Header=BB274_9 Depth=1
	v_mov_b32_e32 v24, s11
	v_add_co_u32_e64 v23, s[0:1], s10, v1
	v_addc_co_u32_e64 v24, s[0:1], v2, v24, s[0:1]
	global_load_dword v26, v[23:24], off
.LBB274_11:                             ;   in Loop: Header=BB274_9 Depth=1
	s_or_b64 exec, exec, s[2:3]
	v_mov_b32_e32 v24, s15
	v_add_co_u32_e64 v23, s[0:1], s14, v13
	v_addc_co_u32_e64 v24, s[0:1], v14, v24, s[0:1]
	v_cmp_gt_u64_e64 s[4:5], s[12:13], v[23:24]
	v_mov_b32_e32 v23, 0
	v_mov_b32_e32 v25, 0
	s_and_saveexec_b64 s[2:3], s[4:5]
	s_cbranch_execz .LBB274_13
; %bb.12:                               ;   in Loop: Header=BB274_9 Depth=1
	v_mov_b32_e32 v25, s11
	v_add_co_u32_e64 v24, s[0:1], s10, v15
	v_addc_co_u32_e64 v25, s[0:1], v16, v25, s[0:1]
	global_load_dword v25, v[24:25], off
.LBB274_13:                             ;   in Loop: Header=BB274_9 Depth=1
	s_or_b64 exec, exec, s[2:3]
	v_mov_b32_e32 v24, s15
	v_add_co_u32_e64 v27, s[0:1], s14, v21
	v_addc_co_u32_e64 v28, s[0:1], v22, v24, s[0:1]
	v_cmp_gt_u64_e64 s[2:3], s[12:13], v[27:28]
	s_and_saveexec_b64 s[6:7], s[2:3]
	s_cbranch_execz .LBB274_15
; %bb.14:                               ;   in Loop: Header=BB274_9 Depth=1
	v_mov_b32_e32 v24, s11
	v_add_co_u32_e64 v23, s[0:1], s10, v9
	v_addc_co_u32_e64 v24, s[0:1], v10, v24, s[0:1]
	global_load_dword v23, v[23:24], off
.LBB274_15:                             ;   in Loop: Header=BB274_9 Depth=1
	s_or_b64 exec, exec, s[6:7]
	v_mov_b32_e32 v24, s15
	v_add_co_u32_e64 v27, s[0:1], s14, v19
	v_addc_co_u32_e64 v28, s[0:1], v20, v24, s[0:1]
	v_cmp_gt_u64_e64 s[0:1], s[12:13], v[27:28]
	v_mov_b32_e32 v24, 0
	s_and_saveexec_b64 s[16:17], s[0:1]
	s_cbranch_execnz .LBB274_20
; %bb.16:                               ;   in Loop: Header=BB274_9 Depth=1
	s_or_b64 exec, exec, s[16:17]
	s_and_saveexec_b64 s[6:7], vcc
	s_cbranch_execnz .LBB274_21
.LBB274_17:                             ;   in Loop: Header=BB274_9 Depth=1
	s_or_b64 exec, exec, s[6:7]
	s_and_saveexec_b64 s[6:7], s[4:5]
	s_cbranch_execnz .LBB274_22
.LBB274_18:                             ;   in Loop: Header=BB274_9 Depth=1
	s_or_b64 exec, exec, s[6:7]
	s_and_saveexec_b64 s[4:5], s[2:3]
	s_cbranch_execnz .LBB274_23
.LBB274_19:                             ;   in Loop: Header=BB274_9 Depth=1
	s_or_b64 exec, exec, s[4:5]
	s_and_saveexec_b64 s[2:3], s[0:1]
	s_cbranch_execz .LBB274_8
	s_branch .LBB274_24
.LBB274_20:                             ;   in Loop: Header=BB274_9 Depth=1
	v_mov_b32_e32 v24, s11
	v_add_co_u32_e64 v27, s[6:7], s10, v5
	v_addc_co_u32_e64 v28, s[6:7], v6, v24, s[6:7]
	global_load_dword v24, v[27:28], off
	s_or_b64 exec, exec, s[16:17]
	s_and_saveexec_b64 s[6:7], vcc
	s_cbranch_execz .LBB274_17
.LBB274_21:                             ;   in Loop: Header=BB274_9 Depth=1
	s_waitcnt vmcnt(0)
	v_div_scale_f32 v27, s[16:17], v26, v26, s24
	v_div_scale_f32 v28, vcc, s24, v26, s24
	v_rcp_f32_e32 v29, v27
	v_fma_f32 v30, -v27, v29, 1.0
	v_fmac_f32_e32 v29, v30, v29
	v_mul_f32_e32 v30, v28, v29
	v_fma_f32 v31, -v27, v30, v28
	v_fmac_f32_e32 v30, v31, v29
	v_fma_f32 v27, -v27, v30, v28
	v_div_fmas_f32 v27, v27, v29, v30
	v_mov_b32_e32 v28, s11
	v_div_fixup_f32 v29, v27, v26, s24
	v_add_co_u32_e32 v26, vcc, s10, v3
	v_addc_co_u32_e32 v27, vcc, v4, v28, vcc
	global_store_dword v[26:27], v29, off
	s_or_b64 exec, exec, s[6:7]
	s_and_saveexec_b64 s[6:7], s[4:5]
	s_cbranch_execz .LBB274_18
.LBB274_22:                             ;   in Loop: Header=BB274_9 Depth=1
	s_waitcnt vmcnt(0)
	v_div_scale_f32 v26, s[4:5], v25, v25, s24
	v_div_scale_f32 v27, vcc, s24, v25, s24
	v_rcp_f32_e32 v28, v26
	v_fma_f32 v29, -v26, v28, 1.0
	v_fmac_f32_e32 v28, v29, v28
	v_mul_f32_e32 v29, v27, v28
	v_fma_f32 v30, -v26, v29, v27
	v_fmac_f32_e32 v29, v30, v28
	v_fma_f32 v26, -v26, v29, v27
	v_div_fmas_f32 v26, v26, v28, v29
	v_mov_b32_e32 v27, s11
	v_div_fixup_f32 v28, v26, v25, s24
	v_add_co_u32_e32 v25, vcc, s10, v17
	v_addc_co_u32_e32 v26, vcc, v18, v27, vcc
	global_store_dword v[25:26], v28, off
	s_or_b64 exec, exec, s[6:7]
	s_and_saveexec_b64 s[4:5], s[2:3]
	s_cbranch_execz .LBB274_19
.LBB274_23:                             ;   in Loop: Header=BB274_9 Depth=1
	s_waitcnt vmcnt(0)
	v_div_scale_f32 v25, s[2:3], v23, v23, s24
	v_div_scale_f32 v26, vcc, s24, v23, s24
	v_rcp_f32_e32 v27, v25
	v_fma_f32 v28, -v25, v27, 1.0
	v_fmac_f32_e32 v27, v28, v27
	v_mul_f32_e32 v28, v26, v27
	v_fma_f32 v29, -v25, v28, v26
	v_fmac_f32_e32 v28, v29, v27
	v_fma_f32 v25, -v25, v28, v26
	v_div_fmas_f32 v25, v25, v27, v28
	v_mov_b32_e32 v26, s11
	v_div_fixup_f32 v23, v25, v23, s24
	v_add_co_u32_e32 v25, vcc, s10, v11
	v_addc_co_u32_e32 v26, vcc, v12, v26, vcc
	global_store_dword v[25:26], v23, off
	s_or_b64 exec, exec, s[4:5]
	s_and_saveexec_b64 s[2:3], s[0:1]
	s_cbranch_execz .LBB274_8
.LBB274_24:                             ;   in Loop: Header=BB274_9 Depth=1
	s_waitcnt vmcnt(0)
	v_div_scale_f32 v23, s[0:1], v24, v24, s24
	v_div_scale_f32 v25, vcc, s24, v24, s24
	v_rcp_f32_e32 v26, v23
	v_fma_f32 v27, -v23, v26, 1.0
	v_fmac_f32_e32 v26, v27, v26
	v_mul_f32_e32 v27, v25, v26
	v_fma_f32 v28, -v23, v27, v25
	v_fmac_f32_e32 v27, v28, v26
	v_fma_f32 v23, -v23, v27, v25
	v_div_fmas_f32 v23, v23, v26, v27
	v_mov_b32_e32 v25, s11
	v_div_fixup_f32 v26, v23, v24, s24
	v_add_co_u32_e32 v23, vcc, s10, v7
	v_addc_co_u32_e32 v24, vcc, v8, v25, vcc
	global_store_dword v[23:24], v26, off
	s_branch .LBB274_8
.LBB274_25:
	s_endpgm
	.section	.rodata,"a",@progbits
	.p2align	6, 0x0
	.amdhsa_kernel _ZN2at6native12_GLOBAL__N_125multi_tensor_apply_kernelINS1_18TensorListMetadataILi2EEENS1_14UnaryOpFunctorIfLi2ELi1ELi1EEEJNS0_10ReciprocalIfEEEEEvT_T0_DpT1_
		.amdhsa_group_segment_fixed_size 0
		.amdhsa_private_segment_fixed_size 0
		.amdhsa_kernarg_size 3408
		.amdhsa_user_sgpr_count 6
		.amdhsa_user_sgpr_private_segment_buffer 1
		.amdhsa_user_sgpr_dispatch_ptr 0
		.amdhsa_user_sgpr_queue_ptr 0
		.amdhsa_user_sgpr_kernarg_segment_ptr 1
		.amdhsa_user_sgpr_dispatch_id 0
		.amdhsa_user_sgpr_flat_scratch_init 0
		.amdhsa_user_sgpr_private_segment_size 0
		.amdhsa_uses_dynamic_stack 0
		.amdhsa_system_sgpr_private_segment_wavefront_offset 0
		.amdhsa_system_sgpr_workgroup_id_x 1
		.amdhsa_system_sgpr_workgroup_id_y 0
		.amdhsa_system_sgpr_workgroup_id_z 0
		.amdhsa_system_sgpr_workgroup_info 0
		.amdhsa_system_vgpr_workitem_id 0
		.amdhsa_next_free_vgpr 32
		.amdhsa_next_free_sgpr 27
		.amdhsa_reserve_vcc 1
		.amdhsa_reserve_flat_scratch 0
		.amdhsa_float_round_mode_32 0
		.amdhsa_float_round_mode_16_64 0
		.amdhsa_float_denorm_mode_32 3
		.amdhsa_float_denorm_mode_16_64 3
		.amdhsa_dx10_clamp 1
		.amdhsa_ieee_mode 1
		.amdhsa_fp16_overflow 0
		.amdhsa_exception_fp_ieee_invalid_op 0
		.amdhsa_exception_fp_denorm_src 0
		.amdhsa_exception_fp_ieee_div_zero 0
		.amdhsa_exception_fp_ieee_overflow 0
		.amdhsa_exception_fp_ieee_underflow 0
		.amdhsa_exception_fp_ieee_inexact 0
		.amdhsa_exception_int_div_zero 0
	.end_amdhsa_kernel
	.section	.text._ZN2at6native12_GLOBAL__N_125multi_tensor_apply_kernelINS1_18TensorListMetadataILi2EEENS1_14UnaryOpFunctorIfLi2ELi1ELi1EEEJNS0_10ReciprocalIfEEEEEvT_T0_DpT1_,"axG",@progbits,_ZN2at6native12_GLOBAL__N_125multi_tensor_apply_kernelINS1_18TensorListMetadataILi2EEENS1_14UnaryOpFunctorIfLi2ELi1ELi1EEEJNS0_10ReciprocalIfEEEEEvT_T0_DpT1_,comdat
.Lfunc_end274:
	.size	_ZN2at6native12_GLOBAL__N_125multi_tensor_apply_kernelINS1_18TensorListMetadataILi2EEENS1_14UnaryOpFunctorIfLi2ELi1ELi1EEEJNS0_10ReciprocalIfEEEEEvT_T0_DpT1_, .Lfunc_end274-_ZN2at6native12_GLOBAL__N_125multi_tensor_apply_kernelINS1_18TensorListMetadataILi2EEENS1_14UnaryOpFunctorIfLi2ELi1ELi1EEEJNS0_10ReciprocalIfEEEEEvT_T0_DpT1_
                                        ; -- End function
	.set _ZN2at6native12_GLOBAL__N_125multi_tensor_apply_kernelINS1_18TensorListMetadataILi2EEENS1_14UnaryOpFunctorIfLi2ELi1ELi1EEEJNS0_10ReciprocalIfEEEEEvT_T0_DpT1_.num_vgpr, 32
	.set _ZN2at6native12_GLOBAL__N_125multi_tensor_apply_kernelINS1_18TensorListMetadataILi2EEENS1_14UnaryOpFunctorIfLi2ELi1ELi1EEEJNS0_10ReciprocalIfEEEEEvT_T0_DpT1_.num_agpr, 0
	.set _ZN2at6native12_GLOBAL__N_125multi_tensor_apply_kernelINS1_18TensorListMetadataILi2EEENS1_14UnaryOpFunctorIfLi2ELi1ELi1EEEJNS0_10ReciprocalIfEEEEEvT_T0_DpT1_.numbered_sgpr, 27
	.set _ZN2at6native12_GLOBAL__N_125multi_tensor_apply_kernelINS1_18TensorListMetadataILi2EEENS1_14UnaryOpFunctorIfLi2ELi1ELi1EEEJNS0_10ReciprocalIfEEEEEvT_T0_DpT1_.num_named_barrier, 0
	.set _ZN2at6native12_GLOBAL__N_125multi_tensor_apply_kernelINS1_18TensorListMetadataILi2EEENS1_14UnaryOpFunctorIfLi2ELi1ELi1EEEJNS0_10ReciprocalIfEEEEEvT_T0_DpT1_.private_seg_size, 0
	.set _ZN2at6native12_GLOBAL__N_125multi_tensor_apply_kernelINS1_18TensorListMetadataILi2EEENS1_14UnaryOpFunctorIfLi2ELi1ELi1EEEJNS0_10ReciprocalIfEEEEEvT_T0_DpT1_.uses_vcc, 1
	.set _ZN2at6native12_GLOBAL__N_125multi_tensor_apply_kernelINS1_18TensorListMetadataILi2EEENS1_14UnaryOpFunctorIfLi2ELi1ELi1EEEJNS0_10ReciprocalIfEEEEEvT_T0_DpT1_.uses_flat_scratch, 0
	.set _ZN2at6native12_GLOBAL__N_125multi_tensor_apply_kernelINS1_18TensorListMetadataILi2EEENS1_14UnaryOpFunctorIfLi2ELi1ELi1EEEJNS0_10ReciprocalIfEEEEEvT_T0_DpT1_.has_dyn_sized_stack, 0
	.set _ZN2at6native12_GLOBAL__N_125multi_tensor_apply_kernelINS1_18TensorListMetadataILi2EEENS1_14UnaryOpFunctorIfLi2ELi1ELi1EEEJNS0_10ReciprocalIfEEEEEvT_T0_DpT1_.has_recursion, 0
	.set _ZN2at6native12_GLOBAL__N_125multi_tensor_apply_kernelINS1_18TensorListMetadataILi2EEENS1_14UnaryOpFunctorIfLi2ELi1ELi1EEEJNS0_10ReciprocalIfEEEEEvT_T0_DpT1_.has_indirect_call, 0
	.section	.AMDGPU.csdata,"",@progbits
; Kernel info:
; codeLenInByte = 1828
; TotalNumSgprs: 31
; NumVgprs: 32
; ScratchSize: 0
; MemoryBound: 0
; FloatMode: 240
; IeeeMode: 1
; LDSByteSize: 0 bytes/workgroup (compile time only)
; SGPRBlocks: 3
; VGPRBlocks: 7
; NumSGPRsForWavesPerEU: 31
; NumVGPRsForWavesPerEU: 32
; Occupancy: 8
; WaveLimiterHint : 0
; COMPUTE_PGM_RSRC2:SCRATCH_EN: 0
; COMPUTE_PGM_RSRC2:USER_SGPR: 6
; COMPUTE_PGM_RSRC2:TRAP_HANDLER: 0
; COMPUTE_PGM_RSRC2:TGID_X_EN: 1
; COMPUTE_PGM_RSRC2:TGID_Y_EN: 0
; COMPUTE_PGM_RSRC2:TGID_Z_EN: 0
; COMPUTE_PGM_RSRC2:TIDIG_COMP_CNT: 0
	.section	.text._ZN2at6native12_GLOBAL__N_125multi_tensor_apply_kernelINS1_18TensorListMetadataILi2EEENS1_14UnaryOpFunctorIN3c107complexIdEELi2ELi1ELi1EEEJNS0_10ReciprocalIS8_EEEEEvT_T0_DpT1_,"axG",@progbits,_ZN2at6native12_GLOBAL__N_125multi_tensor_apply_kernelINS1_18TensorListMetadataILi2EEENS1_14UnaryOpFunctorIN3c107complexIdEELi2ELi1ELi1EEEJNS0_10ReciprocalIS8_EEEEEvT_T0_DpT1_,comdat
	.globl	_ZN2at6native12_GLOBAL__N_125multi_tensor_apply_kernelINS1_18TensorListMetadataILi2EEENS1_14UnaryOpFunctorIN3c107complexIdEELi2ELi1ELi1EEEJNS0_10ReciprocalIS8_EEEEEvT_T0_DpT1_ ; -- Begin function _ZN2at6native12_GLOBAL__N_125multi_tensor_apply_kernelINS1_18TensorListMetadataILi2EEENS1_14UnaryOpFunctorIN3c107complexIdEELi2ELi1ELi1EEEJNS0_10ReciprocalIS8_EEEEEvT_T0_DpT1_
	.p2align	8
	.type	_ZN2at6native12_GLOBAL__N_125multi_tensor_apply_kernelINS1_18TensorListMetadataILi2EEENS1_14UnaryOpFunctorIN3c107complexIdEELi2ELi1ELi1EEEJNS0_10ReciprocalIS8_EEEEEvT_T0_DpT1_,@function
_ZN2at6native12_GLOBAL__N_125multi_tensor_apply_kernelINS1_18TensorListMetadataILi2EEENS1_14UnaryOpFunctorIN3c107complexIdEELi2ELi1ELi1EEEJNS0_10ReciprocalIS8_EEEEEvT_T0_DpT1_: ; @_ZN2at6native12_GLOBAL__N_125multi_tensor_apply_kernelINS1_18TensorListMetadataILi2EEENS1_14UnaryOpFunctorIN3c107complexIdEELi2ELi1ELi1EEEJNS0_10ReciprocalIS8_EEEEEvT_T0_DpT1_
; %bb.0:
	v_mov_b32_e32 v1, s6
	global_load_ubyte v1, v1, s[4:5] offset:1536
	s_add_u32 s0, s4, s6
	s_mul_hi_u32 s3, s6, 3
	s_mul_i32 s6, s6, 3
	s_addc_u32 s7, s5, 0
	s_add_u32 s2, s0, s6
	s_addc_u32 s3, s7, s3
	s_load_dwordx4 s[12:15], s[4:5], 0xc50
	s_load_dword s6, s[2:3], 0x740
	s_mov_b32 s1, 0
	s_mov_b32 s9, s1
	s_waitcnt lgkmcnt(0)
	s_ashr_i32 s7, s6, 31
	s_lshl_b64 s[20:21], s[6:7], 20
	s_waitcnt vmcnt(0)
	v_readfirstlane_b32 s0, v1
	s_lshl_b32 s0, s0, 3
	s_load_dwordx2 s[2:3], s[4:5], s0 offset:0x0
	s_load_dwordx2 s[18:19], s[4:5], s0 offset:0x400
	;; [unrolled: 1-line block ×3, first 2 shown]
	s_waitcnt lgkmcnt(0)
	s_add_u32 s10, s2, s20
	s_addc_u32 s11, s3, s21
	s_and_b32 s0, s10, 63
	s_add_u32 s16, s16, s20
	s_addc_u32 s17, s17, s21
	s_lshl_b64 s[2:3], s[6:7], 16
	s_and_b32 s8, s16, 63
	s_sub_u32 s2, s18, s2
	s_subb_u32 s3, s19, s3
	s_and_b32 s6, s18, 3
	s_mov_b32 s7, s1
	s_or_b64 s[6:7], s[8:9], s[6:7]
	s_or_b64 s[0:1], s[6:7], s[0:1]
	s_cmp_eq_u64 s[0:1], 0
	s_mov_b64 s[0:1], -1
	s_cbranch_scc0 .LBB275_37
; %bb.1:
	v_mov_b32_e32 v1, 0x10000
	v_mov_b32_e32 v2, 0
	v_cmp_lt_i64_e32 vcc, s[2:3], v[1:2]
	v_mov_b32_e32 v2, 0
	s_and_b64 s[0:1], vcc, exec
	s_cselect_b32 s7, s3, 0
	s_cselect_b32 s6, s2, 0x10000
	v_lshlrev_b32_e32 v1, 2, v0
	v_cmp_gt_i64_e32 vcc, s[6:7], v[1:2]
	s_and_saveexec_b64 s[8:9], vcc
	s_cbranch_execz .LBB275_36
; %bb.2:
	s_load_dword s0, s[4:5], 0xc6c
	v_mov_b32_e32 v1, v2
	v_mov_b32_e32 v22, v1
	v_lshlrev_b32_e32 v27, 6, v0
	s_mov_b64 s[18:19], 0
	s_waitcnt lgkmcnt(0)
	s_and_b32 s28, s0, 0xffff
	s_mov_b64 s[20:21], s[10:11]
	s_lshl_b32 s29, s28, 6
	s_mov_b64 s[22:23], s[16:17]
	v_mov_b32_e32 v21, v0
	s_branch .LBB275_4
.LBB275_3:                              ;   in Loop: Header=BB275_4 Depth=1
	s_or_b64 exec, exec, s[0:1]
	v_mov_b32_e32 v2, s23
	v_add_co_u32_e32 v1, vcc, s22, v27
	v_addc_co_u32_e32 v2, vcc, 0, v2, vcc
	v_add_co_u32_e32 v21, vcc, s28, v21
	v_addc_co_u32_e32 v22, vcc, 0, v22, vcc
	v_lshlrev_b64 v[3:4], 2, v[21:22]
	s_add_u32 s22, s22, s29
	s_addc_u32 s23, s23, 0
	s_add_u32 s20, s20, s29
	v_cmp_le_i64_e32 vcc, s[6:7], v[3:4]
	s_addc_u32 s21, s21, 0
	s_or_b64 s[18:19], vcc, s[18:19]
	global_store_dwordx4 v[1:2], v[5:8], off
	global_store_dwordx4 v[1:2], v[13:16], off offset:16
	global_store_dwordx4 v[1:2], v[17:20], off offset:32
	;; [unrolled: 1-line block ×3, first 2 shown]
	s_andn2_b64 exec, exec, s[18:19]
	s_cbranch_execz .LBB275_36
.LBB275_4:                              ; =>This Inner Loop Header: Depth=1
	v_mov_b32_e32 v1, s21
	v_add_co_u32_e32 v5, vcc, s20, v27
	v_addc_co_u32_e32 v6, vcc, 0, v1, vcc
	global_load_dwordx4 v[13:16], v[5:6], off
	global_load_dwordx4 v[17:20], v[5:6], off offset:16
	global_load_dwordx4 v[1:4], v[5:6], off offset:48
	;; [unrolled: 1-line block ×3, first 2 shown]
	s_waitcnt vmcnt(3)
	v_cmp_gt_f64_e32 vcc, 0, v[13:14]
	v_xor_b32_e32 v5, 0x80000000, v14
	v_xor_b32_e32 v6, 0x80000000, v16
	v_mov_b32_e32 v23, v13
	v_mov_b32_e32 v25, v15
	v_cndmask_b32_e32 v24, v14, v5, vcc
	v_cmp_gt_f64_e32 vcc, 0, v[15:16]
	v_cndmask_b32_e32 v26, v16, v6, vcc
	v_cmp_ge_f64_e32 vcc, v[23:24], v[25:26]
                                        ; implicit-def: $vgpr7_vgpr8
	s_and_saveexec_b64 s[0:1], vcc
	s_xor_b64 s[24:25], exec, s[0:1]
	s_cbranch_execz .LBB275_10
; %bb.5:                                ;   in Loop: Header=BB275_4 Depth=1
	v_cmp_neq_f64_e32 vcc, 0, v[13:14]
	v_cmp_neq_f64_e64 s[0:1], 0, v[15:16]
                                        ; implicit-def: $vgpr7_vgpr8
	s_or_b64 s[0:1], vcc, s[0:1]
	s_and_saveexec_b64 s[26:27], s[0:1]
	s_xor_b64 s[0:1], exec, s[26:27]
	s_cbranch_execz .LBB275_7
; %bb.6:                                ;   in Loop: Header=BB275_4 Depth=1
	v_div_scale_f64 v[5:6], s[26:27], v[13:14], v[13:14], v[15:16]
	v_rcp_f64_e32 v[7:8], v[5:6]
	v_fma_f64 v[23:24], -v[5:6], v[7:8], 1.0
	v_fma_f64 v[7:8], v[7:8], v[23:24], v[7:8]
	v_div_scale_f64 v[23:24], vcc, v[15:16], v[13:14], v[15:16]
	v_fma_f64 v[25:26], -v[5:6], v[7:8], 1.0
	v_fma_f64 v[7:8], v[7:8], v[25:26], v[7:8]
	v_mul_f64 v[25:26], v[23:24], v[7:8]
	v_fma_f64 v[5:6], -v[5:6], v[25:26], v[23:24]
	v_div_fmas_f64 v[5:6], v[5:6], v[7:8], v[25:26]
	v_div_fixup_f64 v[5:6], v[5:6], v[13:14], v[15:16]
	v_fma_f64 v[7:8], v[15:16], v[5:6], v[13:14]
	v_div_scale_f64 v[13:14], s[26:27], v[7:8], v[7:8], 1.0
	v_rcp_f64_e32 v[15:16], v[13:14]
	v_fma_f64 v[23:24], -v[13:14], v[15:16], 1.0
	v_fma_f64 v[15:16], v[15:16], v[23:24], v[15:16]
	v_div_scale_f64 v[23:24], vcc, 1.0, v[7:8], 1.0
	v_fma_f64 v[25:26], -v[13:14], v[15:16], 1.0
	v_fma_f64 v[15:16], v[15:16], v[25:26], v[15:16]
	v_mul_f64 v[25:26], v[23:24], v[15:16]
	v_fma_f64 v[13:14], -v[13:14], v[25:26], v[23:24]
	v_mov_b32_e32 v24, s15
	v_mov_b32_e32 v23, s14
	v_div_fmas_f64 v[13:14], v[13:14], v[15:16], v[25:26]
	v_mov_b32_e32 v16, s13
	v_mov_b32_e32 v15, s12
	v_fma_f64 v[15:16], s[14:15], v[5:6], v[15:16]
                                        ; implicit-def: $vgpr25_vgpr26
	v_div_fixup_f64 v[7:8], v[13:14], v[7:8], 1.0
	v_fma_f64 v[13:14], -s[12:13], v[5:6], v[23:24]
                                        ; implicit-def: $vgpr23_vgpr24
	v_mul_f64 v[5:6], v[15:16], v[7:8]
	v_mul_f64 v[7:8], v[13:14], v[7:8]
.LBB275_7:                              ;   in Loop: Header=BB275_4 Depth=1
	s_andn2_saveexec_b64 s[26:27], s[0:1]
	s_cbranch_execz .LBB275_9
; %bb.8:                                ;   in Loop: Header=BB275_4 Depth=1
	v_div_scale_f64 v[5:6], s[0:1], v[23:24], v[23:24], s[12:13]
	v_div_scale_f64 v[7:8], s[0:1], v[25:26], v[25:26], s[14:15]
	;; [unrolled: 1-line block ×3, first 2 shown]
	v_rcp_f64_e32 v[13:14], v[5:6]
	v_rcp_f64_e32 v[15:16], v[7:8]
	v_fma_f64 v[28:29], -v[5:6], v[13:14], 1.0
	v_fma_f64 v[30:31], -v[7:8], v[15:16], 1.0
	v_fma_f64 v[13:14], v[13:14], v[28:29], v[13:14]
	v_div_scale_f64 v[28:29], vcc, s[12:13], v[23:24], s[12:13]
	v_fma_f64 v[15:16], v[15:16], v[30:31], v[15:16]
	v_fma_f64 v[30:31], -v[5:6], v[13:14], 1.0
	v_fma_f64 v[34:35], -v[7:8], v[15:16], 1.0
	v_fma_f64 v[13:14], v[13:14], v[30:31], v[13:14]
	v_fma_f64 v[15:16], v[15:16], v[34:35], v[15:16]
	v_mul_f64 v[30:31], v[28:29], v[13:14]
	v_mul_f64 v[34:35], v[32:33], v[15:16]
	v_fma_f64 v[5:6], -v[5:6], v[30:31], v[28:29]
	v_fma_f64 v[7:8], -v[7:8], v[34:35], v[32:33]
	v_div_fmas_f64 v[5:6], v[5:6], v[13:14], v[30:31]
	s_mov_b64 vcc, s[0:1]
	v_div_fmas_f64 v[7:8], v[7:8], v[15:16], v[34:35]
	v_div_fixup_f64 v[5:6], v[5:6], v[23:24], s[12:13]
	v_div_fixup_f64 v[7:8], v[7:8], v[25:26], s[14:15]
.LBB275_9:                              ;   in Loop: Header=BB275_4 Depth=1
	s_or_b64 exec, exec, s[26:27]
                                        ; implicit-def: $vgpr15_vgpr16
.LBB275_10:                             ;   in Loop: Header=BB275_4 Depth=1
	s_andn2_saveexec_b64 s[0:1], s[24:25]
	s_cbranch_execz .LBB275_12
; %bb.11:                               ;   in Loop: Header=BB275_4 Depth=1
	v_div_scale_f64 v[5:6], s[24:25], v[15:16], v[15:16], v[13:14]
	v_rcp_f64_e32 v[7:8], v[5:6]
	v_fma_f64 v[23:24], -v[5:6], v[7:8], 1.0
	v_fma_f64 v[7:8], v[7:8], v[23:24], v[7:8]
	v_div_scale_f64 v[23:24], vcc, v[13:14], v[15:16], v[13:14]
	v_fma_f64 v[25:26], -v[5:6], v[7:8], 1.0
	v_fma_f64 v[7:8], v[7:8], v[25:26], v[7:8]
	v_mul_f64 v[25:26], v[23:24], v[7:8]
	v_fma_f64 v[5:6], -v[5:6], v[25:26], v[23:24]
	v_div_fmas_f64 v[5:6], v[5:6], v[7:8], v[25:26]
	v_div_fixup_f64 v[5:6], v[5:6], v[15:16], v[13:14]
	v_fma_f64 v[7:8], v[13:14], v[5:6], v[15:16]
	v_div_scale_f64 v[13:14], s[24:25], v[7:8], v[7:8], 1.0
	v_rcp_f64_e32 v[15:16], v[13:14]
	v_fma_f64 v[23:24], -v[13:14], v[15:16], 1.0
	v_fma_f64 v[15:16], v[15:16], v[23:24], v[15:16]
	v_div_scale_f64 v[23:24], vcc, 1.0, v[7:8], 1.0
	v_fma_f64 v[25:26], -v[13:14], v[15:16], 1.0
	v_fma_f64 v[15:16], v[15:16], v[25:26], v[15:16]
	v_mul_f64 v[25:26], v[23:24], v[15:16]
	v_fma_f64 v[13:14], -v[13:14], v[25:26], v[23:24]
	v_mov_b32_e32 v24, s13
	v_mov_b32_e32 v23, s12
	v_div_fmas_f64 v[13:14], v[13:14], v[15:16], v[25:26]
	v_mov_b32_e32 v16, s15
	v_mov_b32_e32 v15, s14
	v_fma_f64 v[15:16], s[12:13], v[5:6], v[15:16]
	v_div_fixup_f64 v[7:8], v[13:14], v[7:8], 1.0
	v_fma_f64 v[13:14], s[14:15], v[5:6], -v[23:24]
	v_mul_f64 v[5:6], v[15:16], v[7:8]
	v_mul_f64 v[7:8], v[13:14], v[7:8]
.LBB275_12:                             ;   in Loop: Header=BB275_4 Depth=1
	s_or_b64 exec, exec, s[0:1]
	s_waitcnt vmcnt(2)
	v_cmp_gt_f64_e32 vcc, 0, v[17:18]
	v_xor_b32_e32 v13, 0x80000000, v18
	v_mov_b32_e32 v23, v17
	v_mov_b32_e32 v25, v19
	v_cndmask_b32_e32 v24, v18, v13, vcc
	v_cmp_gt_f64_e32 vcc, 0, v[19:20]
	v_xor_b32_e32 v13, 0x80000000, v20
	v_cndmask_b32_e32 v26, v20, v13, vcc
	v_cmp_ge_f64_e32 vcc, v[23:24], v[25:26]
                                        ; implicit-def: $vgpr15_vgpr16
	s_and_saveexec_b64 s[0:1], vcc
	s_xor_b64 s[24:25], exec, s[0:1]
	s_cbranch_execz .LBB275_18
; %bb.13:                               ;   in Loop: Header=BB275_4 Depth=1
	v_cmp_neq_f64_e32 vcc, 0, v[17:18]
	v_cmp_neq_f64_e64 s[0:1], 0, v[19:20]
                                        ; implicit-def: $vgpr15_vgpr16
	s_or_b64 s[0:1], vcc, s[0:1]
	s_and_saveexec_b64 s[26:27], s[0:1]
	s_xor_b64 s[0:1], exec, s[26:27]
	s_cbranch_execz .LBB275_15
; %bb.14:                               ;   in Loop: Header=BB275_4 Depth=1
	v_div_scale_f64 v[13:14], s[26:27], v[17:18], v[17:18], v[19:20]
	v_rcp_f64_e32 v[15:16], v[13:14]
	v_fma_f64 v[23:24], -v[13:14], v[15:16], 1.0
	v_fma_f64 v[15:16], v[15:16], v[23:24], v[15:16]
	v_div_scale_f64 v[23:24], vcc, v[19:20], v[17:18], v[19:20]
	v_fma_f64 v[25:26], -v[13:14], v[15:16], 1.0
	v_fma_f64 v[15:16], v[15:16], v[25:26], v[15:16]
	v_mul_f64 v[25:26], v[23:24], v[15:16]
	v_fma_f64 v[13:14], -v[13:14], v[25:26], v[23:24]
	v_div_fmas_f64 v[13:14], v[13:14], v[15:16], v[25:26]
	v_div_fixup_f64 v[13:14], v[13:14], v[17:18], v[19:20]
	v_fma_f64 v[15:16], v[19:20], v[13:14], v[17:18]
	v_div_scale_f64 v[17:18], s[26:27], v[15:16], v[15:16], 1.0
	v_rcp_f64_e32 v[19:20], v[17:18]
	v_fma_f64 v[23:24], -v[17:18], v[19:20], 1.0
	v_fma_f64 v[19:20], v[19:20], v[23:24], v[19:20]
	v_div_scale_f64 v[23:24], vcc, 1.0, v[15:16], 1.0
	v_fma_f64 v[25:26], -v[17:18], v[19:20], 1.0
	v_fma_f64 v[19:20], v[19:20], v[25:26], v[19:20]
	v_mul_f64 v[25:26], v[23:24], v[19:20]
	v_fma_f64 v[17:18], -v[17:18], v[25:26], v[23:24]
	v_mov_b32_e32 v24, s15
	v_mov_b32_e32 v23, s14
	v_div_fmas_f64 v[17:18], v[17:18], v[19:20], v[25:26]
	v_mov_b32_e32 v20, s13
	v_mov_b32_e32 v19, s12
	v_fma_f64 v[19:20], s[14:15], v[13:14], v[19:20]
                                        ; implicit-def: $vgpr25_vgpr26
	v_div_fixup_f64 v[15:16], v[17:18], v[15:16], 1.0
	v_fma_f64 v[17:18], -s[12:13], v[13:14], v[23:24]
                                        ; implicit-def: $vgpr23_vgpr24
	v_mul_f64 v[13:14], v[19:20], v[15:16]
	v_mul_f64 v[15:16], v[17:18], v[15:16]
.LBB275_15:                             ;   in Loop: Header=BB275_4 Depth=1
	s_andn2_saveexec_b64 s[26:27], s[0:1]
	s_cbranch_execz .LBB275_17
; %bb.16:                               ;   in Loop: Header=BB275_4 Depth=1
	v_div_scale_f64 v[13:14], s[0:1], v[23:24], v[23:24], s[12:13]
	v_div_scale_f64 v[15:16], s[0:1], v[25:26], v[25:26], s[14:15]
	;; [unrolled: 1-line block ×3, first 2 shown]
	v_rcp_f64_e32 v[17:18], v[13:14]
	v_rcp_f64_e32 v[19:20], v[15:16]
	v_fma_f64 v[28:29], -v[13:14], v[17:18], 1.0
	v_fma_f64 v[30:31], -v[15:16], v[19:20], 1.0
	v_fma_f64 v[17:18], v[17:18], v[28:29], v[17:18]
	v_div_scale_f64 v[28:29], vcc, s[12:13], v[23:24], s[12:13]
	v_fma_f64 v[19:20], v[19:20], v[30:31], v[19:20]
	v_fma_f64 v[30:31], -v[13:14], v[17:18], 1.0
	v_fma_f64 v[34:35], -v[15:16], v[19:20], 1.0
	v_fma_f64 v[17:18], v[17:18], v[30:31], v[17:18]
	v_fma_f64 v[19:20], v[19:20], v[34:35], v[19:20]
	v_mul_f64 v[30:31], v[28:29], v[17:18]
	v_mul_f64 v[34:35], v[32:33], v[19:20]
	v_fma_f64 v[13:14], -v[13:14], v[30:31], v[28:29]
	v_fma_f64 v[15:16], -v[15:16], v[34:35], v[32:33]
	v_div_fmas_f64 v[13:14], v[13:14], v[17:18], v[30:31]
	s_mov_b64 vcc, s[0:1]
	v_div_fmas_f64 v[15:16], v[15:16], v[19:20], v[34:35]
	v_div_fixup_f64 v[13:14], v[13:14], v[23:24], s[12:13]
	v_div_fixup_f64 v[15:16], v[15:16], v[25:26], s[14:15]
.LBB275_17:                             ;   in Loop: Header=BB275_4 Depth=1
	s_or_b64 exec, exec, s[26:27]
                                        ; implicit-def: $vgpr19_vgpr20
.LBB275_18:                             ;   in Loop: Header=BB275_4 Depth=1
	s_andn2_saveexec_b64 s[0:1], s[24:25]
	s_cbranch_execz .LBB275_20
; %bb.19:                               ;   in Loop: Header=BB275_4 Depth=1
	v_div_scale_f64 v[13:14], s[24:25], v[19:20], v[19:20], v[17:18]
	v_rcp_f64_e32 v[15:16], v[13:14]
	v_fma_f64 v[23:24], -v[13:14], v[15:16], 1.0
	v_fma_f64 v[15:16], v[15:16], v[23:24], v[15:16]
	v_div_scale_f64 v[23:24], vcc, v[17:18], v[19:20], v[17:18]
	v_fma_f64 v[25:26], -v[13:14], v[15:16], 1.0
	v_fma_f64 v[15:16], v[15:16], v[25:26], v[15:16]
	v_mul_f64 v[25:26], v[23:24], v[15:16]
	v_fma_f64 v[13:14], -v[13:14], v[25:26], v[23:24]
	v_div_fmas_f64 v[13:14], v[13:14], v[15:16], v[25:26]
	v_div_fixup_f64 v[13:14], v[13:14], v[19:20], v[17:18]
	v_fma_f64 v[15:16], v[17:18], v[13:14], v[19:20]
	v_div_scale_f64 v[17:18], s[24:25], v[15:16], v[15:16], 1.0
	v_rcp_f64_e32 v[19:20], v[17:18]
	v_fma_f64 v[23:24], -v[17:18], v[19:20], 1.0
	v_fma_f64 v[19:20], v[19:20], v[23:24], v[19:20]
	v_div_scale_f64 v[23:24], vcc, 1.0, v[15:16], 1.0
	v_fma_f64 v[25:26], -v[17:18], v[19:20], 1.0
	v_fma_f64 v[19:20], v[19:20], v[25:26], v[19:20]
	v_mul_f64 v[25:26], v[23:24], v[19:20]
	v_fma_f64 v[17:18], -v[17:18], v[25:26], v[23:24]
	v_mov_b32_e32 v24, s13
	v_mov_b32_e32 v23, s12
	v_div_fmas_f64 v[17:18], v[17:18], v[19:20], v[25:26]
	v_mov_b32_e32 v20, s15
	v_mov_b32_e32 v19, s14
	v_fma_f64 v[19:20], s[12:13], v[13:14], v[19:20]
	v_div_fixup_f64 v[15:16], v[17:18], v[15:16], 1.0
	v_fma_f64 v[17:18], s[14:15], v[13:14], -v[23:24]
	v_mul_f64 v[13:14], v[19:20], v[15:16]
	v_mul_f64 v[15:16], v[17:18], v[15:16]
.LBB275_20:                             ;   in Loop: Header=BB275_4 Depth=1
	s_or_b64 exec, exec, s[0:1]
	s_waitcnt vmcnt(0)
	v_cmp_gt_f64_e32 vcc, 0, v[9:10]
	v_xor_b32_e32 v17, 0x80000000, v10
	v_mov_b32_e32 v23, v9
	v_mov_b32_e32 v25, v11
	v_cndmask_b32_e32 v24, v10, v17, vcc
	v_cmp_gt_f64_e32 vcc, 0, v[11:12]
	v_xor_b32_e32 v17, 0x80000000, v12
	v_cndmask_b32_e32 v26, v12, v17, vcc
	v_cmp_ge_f64_e32 vcc, v[23:24], v[25:26]
                                        ; implicit-def: $vgpr19_vgpr20
	s_and_saveexec_b64 s[0:1], vcc
	s_xor_b64 s[24:25], exec, s[0:1]
	s_cbranch_execz .LBB275_26
; %bb.21:                               ;   in Loop: Header=BB275_4 Depth=1
	v_cmp_neq_f64_e32 vcc, 0, v[9:10]
	v_cmp_neq_f64_e64 s[0:1], 0, v[11:12]
                                        ; implicit-def: $vgpr19_vgpr20
	s_or_b64 s[0:1], vcc, s[0:1]
	s_and_saveexec_b64 s[26:27], s[0:1]
	s_xor_b64 s[0:1], exec, s[26:27]
	s_cbranch_execz .LBB275_23
; %bb.22:                               ;   in Loop: Header=BB275_4 Depth=1
	v_div_scale_f64 v[17:18], s[26:27], v[9:10], v[9:10], v[11:12]
	v_rcp_f64_e32 v[19:20], v[17:18]
	v_fma_f64 v[23:24], -v[17:18], v[19:20], 1.0
	v_fma_f64 v[19:20], v[19:20], v[23:24], v[19:20]
	v_div_scale_f64 v[23:24], vcc, v[11:12], v[9:10], v[11:12]
	v_fma_f64 v[25:26], -v[17:18], v[19:20], 1.0
	v_fma_f64 v[19:20], v[19:20], v[25:26], v[19:20]
	v_mul_f64 v[25:26], v[23:24], v[19:20]
	v_fma_f64 v[17:18], -v[17:18], v[25:26], v[23:24]
	v_div_fmas_f64 v[17:18], v[17:18], v[19:20], v[25:26]
	v_div_fixup_f64 v[17:18], v[17:18], v[9:10], v[11:12]
	v_fma_f64 v[9:10], v[11:12], v[17:18], v[9:10]
	v_div_scale_f64 v[11:12], s[26:27], v[9:10], v[9:10], 1.0
	v_rcp_f64_e32 v[19:20], v[11:12]
	v_fma_f64 v[23:24], -v[11:12], v[19:20], 1.0
	v_fma_f64 v[19:20], v[19:20], v[23:24], v[19:20]
	v_div_scale_f64 v[23:24], vcc, 1.0, v[9:10], 1.0
	v_fma_f64 v[25:26], -v[11:12], v[19:20], 1.0
	v_fma_f64 v[19:20], v[19:20], v[25:26], v[19:20]
	v_mul_f64 v[25:26], v[23:24], v[19:20]
	v_fma_f64 v[11:12], -v[11:12], v[25:26], v[23:24]
	v_mov_b32_e32 v24, s15
	v_mov_b32_e32 v23, s14
	v_div_fmas_f64 v[11:12], v[11:12], v[19:20], v[25:26]
	v_mov_b32_e32 v20, s13
	v_mov_b32_e32 v19, s12
	v_fma_f64 v[19:20], s[14:15], v[17:18], v[19:20]
                                        ; implicit-def: $vgpr25_vgpr26
	v_div_fixup_f64 v[9:10], v[11:12], v[9:10], 1.0
	v_fma_f64 v[11:12], -s[12:13], v[17:18], v[23:24]
                                        ; implicit-def: $vgpr23_vgpr24
	v_mul_f64 v[17:18], v[19:20], v[9:10]
	v_mul_f64 v[19:20], v[11:12], v[9:10]
.LBB275_23:                             ;   in Loop: Header=BB275_4 Depth=1
	s_andn2_saveexec_b64 s[26:27], s[0:1]
	s_cbranch_execz .LBB275_25
; %bb.24:                               ;   in Loop: Header=BB275_4 Depth=1
	v_div_scale_f64 v[9:10], s[0:1], v[23:24], v[23:24], s[12:13]
	v_div_scale_f64 v[11:12], s[0:1], v[25:26], v[25:26], s[14:15]
	v_div_scale_f64 v[32:33], s[0:1], s[14:15], v[25:26], s[14:15]
	v_rcp_f64_e32 v[17:18], v[9:10]
	v_rcp_f64_e32 v[19:20], v[11:12]
	v_fma_f64 v[28:29], -v[9:10], v[17:18], 1.0
	v_fma_f64 v[30:31], -v[11:12], v[19:20], 1.0
	v_fma_f64 v[17:18], v[17:18], v[28:29], v[17:18]
	v_div_scale_f64 v[28:29], vcc, s[12:13], v[23:24], s[12:13]
	v_fma_f64 v[19:20], v[19:20], v[30:31], v[19:20]
	v_fma_f64 v[30:31], -v[9:10], v[17:18], 1.0
	v_fma_f64 v[34:35], -v[11:12], v[19:20], 1.0
	v_fma_f64 v[17:18], v[17:18], v[30:31], v[17:18]
	v_fma_f64 v[19:20], v[19:20], v[34:35], v[19:20]
	v_mul_f64 v[30:31], v[28:29], v[17:18]
	v_mul_f64 v[34:35], v[32:33], v[19:20]
	v_fma_f64 v[9:10], -v[9:10], v[30:31], v[28:29]
	v_fma_f64 v[11:12], -v[11:12], v[34:35], v[32:33]
	v_div_fmas_f64 v[9:10], v[9:10], v[17:18], v[30:31]
	s_mov_b64 vcc, s[0:1]
	v_div_fmas_f64 v[11:12], v[11:12], v[19:20], v[34:35]
	v_div_fixup_f64 v[17:18], v[9:10], v[23:24], s[12:13]
	v_div_fixup_f64 v[19:20], v[11:12], v[25:26], s[14:15]
.LBB275_25:                             ;   in Loop: Header=BB275_4 Depth=1
	s_or_b64 exec, exec, s[26:27]
                                        ; implicit-def: $vgpr11_vgpr12
.LBB275_26:                             ;   in Loop: Header=BB275_4 Depth=1
	s_andn2_saveexec_b64 s[0:1], s[24:25]
	s_cbranch_execz .LBB275_28
; %bb.27:                               ;   in Loop: Header=BB275_4 Depth=1
	v_div_scale_f64 v[17:18], s[24:25], v[11:12], v[11:12], v[9:10]
	v_rcp_f64_e32 v[19:20], v[17:18]
	v_fma_f64 v[23:24], -v[17:18], v[19:20], 1.0
	v_fma_f64 v[19:20], v[19:20], v[23:24], v[19:20]
	v_div_scale_f64 v[23:24], vcc, v[9:10], v[11:12], v[9:10]
	v_fma_f64 v[25:26], -v[17:18], v[19:20], 1.0
	v_fma_f64 v[19:20], v[19:20], v[25:26], v[19:20]
	v_mul_f64 v[25:26], v[23:24], v[19:20]
	v_fma_f64 v[17:18], -v[17:18], v[25:26], v[23:24]
	v_div_fmas_f64 v[17:18], v[17:18], v[19:20], v[25:26]
	v_div_fixup_f64 v[17:18], v[17:18], v[11:12], v[9:10]
	v_fma_f64 v[9:10], v[9:10], v[17:18], v[11:12]
	v_div_scale_f64 v[11:12], s[24:25], v[9:10], v[9:10], 1.0
	v_rcp_f64_e32 v[19:20], v[11:12]
	v_fma_f64 v[23:24], -v[11:12], v[19:20], 1.0
	v_fma_f64 v[19:20], v[19:20], v[23:24], v[19:20]
	v_div_scale_f64 v[23:24], vcc, 1.0, v[9:10], 1.0
	v_fma_f64 v[25:26], -v[11:12], v[19:20], 1.0
	v_fma_f64 v[19:20], v[19:20], v[25:26], v[19:20]
	v_mul_f64 v[25:26], v[23:24], v[19:20]
	v_fma_f64 v[11:12], -v[11:12], v[25:26], v[23:24]
	v_mov_b32_e32 v24, s13
	v_mov_b32_e32 v23, s12
	v_div_fmas_f64 v[11:12], v[11:12], v[19:20], v[25:26]
	v_mov_b32_e32 v20, s15
	v_mov_b32_e32 v19, s14
	v_fma_f64 v[19:20], s[12:13], v[17:18], v[19:20]
	v_div_fixup_f64 v[9:10], v[11:12], v[9:10], 1.0
	v_fma_f64 v[11:12], s[14:15], v[17:18], -v[23:24]
	v_mul_f64 v[17:18], v[19:20], v[9:10]
	v_mul_f64 v[19:20], v[11:12], v[9:10]
.LBB275_28:                             ;   in Loop: Header=BB275_4 Depth=1
	s_or_b64 exec, exec, s[0:1]
	v_cmp_gt_f64_e32 vcc, 0, v[1:2]
	v_xor_b32_e32 v9, 0x80000000, v2
	v_mov_b32_e32 v23, v1
	v_mov_b32_e32 v25, v3
	v_cndmask_b32_e32 v24, v2, v9, vcc
	v_cmp_gt_f64_e32 vcc, 0, v[3:4]
	v_xor_b32_e32 v9, 0x80000000, v4
	v_cndmask_b32_e32 v26, v4, v9, vcc
	v_cmp_ge_f64_e32 vcc, v[23:24], v[25:26]
                                        ; implicit-def: $vgpr11_vgpr12
	s_and_saveexec_b64 s[0:1], vcc
	s_xor_b64 s[24:25], exec, s[0:1]
	s_cbranch_execz .LBB275_34
; %bb.29:                               ;   in Loop: Header=BB275_4 Depth=1
	v_cmp_neq_f64_e32 vcc, 0, v[1:2]
	v_cmp_neq_f64_e64 s[0:1], 0, v[3:4]
                                        ; implicit-def: $vgpr11_vgpr12
	s_or_b64 s[0:1], vcc, s[0:1]
	s_and_saveexec_b64 s[26:27], s[0:1]
	s_xor_b64 s[0:1], exec, s[26:27]
	s_cbranch_execz .LBB275_31
; %bb.30:                               ;   in Loop: Header=BB275_4 Depth=1
	v_div_scale_f64 v[9:10], s[26:27], v[1:2], v[1:2], v[3:4]
	v_rcp_f64_e32 v[11:12], v[9:10]
	v_fma_f64 v[23:24], -v[9:10], v[11:12], 1.0
	v_fma_f64 v[11:12], v[11:12], v[23:24], v[11:12]
	v_div_scale_f64 v[23:24], vcc, v[3:4], v[1:2], v[3:4]
	v_fma_f64 v[25:26], -v[9:10], v[11:12], 1.0
	v_fma_f64 v[11:12], v[11:12], v[25:26], v[11:12]
	v_mul_f64 v[25:26], v[23:24], v[11:12]
	v_fma_f64 v[9:10], -v[9:10], v[25:26], v[23:24]
	v_div_fmas_f64 v[9:10], v[9:10], v[11:12], v[25:26]
	v_div_fixup_f64 v[9:10], v[9:10], v[1:2], v[3:4]
	v_fma_f64 v[1:2], v[3:4], v[9:10], v[1:2]
	v_div_scale_f64 v[3:4], s[26:27], v[1:2], v[1:2], 1.0
	v_rcp_f64_e32 v[11:12], v[3:4]
	v_fma_f64 v[23:24], -v[3:4], v[11:12], 1.0
	v_fma_f64 v[11:12], v[11:12], v[23:24], v[11:12]
	v_div_scale_f64 v[23:24], vcc, 1.0, v[1:2], 1.0
	v_fma_f64 v[25:26], -v[3:4], v[11:12], 1.0
	v_fma_f64 v[11:12], v[11:12], v[25:26], v[11:12]
	v_mul_f64 v[25:26], v[23:24], v[11:12]
	v_fma_f64 v[3:4], -v[3:4], v[25:26], v[23:24]
	v_mov_b32_e32 v24, s15
	v_mov_b32_e32 v23, s14
	v_div_fmas_f64 v[3:4], v[3:4], v[11:12], v[25:26]
	v_mov_b32_e32 v11, s12
	v_mov_b32_e32 v12, s13
	v_fma_f64 v[11:12], s[14:15], v[9:10], v[11:12]
                                        ; implicit-def: $vgpr25_vgpr26
	v_div_fixup_f64 v[1:2], v[3:4], v[1:2], 1.0
	v_fma_f64 v[3:4], -s[12:13], v[9:10], v[23:24]
                                        ; implicit-def: $vgpr23_vgpr24
	v_mul_f64 v[9:10], v[11:12], v[1:2]
	v_mul_f64 v[11:12], v[3:4], v[1:2]
.LBB275_31:                             ;   in Loop: Header=BB275_4 Depth=1
	s_andn2_saveexec_b64 s[26:27], s[0:1]
	s_cbranch_execz .LBB275_33
; %bb.32:                               ;   in Loop: Header=BB275_4 Depth=1
	v_div_scale_f64 v[1:2], s[0:1], v[23:24], v[23:24], s[12:13]
	v_div_scale_f64 v[3:4], s[0:1], v[25:26], v[25:26], s[14:15]
	;; [unrolled: 1-line block ×3, first 2 shown]
	v_rcp_f64_e32 v[9:10], v[1:2]
	v_rcp_f64_e32 v[11:12], v[3:4]
	v_fma_f64 v[28:29], -v[1:2], v[9:10], 1.0
	v_fma_f64 v[30:31], -v[3:4], v[11:12], 1.0
	v_fma_f64 v[9:10], v[9:10], v[28:29], v[9:10]
	v_div_scale_f64 v[28:29], vcc, s[12:13], v[23:24], s[12:13]
	v_fma_f64 v[11:12], v[11:12], v[30:31], v[11:12]
	v_fma_f64 v[30:31], -v[1:2], v[9:10], 1.0
	v_fma_f64 v[34:35], -v[3:4], v[11:12], 1.0
	v_fma_f64 v[9:10], v[9:10], v[30:31], v[9:10]
	v_fma_f64 v[11:12], v[11:12], v[34:35], v[11:12]
	v_mul_f64 v[30:31], v[28:29], v[9:10]
	v_mul_f64 v[34:35], v[32:33], v[11:12]
	v_fma_f64 v[1:2], -v[1:2], v[30:31], v[28:29]
	v_fma_f64 v[3:4], -v[3:4], v[34:35], v[32:33]
	v_div_fmas_f64 v[1:2], v[1:2], v[9:10], v[30:31]
	s_mov_b64 vcc, s[0:1]
	v_div_fmas_f64 v[3:4], v[3:4], v[11:12], v[34:35]
	v_div_fixup_f64 v[9:10], v[1:2], v[23:24], s[12:13]
	v_div_fixup_f64 v[11:12], v[3:4], v[25:26], s[14:15]
.LBB275_33:                             ;   in Loop: Header=BB275_4 Depth=1
	s_or_b64 exec, exec, s[26:27]
                                        ; implicit-def: $vgpr3_vgpr4
.LBB275_34:                             ;   in Loop: Header=BB275_4 Depth=1
	s_andn2_saveexec_b64 s[0:1], s[24:25]
	s_cbranch_execz .LBB275_3
; %bb.35:                               ;   in Loop: Header=BB275_4 Depth=1
	v_div_scale_f64 v[9:10], s[24:25], v[3:4], v[3:4], v[1:2]
	v_rcp_f64_e32 v[11:12], v[9:10]
	v_fma_f64 v[23:24], -v[9:10], v[11:12], 1.0
	v_fma_f64 v[11:12], v[11:12], v[23:24], v[11:12]
	v_div_scale_f64 v[23:24], vcc, v[1:2], v[3:4], v[1:2]
	v_fma_f64 v[25:26], -v[9:10], v[11:12], 1.0
	v_fma_f64 v[11:12], v[11:12], v[25:26], v[11:12]
	v_mul_f64 v[25:26], v[23:24], v[11:12]
	v_fma_f64 v[9:10], -v[9:10], v[25:26], v[23:24]
	v_div_fmas_f64 v[9:10], v[9:10], v[11:12], v[25:26]
	v_div_fixup_f64 v[9:10], v[9:10], v[3:4], v[1:2]
	v_fma_f64 v[1:2], v[1:2], v[9:10], v[3:4]
	v_div_scale_f64 v[3:4], s[24:25], v[1:2], v[1:2], 1.0
	v_rcp_f64_e32 v[11:12], v[3:4]
	v_fma_f64 v[23:24], -v[3:4], v[11:12], 1.0
	v_fma_f64 v[11:12], v[11:12], v[23:24], v[11:12]
	v_div_scale_f64 v[23:24], vcc, 1.0, v[1:2], 1.0
	v_fma_f64 v[25:26], -v[3:4], v[11:12], 1.0
	v_fma_f64 v[11:12], v[11:12], v[25:26], v[11:12]
	v_mul_f64 v[25:26], v[23:24], v[11:12]
	v_fma_f64 v[3:4], -v[3:4], v[25:26], v[23:24]
	v_mov_b32_e32 v24, s13
	v_mov_b32_e32 v23, s12
	v_div_fmas_f64 v[3:4], v[3:4], v[11:12], v[25:26]
	v_mov_b32_e32 v11, s14
	v_mov_b32_e32 v12, s15
	v_fma_f64 v[11:12], s[12:13], v[9:10], v[11:12]
	v_div_fixup_f64 v[1:2], v[3:4], v[1:2], 1.0
	v_fma_f64 v[3:4], s[14:15], v[9:10], -v[23:24]
	v_mul_f64 v[9:10], v[11:12], v[1:2]
	v_mul_f64 v[11:12], v[3:4], v[1:2]
	s_branch .LBB275_3
.LBB275_36:
	s_or_b64 exec, exec, s[8:9]
	s_mov_b64 s[0:1], 0
.LBB275_37:
	s_andn2_b64 vcc, exec, s[0:1]
	s_cbranch_vccnz .LBB275_89
; %bb.38:
	v_cmp_lt_i64_e64 s[0:1], s[2:3], 1
	s_and_b64 vcc, exec, s[0:1]
	s_cbranch_vccnz .LBB275_89
; %bb.39:
	v_mov_b32_e32 v1, 0x10000
	s_load_dword s4, s[4:5], 0xc6c
	v_mov_b32_e32 v2, 0
	v_cmp_lt_i64_e32 vcc, s[2:3], v[1:2]
	s_mov_b64 s[22:23], 0
	s_and_b64 s[0:1], vcc, exec
	v_cmp_lt_u64_e32 vcc, s[2:3], v[1:2]
	s_cselect_b32 s19, s3, 0
	s_cselect_b32 s18, s2, 0x10000
	s_waitcnt lgkmcnt(0)
	s_and_b32 s28, s4, 0xffff
	s_and_b64 s[0:1], vcc, exec
	s_cselect_b32 s21, s3, 0
	s_cselect_b32 s20, s2, 0x10000
	s_lshl_b32 s29, s28, 1
	s_mul_i32 s30, s28, 3
	s_lshl_b32 s31, s28, 2
	s_branch .LBB275_41
.LBB275_40:                             ;   in Loop: Header=BB275_41 Depth=1
	s_or_b64 exec, exec, s[0:1]
	s_add_u32 s22, s22, s31
	v_mov_b32_e32 v1, s18
	s_addc_u32 s23, s23, 0
	v_mov_b32_e32 v2, s19
	v_cmp_ge_i64_e32 vcc, s[22:23], v[1:2]
	s_cbranch_vccnz .LBB275_89
.LBB275_41:                             ; =>This Inner Loop Header: Depth=1
	v_mov_b32_e32 v1, s23
	v_add_co_u32_e32 v21, vcc, s22, v0
	v_addc_co_u32_e32 v22, vcc, 0, v1, vcc
	v_cmp_gt_u64_e64 s[0:1], s[20:21], v[21:22]
	v_mov_b32_e32 v19, 0
	v_mov_b32_e32 v15, 0
	;; [unrolled: 1-line block ×6, first 2 shown]
	s_and_saveexec_b64 s[2:3], s[0:1]
	s_cbranch_execz .LBB275_43
; %bb.42:                               ;   in Loop: Header=BB275_41 Depth=1
	v_lshlrev_b64 v[1:2], 4, v[21:22]
	v_mov_b32_e32 v3, s11
	v_add_co_u32_e32 v1, vcc, s10, v1
	v_addc_co_u32_e32 v2, vcc, v3, v2, vcc
	global_load_dwordx4 v[13:16], v[1:2], off
.LBB275_43:                             ;   in Loop: Header=BB275_41 Depth=1
	s_or_b64 exec, exec, s[2:3]
	v_add_co_u32_e32 v23, vcc, s28, v21
	v_addc_co_u32_e32 v24, vcc, 0, v22, vcc
	v_cmp_gt_u64_e64 s[2:3], s[20:21], v[23:24]
	v_mov_b32_e32 v17, 0
	v_mov_b32_e32 v18, 0
	s_and_saveexec_b64 s[4:5], s[2:3]
	s_cbranch_execz .LBB275_45
; %bb.44:                               ;   in Loop: Header=BB275_41 Depth=1
	v_lshlrev_b64 v[1:2], 4, v[23:24]
	v_mov_b32_e32 v3, s11
	v_add_co_u32_e32 v1, vcc, s10, v1
	v_addc_co_u32_e32 v2, vcc, v3, v2, vcc
	global_load_dwordx4 v[17:20], v[1:2], off
.LBB275_45:                             ;   in Loop: Header=BB275_41 Depth=1
	s_or_b64 exec, exec, s[4:5]
	v_add_co_u32_e32 v25, vcc, s29, v21
	v_addc_co_u32_e32 v26, vcc, 0, v22, vcc
	v_cmp_gt_u64_e64 s[4:5], s[20:21], v[25:26]
	v_mov_b32_e32 v3, 0
	v_mov_b32_e32 v11, 0
	v_mov_b32_e32 v9, 0
	v_mov_b32_e32 v4, 0
	v_mov_b32_e32 v12, 0
	v_mov_b32_e32 v10, 0
	s_and_saveexec_b64 s[6:7], s[4:5]
	s_cbranch_execz .LBB275_47
; %bb.46:                               ;   in Loop: Header=BB275_41 Depth=1
	v_lshlrev_b64 v[1:2], 4, v[25:26]
	v_mov_b32_e32 v5, s11
	v_add_co_u32_e32 v1, vcc, s10, v1
	v_addc_co_u32_e32 v2, vcc, v5, v2, vcc
	global_load_dwordx4 v[9:12], v[1:2], off
.LBB275_47:                             ;   in Loop: Header=BB275_41 Depth=1
	s_or_b64 exec, exec, s[6:7]
	v_add_co_u32_e32 v27, vcc, s30, v21
	v_addc_co_u32_e32 v28, vcc, 0, v22, vcc
	v_cmp_gt_u64_e64 s[6:7], s[20:21], v[27:28]
	v_mov_b32_e32 v1, 0
	v_mov_b32_e32 v2, 0
	s_and_saveexec_b64 s[8:9], s[6:7]
	s_cbranch_execz .LBB275_49
; %bb.48:                               ;   in Loop: Header=BB275_41 Depth=1
	v_lshlrev_b64 v[1:2], 4, v[27:28]
	v_mov_b32_e32 v3, s11
	v_add_co_u32_e32 v1, vcc, s10, v1
	v_addc_co_u32_e32 v2, vcc, v3, v2, vcc
	global_load_dwordx4 v[1:4], v[1:2], off
.LBB275_49:                             ;   in Loop: Header=BB275_41 Depth=1
	s_or_b64 exec, exec, s[8:9]
	s_waitcnt vmcnt(0)
	v_cmp_gt_f64_e32 vcc, 0, v[13:14]
	v_xor_b32_e32 v5, 0x80000000, v14
	v_mov_b32_e32 v29, v13
	v_mov_b32_e32 v31, v15
	v_cndmask_b32_e32 v30, v14, v5, vcc
	v_cmp_gt_f64_e32 vcc, 0, v[15:16]
	v_xor_b32_e32 v5, 0x80000000, v16
	v_cndmask_b32_e32 v32, v16, v5, vcc
	v_cmp_ge_f64_e32 vcc, v[29:30], v[31:32]
                                        ; implicit-def: $vgpr7_vgpr8
	s_and_saveexec_b64 s[8:9], vcc
	s_xor_b64 s[24:25], exec, s[8:9]
	s_cbranch_execz .LBB275_55
; %bb.50:                               ;   in Loop: Header=BB275_41 Depth=1
	v_cmp_neq_f64_e32 vcc, 0, v[13:14]
	v_cmp_neq_f64_e64 s[8:9], 0, v[15:16]
                                        ; implicit-def: $vgpr7_vgpr8
	s_or_b64 s[8:9], s[8:9], vcc
	s_and_saveexec_b64 s[26:27], s[8:9]
	s_xor_b64 s[8:9], exec, s[26:27]
	s_cbranch_execz .LBB275_52
; %bb.51:                               ;   in Loop: Header=BB275_41 Depth=1
	v_div_scale_f64 v[5:6], s[26:27], v[13:14], v[13:14], v[15:16]
	v_rcp_f64_e32 v[7:8], v[5:6]
	v_fma_f64 v[29:30], -v[5:6], v[7:8], 1.0
	v_fma_f64 v[7:8], v[7:8], v[29:30], v[7:8]
	v_div_scale_f64 v[29:30], vcc, v[15:16], v[13:14], v[15:16]
	v_fma_f64 v[31:32], -v[5:6], v[7:8], 1.0
	v_fma_f64 v[7:8], v[7:8], v[31:32], v[7:8]
	v_mul_f64 v[31:32], v[29:30], v[7:8]
	v_fma_f64 v[5:6], -v[5:6], v[31:32], v[29:30]
	v_div_fmas_f64 v[5:6], v[5:6], v[7:8], v[31:32]
	v_div_fixup_f64 v[5:6], v[5:6], v[13:14], v[15:16]
	v_fma_f64 v[7:8], v[15:16], v[5:6], v[13:14]
	v_div_scale_f64 v[13:14], s[26:27], v[7:8], v[7:8], 1.0
	v_rcp_f64_e32 v[15:16], v[13:14]
	v_fma_f64 v[29:30], -v[13:14], v[15:16], 1.0
	v_fma_f64 v[15:16], v[15:16], v[29:30], v[15:16]
	v_div_scale_f64 v[29:30], vcc, 1.0, v[7:8], 1.0
	v_fma_f64 v[31:32], -v[13:14], v[15:16], 1.0
	v_fma_f64 v[15:16], v[15:16], v[31:32], v[15:16]
	v_mul_f64 v[31:32], v[29:30], v[15:16]
	v_fma_f64 v[13:14], -v[13:14], v[31:32], v[29:30]
	v_mov_b32_e32 v30, s15
	v_mov_b32_e32 v29, s14
	v_div_fmas_f64 v[13:14], v[13:14], v[15:16], v[31:32]
	v_mov_b32_e32 v16, s13
	v_mov_b32_e32 v15, s12
	v_fma_f64 v[15:16], s[14:15], v[5:6], v[15:16]
                                        ; implicit-def: $vgpr31_vgpr32
	v_div_fixup_f64 v[7:8], v[13:14], v[7:8], 1.0
	v_fma_f64 v[13:14], -s[12:13], v[5:6], v[29:30]
                                        ; implicit-def: $vgpr29_vgpr30
	v_mul_f64 v[5:6], v[15:16], v[7:8]
	v_mul_f64 v[7:8], v[13:14], v[7:8]
.LBB275_52:                             ;   in Loop: Header=BB275_41 Depth=1
	s_andn2_saveexec_b64 s[26:27], s[8:9]
	s_cbranch_execz .LBB275_54
; %bb.53:                               ;   in Loop: Header=BB275_41 Depth=1
	v_div_scale_f64 v[5:6], s[8:9], v[29:30], v[29:30], s[12:13]
	v_div_scale_f64 v[7:8], s[8:9], v[31:32], v[31:32], s[14:15]
	;; [unrolled: 1-line block ×3, first 2 shown]
	v_rcp_f64_e32 v[13:14], v[5:6]
	v_rcp_f64_e32 v[15:16], v[7:8]
	v_fma_f64 v[33:34], -v[5:6], v[13:14], 1.0
	v_fma_f64 v[35:36], -v[7:8], v[15:16], 1.0
	v_fma_f64 v[13:14], v[13:14], v[33:34], v[13:14]
	v_div_scale_f64 v[33:34], vcc, s[12:13], v[29:30], s[12:13]
	v_fma_f64 v[15:16], v[15:16], v[35:36], v[15:16]
	v_fma_f64 v[35:36], -v[5:6], v[13:14], 1.0
	v_fma_f64 v[39:40], -v[7:8], v[15:16], 1.0
	v_fma_f64 v[13:14], v[13:14], v[35:36], v[13:14]
	v_fma_f64 v[15:16], v[15:16], v[39:40], v[15:16]
	v_mul_f64 v[35:36], v[33:34], v[13:14]
	v_mul_f64 v[39:40], v[37:38], v[15:16]
	v_fma_f64 v[5:6], -v[5:6], v[35:36], v[33:34]
	v_fma_f64 v[7:8], -v[7:8], v[39:40], v[37:38]
	v_div_fmas_f64 v[5:6], v[5:6], v[13:14], v[35:36]
	s_mov_b64 vcc, s[8:9]
	v_div_fmas_f64 v[7:8], v[7:8], v[15:16], v[39:40]
	v_div_fixup_f64 v[5:6], v[5:6], v[29:30], s[12:13]
	v_div_fixup_f64 v[7:8], v[7:8], v[31:32], s[14:15]
.LBB275_54:                             ;   in Loop: Header=BB275_41 Depth=1
	s_or_b64 exec, exec, s[26:27]
                                        ; implicit-def: $vgpr15_vgpr16
.LBB275_55:                             ;   in Loop: Header=BB275_41 Depth=1
	s_andn2_saveexec_b64 s[8:9], s[24:25]
	s_cbranch_execz .LBB275_57
; %bb.56:                               ;   in Loop: Header=BB275_41 Depth=1
	v_div_scale_f64 v[5:6], s[24:25], v[15:16], v[15:16], v[13:14]
	v_rcp_f64_e32 v[7:8], v[5:6]
	v_fma_f64 v[29:30], -v[5:6], v[7:8], 1.0
	v_fma_f64 v[7:8], v[7:8], v[29:30], v[7:8]
	v_div_scale_f64 v[29:30], vcc, v[13:14], v[15:16], v[13:14]
	v_fma_f64 v[31:32], -v[5:6], v[7:8], 1.0
	v_fma_f64 v[7:8], v[7:8], v[31:32], v[7:8]
	v_mul_f64 v[31:32], v[29:30], v[7:8]
	v_fma_f64 v[5:6], -v[5:6], v[31:32], v[29:30]
	v_div_fmas_f64 v[5:6], v[5:6], v[7:8], v[31:32]
	v_div_fixup_f64 v[5:6], v[5:6], v[15:16], v[13:14]
	v_fma_f64 v[7:8], v[13:14], v[5:6], v[15:16]
	v_div_scale_f64 v[13:14], s[24:25], v[7:8], v[7:8], 1.0
	v_rcp_f64_e32 v[15:16], v[13:14]
	v_fma_f64 v[29:30], -v[13:14], v[15:16], 1.0
	v_fma_f64 v[15:16], v[15:16], v[29:30], v[15:16]
	v_div_scale_f64 v[29:30], vcc, 1.0, v[7:8], 1.0
	v_fma_f64 v[31:32], -v[13:14], v[15:16], 1.0
	v_fma_f64 v[15:16], v[15:16], v[31:32], v[15:16]
	v_mul_f64 v[31:32], v[29:30], v[15:16]
	v_fma_f64 v[13:14], -v[13:14], v[31:32], v[29:30]
	v_mov_b32_e32 v30, s13
	v_mov_b32_e32 v29, s12
	v_div_fmas_f64 v[13:14], v[13:14], v[15:16], v[31:32]
	v_mov_b32_e32 v16, s15
	v_mov_b32_e32 v15, s14
	v_fma_f64 v[15:16], s[12:13], v[5:6], v[15:16]
	v_div_fixup_f64 v[7:8], v[13:14], v[7:8], 1.0
	v_fma_f64 v[13:14], s[14:15], v[5:6], -v[29:30]
	v_mul_f64 v[5:6], v[15:16], v[7:8]
	v_mul_f64 v[7:8], v[13:14], v[7:8]
.LBB275_57:                             ;   in Loop: Header=BB275_41 Depth=1
	s_or_b64 exec, exec, s[8:9]
	v_cmp_gt_f64_e32 vcc, 0, v[17:18]
	v_xor_b32_e32 v13, 0x80000000, v18
	v_mov_b32_e32 v29, v17
	v_mov_b32_e32 v31, v19
	v_cndmask_b32_e32 v30, v18, v13, vcc
	v_cmp_gt_f64_e32 vcc, 0, v[19:20]
	v_xor_b32_e32 v13, 0x80000000, v20
	v_cndmask_b32_e32 v32, v20, v13, vcc
	v_cmp_ge_f64_e32 vcc, v[29:30], v[31:32]
                                        ; implicit-def: $vgpr15_vgpr16
	s_and_saveexec_b64 s[8:9], vcc
	s_xor_b64 s[24:25], exec, s[8:9]
	s_cbranch_execz .LBB275_63
; %bb.58:                               ;   in Loop: Header=BB275_41 Depth=1
	v_cmp_neq_f64_e32 vcc, 0, v[17:18]
	v_cmp_neq_f64_e64 s[8:9], 0, v[19:20]
                                        ; implicit-def: $vgpr15_vgpr16
	s_or_b64 s[8:9], s[8:9], vcc
	s_and_saveexec_b64 s[26:27], s[8:9]
	s_xor_b64 s[8:9], exec, s[26:27]
	s_cbranch_execz .LBB275_60
; %bb.59:                               ;   in Loop: Header=BB275_41 Depth=1
	v_div_scale_f64 v[13:14], s[26:27], v[17:18], v[17:18], v[19:20]
	v_rcp_f64_e32 v[15:16], v[13:14]
	v_fma_f64 v[29:30], -v[13:14], v[15:16], 1.0
	v_fma_f64 v[15:16], v[15:16], v[29:30], v[15:16]
	v_div_scale_f64 v[29:30], vcc, v[19:20], v[17:18], v[19:20]
	v_fma_f64 v[31:32], -v[13:14], v[15:16], 1.0
	v_fma_f64 v[15:16], v[15:16], v[31:32], v[15:16]
	v_mul_f64 v[31:32], v[29:30], v[15:16]
	v_fma_f64 v[13:14], -v[13:14], v[31:32], v[29:30]
	v_div_fmas_f64 v[13:14], v[13:14], v[15:16], v[31:32]
	v_div_fixup_f64 v[13:14], v[13:14], v[17:18], v[19:20]
	v_fma_f64 v[15:16], v[19:20], v[13:14], v[17:18]
	v_div_scale_f64 v[17:18], s[26:27], v[15:16], v[15:16], 1.0
	v_rcp_f64_e32 v[19:20], v[17:18]
	v_fma_f64 v[29:30], -v[17:18], v[19:20], 1.0
	v_fma_f64 v[19:20], v[19:20], v[29:30], v[19:20]
	v_div_scale_f64 v[29:30], vcc, 1.0, v[15:16], 1.0
	v_fma_f64 v[31:32], -v[17:18], v[19:20], 1.0
	v_fma_f64 v[19:20], v[19:20], v[31:32], v[19:20]
	v_mul_f64 v[31:32], v[29:30], v[19:20]
	v_fma_f64 v[17:18], -v[17:18], v[31:32], v[29:30]
	v_mov_b32_e32 v30, s15
	v_mov_b32_e32 v29, s14
	v_div_fmas_f64 v[17:18], v[17:18], v[19:20], v[31:32]
	v_mov_b32_e32 v20, s13
	v_mov_b32_e32 v19, s12
	v_fma_f64 v[19:20], s[14:15], v[13:14], v[19:20]
                                        ; implicit-def: $vgpr31_vgpr32
	v_div_fixup_f64 v[15:16], v[17:18], v[15:16], 1.0
	v_fma_f64 v[17:18], -s[12:13], v[13:14], v[29:30]
                                        ; implicit-def: $vgpr29_vgpr30
	v_mul_f64 v[13:14], v[19:20], v[15:16]
	v_mul_f64 v[15:16], v[17:18], v[15:16]
.LBB275_60:                             ;   in Loop: Header=BB275_41 Depth=1
	s_andn2_saveexec_b64 s[26:27], s[8:9]
	s_cbranch_execz .LBB275_62
; %bb.61:                               ;   in Loop: Header=BB275_41 Depth=1
	v_div_scale_f64 v[13:14], s[8:9], v[29:30], v[29:30], s[12:13]
	v_div_scale_f64 v[15:16], s[8:9], v[31:32], v[31:32], s[14:15]
	;; [unrolled: 1-line block ×3, first 2 shown]
	v_rcp_f64_e32 v[17:18], v[13:14]
	v_rcp_f64_e32 v[19:20], v[15:16]
	v_fma_f64 v[33:34], -v[13:14], v[17:18], 1.0
	v_fma_f64 v[35:36], -v[15:16], v[19:20], 1.0
	v_fma_f64 v[17:18], v[17:18], v[33:34], v[17:18]
	v_div_scale_f64 v[33:34], vcc, s[12:13], v[29:30], s[12:13]
	v_fma_f64 v[19:20], v[19:20], v[35:36], v[19:20]
	v_fma_f64 v[35:36], -v[13:14], v[17:18], 1.0
	v_fma_f64 v[39:40], -v[15:16], v[19:20], 1.0
	v_fma_f64 v[17:18], v[17:18], v[35:36], v[17:18]
	v_fma_f64 v[19:20], v[19:20], v[39:40], v[19:20]
	v_mul_f64 v[35:36], v[33:34], v[17:18]
	v_mul_f64 v[39:40], v[37:38], v[19:20]
	v_fma_f64 v[13:14], -v[13:14], v[35:36], v[33:34]
	v_fma_f64 v[15:16], -v[15:16], v[39:40], v[37:38]
	v_div_fmas_f64 v[13:14], v[13:14], v[17:18], v[35:36]
	s_mov_b64 vcc, s[8:9]
	v_div_fmas_f64 v[15:16], v[15:16], v[19:20], v[39:40]
	v_div_fixup_f64 v[13:14], v[13:14], v[29:30], s[12:13]
	v_div_fixup_f64 v[15:16], v[15:16], v[31:32], s[14:15]
.LBB275_62:                             ;   in Loop: Header=BB275_41 Depth=1
	s_or_b64 exec, exec, s[26:27]
                                        ; implicit-def: $vgpr19_vgpr20
.LBB275_63:                             ;   in Loop: Header=BB275_41 Depth=1
	s_andn2_saveexec_b64 s[8:9], s[24:25]
	s_cbranch_execz .LBB275_65
; %bb.64:                               ;   in Loop: Header=BB275_41 Depth=1
	v_div_scale_f64 v[13:14], s[24:25], v[19:20], v[19:20], v[17:18]
	v_rcp_f64_e32 v[15:16], v[13:14]
	v_fma_f64 v[29:30], -v[13:14], v[15:16], 1.0
	v_fma_f64 v[15:16], v[15:16], v[29:30], v[15:16]
	v_div_scale_f64 v[29:30], vcc, v[17:18], v[19:20], v[17:18]
	v_fma_f64 v[31:32], -v[13:14], v[15:16], 1.0
	v_fma_f64 v[15:16], v[15:16], v[31:32], v[15:16]
	v_mul_f64 v[31:32], v[29:30], v[15:16]
	v_fma_f64 v[13:14], -v[13:14], v[31:32], v[29:30]
	v_div_fmas_f64 v[13:14], v[13:14], v[15:16], v[31:32]
	v_div_fixup_f64 v[13:14], v[13:14], v[19:20], v[17:18]
	v_fma_f64 v[15:16], v[17:18], v[13:14], v[19:20]
	v_div_scale_f64 v[17:18], s[24:25], v[15:16], v[15:16], 1.0
	v_rcp_f64_e32 v[19:20], v[17:18]
	v_fma_f64 v[29:30], -v[17:18], v[19:20], 1.0
	v_fma_f64 v[19:20], v[19:20], v[29:30], v[19:20]
	v_div_scale_f64 v[29:30], vcc, 1.0, v[15:16], 1.0
	v_fma_f64 v[31:32], -v[17:18], v[19:20], 1.0
	v_fma_f64 v[19:20], v[19:20], v[31:32], v[19:20]
	v_mul_f64 v[31:32], v[29:30], v[19:20]
	v_fma_f64 v[17:18], -v[17:18], v[31:32], v[29:30]
	v_mov_b32_e32 v30, s13
	v_mov_b32_e32 v29, s12
	v_div_fmas_f64 v[17:18], v[17:18], v[19:20], v[31:32]
	v_mov_b32_e32 v20, s15
	v_mov_b32_e32 v19, s14
	v_fma_f64 v[19:20], s[12:13], v[13:14], v[19:20]
	v_div_fixup_f64 v[15:16], v[17:18], v[15:16], 1.0
	v_fma_f64 v[17:18], s[14:15], v[13:14], -v[29:30]
	v_mul_f64 v[13:14], v[19:20], v[15:16]
	v_mul_f64 v[15:16], v[17:18], v[15:16]
.LBB275_65:                             ;   in Loop: Header=BB275_41 Depth=1
	s_or_b64 exec, exec, s[8:9]
	v_cmp_gt_f64_e32 vcc, 0, v[9:10]
	v_xor_b32_e32 v17, 0x80000000, v10
	v_mov_b32_e32 v29, v9
	v_mov_b32_e32 v31, v11
	v_cndmask_b32_e32 v30, v10, v17, vcc
	v_cmp_gt_f64_e32 vcc, 0, v[11:12]
	v_xor_b32_e32 v17, 0x80000000, v12
	v_cndmask_b32_e32 v32, v12, v17, vcc
	v_cmp_ge_f64_e32 vcc, v[29:30], v[31:32]
                                        ; implicit-def: $vgpr19_vgpr20
	s_and_saveexec_b64 s[8:9], vcc
	s_xor_b64 s[24:25], exec, s[8:9]
	s_cbranch_execz .LBB275_71
; %bb.66:                               ;   in Loop: Header=BB275_41 Depth=1
	v_cmp_neq_f64_e32 vcc, 0, v[9:10]
	v_cmp_neq_f64_e64 s[8:9], 0, v[11:12]
                                        ; implicit-def: $vgpr19_vgpr20
	s_or_b64 s[8:9], s[8:9], vcc
	s_and_saveexec_b64 s[26:27], s[8:9]
	s_xor_b64 s[8:9], exec, s[26:27]
	s_cbranch_execz .LBB275_68
; %bb.67:                               ;   in Loop: Header=BB275_41 Depth=1
	v_div_scale_f64 v[17:18], s[26:27], v[9:10], v[9:10], v[11:12]
	v_rcp_f64_e32 v[19:20], v[17:18]
	v_fma_f64 v[29:30], -v[17:18], v[19:20], 1.0
	v_fma_f64 v[19:20], v[19:20], v[29:30], v[19:20]
	v_div_scale_f64 v[29:30], vcc, v[11:12], v[9:10], v[11:12]
	v_fma_f64 v[31:32], -v[17:18], v[19:20], 1.0
	v_fma_f64 v[19:20], v[19:20], v[31:32], v[19:20]
	v_mul_f64 v[31:32], v[29:30], v[19:20]
	v_fma_f64 v[17:18], -v[17:18], v[31:32], v[29:30]
	v_div_fmas_f64 v[17:18], v[17:18], v[19:20], v[31:32]
	v_div_fixup_f64 v[17:18], v[17:18], v[9:10], v[11:12]
	v_fma_f64 v[9:10], v[11:12], v[17:18], v[9:10]
	v_div_scale_f64 v[11:12], s[26:27], v[9:10], v[9:10], 1.0
	v_rcp_f64_e32 v[19:20], v[11:12]
	v_fma_f64 v[29:30], -v[11:12], v[19:20], 1.0
	v_fma_f64 v[19:20], v[19:20], v[29:30], v[19:20]
	v_div_scale_f64 v[29:30], vcc, 1.0, v[9:10], 1.0
	v_fma_f64 v[31:32], -v[11:12], v[19:20], 1.0
	v_fma_f64 v[19:20], v[19:20], v[31:32], v[19:20]
	v_mul_f64 v[31:32], v[29:30], v[19:20]
	v_fma_f64 v[11:12], -v[11:12], v[31:32], v[29:30]
	v_mov_b32_e32 v30, s15
	v_mov_b32_e32 v29, s14
	v_div_fmas_f64 v[11:12], v[11:12], v[19:20], v[31:32]
	v_mov_b32_e32 v20, s13
	v_mov_b32_e32 v19, s12
	v_fma_f64 v[19:20], s[14:15], v[17:18], v[19:20]
                                        ; implicit-def: $vgpr31_vgpr32
	v_div_fixup_f64 v[9:10], v[11:12], v[9:10], 1.0
	v_fma_f64 v[11:12], -s[12:13], v[17:18], v[29:30]
                                        ; implicit-def: $vgpr29_vgpr30
	v_mul_f64 v[17:18], v[19:20], v[9:10]
	v_mul_f64 v[19:20], v[11:12], v[9:10]
.LBB275_68:                             ;   in Loop: Header=BB275_41 Depth=1
	s_andn2_saveexec_b64 s[26:27], s[8:9]
	s_cbranch_execz .LBB275_70
; %bb.69:                               ;   in Loop: Header=BB275_41 Depth=1
	v_div_scale_f64 v[9:10], s[8:9], v[29:30], v[29:30], s[12:13]
	v_div_scale_f64 v[11:12], s[8:9], v[31:32], v[31:32], s[14:15]
	;; [unrolled: 1-line block ×3, first 2 shown]
	v_rcp_f64_e32 v[17:18], v[9:10]
	v_rcp_f64_e32 v[19:20], v[11:12]
	v_fma_f64 v[33:34], -v[9:10], v[17:18], 1.0
	v_fma_f64 v[35:36], -v[11:12], v[19:20], 1.0
	v_fma_f64 v[17:18], v[17:18], v[33:34], v[17:18]
	v_div_scale_f64 v[33:34], vcc, s[12:13], v[29:30], s[12:13]
	v_fma_f64 v[19:20], v[19:20], v[35:36], v[19:20]
	v_fma_f64 v[35:36], -v[9:10], v[17:18], 1.0
	v_fma_f64 v[39:40], -v[11:12], v[19:20], 1.0
	v_fma_f64 v[17:18], v[17:18], v[35:36], v[17:18]
	v_fma_f64 v[19:20], v[19:20], v[39:40], v[19:20]
	v_mul_f64 v[35:36], v[33:34], v[17:18]
	v_mul_f64 v[39:40], v[37:38], v[19:20]
	v_fma_f64 v[9:10], -v[9:10], v[35:36], v[33:34]
	v_fma_f64 v[11:12], -v[11:12], v[39:40], v[37:38]
	v_div_fmas_f64 v[9:10], v[9:10], v[17:18], v[35:36]
	s_mov_b64 vcc, s[8:9]
	v_div_fmas_f64 v[11:12], v[11:12], v[19:20], v[39:40]
	v_div_fixup_f64 v[17:18], v[9:10], v[29:30], s[12:13]
	v_div_fixup_f64 v[19:20], v[11:12], v[31:32], s[14:15]
.LBB275_70:                             ;   in Loop: Header=BB275_41 Depth=1
	s_or_b64 exec, exec, s[26:27]
                                        ; implicit-def: $vgpr11_vgpr12
.LBB275_71:                             ;   in Loop: Header=BB275_41 Depth=1
	s_andn2_saveexec_b64 s[8:9], s[24:25]
	s_cbranch_execz .LBB275_73
; %bb.72:                               ;   in Loop: Header=BB275_41 Depth=1
	v_div_scale_f64 v[17:18], s[24:25], v[11:12], v[11:12], v[9:10]
	v_rcp_f64_e32 v[19:20], v[17:18]
	v_fma_f64 v[29:30], -v[17:18], v[19:20], 1.0
	v_fma_f64 v[19:20], v[19:20], v[29:30], v[19:20]
	v_div_scale_f64 v[29:30], vcc, v[9:10], v[11:12], v[9:10]
	v_fma_f64 v[31:32], -v[17:18], v[19:20], 1.0
	v_fma_f64 v[19:20], v[19:20], v[31:32], v[19:20]
	v_mul_f64 v[31:32], v[29:30], v[19:20]
	v_fma_f64 v[17:18], -v[17:18], v[31:32], v[29:30]
	v_div_fmas_f64 v[17:18], v[17:18], v[19:20], v[31:32]
	v_div_fixup_f64 v[17:18], v[17:18], v[11:12], v[9:10]
	v_fma_f64 v[9:10], v[9:10], v[17:18], v[11:12]
	v_div_scale_f64 v[11:12], s[24:25], v[9:10], v[9:10], 1.0
	v_rcp_f64_e32 v[19:20], v[11:12]
	v_fma_f64 v[29:30], -v[11:12], v[19:20], 1.0
	v_fma_f64 v[19:20], v[19:20], v[29:30], v[19:20]
	v_div_scale_f64 v[29:30], vcc, 1.0, v[9:10], 1.0
	v_fma_f64 v[31:32], -v[11:12], v[19:20], 1.0
	v_fma_f64 v[19:20], v[19:20], v[31:32], v[19:20]
	v_mul_f64 v[31:32], v[29:30], v[19:20]
	v_fma_f64 v[11:12], -v[11:12], v[31:32], v[29:30]
	v_mov_b32_e32 v30, s13
	v_mov_b32_e32 v29, s12
	v_div_fmas_f64 v[11:12], v[11:12], v[19:20], v[31:32]
	v_mov_b32_e32 v20, s15
	v_mov_b32_e32 v19, s14
	v_fma_f64 v[19:20], s[12:13], v[17:18], v[19:20]
	v_div_fixup_f64 v[9:10], v[11:12], v[9:10], 1.0
	v_fma_f64 v[11:12], s[14:15], v[17:18], -v[29:30]
	v_mul_f64 v[17:18], v[19:20], v[9:10]
	v_mul_f64 v[19:20], v[11:12], v[9:10]
.LBB275_73:                             ;   in Loop: Header=BB275_41 Depth=1
	s_or_b64 exec, exec, s[8:9]
	v_cmp_gt_f64_e32 vcc, 0, v[1:2]
	v_xor_b32_e32 v9, 0x80000000, v2
	v_mov_b32_e32 v29, v1
	v_mov_b32_e32 v31, v3
	v_cndmask_b32_e32 v30, v2, v9, vcc
	v_cmp_gt_f64_e32 vcc, 0, v[3:4]
	v_xor_b32_e32 v9, 0x80000000, v4
	v_cndmask_b32_e32 v32, v4, v9, vcc
	v_cmp_ge_f64_e32 vcc, v[29:30], v[31:32]
                                        ; implicit-def: $vgpr11_vgpr12
	s_and_saveexec_b64 s[8:9], vcc
	s_xor_b64 s[24:25], exec, s[8:9]
	s_cbranch_execnz .LBB275_79
; %bb.74:                               ;   in Loop: Header=BB275_41 Depth=1
	s_andn2_saveexec_b64 s[8:9], s[24:25]
	s_cbranch_execnz .LBB275_84
.LBB275_75:                             ;   in Loop: Header=BB275_41 Depth=1
	s_or_b64 exec, exec, s[8:9]
	s_and_saveexec_b64 s[8:9], s[0:1]
	s_xor_b64 s[0:1], exec, s[8:9]
	s_cbranch_execnz .LBB275_85
.LBB275_76:                             ;   in Loop: Header=BB275_41 Depth=1
	s_or_b64 exec, exec, s[0:1]
	s_and_saveexec_b64 s[0:1], s[2:3]
	s_cbranch_execnz .LBB275_86
.LBB275_77:                             ;   in Loop: Header=BB275_41 Depth=1
	s_or_b64 exec, exec, s[0:1]
	s_and_saveexec_b64 s[0:1], s[4:5]
	s_cbranch_execnz .LBB275_87
.LBB275_78:                             ;   in Loop: Header=BB275_41 Depth=1
	s_or_b64 exec, exec, s[0:1]
	s_and_saveexec_b64 s[0:1], s[6:7]
	s_cbranch_execz .LBB275_40
	s_branch .LBB275_88
.LBB275_79:                             ;   in Loop: Header=BB275_41 Depth=1
	v_cmp_neq_f64_e32 vcc, 0, v[1:2]
	v_cmp_neq_f64_e64 s[8:9], 0, v[3:4]
                                        ; implicit-def: $vgpr11_vgpr12
	s_or_b64 s[8:9], s[8:9], vcc
	s_and_saveexec_b64 s[26:27], s[8:9]
	s_xor_b64 s[8:9], exec, s[26:27]
	s_cbranch_execz .LBB275_81
; %bb.80:                               ;   in Loop: Header=BB275_41 Depth=1
	v_div_scale_f64 v[9:10], s[26:27], v[1:2], v[1:2], v[3:4]
	v_rcp_f64_e32 v[11:12], v[9:10]
	v_fma_f64 v[29:30], -v[9:10], v[11:12], 1.0
	v_fma_f64 v[11:12], v[11:12], v[29:30], v[11:12]
	v_div_scale_f64 v[29:30], vcc, v[3:4], v[1:2], v[3:4]
	v_fma_f64 v[31:32], -v[9:10], v[11:12], 1.0
	v_fma_f64 v[11:12], v[11:12], v[31:32], v[11:12]
	v_mul_f64 v[31:32], v[29:30], v[11:12]
	v_fma_f64 v[9:10], -v[9:10], v[31:32], v[29:30]
	v_div_fmas_f64 v[9:10], v[9:10], v[11:12], v[31:32]
	v_div_fixup_f64 v[9:10], v[9:10], v[1:2], v[3:4]
	v_fma_f64 v[1:2], v[3:4], v[9:10], v[1:2]
	v_div_scale_f64 v[3:4], s[26:27], v[1:2], v[1:2], 1.0
	v_rcp_f64_e32 v[11:12], v[3:4]
	v_fma_f64 v[29:30], -v[3:4], v[11:12], 1.0
	v_fma_f64 v[11:12], v[11:12], v[29:30], v[11:12]
	v_div_scale_f64 v[29:30], vcc, 1.0, v[1:2], 1.0
	v_fma_f64 v[31:32], -v[3:4], v[11:12], 1.0
	v_fma_f64 v[11:12], v[11:12], v[31:32], v[11:12]
	v_mul_f64 v[31:32], v[29:30], v[11:12]
	v_fma_f64 v[3:4], -v[3:4], v[31:32], v[29:30]
	v_mov_b32_e32 v30, s15
	v_mov_b32_e32 v29, s14
	v_div_fmas_f64 v[3:4], v[3:4], v[11:12], v[31:32]
	v_mov_b32_e32 v11, s12
	v_mov_b32_e32 v12, s13
	v_fma_f64 v[11:12], s[14:15], v[9:10], v[11:12]
                                        ; implicit-def: $vgpr31_vgpr32
	v_div_fixup_f64 v[1:2], v[3:4], v[1:2], 1.0
	v_fma_f64 v[3:4], -s[12:13], v[9:10], v[29:30]
                                        ; implicit-def: $vgpr29_vgpr30
	v_mul_f64 v[9:10], v[11:12], v[1:2]
	v_mul_f64 v[11:12], v[3:4], v[1:2]
.LBB275_81:                             ;   in Loop: Header=BB275_41 Depth=1
	s_andn2_saveexec_b64 s[26:27], s[8:9]
	s_cbranch_execz .LBB275_83
; %bb.82:                               ;   in Loop: Header=BB275_41 Depth=1
	v_div_scale_f64 v[1:2], s[8:9], v[29:30], v[29:30], s[12:13]
	v_div_scale_f64 v[3:4], s[8:9], v[31:32], v[31:32], s[14:15]
	;; [unrolled: 1-line block ×3, first 2 shown]
	v_rcp_f64_e32 v[9:10], v[1:2]
	v_rcp_f64_e32 v[11:12], v[3:4]
	v_fma_f64 v[33:34], -v[1:2], v[9:10], 1.0
	v_fma_f64 v[35:36], -v[3:4], v[11:12], 1.0
	v_fma_f64 v[9:10], v[9:10], v[33:34], v[9:10]
	v_div_scale_f64 v[33:34], vcc, s[12:13], v[29:30], s[12:13]
	v_fma_f64 v[11:12], v[11:12], v[35:36], v[11:12]
	v_fma_f64 v[35:36], -v[1:2], v[9:10], 1.0
	v_fma_f64 v[39:40], -v[3:4], v[11:12], 1.0
	v_fma_f64 v[9:10], v[9:10], v[35:36], v[9:10]
	v_fma_f64 v[11:12], v[11:12], v[39:40], v[11:12]
	v_mul_f64 v[35:36], v[33:34], v[9:10]
	v_mul_f64 v[39:40], v[37:38], v[11:12]
	v_fma_f64 v[1:2], -v[1:2], v[35:36], v[33:34]
	v_fma_f64 v[3:4], -v[3:4], v[39:40], v[37:38]
	v_div_fmas_f64 v[1:2], v[1:2], v[9:10], v[35:36]
	s_mov_b64 vcc, s[8:9]
	v_div_fmas_f64 v[3:4], v[3:4], v[11:12], v[39:40]
	v_div_fixup_f64 v[9:10], v[1:2], v[29:30], s[12:13]
	v_div_fixup_f64 v[11:12], v[3:4], v[31:32], s[14:15]
.LBB275_83:                             ;   in Loop: Header=BB275_41 Depth=1
	s_or_b64 exec, exec, s[26:27]
                                        ; implicit-def: $vgpr3_vgpr4
	s_andn2_saveexec_b64 s[8:9], s[24:25]
	s_cbranch_execz .LBB275_75
.LBB275_84:                             ;   in Loop: Header=BB275_41 Depth=1
	v_div_scale_f64 v[9:10], s[24:25], v[3:4], v[3:4], v[1:2]
	v_rcp_f64_e32 v[11:12], v[9:10]
	v_fma_f64 v[29:30], -v[9:10], v[11:12], 1.0
	v_fma_f64 v[11:12], v[11:12], v[29:30], v[11:12]
	v_div_scale_f64 v[29:30], vcc, v[1:2], v[3:4], v[1:2]
	v_fma_f64 v[31:32], -v[9:10], v[11:12], 1.0
	v_fma_f64 v[11:12], v[11:12], v[31:32], v[11:12]
	v_mul_f64 v[31:32], v[29:30], v[11:12]
	v_fma_f64 v[9:10], -v[9:10], v[31:32], v[29:30]
	v_div_fmas_f64 v[9:10], v[9:10], v[11:12], v[31:32]
	v_div_fixup_f64 v[9:10], v[9:10], v[3:4], v[1:2]
	v_fma_f64 v[1:2], v[1:2], v[9:10], v[3:4]
	v_div_scale_f64 v[3:4], s[24:25], v[1:2], v[1:2], 1.0
	v_rcp_f64_e32 v[11:12], v[3:4]
	v_fma_f64 v[29:30], -v[3:4], v[11:12], 1.0
	v_fma_f64 v[11:12], v[11:12], v[29:30], v[11:12]
	v_div_scale_f64 v[29:30], vcc, 1.0, v[1:2], 1.0
	v_fma_f64 v[31:32], -v[3:4], v[11:12], 1.0
	v_fma_f64 v[11:12], v[11:12], v[31:32], v[11:12]
	v_mul_f64 v[31:32], v[29:30], v[11:12]
	v_fma_f64 v[3:4], -v[3:4], v[31:32], v[29:30]
	v_mov_b32_e32 v30, s13
	v_mov_b32_e32 v29, s12
	v_div_fmas_f64 v[3:4], v[3:4], v[11:12], v[31:32]
	v_mov_b32_e32 v11, s14
	v_mov_b32_e32 v12, s15
	v_fma_f64 v[11:12], s[12:13], v[9:10], v[11:12]
	v_div_fixup_f64 v[1:2], v[3:4], v[1:2], 1.0
	v_fma_f64 v[3:4], s[14:15], v[9:10], -v[29:30]
	v_mul_f64 v[9:10], v[11:12], v[1:2]
	v_mul_f64 v[11:12], v[3:4], v[1:2]
	s_or_b64 exec, exec, s[8:9]
	s_and_saveexec_b64 s[8:9], s[0:1]
	s_xor_b64 s[0:1], exec, s[8:9]
	s_cbranch_execz .LBB275_76
.LBB275_85:                             ;   in Loop: Header=BB275_41 Depth=1
	v_lshlrev_b64 v[1:2], 4, v[21:22]
	v_mov_b32_e32 v3, s17
	v_add_co_u32_e32 v1, vcc, s16, v1
	v_addc_co_u32_e32 v2, vcc, v3, v2, vcc
	global_store_dwordx4 v[1:2], v[5:8], off
	s_or_b64 exec, exec, s[0:1]
	s_and_saveexec_b64 s[0:1], s[2:3]
	s_cbranch_execz .LBB275_77
.LBB275_86:                             ;   in Loop: Header=BB275_41 Depth=1
	v_lshlrev_b64 v[1:2], 4, v[23:24]
	v_mov_b32_e32 v3, s17
	v_add_co_u32_e32 v1, vcc, s16, v1
	v_addc_co_u32_e32 v2, vcc, v3, v2, vcc
	global_store_dwordx4 v[1:2], v[13:16], off
	s_or_b64 exec, exec, s[0:1]
	s_and_saveexec_b64 s[0:1], s[4:5]
	s_cbranch_execz .LBB275_78
.LBB275_87:                             ;   in Loop: Header=BB275_41 Depth=1
	v_lshlrev_b64 v[1:2], 4, v[25:26]
	v_mov_b32_e32 v3, s17
	v_add_co_u32_e32 v1, vcc, s16, v1
	v_addc_co_u32_e32 v2, vcc, v3, v2, vcc
	global_store_dwordx4 v[1:2], v[17:20], off
	s_or_b64 exec, exec, s[0:1]
	s_and_saveexec_b64 s[0:1], s[6:7]
	s_cbranch_execz .LBB275_40
.LBB275_88:                             ;   in Loop: Header=BB275_41 Depth=1
	v_lshlrev_b64 v[1:2], 4, v[27:28]
	v_mov_b32_e32 v3, s17
	v_add_co_u32_e32 v1, vcc, s16, v1
	v_addc_co_u32_e32 v2, vcc, v3, v2, vcc
	global_store_dwordx4 v[1:2], v[9:12], off
	s_branch .LBB275_40
.LBB275_89:
	s_endpgm
	.section	.rodata,"a",@progbits
	.p2align	6, 0x0
	.amdhsa_kernel _ZN2at6native12_GLOBAL__N_125multi_tensor_apply_kernelINS1_18TensorListMetadataILi2EEENS1_14UnaryOpFunctorIN3c107complexIdEELi2ELi1ELi1EEEJNS0_10ReciprocalIS8_EEEEEvT_T0_DpT1_
		.amdhsa_group_segment_fixed_size 0
		.amdhsa_private_segment_fixed_size 0
		.amdhsa_kernarg_size 3424
		.amdhsa_user_sgpr_count 6
		.amdhsa_user_sgpr_private_segment_buffer 1
		.amdhsa_user_sgpr_dispatch_ptr 0
		.amdhsa_user_sgpr_queue_ptr 0
		.amdhsa_user_sgpr_kernarg_segment_ptr 1
		.amdhsa_user_sgpr_dispatch_id 0
		.amdhsa_user_sgpr_flat_scratch_init 0
		.amdhsa_user_sgpr_private_segment_size 0
		.amdhsa_uses_dynamic_stack 0
		.amdhsa_system_sgpr_private_segment_wavefront_offset 0
		.amdhsa_system_sgpr_workgroup_id_x 1
		.amdhsa_system_sgpr_workgroup_id_y 0
		.amdhsa_system_sgpr_workgroup_id_z 0
		.amdhsa_system_sgpr_workgroup_info 0
		.amdhsa_system_vgpr_workitem_id 0
		.amdhsa_next_free_vgpr 41
		.amdhsa_next_free_sgpr 32
		.amdhsa_reserve_vcc 1
		.amdhsa_reserve_flat_scratch 0
		.amdhsa_float_round_mode_32 0
		.amdhsa_float_round_mode_16_64 0
		.amdhsa_float_denorm_mode_32 3
		.amdhsa_float_denorm_mode_16_64 3
		.amdhsa_dx10_clamp 1
		.amdhsa_ieee_mode 1
		.amdhsa_fp16_overflow 0
		.amdhsa_exception_fp_ieee_invalid_op 0
		.amdhsa_exception_fp_denorm_src 0
		.amdhsa_exception_fp_ieee_div_zero 0
		.amdhsa_exception_fp_ieee_overflow 0
		.amdhsa_exception_fp_ieee_underflow 0
		.amdhsa_exception_fp_ieee_inexact 0
		.amdhsa_exception_int_div_zero 0
	.end_amdhsa_kernel
	.section	.text._ZN2at6native12_GLOBAL__N_125multi_tensor_apply_kernelINS1_18TensorListMetadataILi2EEENS1_14UnaryOpFunctorIN3c107complexIdEELi2ELi1ELi1EEEJNS0_10ReciprocalIS8_EEEEEvT_T0_DpT1_,"axG",@progbits,_ZN2at6native12_GLOBAL__N_125multi_tensor_apply_kernelINS1_18TensorListMetadataILi2EEENS1_14UnaryOpFunctorIN3c107complexIdEELi2ELi1ELi1EEEJNS0_10ReciprocalIS8_EEEEEvT_T0_DpT1_,comdat
.Lfunc_end275:
	.size	_ZN2at6native12_GLOBAL__N_125multi_tensor_apply_kernelINS1_18TensorListMetadataILi2EEENS1_14UnaryOpFunctorIN3c107complexIdEELi2ELi1ELi1EEEJNS0_10ReciprocalIS8_EEEEEvT_T0_DpT1_, .Lfunc_end275-_ZN2at6native12_GLOBAL__N_125multi_tensor_apply_kernelINS1_18TensorListMetadataILi2EEENS1_14UnaryOpFunctorIN3c107complexIdEELi2ELi1ELi1EEEJNS0_10ReciprocalIS8_EEEEEvT_T0_DpT1_
                                        ; -- End function
	.set _ZN2at6native12_GLOBAL__N_125multi_tensor_apply_kernelINS1_18TensorListMetadataILi2EEENS1_14UnaryOpFunctorIN3c107complexIdEELi2ELi1ELi1EEEJNS0_10ReciprocalIS8_EEEEEvT_T0_DpT1_.num_vgpr, 41
	.set _ZN2at6native12_GLOBAL__N_125multi_tensor_apply_kernelINS1_18TensorListMetadataILi2EEENS1_14UnaryOpFunctorIN3c107complexIdEELi2ELi1ELi1EEEJNS0_10ReciprocalIS8_EEEEEvT_T0_DpT1_.num_agpr, 0
	.set _ZN2at6native12_GLOBAL__N_125multi_tensor_apply_kernelINS1_18TensorListMetadataILi2EEENS1_14UnaryOpFunctorIN3c107complexIdEELi2ELi1ELi1EEEJNS0_10ReciprocalIS8_EEEEEvT_T0_DpT1_.numbered_sgpr, 32
	.set _ZN2at6native12_GLOBAL__N_125multi_tensor_apply_kernelINS1_18TensorListMetadataILi2EEENS1_14UnaryOpFunctorIN3c107complexIdEELi2ELi1ELi1EEEJNS0_10ReciprocalIS8_EEEEEvT_T0_DpT1_.num_named_barrier, 0
	.set _ZN2at6native12_GLOBAL__N_125multi_tensor_apply_kernelINS1_18TensorListMetadataILi2EEENS1_14UnaryOpFunctorIN3c107complexIdEELi2ELi1ELi1EEEJNS0_10ReciprocalIS8_EEEEEvT_T0_DpT1_.private_seg_size, 0
	.set _ZN2at6native12_GLOBAL__N_125multi_tensor_apply_kernelINS1_18TensorListMetadataILi2EEENS1_14UnaryOpFunctorIN3c107complexIdEELi2ELi1ELi1EEEJNS0_10ReciprocalIS8_EEEEEvT_T0_DpT1_.uses_vcc, 1
	.set _ZN2at6native12_GLOBAL__N_125multi_tensor_apply_kernelINS1_18TensorListMetadataILi2EEENS1_14UnaryOpFunctorIN3c107complexIdEELi2ELi1ELi1EEEJNS0_10ReciprocalIS8_EEEEEvT_T0_DpT1_.uses_flat_scratch, 0
	.set _ZN2at6native12_GLOBAL__N_125multi_tensor_apply_kernelINS1_18TensorListMetadataILi2EEENS1_14UnaryOpFunctorIN3c107complexIdEELi2ELi1ELi1EEEJNS0_10ReciprocalIS8_EEEEEvT_T0_DpT1_.has_dyn_sized_stack, 0
	.set _ZN2at6native12_GLOBAL__N_125multi_tensor_apply_kernelINS1_18TensorListMetadataILi2EEENS1_14UnaryOpFunctorIN3c107complexIdEELi2ELi1ELi1EEEJNS0_10ReciprocalIS8_EEEEEvT_T0_DpT1_.has_recursion, 0
	.set _ZN2at6native12_GLOBAL__N_125multi_tensor_apply_kernelINS1_18TensorListMetadataILi2EEENS1_14UnaryOpFunctorIN3c107complexIdEELi2ELi1ELi1EEEJNS0_10ReciprocalIS8_EEEEEvT_T0_DpT1_.has_indirect_call, 0
	.section	.AMDGPU.csdata,"",@progbits
; Kernel info:
; codeLenInByte = 6940
; TotalNumSgprs: 36
; NumVgprs: 41
; ScratchSize: 0
; MemoryBound: 1
; FloatMode: 240
; IeeeMode: 1
; LDSByteSize: 0 bytes/workgroup (compile time only)
; SGPRBlocks: 4
; VGPRBlocks: 10
; NumSGPRsForWavesPerEU: 36
; NumVGPRsForWavesPerEU: 41
; Occupancy: 5
; WaveLimiterHint : 0
; COMPUTE_PGM_RSRC2:SCRATCH_EN: 0
; COMPUTE_PGM_RSRC2:USER_SGPR: 6
; COMPUTE_PGM_RSRC2:TRAP_HANDLER: 0
; COMPUTE_PGM_RSRC2:TGID_X_EN: 1
; COMPUTE_PGM_RSRC2:TGID_Y_EN: 0
; COMPUTE_PGM_RSRC2:TGID_Z_EN: 0
; COMPUTE_PGM_RSRC2:TIDIG_COMP_CNT: 0
	.section	.text._ZN2at6native12_GLOBAL__N_125multi_tensor_apply_kernelINS1_18TensorListMetadataILi2EEENS1_14UnaryOpFunctorIN3c107complexIfEELi2ELi1ELi1EEEJNS0_10ReciprocalIS8_EEEEEvT_T0_DpT1_,"axG",@progbits,_ZN2at6native12_GLOBAL__N_125multi_tensor_apply_kernelINS1_18TensorListMetadataILi2EEENS1_14UnaryOpFunctorIN3c107complexIfEELi2ELi1ELi1EEEJNS0_10ReciprocalIS8_EEEEEvT_T0_DpT1_,comdat
	.globl	_ZN2at6native12_GLOBAL__N_125multi_tensor_apply_kernelINS1_18TensorListMetadataILi2EEENS1_14UnaryOpFunctorIN3c107complexIfEELi2ELi1ELi1EEEJNS0_10ReciprocalIS8_EEEEEvT_T0_DpT1_ ; -- Begin function _ZN2at6native12_GLOBAL__N_125multi_tensor_apply_kernelINS1_18TensorListMetadataILi2EEENS1_14UnaryOpFunctorIN3c107complexIfEELi2ELi1ELi1EEEJNS0_10ReciprocalIS8_EEEEEvT_T0_DpT1_
	.p2align	8
	.type	_ZN2at6native12_GLOBAL__N_125multi_tensor_apply_kernelINS1_18TensorListMetadataILi2EEENS1_14UnaryOpFunctorIN3c107complexIfEELi2ELi1ELi1EEEJNS0_10ReciprocalIS8_EEEEEvT_T0_DpT1_,@function
_ZN2at6native12_GLOBAL__N_125multi_tensor_apply_kernelINS1_18TensorListMetadataILi2EEENS1_14UnaryOpFunctorIN3c107complexIfEELi2ELi1ELi1EEEJNS0_10ReciprocalIS8_EEEEEvT_T0_DpT1_: ; @_ZN2at6native12_GLOBAL__N_125multi_tensor_apply_kernelINS1_18TensorListMetadataILi2EEENS1_14UnaryOpFunctorIN3c107complexIfEELi2ELi1ELi1EEEJNS0_10ReciprocalIS8_EEEEEvT_T0_DpT1_
; %bb.0:
	v_mov_b32_e32 v1, s6
	global_load_ubyte v1, v1, s[4:5] offset:1536
	s_add_u32 s0, s4, s6
	s_mul_hi_u32 s1, s6, 3
	s_mul_i32 s6, s6, 3
	s_addc_u32 s2, s5, 0
	s_add_u32 s0, s0, s6
	s_addc_u32 s1, s2, s1
	s_load_dword s0, s[0:1], 0x740
	s_mov_b32 s7, 0
	s_mov_b32 s9, s7
	s_waitcnt lgkmcnt(0)
	s_ashr_i32 s1, s0, 31
	s_lshl_b64 s[18:19], s[0:1], 19
	s_waitcnt vmcnt(0)
	v_readfirstlane_b32 s2, v1
	s_lshl_b32 s6, s2, 3
	s_load_dwordx2 s[2:3], s[4:5], s6 offset:0x0
	s_load_dwordx2 s[10:11], s[4:5], 0xc50
	s_load_dwordx2 s[16:17], s[4:5], s6 offset:0x400
	s_load_dwordx2 s[14:15], s[4:5], s6 offset:0x200
	s_waitcnt lgkmcnt(0)
	s_add_u32 s12, s2, s18
	s_addc_u32 s13, s3, s19
	s_and_b32 s6, s12, 31
	s_add_u32 s14, s14, s18
	s_addc_u32 s15, s15, s19
	s_lshl_b64 s[0:1], s[0:1], 16
	s_and_b32 s8, s14, 31
	s_sub_u32 s2, s16, s0
	s_subb_u32 s3, s17, s1
	s_and_b32 s0, s16, 3
	s_mov_b32 s1, s7
	s_or_b64 s[0:1], s[8:9], s[0:1]
	s_or_b64 s[0:1], s[0:1], s[6:7]
	s_cmp_eq_u64 s[0:1], 0
	s_mov_b64 s[0:1], -1
	s_cbranch_scc0 .LBB276_37
; %bb.1:
	v_mov_b32_e32 v1, 0x10000
	v_mov_b32_e32 v2, 0
	v_cmp_lt_i64_e32 vcc, s[2:3], v[1:2]
	v_mov_b32_e32 v2, 0
	s_and_b64 s[0:1], vcc, exec
	s_cselect_b32 s7, s3, 0
	s_cselect_b32 s6, s2, 0x10000
	v_lshlrev_b32_e32 v1, 2, v0
	v_cmp_gt_i64_e32 vcc, s[6:7], v[1:2]
	s_and_saveexec_b64 s[8:9], vcc
	s_cbranch_execz .LBB276_36
; %bb.2:
	s_load_dword s0, s[4:5], 0xc64
	v_mov_b32_e32 v1, v2
	v_mov_b32_e32 v14, v1
	v_lshlrev_b32_e32 v15, 5, v0
	s_mov_b64 s[16:17], 0
	s_waitcnt lgkmcnt(0)
	s_and_b32 s26, s0, 0xffff
	s_mov_b64 s[18:19], s[12:13]
	s_lshl_b32 s27, s26, 5
	s_mov_b64 s[20:21], s[14:15]
	v_mov_b32_e32 v13, v0
	s_branch .LBB276_4
.LBB276_3:                              ;   in Loop: Header=BB276_4 Depth=1
	s_or_b64 exec, exec, s[0:1]
	v_mov_b32_e32 v2, s21
	v_add_co_u32_e32 v1, vcc, s20, v15
	v_addc_co_u32_e32 v2, vcc, 0, v2, vcc
	v_add_co_u32_e32 v13, vcc, s26, v13
	v_addc_co_u32_e32 v14, vcc, 0, v14, vcc
	v_lshlrev_b64 v[3:4], 2, v[13:14]
	s_add_u32 s20, s20, s27
	s_addc_u32 s21, s21, 0
	s_add_u32 s18, s18, s27
	v_cmp_le_i64_e32 vcc, s[6:7], v[3:4]
	s_addc_u32 s19, s19, 0
	s_or_b64 s[16:17], vcc, s[16:17]
	global_store_dwordx4 v[1:2], v[5:8], off
	global_store_dwordx4 v[1:2], v[9:12], off offset:16
	s_andn2_b64 exec, exec, s[16:17]
	s_cbranch_execz .LBB276_36
.LBB276_4:                              ; =>This Inner Loop Header: Depth=1
	v_mov_b32_e32 v1, s19
	v_add_co_u32_e32 v5, vcc, s18, v15
	v_addc_co_u32_e32 v6, vcc, 0, v1, vcc
	global_load_dwordx4 v[9:12], v[5:6], off
	global_load_dwordx4 v[1:4], v[5:6], off offset:16
                                        ; implicit-def: $vgpr6
	s_waitcnt vmcnt(1)
	v_cmp_gt_f32_e32 vcc, 0, v9
	v_cndmask_b32_e64 v7, v9, -v9, vcc
	v_cmp_gt_f32_e32 vcc, 0, v10
	v_cndmask_b32_e64 v8, v10, -v10, vcc
	v_cmp_ge_f32_e32 vcc, v7, v8
	s_and_saveexec_b64 s[0:1], vcc
	s_xor_b64 s[22:23], exec, s[0:1]
	s_cbranch_execz .LBB276_10
; %bb.5:                                ;   in Loop: Header=BB276_4 Depth=1
	v_cmp_neq_f32_e32 vcc, 0, v9
	v_cmp_neq_f32_e64 s[0:1], 0, v10
	s_or_b64 s[0:1], vcc, s[0:1]
                                        ; implicit-def: $vgpr6
	s_and_saveexec_b64 s[24:25], s[0:1]
	s_xor_b64 s[0:1], exec, s[24:25]
	s_cbranch_execz .LBB276_7
; %bb.6:                                ;   in Loop: Header=BB276_4 Depth=1
	v_div_scale_f32 v5, s[24:25], v9, v9, v10
	v_div_scale_f32 v6, vcc, v10, v9, v10
	v_rcp_f32_e32 v7, v5
	v_fma_f32 v8, -v5, v7, 1.0
	v_fmac_f32_e32 v7, v8, v7
	v_mul_f32_e32 v8, v6, v7
	v_fma_f32 v16, -v5, v8, v6
	v_fmac_f32_e32 v8, v16, v7
	v_fma_f32 v5, -v5, v8, v6
	v_div_fmas_f32 v5, v5, v7, v8
	v_div_fixup_f32 v5, v5, v9, v10
	v_fma_f32 v6, v10, v5, v9
	v_div_scale_f32 v7, s[24:25], v6, v6, 1.0
	v_div_scale_f32 v8, vcc, 1.0, v6, 1.0
	v_rcp_f32_e32 v16, v7
	v_fma_f32 v17, -v7, v16, 1.0
	v_fmac_f32_e32 v16, v17, v16
	v_mul_f32_e32 v17, v8, v16
	v_fma_f32 v18, -v7, v17, v8
	v_fmac_f32_e32 v17, v18, v16
	v_fma_f32 v7, -v7, v17, v8
	v_div_fmas_f32 v7, v7, v16, v17
	v_mov_b32_e32 v8, s10
	v_mov_b32_e32 v16, s11
	v_fma_f32 v8, s11, v5, v8
	v_fma_f32 v16, -v5, s10, v16
	v_div_fixup_f32 v6, v7, v6, 1.0
	v_mul_f32_e32 v5, v8, v6
	v_mul_f32_e32 v6, v16, v6
                                        ; implicit-def: $vgpr7
                                        ; implicit-def: $vgpr8
.LBB276_7:                              ;   in Loop: Header=BB276_4 Depth=1
	s_andn2_saveexec_b64 s[24:25], s[0:1]
	s_cbranch_execz .LBB276_9
; %bb.8:                                ;   in Loop: Header=BB276_4 Depth=1
	v_div_scale_f32 v5, s[0:1], v7, v7, s10
	v_div_scale_f32 v6, s[0:1], v8, v8, s11
	v_div_scale_f32 v16, vcc, s10, v7, s10
	v_div_scale_f32 v17, s[0:1], s11, v8, s11
	v_rcp_f32_e32 v18, v5
	v_rcp_f32_e32 v19, v6
	v_fma_f32 v20, -v5, v18, 1.0
	v_fmac_f32_e32 v18, v20, v18
	v_fma_f32 v21, -v6, v19, 1.0
	v_fmac_f32_e32 v19, v21, v19
	v_mul_f32_e32 v20, v16, v18
	v_mul_f32_e32 v21, v17, v19
	v_fma_f32 v22, -v5, v20, v16
	v_fma_f32 v23, -v6, v21, v17
	v_fmac_f32_e32 v20, v22, v18
	v_fmac_f32_e32 v21, v23, v19
	v_fma_f32 v5, -v5, v20, v16
	v_fma_f32 v6, -v6, v21, v17
	v_div_fmas_f32 v5, v5, v18, v20
	s_mov_b64 vcc, s[0:1]
	v_div_fmas_f32 v6, v6, v19, v21
	v_div_fixup_f32 v5, v5, v7, s10
	v_div_fixup_f32 v6, v6, v8, s11
.LBB276_9:                              ;   in Loop: Header=BB276_4 Depth=1
	s_or_b64 exec, exec, s[24:25]
.LBB276_10:                             ;   in Loop: Header=BB276_4 Depth=1
	s_andn2_saveexec_b64 s[0:1], s[22:23]
	s_cbranch_execz .LBB276_12
; %bb.11:                               ;   in Loop: Header=BB276_4 Depth=1
	v_div_scale_f32 v5, s[22:23], v10, v10, v9
	v_div_scale_f32 v6, vcc, v9, v10, v9
	v_rcp_f32_e32 v7, v5
	v_fma_f32 v8, -v5, v7, 1.0
	v_fmac_f32_e32 v7, v8, v7
	v_mul_f32_e32 v8, v6, v7
	v_fma_f32 v16, -v5, v8, v6
	v_fmac_f32_e32 v8, v16, v7
	v_fma_f32 v5, -v5, v8, v6
	v_div_fmas_f32 v5, v5, v7, v8
	v_div_fixup_f32 v5, v5, v10, v9
	v_fma_f32 v6, v9, v5, v10
	v_div_scale_f32 v7, s[22:23], v6, v6, 1.0
	v_div_scale_f32 v8, vcc, 1.0, v6, 1.0
	v_rcp_f32_e32 v9, v7
	v_fma_f32 v10, -v7, v9, 1.0
	v_fmac_f32_e32 v9, v10, v9
	v_mul_f32_e32 v10, v8, v9
	v_fma_f32 v16, -v7, v10, v8
	v_fmac_f32_e32 v10, v16, v9
	v_fma_f32 v7, -v7, v10, v8
	v_div_fmas_f32 v7, v7, v9, v10
	v_mov_b32_e32 v8, s11
	v_mov_b32_e32 v9, s10
	v_fma_f32 v8, s10, v5, v8
	v_fma_f32 v9, v5, s11, -v9
	v_div_fixup_f32 v6, v7, v6, 1.0
	v_mul_f32_e32 v5, v8, v6
	v_mul_f32_e32 v6, v9, v6
.LBB276_12:                             ;   in Loop: Header=BB276_4 Depth=1
	s_or_b64 exec, exec, s[0:1]
	v_cmp_gt_f32_e32 vcc, 0, v11
	v_cndmask_b32_e64 v9, v11, -v11, vcc
	v_cmp_gt_f32_e32 vcc, 0, v12
	v_cndmask_b32_e64 v10, v12, -v12, vcc
	v_cmp_ge_f32_e32 vcc, v9, v10
	s_and_saveexec_b64 s[0:1], vcc
	s_xor_b64 s[22:23], exec, s[0:1]
	s_cbranch_execz .LBB276_18
; %bb.13:                               ;   in Loop: Header=BB276_4 Depth=1
	v_cmp_neq_f32_e32 vcc, 0, v11
	v_cmp_neq_f32_e64 s[0:1], 0, v12
	s_or_b64 s[0:1], vcc, s[0:1]
	s_and_saveexec_b64 s[24:25], s[0:1]
	s_xor_b64 s[0:1], exec, s[24:25]
	s_cbranch_execz .LBB276_15
; %bb.14:                               ;   in Loop: Header=BB276_4 Depth=1
	v_div_scale_f32 v7, s[24:25], v11, v11, v12
	v_div_scale_f32 v8, vcc, v12, v11, v12
	v_rcp_f32_e32 v9, v7
	v_fma_f32 v10, -v7, v9, 1.0
	v_fmac_f32_e32 v9, v10, v9
	v_mul_f32_e32 v10, v8, v9
	v_fma_f32 v16, -v7, v10, v8
	v_fmac_f32_e32 v10, v16, v9
	v_fma_f32 v7, -v7, v10, v8
	v_div_fmas_f32 v7, v7, v9, v10
	v_div_fixup_f32 v7, v7, v11, v12
	v_fmac_f32_e32 v11, v12, v7
	v_div_scale_f32 v8, s[24:25], v11, v11, 1.0
	v_div_scale_f32 v9, vcc, 1.0, v11, 1.0
	v_rcp_f32_e32 v10, v8
	v_fma_f32 v12, -v8, v10, 1.0
	v_fmac_f32_e32 v10, v12, v10
	v_mul_f32_e32 v12, v9, v10
	v_fma_f32 v16, -v8, v12, v9
	v_fmac_f32_e32 v12, v16, v10
	v_fma_f32 v8, -v8, v12, v9
	v_div_fmas_f32 v8, v8, v10, v12
	v_mov_b32_e32 v9, s10
	v_mov_b32_e32 v10, s11
	v_fma_f32 v9, s11, v7, v9
	v_fma_f32 v10, -v7, s10, v10
	v_div_fixup_f32 v8, v8, v11, 1.0
	v_mul_f32_e32 v7, v9, v8
	v_mul_f32_e32 v8, v10, v8
                                        ; implicit-def: $vgpr9
                                        ; implicit-def: $vgpr10
.LBB276_15:                             ;   in Loop: Header=BB276_4 Depth=1
	s_andn2_saveexec_b64 s[24:25], s[0:1]
	s_cbranch_execz .LBB276_17
; %bb.16:                               ;   in Loop: Header=BB276_4 Depth=1
	v_div_scale_f32 v7, s[0:1], v9, v9, s10
	v_div_scale_f32 v8, s[0:1], v10, v10, s11
	v_div_scale_f32 v11, vcc, s10, v9, s10
	v_div_scale_f32 v12, s[0:1], s11, v10, s11
	v_rcp_f32_e32 v16, v7
	v_rcp_f32_e32 v17, v8
	v_fma_f32 v18, -v7, v16, 1.0
	v_fmac_f32_e32 v16, v18, v16
	v_fma_f32 v19, -v8, v17, 1.0
	v_fmac_f32_e32 v17, v19, v17
	v_mul_f32_e32 v18, v11, v16
	v_mul_f32_e32 v19, v12, v17
	v_fma_f32 v20, -v7, v18, v11
	v_fma_f32 v21, -v8, v19, v12
	v_fmac_f32_e32 v18, v20, v16
	v_fmac_f32_e32 v19, v21, v17
	v_fma_f32 v7, -v7, v18, v11
	v_fma_f32 v8, -v8, v19, v12
	v_div_fmas_f32 v7, v7, v16, v18
	s_mov_b64 vcc, s[0:1]
	v_div_fmas_f32 v8, v8, v17, v19
	v_div_fixup_f32 v7, v7, v9, s10
	v_div_fixup_f32 v8, v8, v10, s11
.LBB276_17:                             ;   in Loop: Header=BB276_4 Depth=1
	s_or_b64 exec, exec, s[24:25]
                                        ; implicit-def: $vgpr9_vgpr10_vgpr11_vgpr12
.LBB276_18:                             ;   in Loop: Header=BB276_4 Depth=1
	s_andn2_saveexec_b64 s[0:1], s[22:23]
	s_cbranch_execz .LBB276_20
; %bb.19:                               ;   in Loop: Header=BB276_4 Depth=1
	v_div_scale_f32 v7, s[22:23], v12, v12, v11
	v_div_scale_f32 v8, vcc, v11, v12, v11
	v_rcp_f32_e32 v9, v7
	v_fma_f32 v10, -v7, v9, 1.0
	v_fmac_f32_e32 v9, v10, v9
	v_mul_f32_e32 v10, v8, v9
	v_fma_f32 v16, -v7, v10, v8
	v_fmac_f32_e32 v10, v16, v9
	v_fma_f32 v7, -v7, v10, v8
	v_div_fmas_f32 v7, v7, v9, v10
	v_div_fixup_f32 v7, v7, v12, v11
	v_fmac_f32_e32 v12, v11, v7
	v_div_scale_f32 v8, s[22:23], v12, v12, 1.0
	v_div_scale_f32 v9, vcc, 1.0, v12, 1.0
	v_rcp_f32_e32 v10, v8
	v_fma_f32 v11, -v8, v10, 1.0
	v_fmac_f32_e32 v10, v11, v10
	v_mul_f32_e32 v11, v9, v10
	v_fma_f32 v16, -v8, v11, v9
	v_fmac_f32_e32 v11, v16, v10
	v_fma_f32 v8, -v8, v11, v9
	v_div_fmas_f32 v8, v8, v10, v11
	v_mov_b32_e32 v9, s11
	v_mov_b32_e32 v10, s10
	v_fma_f32 v9, s10, v7, v9
	v_fma_f32 v10, v7, s11, -v10
	v_div_fixup_f32 v8, v8, v12, 1.0
	v_mul_f32_e32 v7, v9, v8
	v_mul_f32_e32 v8, v10, v8
.LBB276_20:                             ;   in Loop: Header=BB276_4 Depth=1
	s_or_b64 exec, exec, s[0:1]
	s_waitcnt vmcnt(0)
	v_cmp_gt_f32_e32 vcc, 0, v1
	v_cndmask_b32_e64 v11, v1, -v1, vcc
	v_cmp_gt_f32_e32 vcc, 0, v2
	v_cndmask_b32_e64 v12, v2, -v2, vcc
	v_cmp_ge_f32_e32 vcc, v11, v12
                                        ; implicit-def: $vgpr10
	s_and_saveexec_b64 s[0:1], vcc
	s_xor_b64 s[22:23], exec, s[0:1]
	s_cbranch_execz .LBB276_26
; %bb.21:                               ;   in Loop: Header=BB276_4 Depth=1
	v_cmp_neq_f32_e32 vcc, 0, v1
	v_cmp_neq_f32_e64 s[0:1], 0, v2
	s_or_b64 s[0:1], vcc, s[0:1]
                                        ; implicit-def: $vgpr10
	s_and_saveexec_b64 s[24:25], s[0:1]
	s_xor_b64 s[0:1], exec, s[24:25]
	s_cbranch_execz .LBB276_23
; %bb.22:                               ;   in Loop: Header=BB276_4 Depth=1
	v_div_scale_f32 v9, s[24:25], v1, v1, v2
	v_div_scale_f32 v10, vcc, v2, v1, v2
	v_rcp_f32_e32 v11, v9
	v_fma_f32 v12, -v9, v11, 1.0
	v_fmac_f32_e32 v11, v12, v11
	v_mul_f32_e32 v12, v10, v11
	v_fma_f32 v16, -v9, v12, v10
	v_fmac_f32_e32 v12, v16, v11
	v_fma_f32 v9, -v9, v12, v10
	v_div_fmas_f32 v9, v9, v11, v12
	v_div_fixup_f32 v9, v9, v1, v2
	v_fma_f32 v10, v2, v9, v1
	v_div_scale_f32 v11, s[24:25], v10, v10, 1.0
	v_div_scale_f32 v12, vcc, 1.0, v10, 1.0
	v_rcp_f32_e32 v16, v11
	v_fma_f32 v17, -v11, v16, 1.0
	v_fmac_f32_e32 v16, v17, v16
	v_mul_f32_e32 v17, v12, v16
	v_fma_f32 v18, -v11, v17, v12
	v_fmac_f32_e32 v17, v18, v16
	v_fma_f32 v11, -v11, v17, v12
	v_div_fmas_f32 v11, v11, v16, v17
	v_mov_b32_e32 v12, s10
	v_mov_b32_e32 v16, s11
	v_fma_f32 v12, s11, v9, v12
	v_fma_f32 v16, -v9, s10, v16
	v_div_fixup_f32 v10, v11, v10, 1.0
	v_mul_f32_e32 v9, v12, v10
	v_mul_f32_e32 v10, v16, v10
                                        ; implicit-def: $vgpr11
                                        ; implicit-def: $vgpr12
.LBB276_23:                             ;   in Loop: Header=BB276_4 Depth=1
	s_andn2_saveexec_b64 s[24:25], s[0:1]
	s_cbranch_execz .LBB276_25
; %bb.24:                               ;   in Loop: Header=BB276_4 Depth=1
	v_div_scale_f32 v9, s[0:1], v11, v11, s10
	v_div_scale_f32 v10, s[0:1], v12, v12, s11
	v_div_scale_f32 v16, vcc, s10, v11, s10
	v_div_scale_f32 v17, s[0:1], s11, v12, s11
	v_rcp_f32_e32 v18, v9
	v_rcp_f32_e32 v19, v10
	v_fma_f32 v20, -v9, v18, 1.0
	v_fmac_f32_e32 v18, v20, v18
	v_fma_f32 v21, -v10, v19, 1.0
	v_fmac_f32_e32 v19, v21, v19
	v_mul_f32_e32 v20, v16, v18
	v_mul_f32_e32 v21, v17, v19
	v_fma_f32 v22, -v9, v20, v16
	v_fma_f32 v23, -v10, v21, v17
	v_fmac_f32_e32 v20, v22, v18
	v_fmac_f32_e32 v21, v23, v19
	v_fma_f32 v9, -v9, v20, v16
	v_fma_f32 v10, -v10, v21, v17
	v_div_fmas_f32 v9, v9, v18, v20
	s_mov_b64 vcc, s[0:1]
	v_div_fmas_f32 v10, v10, v19, v21
	v_div_fixup_f32 v9, v9, v11, s10
	v_div_fixup_f32 v10, v10, v12, s11
.LBB276_25:                             ;   in Loop: Header=BB276_4 Depth=1
	s_or_b64 exec, exec, s[24:25]
.LBB276_26:                             ;   in Loop: Header=BB276_4 Depth=1
	s_andn2_saveexec_b64 s[0:1], s[22:23]
	s_cbranch_execz .LBB276_28
; %bb.27:                               ;   in Loop: Header=BB276_4 Depth=1
	v_div_scale_f32 v9, s[22:23], v2, v2, v1
	v_div_scale_f32 v10, vcc, v1, v2, v1
	v_rcp_f32_e32 v11, v9
	v_fma_f32 v12, -v9, v11, 1.0
	v_fmac_f32_e32 v11, v12, v11
	v_mul_f32_e32 v12, v10, v11
	v_fma_f32 v16, -v9, v12, v10
	v_fmac_f32_e32 v12, v16, v11
	v_fma_f32 v9, -v9, v12, v10
	v_div_fmas_f32 v9, v9, v11, v12
	v_div_fixup_f32 v9, v9, v2, v1
	v_fma_f32 v1, v1, v9, v2
	v_div_scale_f32 v2, s[22:23], v1, v1, 1.0
	v_div_scale_f32 v10, vcc, 1.0, v1, 1.0
	v_rcp_f32_e32 v11, v2
	v_fma_f32 v12, -v2, v11, 1.0
	v_fmac_f32_e32 v11, v12, v11
	v_mul_f32_e32 v12, v10, v11
	v_fma_f32 v16, -v2, v12, v10
	v_fmac_f32_e32 v12, v16, v11
	v_fma_f32 v2, -v2, v12, v10
	v_div_fmas_f32 v2, v2, v11, v12
	v_mov_b32_e32 v10, s11
	v_mov_b32_e32 v11, s10
	v_fma_f32 v10, s10, v9, v10
	v_fma_f32 v11, v9, s11, -v11
	v_div_fixup_f32 v1, v2, v1, 1.0
	v_mul_f32_e32 v9, v10, v1
	v_mul_f32_e32 v10, v11, v1
.LBB276_28:                             ;   in Loop: Header=BB276_4 Depth=1
	s_or_b64 exec, exec, s[0:1]
	v_cmp_gt_f32_e32 vcc, 0, v3
	v_cndmask_b32_e64 v1, v3, -v3, vcc
	v_cmp_gt_f32_e32 vcc, 0, v4
	v_cndmask_b32_e64 v2, v4, -v4, vcc
	v_cmp_ge_f32_e32 vcc, v1, v2
	s_and_saveexec_b64 s[0:1], vcc
	s_xor_b64 s[22:23], exec, s[0:1]
	s_cbranch_execz .LBB276_34
; %bb.29:                               ;   in Loop: Header=BB276_4 Depth=1
	v_cmp_neq_f32_e32 vcc, 0, v3
	v_cmp_neq_f32_e64 s[0:1], 0, v4
	s_or_b64 s[0:1], vcc, s[0:1]
	s_and_saveexec_b64 s[24:25], s[0:1]
	s_xor_b64 s[0:1], exec, s[24:25]
	s_cbranch_execz .LBB276_31
; %bb.30:                               ;   in Loop: Header=BB276_4 Depth=1
	v_div_scale_f32 v1, s[24:25], v3, v3, v4
	v_div_scale_f32 v2, vcc, v4, v3, v4
	v_rcp_f32_e32 v11, v1
	v_fma_f32 v12, -v1, v11, 1.0
	v_fmac_f32_e32 v11, v12, v11
	v_mul_f32_e32 v12, v2, v11
	v_fma_f32 v16, -v1, v12, v2
	v_fmac_f32_e32 v12, v16, v11
	v_fma_f32 v1, -v1, v12, v2
	v_div_fmas_f32 v1, v1, v11, v12
	v_div_fixup_f32 v1, v1, v3, v4
	v_fmac_f32_e32 v3, v4, v1
	v_div_scale_f32 v2, s[24:25], v3, v3, 1.0
	v_div_scale_f32 v4, vcc, 1.0, v3, 1.0
	v_rcp_f32_e32 v11, v2
	v_fma_f32 v12, -v2, v11, 1.0
	v_fmac_f32_e32 v11, v12, v11
	v_mul_f32_e32 v12, v4, v11
	v_fma_f32 v16, -v2, v12, v4
	v_fmac_f32_e32 v12, v16, v11
	v_fma_f32 v2, -v2, v12, v4
	v_div_fmas_f32 v2, v2, v11, v12
	v_mov_b32_e32 v4, s10
	v_mov_b32_e32 v11, s11
	v_fma_f32 v4, s11, v1, v4
	v_fma_f32 v1, -v1, s10, v11
	v_div_fixup_f32 v2, v2, v3, 1.0
	v_mul_f32_e32 v11, v4, v2
	v_mul_f32_e32 v12, v1, v2
                                        ; implicit-def: $vgpr1
                                        ; implicit-def: $vgpr2
.LBB276_31:                             ;   in Loop: Header=BB276_4 Depth=1
	s_andn2_saveexec_b64 s[24:25], s[0:1]
	s_cbranch_execz .LBB276_33
; %bb.32:                               ;   in Loop: Header=BB276_4 Depth=1
	v_div_scale_f32 v3, s[0:1], v1, v1, s10
	v_div_scale_f32 v4, s[0:1], v2, v2, s11
	v_div_scale_f32 v11, vcc, s10, v1, s10
	v_div_scale_f32 v12, s[0:1], s11, v2, s11
	v_rcp_f32_e32 v16, v3
	v_rcp_f32_e32 v17, v4
	v_fma_f32 v18, -v3, v16, 1.0
	v_fmac_f32_e32 v16, v18, v16
	v_fma_f32 v19, -v4, v17, 1.0
	v_fmac_f32_e32 v17, v19, v17
	v_mul_f32_e32 v18, v11, v16
	v_mul_f32_e32 v19, v12, v17
	v_fma_f32 v20, -v3, v18, v11
	v_fma_f32 v21, -v4, v19, v12
	v_fmac_f32_e32 v18, v20, v16
	v_fmac_f32_e32 v19, v21, v17
	v_fma_f32 v3, -v3, v18, v11
	v_fma_f32 v4, -v4, v19, v12
	v_div_fmas_f32 v3, v3, v16, v18
	s_mov_b64 vcc, s[0:1]
	v_div_fmas_f32 v4, v4, v17, v19
	v_div_fixup_f32 v11, v3, v1, s10
	v_div_fixup_f32 v12, v4, v2, s11
.LBB276_33:                             ;   in Loop: Header=BB276_4 Depth=1
	s_or_b64 exec, exec, s[24:25]
                                        ; implicit-def: $vgpr1_vgpr2_vgpr3_vgpr4
.LBB276_34:                             ;   in Loop: Header=BB276_4 Depth=1
	s_andn2_saveexec_b64 s[0:1], s[22:23]
	s_cbranch_execz .LBB276_3
; %bb.35:                               ;   in Loop: Header=BB276_4 Depth=1
	v_div_scale_f32 v1, s[22:23], v4, v4, v3
	v_div_scale_f32 v2, vcc, v3, v4, v3
	v_rcp_f32_e32 v11, v1
	v_fma_f32 v12, -v1, v11, 1.0
	v_fmac_f32_e32 v11, v12, v11
	v_mul_f32_e32 v12, v2, v11
	v_fma_f32 v16, -v1, v12, v2
	v_fmac_f32_e32 v12, v16, v11
	v_fma_f32 v1, -v1, v12, v2
	v_div_fmas_f32 v1, v1, v11, v12
	v_div_fixup_f32 v1, v1, v4, v3
	v_fmac_f32_e32 v4, v3, v1
	v_div_scale_f32 v2, s[22:23], v4, v4, 1.0
	v_div_scale_f32 v3, vcc, 1.0, v4, 1.0
	v_rcp_f32_e32 v11, v2
	v_fma_f32 v12, -v2, v11, 1.0
	v_fmac_f32_e32 v11, v12, v11
	v_mul_f32_e32 v12, v3, v11
	v_fma_f32 v16, -v2, v12, v3
	v_fmac_f32_e32 v12, v16, v11
	v_fma_f32 v2, -v2, v12, v3
	v_div_fmas_f32 v2, v2, v11, v12
	v_mov_b32_e32 v3, s11
	v_mov_b32_e32 v11, s10
	v_fma_f32 v3, s10, v1, v3
	v_fma_f32 v1, v1, s11, -v11
	v_div_fixup_f32 v2, v2, v4, 1.0
	v_mul_f32_e32 v11, v3, v2
	v_mul_f32_e32 v12, v1, v2
	s_branch .LBB276_3
.LBB276_36:
	s_or_b64 exec, exec, s[8:9]
	s_mov_b64 s[0:1], 0
.LBB276_37:
	s_andn2_b64 vcc, exec, s[0:1]
	s_cbranch_vccnz .LBB276_89
; %bb.38:
	v_cmp_lt_i64_e64 s[0:1], s[2:3], 1
	s_and_b64 vcc, exec, s[0:1]
	s_cbranch_vccnz .LBB276_89
; %bb.39:
	v_mov_b32_e32 v1, 0x10000
	s_load_dword s4, s[4:5], 0xc64
	v_mov_b32_e32 v2, 0
	v_cmp_lt_i64_e32 vcc, s[2:3], v[1:2]
	s_mov_b64 s[20:21], 0
	s_and_b64 s[0:1], vcc, exec
	v_cmp_lt_u64_e32 vcc, s[2:3], v[1:2]
	s_cselect_b32 s17, s3, 0
	s_cselect_b32 s16, s2, 0x10000
	s_waitcnt lgkmcnt(0)
	s_and_b32 s24, s4, 0xffff
	s_and_b64 s[0:1], vcc, exec
	s_cselect_b32 s19, s3, 0
	s_cselect_b32 s18, s2, 0x10000
	s_lshl_b32 s25, s24, 1
	s_mul_i32 s26, s24, 3
	s_lshl_b32 s27, s24, 2
	s_branch .LBB276_41
.LBB276_40:                             ;   in Loop: Header=BB276_41 Depth=1
	s_or_b64 exec, exec, s[0:1]
	s_add_u32 s20, s20, s27
	v_mov_b32_e32 v1, s16
	s_addc_u32 s21, s21, 0
	v_mov_b32_e32 v2, s17
	v_cmp_ge_i64_e32 vcc, s[20:21], v[1:2]
	s_cbranch_vccnz .LBB276_89
.LBB276_41:                             ; =>This Inner Loop Header: Depth=1
	v_mov_b32_e32 v2, s21
	v_add_co_u32_e32 v1, vcc, s20, v0
	v_addc_co_u32_e32 v2, vcc, 0, v2, vcc
	v_cmp_gt_u64_e64 s[0:1], s[18:19], v[1:2]
	v_mov_b32_e32 v16, 0
	v_mov_b32_e32 v15, 0
	s_and_saveexec_b64 s[2:3], s[0:1]
	s_cbranch_execz .LBB276_43
; %bb.42:                               ;   in Loop: Header=BB276_41 Depth=1
	v_lshlrev_b64 v[3:4], 3, v[1:2]
	v_mov_b32_e32 v5, s13
	v_add_co_u32_e32 v3, vcc, s12, v3
	v_addc_co_u32_e32 v4, vcc, v5, v4, vcc
	global_load_dwordx2 v[15:16], v[3:4], off
.LBB276_43:                             ;   in Loop: Header=BB276_41 Depth=1
	s_or_b64 exec, exec, s[2:3]
	v_add_co_u32_e32 v3, vcc, s24, v1
	v_addc_co_u32_e32 v4, vcc, 0, v2, vcc
	v_cmp_gt_u64_e64 s[2:3], s[18:19], v[3:4]
	v_mov_b32_e32 v14, 0
	v_mov_b32_e32 v18, 0
	;; [unrolled: 1-line block ×3, first 2 shown]
	s_and_saveexec_b64 s[4:5], s[2:3]
	s_cbranch_execz .LBB276_45
; %bb.44:                               ;   in Loop: Header=BB276_41 Depth=1
	v_lshlrev_b64 v[5:6], 3, v[3:4]
	v_mov_b32_e32 v7, s13
	v_add_co_u32_e32 v5, vcc, s12, v5
	v_addc_co_u32_e32 v6, vcc, v7, v6, vcc
	global_load_dwordx2 v[17:18], v[5:6], off
.LBB276_45:                             ;   in Loop: Header=BB276_41 Depth=1
	s_or_b64 exec, exec, s[4:5]
	v_add_co_u32_e32 v5, vcc, s25, v1
	v_addc_co_u32_e32 v6, vcc, 0, v2, vcc
	v_cmp_gt_u64_e64 s[4:5], s[18:19], v[5:6]
	v_mov_b32_e32 v13, 0
	s_and_saveexec_b64 s[6:7], s[4:5]
	s_cbranch_execz .LBB276_47
; %bb.46:                               ;   in Loop: Header=BB276_41 Depth=1
	v_lshlrev_b64 v[7:8], 3, v[5:6]
	v_mov_b32_e32 v9, s13
	v_add_co_u32_e32 v7, vcc, s12, v7
	v_addc_co_u32_e32 v8, vcc, v9, v8, vcc
	global_load_dwordx2 v[13:14], v[7:8], off
.LBB276_47:                             ;   in Loop: Header=BB276_41 Depth=1
	s_or_b64 exec, exec, s[6:7]
	v_add_co_u32_e32 v7, vcc, s26, v1
	v_addc_co_u32_e32 v8, vcc, 0, v2, vcc
	v_cmp_gt_u64_e64 s[6:7], s[18:19], v[7:8]
	v_mov_b32_e32 v10, 0
	v_mov_b32_e32 v9, 0
	s_and_saveexec_b64 s[8:9], s[6:7]
	s_cbranch_execz .LBB276_49
; %bb.48:                               ;   in Loop: Header=BB276_41 Depth=1
	v_lshlrev_b64 v[9:10], 3, v[7:8]
	v_mov_b32_e32 v11, s13
	v_add_co_u32_e32 v9, vcc, s12, v9
	v_addc_co_u32_e32 v10, vcc, v11, v10, vcc
	global_load_dwordx2 v[9:10], v[9:10], off
.LBB276_49:                             ;   in Loop: Header=BB276_41 Depth=1
	s_or_b64 exec, exec, s[8:9]
	s_waitcnt vmcnt(0)
	v_cmp_gt_f32_e32 vcc, 0, v15
	v_cndmask_b32_e64 v20, v15, -v15, vcc
	v_cmp_gt_f32_e32 vcc, 0, v16
	v_cndmask_b32_e64 v19, v16, -v16, vcc
	v_cmp_ge_f32_e32 vcc, v20, v19
                                        ; implicit-def: $vgpr12
	s_and_saveexec_b64 s[8:9], vcc
	s_xor_b64 s[22:23], exec, s[8:9]
	s_cbranch_execz .LBB276_55
; %bb.50:                               ;   in Loop: Header=BB276_41 Depth=1
	v_cmp_neq_f32_e32 vcc, 0, v15
	v_cmp_neq_f32_e64 s[8:9], 0, v16
	s_or_b64 s[8:9], s[8:9], vcc
                                        ; implicit-def: $vgpr12
	s_and_saveexec_b64 s[28:29], s[8:9]
	s_xor_b64 s[8:9], exec, s[28:29]
	s_cbranch_execz .LBB276_52
; %bb.51:                               ;   in Loop: Header=BB276_41 Depth=1
	v_div_scale_f32 v11, s[28:29], v15, v15, v16
	v_div_scale_f32 v12, vcc, v16, v15, v16
	v_rcp_f32_e32 v19, v11
	v_fma_f32 v20, -v11, v19, 1.0
	v_fmac_f32_e32 v19, v20, v19
	v_mul_f32_e32 v20, v12, v19
	v_fma_f32 v21, -v11, v20, v12
	v_fmac_f32_e32 v20, v21, v19
	v_fma_f32 v11, -v11, v20, v12
	v_div_fmas_f32 v11, v11, v19, v20
	v_div_fixup_f32 v11, v11, v15, v16
	v_fmac_f32_e32 v15, v16, v11
	v_div_scale_f32 v12, s[28:29], v15, v15, 1.0
	v_div_scale_f32 v16, vcc, 1.0, v15, 1.0
	v_rcp_f32_e32 v19, v12
	v_fma_f32 v20, -v12, v19, 1.0
	v_fmac_f32_e32 v19, v20, v19
	v_mul_f32_e32 v20, v16, v19
	v_fma_f32 v21, -v12, v20, v16
	v_fmac_f32_e32 v20, v21, v19
	v_fma_f32 v12, -v12, v20, v16
	v_div_fmas_f32 v12, v12, v19, v20
	v_mov_b32_e32 v16, s10
	v_mov_b32_e32 v19, s11
	v_fma_f32 v16, s11, v11, v16
	v_fma_f32 v19, -v11, s10, v19
                                        ; implicit-def: $vgpr20
	v_div_fixup_f32 v12, v12, v15, 1.0
	v_mul_f32_e32 v11, v16, v12
	v_mul_f32_e32 v12, v19, v12
                                        ; implicit-def: $vgpr19
.LBB276_52:                             ;   in Loop: Header=BB276_41 Depth=1
	s_andn2_saveexec_b64 s[8:9], s[8:9]
	s_cbranch_execz .LBB276_54
; %bb.53:                               ;   in Loop: Header=BB276_41 Depth=1
	v_div_scale_f32 v11, s[28:29], v20, v20, s10
	v_rcp_f32_e32 v12, v11
	v_fma_f32 v15, -v11, v12, 1.0
	v_fmac_f32_e32 v12, v15, v12
	v_div_scale_f32 v15, vcc, s10, v20, s10
	v_mul_f32_e32 v16, v15, v12
	v_fma_f32 v21, -v11, v16, v15
	v_fmac_f32_e32 v16, v21, v12
	v_fma_f32 v11, -v11, v16, v15
	v_div_fmas_f32 v11, v11, v12, v16
	v_div_scale_f32 v12, s[28:29], v19, v19, s11
	v_div_fixup_f32 v11, v11, v20, s10
	v_rcp_f32_e32 v15, v12
	v_fma_f32 v16, -v12, v15, 1.0
	v_fmac_f32_e32 v15, v16, v15
	v_div_scale_f32 v16, vcc, s11, v19, s11
	v_mul_f32_e32 v20, v16, v15
	v_fma_f32 v21, -v12, v20, v16
	v_fmac_f32_e32 v20, v21, v15
	v_fma_f32 v12, -v12, v20, v16
	v_div_fmas_f32 v12, v12, v15, v20
	v_div_fixup_f32 v12, v12, v19, s11
.LBB276_54:                             ;   in Loop: Header=BB276_41 Depth=1
	s_or_b64 exec, exec, s[8:9]
                                        ; implicit-def: $vgpr16
.LBB276_55:                             ;   in Loop: Header=BB276_41 Depth=1
	s_andn2_saveexec_b64 s[8:9], s[22:23]
	s_cbranch_execz .LBB276_57
; %bb.56:                               ;   in Loop: Header=BB276_41 Depth=1
	v_div_scale_f32 v11, s[22:23], v16, v16, v15
	v_div_scale_f32 v12, vcc, v15, v16, v15
	v_rcp_f32_e32 v19, v11
	v_fma_f32 v20, -v11, v19, 1.0
	v_fmac_f32_e32 v19, v20, v19
	v_mul_f32_e32 v20, v12, v19
	v_fma_f32 v21, -v11, v20, v12
	v_fmac_f32_e32 v20, v21, v19
	v_fma_f32 v11, -v11, v20, v12
	v_div_fmas_f32 v11, v11, v19, v20
	v_div_fixup_f32 v11, v11, v16, v15
	v_fmac_f32_e32 v16, v15, v11
	v_div_scale_f32 v12, s[22:23], v16, v16, 1.0
	v_div_scale_f32 v15, vcc, 1.0, v16, 1.0
	v_rcp_f32_e32 v19, v12
	v_fma_f32 v20, -v12, v19, 1.0
	v_fmac_f32_e32 v19, v20, v19
	v_mul_f32_e32 v20, v15, v19
	v_fma_f32 v21, -v12, v20, v15
	v_fmac_f32_e32 v20, v21, v19
	v_fma_f32 v12, -v12, v20, v15
	v_div_fmas_f32 v12, v12, v19, v20
	v_mov_b32_e32 v15, s11
	v_mov_b32_e32 v19, s10
	v_fma_f32 v15, s10, v11, v15
	v_fma_f32 v19, v11, s11, -v19
	v_div_fixup_f32 v12, v12, v16, 1.0
	v_mul_f32_e32 v11, v15, v12
	v_mul_f32_e32 v12, v19, v12
.LBB276_57:                             ;   in Loop: Header=BB276_41 Depth=1
	s_or_b64 exec, exec, s[8:9]
	v_cmp_gt_f32_e32 vcc, 0, v17
	v_cndmask_b32_e64 v20, v17, -v17, vcc
	v_cmp_gt_f32_e32 vcc, 0, v18
	v_cndmask_b32_e64 v19, v18, -v18, vcc
	v_cmp_ge_f32_e32 vcc, v20, v19
                                        ; implicit-def: $vgpr16
	s_and_saveexec_b64 s[8:9], vcc
	s_xor_b64 s[22:23], exec, s[8:9]
	s_cbranch_execz .LBB276_63
; %bb.58:                               ;   in Loop: Header=BB276_41 Depth=1
	v_cmp_neq_f32_e32 vcc, 0, v17
	v_cmp_neq_f32_e64 s[8:9], 0, v18
	s_or_b64 s[8:9], s[8:9], vcc
                                        ; implicit-def: $vgpr16
	s_and_saveexec_b64 s[28:29], s[8:9]
	s_xor_b64 s[8:9], exec, s[28:29]
	s_cbranch_execz .LBB276_60
; %bb.59:                               ;   in Loop: Header=BB276_41 Depth=1
	v_div_scale_f32 v15, s[28:29], v17, v17, v18
	v_div_scale_f32 v16, vcc, v18, v17, v18
	v_rcp_f32_e32 v19, v15
	v_fma_f32 v20, -v15, v19, 1.0
	v_fmac_f32_e32 v19, v20, v19
	v_mul_f32_e32 v20, v16, v19
	v_fma_f32 v21, -v15, v20, v16
	v_fmac_f32_e32 v20, v21, v19
	v_fma_f32 v15, -v15, v20, v16
	v_div_fmas_f32 v15, v15, v19, v20
	v_div_fixup_f32 v15, v15, v17, v18
	v_fmac_f32_e32 v17, v18, v15
	v_div_scale_f32 v16, s[28:29], v17, v17, 1.0
	v_div_scale_f32 v18, vcc, 1.0, v17, 1.0
	v_rcp_f32_e32 v19, v16
	v_fma_f32 v20, -v16, v19, 1.0
	v_fmac_f32_e32 v19, v20, v19
	v_mul_f32_e32 v20, v18, v19
	v_fma_f32 v21, -v16, v20, v18
	v_fmac_f32_e32 v20, v21, v19
	v_fma_f32 v16, -v16, v20, v18
	v_div_fmas_f32 v16, v16, v19, v20
	v_mov_b32_e32 v18, s10
	v_mov_b32_e32 v19, s11
	v_fma_f32 v18, s11, v15, v18
	v_fma_f32 v19, -v15, s10, v19
                                        ; implicit-def: $vgpr20
	v_div_fixup_f32 v16, v16, v17, 1.0
	v_mul_f32_e32 v15, v18, v16
	v_mul_f32_e32 v16, v19, v16
                                        ; implicit-def: $vgpr19
.LBB276_60:                             ;   in Loop: Header=BB276_41 Depth=1
	s_andn2_saveexec_b64 s[8:9], s[8:9]
	s_cbranch_execz .LBB276_62
; %bb.61:                               ;   in Loop: Header=BB276_41 Depth=1
	v_div_scale_f32 v15, s[28:29], v20, v20, s10
	v_rcp_f32_e32 v16, v15
	v_fma_f32 v17, -v15, v16, 1.0
	v_fmac_f32_e32 v16, v17, v16
	v_div_scale_f32 v17, vcc, s10, v20, s10
	v_mul_f32_e32 v18, v17, v16
	v_fma_f32 v21, -v15, v18, v17
	v_fmac_f32_e32 v18, v21, v16
	v_fma_f32 v15, -v15, v18, v17
	v_div_fmas_f32 v15, v15, v16, v18
	v_div_scale_f32 v16, s[28:29], v19, v19, s11
	v_div_fixup_f32 v15, v15, v20, s10
	v_rcp_f32_e32 v17, v16
	v_fma_f32 v18, -v16, v17, 1.0
	v_fmac_f32_e32 v17, v18, v17
	v_div_scale_f32 v18, vcc, s11, v19, s11
	v_mul_f32_e32 v20, v18, v17
	v_fma_f32 v21, -v16, v20, v18
	v_fmac_f32_e32 v20, v21, v17
	v_fma_f32 v16, -v16, v20, v18
	v_div_fmas_f32 v16, v16, v17, v20
	v_div_fixup_f32 v16, v16, v19, s11
.LBB276_62:                             ;   in Loop: Header=BB276_41 Depth=1
	s_or_b64 exec, exec, s[8:9]
                                        ; implicit-def: $vgpr18
.LBB276_63:                             ;   in Loop: Header=BB276_41 Depth=1
	s_andn2_saveexec_b64 s[8:9], s[22:23]
	s_cbranch_execz .LBB276_65
; %bb.64:                               ;   in Loop: Header=BB276_41 Depth=1
	v_div_scale_f32 v15, s[22:23], v18, v18, v17
	v_div_scale_f32 v16, vcc, v17, v18, v17
	v_rcp_f32_e32 v19, v15
	v_fma_f32 v20, -v15, v19, 1.0
	v_fmac_f32_e32 v19, v20, v19
	v_mul_f32_e32 v20, v16, v19
	v_fma_f32 v21, -v15, v20, v16
	v_fmac_f32_e32 v20, v21, v19
	v_fma_f32 v15, -v15, v20, v16
	v_div_fmas_f32 v15, v15, v19, v20
	v_div_fixup_f32 v15, v15, v18, v17
	v_fmac_f32_e32 v18, v17, v15
	v_div_scale_f32 v16, s[22:23], v18, v18, 1.0
	v_div_scale_f32 v17, vcc, 1.0, v18, 1.0
	v_rcp_f32_e32 v19, v16
	v_fma_f32 v20, -v16, v19, 1.0
	v_fmac_f32_e32 v19, v20, v19
	v_mul_f32_e32 v20, v17, v19
	v_fma_f32 v21, -v16, v20, v17
	v_fmac_f32_e32 v20, v21, v19
	v_fma_f32 v16, -v16, v20, v17
	v_div_fmas_f32 v16, v16, v19, v20
	v_mov_b32_e32 v17, s11
	v_mov_b32_e32 v19, s10
	v_fma_f32 v17, s10, v15, v17
	v_fma_f32 v19, v15, s11, -v19
	v_div_fixup_f32 v16, v16, v18, 1.0
	v_mul_f32_e32 v15, v17, v16
	v_mul_f32_e32 v16, v19, v16
.LBB276_65:                             ;   in Loop: Header=BB276_41 Depth=1
	s_or_b64 exec, exec, s[8:9]
	v_cmp_gt_f32_e32 vcc, 0, v13
	v_cndmask_b32_e64 v20, v13, -v13, vcc
	v_cmp_gt_f32_e32 vcc, 0, v14
	v_cndmask_b32_e64 v19, v14, -v14, vcc
	v_cmp_ge_f32_e32 vcc, v20, v19
                                        ; implicit-def: $vgpr18
	s_and_saveexec_b64 s[8:9], vcc
	s_xor_b64 s[22:23], exec, s[8:9]
	s_cbranch_execz .LBB276_71
; %bb.66:                               ;   in Loop: Header=BB276_41 Depth=1
	v_cmp_neq_f32_e32 vcc, 0, v13
	v_cmp_neq_f32_e64 s[8:9], 0, v14
	s_or_b64 s[8:9], s[8:9], vcc
                                        ; implicit-def: $vgpr18
	s_and_saveexec_b64 s[28:29], s[8:9]
	s_xor_b64 s[8:9], exec, s[28:29]
	s_cbranch_execz .LBB276_68
; %bb.67:                               ;   in Loop: Header=BB276_41 Depth=1
	v_div_scale_f32 v17, s[28:29], v13, v13, v14
	v_div_scale_f32 v18, vcc, v14, v13, v14
	v_rcp_f32_e32 v19, v17
	v_fma_f32 v20, -v17, v19, 1.0
	v_fmac_f32_e32 v19, v20, v19
	v_mul_f32_e32 v20, v18, v19
	v_fma_f32 v21, -v17, v20, v18
	v_fmac_f32_e32 v20, v21, v19
	v_fma_f32 v17, -v17, v20, v18
	v_div_fmas_f32 v17, v17, v19, v20
	v_div_fixup_f32 v17, v17, v13, v14
	v_fmac_f32_e32 v13, v14, v17
	v_div_scale_f32 v14, s[28:29], v13, v13, 1.0
	v_div_scale_f32 v18, vcc, 1.0, v13, 1.0
	v_rcp_f32_e32 v19, v14
	v_fma_f32 v20, -v14, v19, 1.0
	v_fmac_f32_e32 v19, v20, v19
	v_mul_f32_e32 v20, v18, v19
	v_fma_f32 v21, -v14, v20, v18
	v_fmac_f32_e32 v20, v21, v19
	v_fma_f32 v14, -v14, v20, v18
	v_div_fmas_f32 v14, v14, v19, v20
	v_mov_b32_e32 v18, s10
	v_mov_b32_e32 v19, s11
	v_fma_f32 v18, s11, v17, v18
	v_fma_f32 v19, -v17, s10, v19
                                        ; implicit-def: $vgpr20
	v_div_fixup_f32 v13, v14, v13, 1.0
	v_mul_f32_e32 v17, v18, v13
	v_mul_f32_e32 v18, v19, v13
                                        ; implicit-def: $vgpr19
.LBB276_68:                             ;   in Loop: Header=BB276_41 Depth=1
	s_andn2_saveexec_b64 s[8:9], s[8:9]
	s_cbranch_execz .LBB276_70
; %bb.69:                               ;   in Loop: Header=BB276_41 Depth=1
	v_div_scale_f32 v13, s[28:29], v20, v20, s10
	v_rcp_f32_e32 v14, v13
	v_fma_f32 v17, -v13, v14, 1.0
	v_fmac_f32_e32 v14, v17, v14
	v_div_scale_f32 v17, vcc, s10, v20, s10
	v_mul_f32_e32 v18, v17, v14
	v_fma_f32 v21, -v13, v18, v17
	v_fmac_f32_e32 v18, v21, v14
	v_fma_f32 v13, -v13, v18, v17
	v_div_fmas_f32 v13, v13, v14, v18
	v_div_fixup_f32 v17, v13, v20, s10
	v_div_scale_f32 v13, s[28:29], v19, v19, s11
	v_rcp_f32_e32 v14, v13
	v_fma_f32 v18, -v13, v14, 1.0
	v_fmac_f32_e32 v14, v18, v14
	v_div_scale_f32 v18, vcc, s11, v19, s11
	v_mul_f32_e32 v20, v18, v14
	v_fma_f32 v21, -v13, v20, v18
	v_fmac_f32_e32 v20, v21, v14
	v_fma_f32 v13, -v13, v20, v18
	v_div_fmas_f32 v13, v13, v14, v20
	v_div_fixup_f32 v18, v13, v19, s11
.LBB276_70:                             ;   in Loop: Header=BB276_41 Depth=1
	s_or_b64 exec, exec, s[8:9]
                                        ; implicit-def: $vgpr14
.LBB276_71:                             ;   in Loop: Header=BB276_41 Depth=1
	s_andn2_saveexec_b64 s[8:9], s[22:23]
	s_cbranch_execz .LBB276_73
; %bb.72:                               ;   in Loop: Header=BB276_41 Depth=1
	v_div_scale_f32 v17, s[22:23], v14, v14, v13
	v_div_scale_f32 v18, vcc, v13, v14, v13
	v_rcp_f32_e32 v19, v17
	v_fma_f32 v20, -v17, v19, 1.0
	v_fmac_f32_e32 v19, v20, v19
	v_mul_f32_e32 v20, v18, v19
	v_fma_f32 v21, -v17, v20, v18
	v_fmac_f32_e32 v20, v21, v19
	v_fma_f32 v17, -v17, v20, v18
	v_div_fmas_f32 v17, v17, v19, v20
	v_div_fixup_f32 v17, v17, v14, v13
	v_fmac_f32_e32 v14, v13, v17
	v_div_scale_f32 v13, s[22:23], v14, v14, 1.0
	v_div_scale_f32 v18, vcc, 1.0, v14, 1.0
	v_rcp_f32_e32 v19, v13
	v_fma_f32 v20, -v13, v19, 1.0
	v_fmac_f32_e32 v19, v20, v19
	v_mul_f32_e32 v20, v18, v19
	v_fma_f32 v21, -v13, v20, v18
	v_fmac_f32_e32 v20, v21, v19
	v_fma_f32 v13, -v13, v20, v18
	v_div_fmas_f32 v13, v13, v19, v20
	v_mov_b32_e32 v18, s11
	v_mov_b32_e32 v19, s10
	v_fma_f32 v18, s10, v17, v18
	v_fma_f32 v19, v17, s11, -v19
	v_div_fixup_f32 v13, v13, v14, 1.0
	v_mul_f32_e32 v17, v18, v13
	v_mul_f32_e32 v18, v19, v13
.LBB276_73:                             ;   in Loop: Header=BB276_41 Depth=1
	s_or_b64 exec, exec, s[8:9]
	v_cmp_gt_f32_e32 vcc, 0, v9
	v_cndmask_b32_e64 v20, v9, -v9, vcc
	v_cmp_gt_f32_e32 vcc, 0, v10
	v_cndmask_b32_e64 v19, v10, -v10, vcc
	v_cmp_ge_f32_e32 vcc, v20, v19
                                        ; implicit-def: $vgpr14
	s_and_saveexec_b64 s[8:9], vcc
	s_xor_b64 s[22:23], exec, s[8:9]
	s_cbranch_execnz .LBB276_79
; %bb.74:                               ;   in Loop: Header=BB276_41 Depth=1
	s_andn2_saveexec_b64 s[8:9], s[22:23]
	s_cbranch_execnz .LBB276_84
.LBB276_75:                             ;   in Loop: Header=BB276_41 Depth=1
	s_or_b64 exec, exec, s[8:9]
	s_and_saveexec_b64 s[8:9], s[0:1]
	s_xor_b64 s[0:1], exec, s[8:9]
	s_cbranch_execnz .LBB276_85
.LBB276_76:                             ;   in Loop: Header=BB276_41 Depth=1
	s_or_b64 exec, exec, s[0:1]
	s_and_saveexec_b64 s[0:1], s[2:3]
	s_cbranch_execnz .LBB276_86
.LBB276_77:                             ;   in Loop: Header=BB276_41 Depth=1
	s_or_b64 exec, exec, s[0:1]
	s_and_saveexec_b64 s[0:1], s[4:5]
	s_cbranch_execnz .LBB276_87
.LBB276_78:                             ;   in Loop: Header=BB276_41 Depth=1
	s_or_b64 exec, exec, s[0:1]
	s_and_saveexec_b64 s[0:1], s[6:7]
	s_cbranch_execz .LBB276_40
	s_branch .LBB276_88
.LBB276_79:                             ;   in Loop: Header=BB276_41 Depth=1
	v_cmp_neq_f32_e32 vcc, 0, v9
	v_cmp_neq_f32_e64 s[8:9], 0, v10
	s_or_b64 s[8:9], s[8:9], vcc
                                        ; implicit-def: $vgpr14
	s_and_saveexec_b64 s[28:29], s[8:9]
	s_xor_b64 s[8:9], exec, s[28:29]
	s_cbranch_execz .LBB276_81
; %bb.80:                               ;   in Loop: Header=BB276_41 Depth=1
	v_div_scale_f32 v13, s[28:29], v9, v9, v10
	v_div_scale_f32 v14, vcc, v10, v9, v10
	v_rcp_f32_e32 v19, v13
	v_fma_f32 v20, -v13, v19, 1.0
	v_fmac_f32_e32 v19, v20, v19
	v_mul_f32_e32 v20, v14, v19
	v_fma_f32 v21, -v13, v20, v14
	v_fmac_f32_e32 v20, v21, v19
	v_fma_f32 v13, -v13, v20, v14
	v_div_fmas_f32 v13, v13, v19, v20
	v_div_fixup_f32 v13, v13, v9, v10
	v_fmac_f32_e32 v9, v10, v13
	v_div_scale_f32 v10, s[28:29], v9, v9, 1.0
	v_div_scale_f32 v14, vcc, 1.0, v9, 1.0
	v_rcp_f32_e32 v19, v10
	v_fma_f32 v20, -v10, v19, 1.0
	v_fmac_f32_e32 v19, v20, v19
	v_mul_f32_e32 v20, v14, v19
	v_fma_f32 v21, -v10, v20, v14
	v_fmac_f32_e32 v20, v21, v19
	v_fma_f32 v10, -v10, v20, v14
	v_div_fmas_f32 v10, v10, v19, v20
	v_mov_b32_e32 v14, s10
	v_mov_b32_e32 v19, s11
	v_fma_f32 v14, s11, v13, v14
	v_fma_f32 v19, -v13, s10, v19
                                        ; implicit-def: $vgpr20
	v_div_fixup_f32 v9, v10, v9, 1.0
	v_mul_f32_e32 v13, v14, v9
	v_mul_f32_e32 v14, v19, v9
                                        ; implicit-def: $vgpr19
.LBB276_81:                             ;   in Loop: Header=BB276_41 Depth=1
	s_andn2_saveexec_b64 s[8:9], s[8:9]
	s_cbranch_execz .LBB276_83
; %bb.82:                               ;   in Loop: Header=BB276_41 Depth=1
	v_div_scale_f32 v9, s[28:29], v20, v20, s10
	v_rcp_f32_e32 v10, v9
	v_fma_f32 v13, -v9, v10, 1.0
	v_fmac_f32_e32 v10, v13, v10
	v_div_scale_f32 v13, vcc, s10, v20, s10
	v_mul_f32_e32 v14, v13, v10
	v_fma_f32 v21, -v9, v14, v13
	v_fmac_f32_e32 v14, v21, v10
	v_fma_f32 v9, -v9, v14, v13
	v_div_fmas_f32 v9, v9, v10, v14
	v_div_fixup_f32 v13, v9, v20, s10
	v_div_scale_f32 v9, s[28:29], v19, v19, s11
	v_rcp_f32_e32 v10, v9
	v_fma_f32 v14, -v9, v10, 1.0
	v_fmac_f32_e32 v10, v14, v10
	v_div_scale_f32 v14, vcc, s11, v19, s11
	v_mul_f32_e32 v20, v14, v10
	v_fma_f32 v21, -v9, v20, v14
	v_fmac_f32_e32 v20, v21, v10
	v_fma_f32 v9, -v9, v20, v14
	v_div_fmas_f32 v9, v9, v10, v20
	v_div_fixup_f32 v14, v9, v19, s11
.LBB276_83:                             ;   in Loop: Header=BB276_41 Depth=1
	s_or_b64 exec, exec, s[8:9]
                                        ; implicit-def: $vgpr10
	s_andn2_saveexec_b64 s[8:9], s[22:23]
	s_cbranch_execz .LBB276_75
.LBB276_84:                             ;   in Loop: Header=BB276_41 Depth=1
	v_div_scale_f32 v13, s[22:23], v10, v10, v9
	v_div_scale_f32 v14, vcc, v9, v10, v9
	v_rcp_f32_e32 v19, v13
	v_fma_f32 v20, -v13, v19, 1.0
	v_fmac_f32_e32 v19, v20, v19
	v_mul_f32_e32 v20, v14, v19
	v_fma_f32 v21, -v13, v20, v14
	v_fmac_f32_e32 v20, v21, v19
	v_fma_f32 v13, -v13, v20, v14
	v_div_fmas_f32 v13, v13, v19, v20
	v_div_fixup_f32 v13, v13, v10, v9
	v_fmac_f32_e32 v10, v9, v13
	v_div_scale_f32 v9, s[22:23], v10, v10, 1.0
	v_div_scale_f32 v14, vcc, 1.0, v10, 1.0
	v_rcp_f32_e32 v19, v9
	v_fma_f32 v20, -v9, v19, 1.0
	v_fmac_f32_e32 v19, v20, v19
	v_mul_f32_e32 v20, v14, v19
	v_fma_f32 v21, -v9, v20, v14
	v_fmac_f32_e32 v20, v21, v19
	v_fma_f32 v9, -v9, v20, v14
	v_div_fmas_f32 v9, v9, v19, v20
	v_mov_b32_e32 v14, s11
	v_mov_b32_e32 v19, s10
	v_fma_f32 v14, s10, v13, v14
	v_fma_f32 v19, v13, s11, -v19
	v_div_fixup_f32 v9, v9, v10, 1.0
	v_mul_f32_e32 v13, v14, v9
	v_mul_f32_e32 v14, v19, v9
	s_or_b64 exec, exec, s[8:9]
	s_and_saveexec_b64 s[8:9], s[0:1]
	s_xor_b64 s[0:1], exec, s[8:9]
	s_cbranch_execz .LBB276_76
.LBB276_85:                             ;   in Loop: Header=BB276_41 Depth=1
	v_lshlrev_b64 v[1:2], 3, v[1:2]
	v_mov_b32_e32 v9, s15
	v_add_co_u32_e32 v1, vcc, s14, v1
	v_addc_co_u32_e32 v2, vcc, v9, v2, vcc
	global_store_dwordx2 v[1:2], v[11:12], off
	s_or_b64 exec, exec, s[0:1]
	s_and_saveexec_b64 s[0:1], s[2:3]
	s_cbranch_execz .LBB276_77
.LBB276_86:                             ;   in Loop: Header=BB276_41 Depth=1
	v_lshlrev_b64 v[1:2], 3, v[3:4]
	v_mov_b32_e32 v3, s15
	v_add_co_u32_e32 v1, vcc, s14, v1
	v_addc_co_u32_e32 v2, vcc, v3, v2, vcc
	global_store_dwordx2 v[1:2], v[15:16], off
	s_or_b64 exec, exec, s[0:1]
	s_and_saveexec_b64 s[0:1], s[4:5]
	s_cbranch_execz .LBB276_78
.LBB276_87:                             ;   in Loop: Header=BB276_41 Depth=1
	v_lshlrev_b64 v[1:2], 3, v[5:6]
	v_mov_b32_e32 v3, s15
	v_add_co_u32_e32 v1, vcc, s14, v1
	v_addc_co_u32_e32 v2, vcc, v3, v2, vcc
	global_store_dwordx2 v[1:2], v[17:18], off
	s_or_b64 exec, exec, s[0:1]
	s_and_saveexec_b64 s[0:1], s[6:7]
	s_cbranch_execz .LBB276_40
.LBB276_88:                             ;   in Loop: Header=BB276_41 Depth=1
	v_lshlrev_b64 v[1:2], 3, v[7:8]
	v_mov_b32_e32 v3, s15
	v_add_co_u32_e32 v1, vcc, s14, v1
	v_addc_co_u32_e32 v2, vcc, v3, v2, vcc
	global_store_dwordx2 v[1:2], v[13:14], off
	s_branch .LBB276_40
.LBB276_89:
	s_endpgm
	.section	.rodata,"a",@progbits
	.p2align	6, 0x0
	.amdhsa_kernel _ZN2at6native12_GLOBAL__N_125multi_tensor_apply_kernelINS1_18TensorListMetadataILi2EEENS1_14UnaryOpFunctorIN3c107complexIfEELi2ELi1ELi1EEEJNS0_10ReciprocalIS8_EEEEEvT_T0_DpT1_
		.amdhsa_group_segment_fixed_size 0
		.amdhsa_private_segment_fixed_size 0
		.amdhsa_kernarg_size 3416
		.amdhsa_user_sgpr_count 6
		.amdhsa_user_sgpr_private_segment_buffer 1
		.amdhsa_user_sgpr_dispatch_ptr 0
		.amdhsa_user_sgpr_queue_ptr 0
		.amdhsa_user_sgpr_kernarg_segment_ptr 1
		.amdhsa_user_sgpr_dispatch_id 0
		.amdhsa_user_sgpr_flat_scratch_init 0
		.amdhsa_user_sgpr_private_segment_size 0
		.amdhsa_uses_dynamic_stack 0
		.amdhsa_system_sgpr_private_segment_wavefront_offset 0
		.amdhsa_system_sgpr_workgroup_id_x 1
		.amdhsa_system_sgpr_workgroup_id_y 0
		.amdhsa_system_sgpr_workgroup_id_z 0
		.amdhsa_system_sgpr_workgroup_info 0
		.amdhsa_system_vgpr_workitem_id 0
		.amdhsa_next_free_vgpr 24
		.amdhsa_next_free_sgpr 30
		.amdhsa_reserve_vcc 1
		.amdhsa_reserve_flat_scratch 0
		.amdhsa_float_round_mode_32 0
		.amdhsa_float_round_mode_16_64 0
		.amdhsa_float_denorm_mode_32 3
		.amdhsa_float_denorm_mode_16_64 3
		.amdhsa_dx10_clamp 1
		.amdhsa_ieee_mode 1
		.amdhsa_fp16_overflow 0
		.amdhsa_exception_fp_ieee_invalid_op 0
		.amdhsa_exception_fp_denorm_src 0
		.amdhsa_exception_fp_ieee_div_zero 0
		.amdhsa_exception_fp_ieee_overflow 0
		.amdhsa_exception_fp_ieee_underflow 0
		.amdhsa_exception_fp_ieee_inexact 0
		.amdhsa_exception_int_div_zero 0
	.end_amdhsa_kernel
	.section	.text._ZN2at6native12_GLOBAL__N_125multi_tensor_apply_kernelINS1_18TensorListMetadataILi2EEENS1_14UnaryOpFunctorIN3c107complexIfEELi2ELi1ELi1EEEJNS0_10ReciprocalIS8_EEEEEvT_T0_DpT1_,"axG",@progbits,_ZN2at6native12_GLOBAL__N_125multi_tensor_apply_kernelINS1_18TensorListMetadataILi2EEENS1_14UnaryOpFunctorIN3c107complexIfEELi2ELi1ELi1EEEJNS0_10ReciprocalIS8_EEEEEvT_T0_DpT1_,comdat
.Lfunc_end276:
	.size	_ZN2at6native12_GLOBAL__N_125multi_tensor_apply_kernelINS1_18TensorListMetadataILi2EEENS1_14UnaryOpFunctorIN3c107complexIfEELi2ELi1ELi1EEEJNS0_10ReciprocalIS8_EEEEEvT_T0_DpT1_, .Lfunc_end276-_ZN2at6native12_GLOBAL__N_125multi_tensor_apply_kernelINS1_18TensorListMetadataILi2EEENS1_14UnaryOpFunctorIN3c107complexIfEELi2ELi1ELi1EEEJNS0_10ReciprocalIS8_EEEEEvT_T0_DpT1_
                                        ; -- End function
	.set _ZN2at6native12_GLOBAL__N_125multi_tensor_apply_kernelINS1_18TensorListMetadataILi2EEENS1_14UnaryOpFunctorIN3c107complexIfEELi2ELi1ELi1EEEJNS0_10ReciprocalIS8_EEEEEvT_T0_DpT1_.num_vgpr, 24
	.set _ZN2at6native12_GLOBAL__N_125multi_tensor_apply_kernelINS1_18TensorListMetadataILi2EEENS1_14UnaryOpFunctorIN3c107complexIfEELi2ELi1ELi1EEEJNS0_10ReciprocalIS8_EEEEEvT_T0_DpT1_.num_agpr, 0
	.set _ZN2at6native12_GLOBAL__N_125multi_tensor_apply_kernelINS1_18TensorListMetadataILi2EEENS1_14UnaryOpFunctorIN3c107complexIfEELi2ELi1ELi1EEEJNS0_10ReciprocalIS8_EEEEEvT_T0_DpT1_.numbered_sgpr, 30
	.set _ZN2at6native12_GLOBAL__N_125multi_tensor_apply_kernelINS1_18TensorListMetadataILi2EEENS1_14UnaryOpFunctorIN3c107complexIfEELi2ELi1ELi1EEEJNS0_10ReciprocalIS8_EEEEEvT_T0_DpT1_.num_named_barrier, 0
	.set _ZN2at6native12_GLOBAL__N_125multi_tensor_apply_kernelINS1_18TensorListMetadataILi2EEENS1_14UnaryOpFunctorIN3c107complexIfEELi2ELi1ELi1EEEJNS0_10ReciprocalIS8_EEEEEvT_T0_DpT1_.private_seg_size, 0
	.set _ZN2at6native12_GLOBAL__N_125multi_tensor_apply_kernelINS1_18TensorListMetadataILi2EEENS1_14UnaryOpFunctorIN3c107complexIfEELi2ELi1ELi1EEEJNS0_10ReciprocalIS8_EEEEEvT_T0_DpT1_.uses_vcc, 1
	.set _ZN2at6native12_GLOBAL__N_125multi_tensor_apply_kernelINS1_18TensorListMetadataILi2EEENS1_14UnaryOpFunctorIN3c107complexIfEELi2ELi1ELi1EEEJNS0_10ReciprocalIS8_EEEEEvT_T0_DpT1_.uses_flat_scratch, 0
	.set _ZN2at6native12_GLOBAL__N_125multi_tensor_apply_kernelINS1_18TensorListMetadataILi2EEENS1_14UnaryOpFunctorIN3c107complexIfEELi2ELi1ELi1EEEJNS0_10ReciprocalIS8_EEEEEvT_T0_DpT1_.has_dyn_sized_stack, 0
	.set _ZN2at6native12_GLOBAL__N_125multi_tensor_apply_kernelINS1_18TensorListMetadataILi2EEENS1_14UnaryOpFunctorIN3c107complexIfEELi2ELi1ELi1EEEJNS0_10ReciprocalIS8_EEEEEvT_T0_DpT1_.has_recursion, 0
	.set _ZN2at6native12_GLOBAL__N_125multi_tensor_apply_kernelINS1_18TensorListMetadataILi2EEENS1_14UnaryOpFunctorIN3c107complexIfEELi2ELi1ELi1EEEJNS0_10ReciprocalIS8_EEEEEvT_T0_DpT1_.has_indirect_call, 0
	.section	.AMDGPU.csdata,"",@progbits
; Kernel info:
; codeLenInByte = 5848
; TotalNumSgprs: 34
; NumVgprs: 24
; ScratchSize: 0
; MemoryBound: 0
; FloatMode: 240
; IeeeMode: 1
; LDSByteSize: 0 bytes/workgroup (compile time only)
; SGPRBlocks: 4
; VGPRBlocks: 5
; NumSGPRsForWavesPerEU: 34
; NumVGPRsForWavesPerEU: 24
; Occupancy: 10
; WaveLimiterHint : 0
; COMPUTE_PGM_RSRC2:SCRATCH_EN: 0
; COMPUTE_PGM_RSRC2:USER_SGPR: 6
; COMPUTE_PGM_RSRC2:TRAP_HANDLER: 0
; COMPUTE_PGM_RSRC2:TGID_X_EN: 1
; COMPUTE_PGM_RSRC2:TGID_Y_EN: 0
; COMPUTE_PGM_RSRC2:TGID_Z_EN: 0
; COMPUTE_PGM_RSRC2:TIDIG_COMP_CNT: 0
	.section	.text._ZN2at6native12_GLOBAL__N_125multi_tensor_apply_kernelINS1_18TensorListMetadataILi2EEENS1_14UnaryOpFunctorIN3c104HalfELi2ELi1ELi1EEEJNS0_10ReciprocalIfEEEEEvT_T0_DpT1_,"axG",@progbits,_ZN2at6native12_GLOBAL__N_125multi_tensor_apply_kernelINS1_18TensorListMetadataILi2EEENS1_14UnaryOpFunctorIN3c104HalfELi2ELi1ELi1EEEJNS0_10ReciprocalIfEEEEEvT_T0_DpT1_,comdat
	.globl	_ZN2at6native12_GLOBAL__N_125multi_tensor_apply_kernelINS1_18TensorListMetadataILi2EEENS1_14UnaryOpFunctorIN3c104HalfELi2ELi1ELi1EEEJNS0_10ReciprocalIfEEEEEvT_T0_DpT1_ ; -- Begin function _ZN2at6native12_GLOBAL__N_125multi_tensor_apply_kernelINS1_18TensorListMetadataILi2EEENS1_14UnaryOpFunctorIN3c104HalfELi2ELi1ELi1EEEJNS0_10ReciprocalIfEEEEEvT_T0_DpT1_
	.p2align	8
	.type	_ZN2at6native12_GLOBAL__N_125multi_tensor_apply_kernelINS1_18TensorListMetadataILi2EEENS1_14UnaryOpFunctorIN3c104HalfELi2ELi1ELi1EEEJNS0_10ReciprocalIfEEEEEvT_T0_DpT1_,@function
_ZN2at6native12_GLOBAL__N_125multi_tensor_apply_kernelINS1_18TensorListMetadataILi2EEENS1_14UnaryOpFunctorIN3c104HalfELi2ELi1ELi1EEEJNS0_10ReciprocalIfEEEEEvT_T0_DpT1_: ; @_ZN2at6native12_GLOBAL__N_125multi_tensor_apply_kernelINS1_18TensorListMetadataILi2EEENS1_14UnaryOpFunctorIN3c104HalfELi2ELi1ELi1EEEJNS0_10ReciprocalIfEEEEEvT_T0_DpT1_
; %bb.0:
	v_mov_b32_e32 v1, s6
	global_load_ubyte v1, v1, s[4:5] offset:1536
	s_add_u32 s0, s4, s6
	s_mul_hi_u32 s2, s6, 3
	s_mul_i32 s6, s6, 3
	s_addc_u32 s7, s5, 0
	s_add_u32 s6, s0, s6
	s_addc_u32 s7, s7, s2
	s_load_dword s6, s[6:7], 0x740
	s_mov_b32 s1, 0
	s_mov_b32 s3, s1
	s_waitcnt lgkmcnt(0)
	s_ashr_i32 s7, s6, 31
	s_lshl_b64 s[10:11], s[6:7], 17
	s_lshl_b64 s[6:7], s[6:7], 16
	s_waitcnt vmcnt(0)
	v_readfirstlane_b32 s0, v1
	s_lshl_b32 s0, s0, 3
	s_load_dword s24, s[4:5], 0xc4c
	s_load_dwordx2 s[8:9], s[4:5], s0 offset:0x400
	s_load_dwordx2 s[14:15], s[4:5], s0 offset:0x0
	s_load_dwordx2 s[12:13], s[4:5], s0 offset:0x200
	s_waitcnt lgkmcnt(0)
	s_add_u32 s0, s14, s10
	s_and_b32 s2, s12, 7
	s_and_b32 s0, s0, 7
	s_sub_u32 s16, s8, s6
	s_subb_u32 s17, s9, s7
	s_and_b32 s6, s8, 3
	s_mov_b32 s7, s1
	s_or_b64 s[2:3], s[2:3], s[6:7]
	s_or_b64 s[0:1], s[2:3], s[0:1]
	s_cmp_eq_u64 s[0:1], 0
	s_mov_b64 s[0:1], -1
	s_cbranch_scc0 .LBB277_5
; %bb.1:
	v_mov_b32_e32 v1, 0x10000
	v_mov_b32_e32 v2, 0
	v_cmp_lt_i64_e32 vcc, s[16:17], v[1:2]
	v_mov_b32_e32 v2, 0
	s_and_b64 s[0:1], vcc, exec
	s_cselect_b32 s19, s17, 0
	s_cselect_b32 s18, s16, 0x10000
	v_lshlrev_b32_e32 v1, 2, v0
	v_cmp_gt_i64_e32 vcc, s[18:19], v[1:2]
	s_and_saveexec_b64 s[20:21], vcc
	s_cbranch_execz .LBB277_4
; %bb.2:
	s_load_dword s0, s[4:5], 0xc5c
	v_mov_b32_e32 v1, v2
	v_lshlrev_b32_e32 v2, 3, v0
	v_mov_b32_e32 v4, s11
	v_add_co_u32_e32 v3, vcc, s10, v2
	s_waitcnt lgkmcnt(0)
	s_and_b32 s25, s0, 0xffff
	v_mov_b32_e32 v2, v1
	v_addc_co_u32_e32 v4, vcc, 0, v4, vcc
	s_lshl_b32 s26, s25, 3
	s_mov_b64 s[22:23], 0
	v_mov_b32_e32 v5, s15
	v_mov_b32_e32 v6, s13
	;; [unrolled: 1-line block ×3, first 2 shown]
.LBB277_3:                              ; =>This Inner Loop Header: Depth=1
	v_add_co_u32_e32 v7, vcc, s14, v3
	v_addc_co_u32_e32 v8, vcc, v5, v4, vcc
	global_load_dwordx2 v[7:8], v[7:8], off
	s_waitcnt vmcnt(0)
	v_cvt_f32_f16_e32 v11, v7
	v_cvt_f32_f16_sdwa v12, v7 dst_sel:DWORD dst_unused:UNUSED_PAD src0_sel:WORD_1
	v_cvt_f32_f16_e32 v13, v8
	v_cvt_f32_f16_sdwa v14, v8 dst_sel:DWORD dst_unused:UNUSED_PAD src0_sel:WORD_1
	v_div_scale_f32 v9, s[0:1], v11, v11, s24
	v_div_scale_f32 v10, s[0:1], v12, v12, s24
	;; [unrolled: 1-line block ×4, first 2 shown]
	v_div_scale_f32 v17, vcc, s24, v11, s24
	v_div_scale_f32 v18, s[0:1], s24, v12, s24
	v_div_scale_f32 v19, s[2:3], s24, v13, s24
	;; [unrolled: 1-line block ×3, first 2 shown]
	v_rcp_f32_e32 v21, v9
	v_rcp_f32_e32 v22, v10
	;; [unrolled: 1-line block ×3, first 2 shown]
	v_fma_f32 v7, -v9, v21, 1.0
	v_rcp_f32_e32 v24, v16
	v_fma_f32 v8, -v10, v22, 1.0
	v_fma_f32 v25, -v15, v23, 1.0
	v_fmac_f32_e32 v21, v7, v21
	v_fma_f32 v26, -v16, v24, 1.0
	v_fmac_f32_e32 v22, v8, v22
	v_fmac_f32_e32 v23, v25, v23
	v_mul_f32_e32 v25, v17, v21
	v_fmac_f32_e32 v24, v26, v24
	v_mul_f32_e32 v26, v18, v22
	v_fma_f32 v7, -v9, v25, v17
	v_mul_f32_e32 v27, v19, v23
	v_fma_f32 v8, -v10, v26, v18
	v_fmac_f32_e32 v25, v7, v21
	v_mul_f32_e32 v28, v20, v24
	v_fma_f32 v7, -v15, v27, v19
	v_fmac_f32_e32 v26, v8, v22
	v_fma_f32 v9, -v9, v25, v17
	v_fma_f32 v8, -v16, v28, v20
	v_fmac_f32_e32 v27, v7, v23
	v_fma_f32 v10, -v10, v26, v18
	v_div_fmas_f32 v17, v9, v21, v25
	s_mov_b64 vcc, s[0:1]
	v_fmac_f32_e32 v28, v8, v24
	v_fma_f32 v15, -v15, v27, v19
	v_div_fmas_f32 v18, v10, v22, v26
	s_mov_b64 vcc, s[2:3]
	v_fma_f32 v16, -v16, v28, v20
	v_div_fmas_f32 v15, v15, v23, v27
	s_mov_b64 vcc, s[6:7]
	v_div_fmas_f32 v16, v16, v24, v28
	v_add_co_u32_e32 v1, vcc, s25, v1
	v_addc_co_u32_e32 v2, vcc, 0, v2, vcc
	v_add_co_u32_e64 v7, s[8:9], s12, v3
	v_div_fixup_f32 v11, v17, v11, s24
	v_add_co_u32_e32 v3, vcc, s26, v3
	v_lshlrev_b64 v[9:10], 2, v[1:2]
	v_div_fixup_f32 v12, v18, v12, s24
	v_cvt_f16_f32_e32 v11, v11
	v_cvt_f16_f32_e32 v12, v12
	v_div_fixup_f32 v13, v15, v13, s24
	v_cvt_f16_f32_e32 v13, v13
	v_div_fixup_f32 v14, v16, v14, s24
	v_cvt_f16_f32_e32 v14, v14
	v_addc_co_u32_e64 v8, s[8:9], v6, v4, s[8:9]
	v_addc_co_u32_e32 v4, vcc, 0, v4, vcc
	v_cmp_le_i64_e32 vcc, s[18:19], v[9:10]
	v_pack_b32_f16 v9, v11, v12
	s_or_b64 s[22:23], vcc, s[22:23]
	v_pack_b32_f16 v10, v13, v14
	global_store_dwordx2 v[7:8], v[9:10], off
	s_andn2_b64 exec, exec, s[22:23]
	s_cbranch_execnz .LBB277_3
.LBB277_4:
	s_or_b64 exec, exec, s[20:21]
	s_mov_b64 s[0:1], 0
.LBB277_5:
	s_andn2_b64 vcc, exec, s[0:1]
	s_cbranch_vccnz .LBB277_25
; %bb.6:
	v_cmp_lt_i64_e64 s[0:1], s[16:17], 1
	s_and_b64 vcc, exec, s[0:1]
	s_cbranch_vccnz .LBB277_25
; %bb.7:
	v_mov_b32_e32 v1, 0x10000
	s_load_dword s2, s[4:5], 0xc5c
	v_mov_b32_e32 v2, 0
	v_cmp_lt_i64_e32 vcc, s[16:17], v[1:2]
	v_mov_b32_e32 v10, 0
	s_and_b64 s[0:1], vcc, exec
	v_cmp_lt_u64_e32 vcc, s[16:17], v[1:2]
	s_cselect_b32 s9, s17, 0
	s_cselect_b32 s8, s16, 0x10000
	s_waitcnt lgkmcnt(0)
	s_and_b32 s2, s2, 0xffff
	v_lshlrev_b32_e32 v9, 1, v0
	s_and_b64 s[0:1], vcc, exec
	v_mov_b32_e32 v2, s15
	v_add_co_u32_e32 v1, vcc, s14, v9
	v_mad_u64_u32 v[7:8], s[0:1], s2, 6, v[9:10]
	v_addc_co_u32_e32 v2, vcc, 0, v2, vcc
	v_mov_b32_e32 v4, s13
	v_add_co_u32_e32 v3, vcc, s12, v9
	v_addc_co_u32_e32 v4, vcc, 0, v4, vcc
	v_mov_b32_e32 v6, s15
	v_add_co_u32_e32 v5, vcc, s14, v7
	;; [unrolled: 3-line block ×3, first 2 shown]
	s_cselect_b32 s17, s17, 0
	s_cselect_b32 s16, s16, 0x10000
	s_lshl_b32 s18, s2, 2
	v_addc_co_u32_e32 v8, vcc, v10, v8, vcc
	v_add_co_u32_e32 v11, vcc, s18, v9
	v_addc_co_u32_e64 v12, s[0:1], 0, 0, vcc
	v_mov_b32_e32 v10, s15
	v_add_co_u32_e32 v9, vcc, s14, v11
	v_addc_co_u32_e32 v10, vcc, v10, v12, vcc
	v_mov_b32_e32 v13, s13
	v_add_co_u32_e32 v11, vcc, s12, v11
	v_addc_co_u32_e32 v12, vcc, v13, v12, vcc
	v_add_co_u32_e32 v13, vcc, s2, v0
	v_lshlrev_b32_e32 v17, 1, v13
	v_addc_co_u32_e64 v14, s[0:1], 0, 0, vcc
	v_mov_b32_e32 v16, s15
	v_add_co_u32_e32 v15, vcc, s14, v17
	v_addc_co_u32_e32 v16, vcc, 0, v16, vcc
	v_mov_b32_e32 v18, s13
	v_add_co_u32_e32 v17, vcc, s12, v17
	s_mul_i32 s4, s2, 3
	v_addc_co_u32_e32 v18, vcc, 0, v18, vcc
	s_lshl_b32 s3, s2, 1
	v_add_co_u32_e32 v19, vcc, s4, v0
	v_addc_co_u32_e64 v20, s[0:1], 0, 0, vcc
	v_add_co_u32_e32 v21, vcc, s3, v0
	s_lshl_b32 s19, s2, 3
	s_mov_b64 s[12:13], 0
	v_addc_co_u32_e64 v22, s[0:1], 0, 0, vcc
	s_branch .LBB277_9
.LBB277_8:                              ;   in Loop: Header=BB277_9 Depth=1
	s_or_b64 exec, exec, s[2:3]
	v_add_co_u32_e32 v1, vcc, s19, v1
	v_addc_co_u32_e32 v2, vcc, 0, v2, vcc
	v_add_co_u32_e32 v3, vcc, s19, v3
	v_addc_co_u32_e32 v4, vcc, 0, v4, vcc
	;; [unrolled: 2-line block ×6, first 2 shown]
	s_add_u32 s12, s12, s18
	v_add_co_u32_e32 v15, vcc, s19, v15
	v_mov_b32_e32 v24, s9
	s_addc_u32 s13, s13, 0
	v_addc_co_u32_e32 v16, vcc, 0, v16, vcc
	v_mov_b32_e32 v23, s8
	v_cmp_ge_i64_e32 vcc, s[12:13], v[23:24]
	v_add_co_u32_e64 v17, s[0:1], s19, v17
	v_addc_co_u32_e64 v18, s[0:1], 0, v18, s[0:1]
	s_cbranch_vccnz .LBB277_25
.LBB277_9:                              ; =>This Inner Loop Header: Depth=1
	v_mov_b32_e32 v24, s13
	v_add_co_u32_e32 v23, vcc, s12, v0
	v_addc_co_u32_e32 v24, vcc, 0, v24, vcc
	v_cmp_gt_u64_e32 vcc, s[16:17], v[23:24]
	v_mov_b32_e32 v26, 0
	s_and_saveexec_b64 s[2:3], vcc
	s_cbranch_execz .LBB277_11
; %bb.10:                               ;   in Loop: Header=BB277_9 Depth=1
	v_mov_b32_e32 v24, s11
	v_add_co_u32_e64 v23, s[0:1], s10, v1
	v_addc_co_u32_e64 v24, s[0:1], v2, v24, s[0:1]
	global_load_ushort v23, v[23:24], off
	s_waitcnt vmcnt(0)
	v_cvt_f32_f16_e32 v26, v23
.LBB277_11:                             ;   in Loop: Header=BB277_9 Depth=1
	s_or_b64 exec, exec, s[2:3]
	v_mov_b32_e32 v24, s13
	v_add_co_u32_e64 v23, s[0:1], s12, v13
	v_addc_co_u32_e64 v24, s[0:1], v14, v24, s[0:1]
	v_cmp_gt_u64_e64 s[4:5], s[16:17], v[23:24]
	v_mov_b32_e32 v23, 0
	v_mov_b32_e32 v25, 0
	s_and_saveexec_b64 s[2:3], s[4:5]
	s_cbranch_execz .LBB277_13
; %bb.12:                               ;   in Loop: Header=BB277_9 Depth=1
	v_mov_b32_e32 v25, s11
	v_add_co_u32_e64 v24, s[0:1], s10, v15
	v_addc_co_u32_e64 v25, s[0:1], v16, v25, s[0:1]
	global_load_ushort v24, v[24:25], off
	s_waitcnt vmcnt(0)
	v_cvt_f32_f16_e32 v25, v24
.LBB277_13:                             ;   in Loop: Header=BB277_9 Depth=1
	s_or_b64 exec, exec, s[2:3]
	v_mov_b32_e32 v24, s13
	v_add_co_u32_e64 v27, s[0:1], s12, v21
	v_addc_co_u32_e64 v28, s[0:1], v22, v24, s[0:1]
	v_cmp_gt_u64_e64 s[2:3], s[16:17], v[27:28]
	s_and_saveexec_b64 s[6:7], s[2:3]
	s_cbranch_execz .LBB277_15
; %bb.14:                               ;   in Loop: Header=BB277_9 Depth=1
	v_mov_b32_e32 v24, s11
	v_add_co_u32_e64 v23, s[0:1], s10, v9
	v_addc_co_u32_e64 v24, s[0:1], v10, v24, s[0:1]
	global_load_ushort v23, v[23:24], off
	s_waitcnt vmcnt(0)
	v_cvt_f32_f16_e32 v23, v23
.LBB277_15:                             ;   in Loop: Header=BB277_9 Depth=1
	s_or_b64 exec, exec, s[6:7]
	v_mov_b32_e32 v24, s13
	v_add_co_u32_e64 v27, s[0:1], s12, v19
	v_addc_co_u32_e64 v28, s[0:1], v20, v24, s[0:1]
	v_cmp_gt_u64_e64 s[0:1], s[16:17], v[27:28]
	v_mov_b32_e32 v24, 0
	s_and_saveexec_b64 s[14:15], s[0:1]
	s_cbranch_execnz .LBB277_20
; %bb.16:                               ;   in Loop: Header=BB277_9 Depth=1
	s_or_b64 exec, exec, s[14:15]
	s_and_saveexec_b64 s[6:7], vcc
	s_cbranch_execnz .LBB277_21
.LBB277_17:                             ;   in Loop: Header=BB277_9 Depth=1
	s_or_b64 exec, exec, s[6:7]
	s_and_saveexec_b64 s[6:7], s[4:5]
	s_cbranch_execnz .LBB277_22
.LBB277_18:                             ;   in Loop: Header=BB277_9 Depth=1
	s_or_b64 exec, exec, s[6:7]
	s_and_saveexec_b64 s[4:5], s[2:3]
	s_cbranch_execnz .LBB277_23
.LBB277_19:                             ;   in Loop: Header=BB277_9 Depth=1
	s_or_b64 exec, exec, s[4:5]
	s_and_saveexec_b64 s[2:3], s[0:1]
	s_cbranch_execz .LBB277_8
	s_branch .LBB277_24
.LBB277_20:                             ;   in Loop: Header=BB277_9 Depth=1
	v_mov_b32_e32 v24, s11
	v_add_co_u32_e64 v27, s[6:7], s10, v5
	v_addc_co_u32_e64 v28, s[6:7], v6, v24, s[6:7]
	global_load_ushort v24, v[27:28], off
	s_waitcnt vmcnt(0)
	v_cvt_f32_f16_e32 v24, v24
	s_or_b64 exec, exec, s[14:15]
	s_and_saveexec_b64 s[6:7], vcc
	s_cbranch_execz .LBB277_17
.LBB277_21:                             ;   in Loop: Header=BB277_9 Depth=1
	v_div_scale_f32 v27, s[14:15], v26, v26, s24
	v_div_scale_f32 v28, vcc, s24, v26, s24
	v_rcp_f32_e32 v29, v27
	v_fma_f32 v30, -v27, v29, 1.0
	v_fmac_f32_e32 v29, v30, v29
	v_mul_f32_e32 v30, v28, v29
	v_fma_f32 v31, -v27, v30, v28
	v_fmac_f32_e32 v30, v31, v29
	v_fma_f32 v27, -v27, v30, v28
	v_div_fmas_f32 v27, v27, v29, v30
	v_mov_b32_e32 v28, s11
	v_div_fixup_f32 v26, v27, v26, s24
	v_cvt_f16_f32_e32 v29, v26
	v_add_co_u32_e32 v26, vcc, s10, v3
	v_addc_co_u32_e32 v27, vcc, v4, v28, vcc
	global_store_short v[26:27], v29, off
	s_or_b64 exec, exec, s[6:7]
	s_and_saveexec_b64 s[6:7], s[4:5]
	s_cbranch_execz .LBB277_18
.LBB277_22:                             ;   in Loop: Header=BB277_9 Depth=1
	v_div_scale_f32 v26, s[4:5], v25, v25, s24
	v_div_scale_f32 v27, vcc, s24, v25, s24
	v_rcp_f32_e32 v28, v26
	v_fma_f32 v29, -v26, v28, 1.0
	v_fmac_f32_e32 v28, v29, v28
	v_mul_f32_e32 v29, v27, v28
	v_fma_f32 v30, -v26, v29, v27
	v_fmac_f32_e32 v29, v30, v28
	v_fma_f32 v26, -v26, v29, v27
	v_div_fmas_f32 v26, v26, v28, v29
	v_mov_b32_e32 v27, s11
	v_div_fixup_f32 v25, v26, v25, s24
	v_cvt_f16_f32_e32 v28, v25
	v_add_co_u32_e32 v25, vcc, s10, v17
	v_addc_co_u32_e32 v26, vcc, v18, v27, vcc
	global_store_short v[25:26], v28, off
	s_or_b64 exec, exec, s[6:7]
	s_and_saveexec_b64 s[4:5], s[2:3]
	s_cbranch_execz .LBB277_19
.LBB277_23:                             ;   in Loop: Header=BB277_9 Depth=1
	v_div_scale_f32 v25, s[2:3], v23, v23, s24
	v_div_scale_f32 v26, vcc, s24, v23, s24
	v_rcp_f32_e32 v27, v25
	v_fma_f32 v28, -v25, v27, 1.0
	v_fmac_f32_e32 v27, v28, v27
	v_mul_f32_e32 v28, v26, v27
	v_fma_f32 v29, -v25, v28, v26
	v_fmac_f32_e32 v28, v29, v27
	v_fma_f32 v25, -v25, v28, v26
	v_div_fmas_f32 v25, v25, v27, v28
	v_mov_b32_e32 v26, s11
	v_div_fixup_f32 v23, v25, v23, s24
	v_cvt_f16_f32_e32 v23, v23
	v_add_co_u32_e32 v25, vcc, s10, v11
	v_addc_co_u32_e32 v26, vcc, v12, v26, vcc
	global_store_short v[25:26], v23, off
	s_or_b64 exec, exec, s[4:5]
	s_and_saveexec_b64 s[2:3], s[0:1]
	s_cbranch_execz .LBB277_8
.LBB277_24:                             ;   in Loop: Header=BB277_9 Depth=1
	v_div_scale_f32 v23, s[0:1], v24, v24, s24
	v_div_scale_f32 v25, vcc, s24, v24, s24
	v_rcp_f32_e32 v26, v23
	v_fma_f32 v27, -v23, v26, 1.0
	v_fmac_f32_e32 v26, v27, v26
	v_mul_f32_e32 v27, v25, v26
	v_fma_f32 v28, -v23, v27, v25
	v_fmac_f32_e32 v27, v28, v26
	v_fma_f32 v23, -v23, v27, v25
	v_div_fmas_f32 v23, v23, v26, v27
	v_mov_b32_e32 v25, s11
	v_div_fixup_f32 v23, v23, v24, s24
	v_cvt_f16_f32_e32 v26, v23
	v_add_co_u32_e32 v23, vcc, s10, v7
	v_addc_co_u32_e32 v24, vcc, v8, v25, vcc
	global_store_short v[23:24], v26, off
	s_branch .LBB277_8
.LBB277_25:
	s_endpgm
	.section	.rodata,"a",@progbits
	.p2align	6, 0x0
	.amdhsa_kernel _ZN2at6native12_GLOBAL__N_125multi_tensor_apply_kernelINS1_18TensorListMetadataILi2EEENS1_14UnaryOpFunctorIN3c104HalfELi2ELi1ELi1EEEJNS0_10ReciprocalIfEEEEEvT_T0_DpT1_
		.amdhsa_group_segment_fixed_size 0
		.amdhsa_private_segment_fixed_size 0
		.amdhsa_kernarg_size 3408
		.amdhsa_user_sgpr_count 6
		.amdhsa_user_sgpr_private_segment_buffer 1
		.amdhsa_user_sgpr_dispatch_ptr 0
		.amdhsa_user_sgpr_queue_ptr 0
		.amdhsa_user_sgpr_kernarg_segment_ptr 1
		.amdhsa_user_sgpr_dispatch_id 0
		.amdhsa_user_sgpr_flat_scratch_init 0
		.amdhsa_user_sgpr_private_segment_size 0
		.amdhsa_uses_dynamic_stack 0
		.amdhsa_system_sgpr_private_segment_wavefront_offset 0
		.amdhsa_system_sgpr_workgroup_id_x 1
		.amdhsa_system_sgpr_workgroup_id_y 0
		.amdhsa_system_sgpr_workgroup_id_z 0
		.amdhsa_system_sgpr_workgroup_info 0
		.amdhsa_system_vgpr_workitem_id 0
		.amdhsa_next_free_vgpr 32
		.amdhsa_next_free_sgpr 27
		.amdhsa_reserve_vcc 1
		.amdhsa_reserve_flat_scratch 0
		.amdhsa_float_round_mode_32 0
		.amdhsa_float_round_mode_16_64 0
		.amdhsa_float_denorm_mode_32 3
		.amdhsa_float_denorm_mode_16_64 3
		.amdhsa_dx10_clamp 1
		.amdhsa_ieee_mode 1
		.amdhsa_fp16_overflow 0
		.amdhsa_exception_fp_ieee_invalid_op 0
		.amdhsa_exception_fp_denorm_src 0
		.amdhsa_exception_fp_ieee_div_zero 0
		.amdhsa_exception_fp_ieee_overflow 0
		.amdhsa_exception_fp_ieee_underflow 0
		.amdhsa_exception_fp_ieee_inexact 0
		.amdhsa_exception_int_div_zero 0
	.end_amdhsa_kernel
	.section	.text._ZN2at6native12_GLOBAL__N_125multi_tensor_apply_kernelINS1_18TensorListMetadataILi2EEENS1_14UnaryOpFunctorIN3c104HalfELi2ELi1ELi1EEEJNS0_10ReciprocalIfEEEEEvT_T0_DpT1_,"axG",@progbits,_ZN2at6native12_GLOBAL__N_125multi_tensor_apply_kernelINS1_18TensorListMetadataILi2EEENS1_14UnaryOpFunctorIN3c104HalfELi2ELi1ELi1EEEJNS0_10ReciprocalIfEEEEEvT_T0_DpT1_,comdat
.Lfunc_end277:
	.size	_ZN2at6native12_GLOBAL__N_125multi_tensor_apply_kernelINS1_18TensorListMetadataILi2EEENS1_14UnaryOpFunctorIN3c104HalfELi2ELi1ELi1EEEJNS0_10ReciprocalIfEEEEEvT_T0_DpT1_, .Lfunc_end277-_ZN2at6native12_GLOBAL__N_125multi_tensor_apply_kernelINS1_18TensorListMetadataILi2EEENS1_14UnaryOpFunctorIN3c104HalfELi2ELi1ELi1EEEJNS0_10ReciprocalIfEEEEEvT_T0_DpT1_
                                        ; -- End function
	.set _ZN2at6native12_GLOBAL__N_125multi_tensor_apply_kernelINS1_18TensorListMetadataILi2EEENS1_14UnaryOpFunctorIN3c104HalfELi2ELi1ELi1EEEJNS0_10ReciprocalIfEEEEEvT_T0_DpT1_.num_vgpr, 32
	.set _ZN2at6native12_GLOBAL__N_125multi_tensor_apply_kernelINS1_18TensorListMetadataILi2EEENS1_14UnaryOpFunctorIN3c104HalfELi2ELi1ELi1EEEJNS0_10ReciprocalIfEEEEEvT_T0_DpT1_.num_agpr, 0
	.set _ZN2at6native12_GLOBAL__N_125multi_tensor_apply_kernelINS1_18TensorListMetadataILi2EEENS1_14UnaryOpFunctorIN3c104HalfELi2ELi1ELi1EEEJNS0_10ReciprocalIfEEEEEvT_T0_DpT1_.numbered_sgpr, 27
	.set _ZN2at6native12_GLOBAL__N_125multi_tensor_apply_kernelINS1_18TensorListMetadataILi2EEENS1_14UnaryOpFunctorIN3c104HalfELi2ELi1ELi1EEEJNS0_10ReciprocalIfEEEEEvT_T0_DpT1_.num_named_barrier, 0
	.set _ZN2at6native12_GLOBAL__N_125multi_tensor_apply_kernelINS1_18TensorListMetadataILi2EEENS1_14UnaryOpFunctorIN3c104HalfELi2ELi1ELi1EEEJNS0_10ReciprocalIfEEEEEvT_T0_DpT1_.private_seg_size, 0
	.set _ZN2at6native12_GLOBAL__N_125multi_tensor_apply_kernelINS1_18TensorListMetadataILi2EEENS1_14UnaryOpFunctorIN3c104HalfELi2ELi1ELi1EEEJNS0_10ReciprocalIfEEEEEvT_T0_DpT1_.uses_vcc, 1
	.set _ZN2at6native12_GLOBAL__N_125multi_tensor_apply_kernelINS1_18TensorListMetadataILi2EEENS1_14UnaryOpFunctorIN3c104HalfELi2ELi1ELi1EEEJNS0_10ReciprocalIfEEEEEvT_T0_DpT1_.uses_flat_scratch, 0
	.set _ZN2at6native12_GLOBAL__N_125multi_tensor_apply_kernelINS1_18TensorListMetadataILi2EEENS1_14UnaryOpFunctorIN3c104HalfELi2ELi1ELi1EEEJNS0_10ReciprocalIfEEEEEvT_T0_DpT1_.has_dyn_sized_stack, 0
	.set _ZN2at6native12_GLOBAL__N_125multi_tensor_apply_kernelINS1_18TensorListMetadataILi2EEENS1_14UnaryOpFunctorIN3c104HalfELi2ELi1ELi1EEEJNS0_10ReciprocalIfEEEEEvT_T0_DpT1_.has_recursion, 0
	.set _ZN2at6native12_GLOBAL__N_125multi_tensor_apply_kernelINS1_18TensorListMetadataILi2EEENS1_14UnaryOpFunctorIN3c104HalfELi2ELi1ELi1EEEJNS0_10ReciprocalIfEEEEEvT_T0_DpT1_.has_indirect_call, 0
	.section	.AMDGPU.csdata,"",@progbits
; Kernel info:
; codeLenInByte = 1908
; TotalNumSgprs: 31
; NumVgprs: 32
; ScratchSize: 0
; MemoryBound: 0
; FloatMode: 240
; IeeeMode: 1
; LDSByteSize: 0 bytes/workgroup (compile time only)
; SGPRBlocks: 3
; VGPRBlocks: 7
; NumSGPRsForWavesPerEU: 31
; NumVGPRsForWavesPerEU: 32
; Occupancy: 8
; WaveLimiterHint : 0
; COMPUTE_PGM_RSRC2:SCRATCH_EN: 0
; COMPUTE_PGM_RSRC2:USER_SGPR: 6
; COMPUTE_PGM_RSRC2:TRAP_HANDLER: 0
; COMPUTE_PGM_RSRC2:TGID_X_EN: 1
; COMPUTE_PGM_RSRC2:TGID_Y_EN: 0
; COMPUTE_PGM_RSRC2:TGID_Z_EN: 0
; COMPUTE_PGM_RSRC2:TIDIG_COMP_CNT: 0
	.section	.text._ZN2at6native12_GLOBAL__N_125multi_tensor_apply_kernelINS1_18TensorListMetadataILi2EEENS1_14UnaryOpFunctorIN3c108BFloat16ELi2ELi1ELi1EEEJNS0_10ReciprocalIfEEEEEvT_T0_DpT1_,"axG",@progbits,_ZN2at6native12_GLOBAL__N_125multi_tensor_apply_kernelINS1_18TensorListMetadataILi2EEENS1_14UnaryOpFunctorIN3c108BFloat16ELi2ELi1ELi1EEEJNS0_10ReciprocalIfEEEEEvT_T0_DpT1_,comdat
	.globl	_ZN2at6native12_GLOBAL__N_125multi_tensor_apply_kernelINS1_18TensorListMetadataILi2EEENS1_14UnaryOpFunctorIN3c108BFloat16ELi2ELi1ELi1EEEJNS0_10ReciprocalIfEEEEEvT_T0_DpT1_ ; -- Begin function _ZN2at6native12_GLOBAL__N_125multi_tensor_apply_kernelINS1_18TensorListMetadataILi2EEENS1_14UnaryOpFunctorIN3c108BFloat16ELi2ELi1ELi1EEEJNS0_10ReciprocalIfEEEEEvT_T0_DpT1_
	.p2align	8
	.type	_ZN2at6native12_GLOBAL__N_125multi_tensor_apply_kernelINS1_18TensorListMetadataILi2EEENS1_14UnaryOpFunctorIN3c108BFloat16ELi2ELi1ELi1EEEJNS0_10ReciprocalIfEEEEEvT_T0_DpT1_,@function
_ZN2at6native12_GLOBAL__N_125multi_tensor_apply_kernelINS1_18TensorListMetadataILi2EEENS1_14UnaryOpFunctorIN3c108BFloat16ELi2ELi1ELi1EEEJNS0_10ReciprocalIfEEEEEvT_T0_DpT1_: ; @_ZN2at6native12_GLOBAL__N_125multi_tensor_apply_kernelINS1_18TensorListMetadataILi2EEENS1_14UnaryOpFunctorIN3c108BFloat16ELi2ELi1ELi1EEEJNS0_10ReciprocalIfEEEEEvT_T0_DpT1_
; %bb.0:
	v_mov_b32_e32 v1, s6
	global_load_ubyte v1, v1, s[4:5] offset:1536
	s_add_u32 s0, s4, s6
	s_mul_hi_u32 s2, s6, 3
	s_mul_i32 s6, s6, 3
	s_addc_u32 s7, s5, 0
	s_add_u32 s6, s0, s6
	s_addc_u32 s7, s7, s2
	s_load_dword s6, s[6:7], 0x740
	s_mov_b32 s1, 0
	s_mov_b32 s3, s1
	s_waitcnt lgkmcnt(0)
	s_ashr_i32 s7, s6, 31
	s_lshl_b64 s[8:9], s[6:7], 17
	s_lshl_b64 s[6:7], s[6:7], 16
	s_waitcnt vmcnt(0)
	v_readfirstlane_b32 s0, v1
	s_lshl_b32 s0, s0, 3
	s_load_dword s22, s[4:5], 0xc4c
	s_load_dwordx2 s[10:11], s[4:5], s0 offset:0x400
	s_load_dwordx2 s[16:17], s[4:5], s0 offset:0x0
	;; [unrolled: 1-line block ×3, first 2 shown]
	s_waitcnt lgkmcnt(0)
	s_add_u32 s0, s16, s8
	s_and_b32 s2, s14, 7
	s_and_b32 s0, s0, 7
	s_sub_u32 s12, s10, s6
	s_subb_u32 s13, s11, s7
	s_and_b32 s6, s10, 3
	s_mov_b32 s7, s1
	s_or_b64 s[2:3], s[2:3], s[6:7]
	s_or_b64 s[0:1], s[2:3], s[0:1]
	s_cmp_eq_u64 s[0:1], 0
	s_mov_b64 s[0:1], -1
	s_cbranch_scc0 .LBB278_5
; %bb.1:
	v_mov_b32_e32 v1, 0x10000
	v_mov_b32_e32 v2, 0
	v_cmp_lt_i64_e32 vcc, s[12:13], v[1:2]
	v_mov_b32_e32 v2, 0
	s_and_b64 s[0:1], vcc, exec
	s_cselect_b32 s11, s13, 0
	s_cselect_b32 s10, s12, 0x10000
	v_lshlrev_b32_e32 v1, 2, v0
	v_cmp_gt_i64_e32 vcc, s[10:11], v[1:2]
	s_and_saveexec_b64 s[18:19], vcc
	s_cbranch_execz .LBB278_4
; %bb.2:
	s_load_dword s0, s[4:5], 0xc5c
	v_mov_b32_e32 v1, v2
	v_lshlrev_b32_e32 v2, 3, v0
	v_mov_b32_e32 v4, s9
	v_add_co_u32_e32 v3, vcc, s8, v2
	s_waitcnt lgkmcnt(0)
	s_and_b32 s23, s0, 0xffff
	v_mov_b32_e32 v2, v1
	v_addc_co_u32_e32 v4, vcc, 0, v4, vcc
	s_lshl_b32 s24, s23, 3
	s_mov_b64 s[20:21], 0
	v_mov_b32_e32 v5, s17
	s_movk_i32 s25, 0x7fff
	v_mov_b32_e32 v6, s15
	v_mov_b32_e32 v7, 0x7fc00000
	v_mov_b32_e32 v8, 0x7fc0
	v_mov_b32_e32 v1, v0
.LBB278_3:                              ; =>This Inner Loop Header: Depth=1
	v_add_co_u32_e32 v9, vcc, s16, v3
	v_addc_co_u32_e32 v10, vcc, v5, v4, vcc
	global_load_dwordx2 v[9:10], v[9:10], off
	v_add_co_u32_e32 v1, vcc, s23, v1
	v_addc_co_u32_e32 v2, vcc, 0, v2, vcc
	v_add_co_u32_e32 v11, vcc, s14, v3
	v_addc_co_u32_e32 v12, vcc, v6, v4, vcc
	v_add_co_u32_e32 v3, vcc, s24, v3
	v_lshlrev_b64 v[13:14], 2, v[1:2]
	v_addc_co_u32_e32 v4, vcc, 0, v4, vcc
	v_cmp_le_i64_e32 vcc, s[10:11], v[13:14]
	s_or_b64 s[20:21], vcc, s[20:21]
	s_waitcnt vmcnt(0)
	v_lshlrev_b32_e32 v14, 16, v9
	v_and_b32_e32 v13, 0xffff0000, v9
	v_alignbit_b32 v9, v10, v9, 16
	v_div_scale_f32 v15, s[0:1], v14, v14, s22
	v_and_b32_e32 v10, 0xffff0000, v10
	v_div_scale_f32 v16, s[0:1], v13, v13, s22
	v_and_b32_e32 v9, 0xffff0000, v9
	v_div_scale_f32 v19, s[2:3], v10, v10, s22
	v_div_scale_f32 v21, s[6:7], v9, v9, s22
	v_div_scale_f32 v17, vcc, s22, v14, s22
	v_div_scale_f32 v18, s[0:1], s22, v13, s22
	v_div_scale_f32 v22, s[6:7], s22, v9, s22
	;; [unrolled: 1-line block ×3, first 2 shown]
	v_rcp_f32_e32 v23, v15
	v_rcp_f32_e32 v24, v16
	;; [unrolled: 1-line block ×3, first 2 shown]
	v_fma_f32 v27, -v15, v23, 1.0
	v_rcp_f32_e32 v26, v21
	v_fma_f32 v28, -v16, v24, 1.0
	v_fmac_f32_e32 v23, v27, v23
	v_fma_f32 v29, -v19, v25, 1.0
	v_fmac_f32_e32 v24, v28, v24
	v_fma_f32 v27, -v21, v26, 1.0
	v_mul_f32_e32 v28, v17, v23
	v_fmac_f32_e32 v25, v29, v25
	v_mul_f32_e32 v29, v18, v24
	v_fmac_f32_e32 v26, v27, v26
	v_fma_f32 v30, -v15, v28, v17
	v_fma_f32 v31, -v16, v29, v18
	v_fmac_f32_e32 v28, v30, v23
	v_mul_f32_e32 v30, v22, v26
	v_mul_f32_e32 v27, v20, v25
	v_fmac_f32_e32 v29, v31, v24
	v_fma_f32 v31, -v21, v30, v22
	v_fma_f32 v15, -v15, v28, v17
	;; [unrolled: 1-line block ×4, first 2 shown]
	v_fmac_f32_e32 v30, v31, v26
	v_div_fmas_f32 v15, v15, v23, v28
	s_mov_b64 vcc, s[0:1]
	v_fmac_f32_e32 v27, v32, v25
	v_fma_f32 v18, -v21, v30, v22
	v_div_fmas_f32 v16, v16, v24, v29
	s_mov_b64 vcc, s[6:7]
	v_fma_f32 v17, -v19, v27, v20
	v_div_fmas_f32 v18, v18, v26, v30
	s_mov_b64 vcc, s[2:3]
	v_div_fmas_f32 v17, v17, v25, v27
	v_div_fixup_f32 v14, v15, v14, s22
	v_bfe_u32 v15, v14, 16, 1
	v_add3_u32 v15, v14, v15, s25
	v_lshrrev_b32_e32 v15, 16, v15
	v_div_fixup_f32 v13, v16, v13, s22
	v_bfe_u32 v16, v13, 16, 1
	v_add3_u32 v16, v13, v16, s25
	v_div_fixup_f32 v9, v18, v9, s22
	v_bfe_u32 v18, v9, 16, 1
	v_div_fixup_f32 v10, v17, v10, s22
	v_cmp_o_f32_e32 vcc, v14, v14
	v_and_b32_e32 v14, 0xffff0000, v16
	v_add3_u32 v16, v9, v18, s25
	v_bfe_u32 v17, v10, 16, 1
	v_cmp_o_f32_e64 s[0:1], v13, v13
	v_cndmask_b32_e32 v13, v8, v15, vcc
	v_lshrrev_b32_e32 v15, 16, v16
	v_add3_u32 v16, v10, v17, s25
	v_cmp_o_f32_e32 vcc, v9, v9
	v_cndmask_b32_e64 v9, v7, v14, s[0:1]
	v_and_b32_e32 v14, 0xffff0000, v16
	v_cndmask_b32_e32 v15, v8, v15, vcc
	v_cmp_o_f32_e32 vcc, v10, v10
	v_or_b32_e32 v9, v13, v9
	v_cndmask_b32_e32 v10, v7, v14, vcc
	v_or3_b32 v9, v9, 0, 0
	v_or3_b32 v10, 0, v15, v10
	global_store_dwordx2 v[11:12], v[9:10], off
	s_andn2_b64 exec, exec, s[20:21]
	s_cbranch_execnz .LBB278_3
.LBB278_4:
	s_or_b64 exec, exec, s[18:19]
	s_mov_b64 s[0:1], 0
.LBB278_5:
	s_andn2_b64 vcc, exec, s[0:1]
	s_cbranch_vccnz .LBB278_25
; %bb.6:
	v_cmp_lt_i64_e64 s[0:1], s[12:13], 1
	s_and_b64 vcc, exec, s[0:1]
	s_cbranch_vccnz .LBB278_25
; %bb.7:
	v_mov_b32_e32 v1, 0x10000
	s_load_dword s2, s[4:5], 0xc5c
	v_mov_b32_e32 v2, 0
	v_cmp_lt_i64_e32 vcc, s[12:13], v[1:2]
	v_mov_b32_e32 v10, 0
	s_and_b64 s[0:1], vcc, exec
	v_cmp_lt_u64_e32 vcc, s[12:13], v[1:2]
	s_cselect_b32 s11, s13, 0
	s_cselect_b32 s10, s12, 0x10000
	s_waitcnt lgkmcnt(0)
	s_and_b32 s2, s2, 0xffff
	v_lshlrev_b32_e32 v9, 1, v0
	s_and_b64 s[0:1], vcc, exec
	v_mov_b32_e32 v2, s17
	v_add_co_u32_e32 v1, vcc, s16, v9
	v_mad_u64_u32 v[7:8], s[0:1], s2, 6, v[9:10]
	v_addc_co_u32_e32 v2, vcc, 0, v2, vcc
	v_mov_b32_e32 v4, s15
	v_add_co_u32_e32 v3, vcc, s14, v9
	v_addc_co_u32_e32 v4, vcc, 0, v4, vcc
	v_mov_b32_e32 v6, s17
	v_add_co_u32_e32 v5, vcc, s16, v7
	;; [unrolled: 3-line block ×3, first 2 shown]
	s_cselect_b32 s13, s13, 0
	s_cselect_b32 s12, s12, 0x10000
	s_lshl_b32 s18, s2, 2
	v_addc_co_u32_e32 v8, vcc, v10, v8, vcc
	v_add_co_u32_e32 v11, vcc, s18, v9
	v_addc_co_u32_e64 v12, s[0:1], 0, 0, vcc
	v_mov_b32_e32 v10, s17
	v_add_co_u32_e32 v9, vcc, s16, v11
	v_addc_co_u32_e32 v10, vcc, v10, v12, vcc
	v_mov_b32_e32 v13, s15
	v_add_co_u32_e32 v11, vcc, s14, v11
	v_addc_co_u32_e32 v12, vcc, v13, v12, vcc
	v_add_co_u32_e32 v13, vcc, s2, v0
	v_lshlrev_b32_e32 v17, 1, v13
	v_addc_co_u32_e64 v14, s[0:1], 0, 0, vcc
	v_mov_b32_e32 v16, s17
	v_add_co_u32_e32 v15, vcc, s16, v17
	v_addc_co_u32_e32 v16, vcc, 0, v16, vcc
	v_mov_b32_e32 v18, s15
	v_add_co_u32_e32 v17, vcc, s14, v17
	s_mul_i32 s4, s2, 3
	v_addc_co_u32_e32 v18, vcc, 0, v18, vcc
	s_lshl_b32 s3, s2, 1
	v_add_co_u32_e32 v19, vcc, s4, v0
	v_addc_co_u32_e64 v20, s[0:1], 0, 0, vcc
	v_add_co_u32_e32 v21, vcc, s3, v0
	s_lshl_b32 s19, s2, 3
	s_mov_b64 s[14:15], 0
	s_movk_i32 s20, 0x7fff
	v_addc_co_u32_e64 v22, s[0:1], 0, 0, vcc
	v_mov_b32_e32 v23, 0x7fc0
	s_branch .LBB278_9
.LBB278_8:                              ;   in Loop: Header=BB278_9 Depth=1
	s_or_b64 exec, exec, s[2:3]
	v_add_co_u32_e32 v1, vcc, s19, v1
	v_addc_co_u32_e32 v2, vcc, 0, v2, vcc
	v_add_co_u32_e32 v3, vcc, s19, v3
	v_addc_co_u32_e32 v4, vcc, 0, v4, vcc
	;; [unrolled: 2-line block ×6, first 2 shown]
	s_add_u32 s14, s14, s18
	v_add_co_u32_e32 v15, vcc, s19, v15
	v_mov_b32_e32 v25, s11
	s_addc_u32 s15, s15, 0
	v_addc_co_u32_e32 v16, vcc, 0, v16, vcc
	v_mov_b32_e32 v24, s10
	v_cmp_ge_i64_e32 vcc, s[14:15], v[24:25]
	v_add_co_u32_e64 v17, s[0:1], s19, v17
	v_addc_co_u32_e64 v18, s[0:1], 0, v18, s[0:1]
	s_cbranch_vccnz .LBB278_25
.LBB278_9:                              ; =>This Inner Loop Header: Depth=1
	v_mov_b32_e32 v25, s15
	v_add_co_u32_e32 v24, vcc, s14, v0
	v_addc_co_u32_e32 v25, vcc, 0, v25, vcc
	v_cmp_gt_u64_e32 vcc, s[12:13], v[24:25]
	v_mov_b32_e32 v27, 0
	s_and_saveexec_b64 s[2:3], vcc
	s_cbranch_execz .LBB278_11
; %bb.10:                               ;   in Loop: Header=BB278_9 Depth=1
	v_mov_b32_e32 v25, s9
	v_add_co_u32_e64 v24, s[0:1], s8, v1
	v_addc_co_u32_e64 v25, s[0:1], v2, v25, s[0:1]
	global_load_ushort v24, v[24:25], off
	s_waitcnt vmcnt(0)
	v_lshlrev_b32_e32 v27, 16, v24
.LBB278_11:                             ;   in Loop: Header=BB278_9 Depth=1
	s_or_b64 exec, exec, s[2:3]
	v_mov_b32_e32 v25, s15
	v_add_co_u32_e64 v24, s[0:1], s14, v13
	v_addc_co_u32_e64 v25, s[0:1], v14, v25, s[0:1]
	v_cmp_gt_u64_e64 s[4:5], s[12:13], v[24:25]
	v_mov_b32_e32 v24, 0
	v_mov_b32_e32 v26, 0
	s_and_saveexec_b64 s[2:3], s[4:5]
	s_cbranch_execz .LBB278_13
; %bb.12:                               ;   in Loop: Header=BB278_9 Depth=1
	v_mov_b32_e32 v26, s9
	v_add_co_u32_e64 v25, s[0:1], s8, v15
	v_addc_co_u32_e64 v26, s[0:1], v16, v26, s[0:1]
	global_load_ushort v25, v[25:26], off
	s_waitcnt vmcnt(0)
	v_lshlrev_b32_e32 v26, 16, v25
.LBB278_13:                             ;   in Loop: Header=BB278_9 Depth=1
	s_or_b64 exec, exec, s[2:3]
	v_mov_b32_e32 v25, s15
	v_add_co_u32_e64 v28, s[0:1], s14, v21
	v_addc_co_u32_e64 v29, s[0:1], v22, v25, s[0:1]
	v_cmp_gt_u64_e64 s[2:3], s[12:13], v[28:29]
	s_and_saveexec_b64 s[6:7], s[2:3]
	s_cbranch_execz .LBB278_15
; %bb.14:                               ;   in Loop: Header=BB278_9 Depth=1
	v_mov_b32_e32 v25, s9
	v_add_co_u32_e64 v24, s[0:1], s8, v9
	v_addc_co_u32_e64 v25, s[0:1], v10, v25, s[0:1]
	global_load_ushort v24, v[24:25], off
	s_waitcnt vmcnt(0)
	v_lshlrev_b32_e32 v24, 16, v24
.LBB278_15:                             ;   in Loop: Header=BB278_9 Depth=1
	s_or_b64 exec, exec, s[6:7]
	v_mov_b32_e32 v25, s15
	v_add_co_u32_e64 v28, s[0:1], s14, v19
	v_addc_co_u32_e64 v29, s[0:1], v20, v25, s[0:1]
	v_cmp_gt_u64_e64 s[0:1], s[12:13], v[28:29]
	v_mov_b32_e32 v25, 0
	s_and_saveexec_b64 s[16:17], s[0:1]
	s_cbranch_execnz .LBB278_20
; %bb.16:                               ;   in Loop: Header=BB278_9 Depth=1
	s_or_b64 exec, exec, s[16:17]
	s_and_saveexec_b64 s[16:17], vcc
	s_cbranch_execnz .LBB278_21
.LBB278_17:                             ;   in Loop: Header=BB278_9 Depth=1
	s_or_b64 exec, exec, s[16:17]
	s_and_saveexec_b64 s[6:7], s[4:5]
	s_cbranch_execnz .LBB278_22
.LBB278_18:                             ;   in Loop: Header=BB278_9 Depth=1
	s_or_b64 exec, exec, s[6:7]
	s_and_saveexec_b64 s[4:5], s[2:3]
	s_cbranch_execnz .LBB278_23
.LBB278_19:                             ;   in Loop: Header=BB278_9 Depth=1
	s_or_b64 exec, exec, s[4:5]
	s_and_saveexec_b64 s[2:3], s[0:1]
	s_cbranch_execz .LBB278_8
	s_branch .LBB278_24
.LBB278_20:                             ;   in Loop: Header=BB278_9 Depth=1
	v_mov_b32_e32 v25, s9
	v_add_co_u32_e64 v28, s[6:7], s8, v5
	v_addc_co_u32_e64 v29, s[6:7], v6, v25, s[6:7]
	global_load_ushort v25, v[28:29], off
	s_waitcnt vmcnt(0)
	v_lshlrev_b32_e32 v25, 16, v25
	s_or_b64 exec, exec, s[16:17]
	s_and_saveexec_b64 s[16:17], vcc
	s_cbranch_execz .LBB278_17
.LBB278_21:                             ;   in Loop: Header=BB278_9 Depth=1
	v_div_scale_f32 v28, s[6:7], v27, v27, s22
	v_div_scale_f32 v29, vcc, s22, v27, s22
	v_rcp_f32_e32 v30, v28
	v_fma_f32 v31, -v28, v30, 1.0
	v_fmac_f32_e32 v30, v31, v30
	v_mul_f32_e32 v31, v29, v30
	v_fma_f32 v32, -v28, v31, v29
	v_fmac_f32_e32 v31, v32, v30
	v_fma_f32 v28, -v28, v31, v29
	v_div_fmas_f32 v29, v28, v30, v31
	v_mov_b32_e32 v30, s9
	v_add_co_u32_e64 v28, s[6:7], s8, v3
	v_div_fixup_f32 v27, v29, v27, s22
	v_bfe_u32 v29, v27, 16, 1
	v_cmp_o_f32_e32 vcc, v27, v27
	v_add3_u32 v27, v27, v29, s20
	v_cndmask_b32_sdwa v27, v23, v27, vcc dst_sel:DWORD dst_unused:UNUSED_PAD src0_sel:DWORD src1_sel:WORD_1
	v_addc_co_u32_e64 v29, vcc, v4, v30, s[6:7]
	global_store_short v[28:29], v27, off
	s_or_b64 exec, exec, s[16:17]
	s_and_saveexec_b64 s[6:7], s[4:5]
	s_cbranch_execz .LBB278_18
.LBB278_22:                             ;   in Loop: Header=BB278_9 Depth=1
	v_div_scale_f32 v27, s[4:5], v26, v26, s22
	v_div_scale_f32 v28, vcc, s22, v26, s22
	v_rcp_f32_e32 v29, v27
	v_fma_f32 v30, -v27, v29, 1.0
	v_fmac_f32_e32 v29, v30, v29
	v_mul_f32_e32 v30, v28, v29
	v_fma_f32 v31, -v27, v30, v28
	v_fmac_f32_e32 v30, v31, v29
	v_fma_f32 v27, -v27, v30, v28
	v_div_fmas_f32 v27, v27, v29, v30
	v_mov_b32_e32 v28, s9
	v_div_fixup_f32 v26, v27, v26, s22
	v_bfe_u32 v27, v26, 16, 1
	v_cmp_o_f32_e32 vcc, v26, v26
	v_add3_u32 v26, v26, v27, s20
	v_cndmask_b32_sdwa v29, v23, v26, vcc dst_sel:DWORD dst_unused:UNUSED_PAD src0_sel:DWORD src1_sel:WORD_1
	v_add_co_u32_e32 v26, vcc, s8, v17
	v_addc_co_u32_e32 v27, vcc, v18, v28, vcc
	global_store_short v[26:27], v29, off
	s_or_b64 exec, exec, s[6:7]
	s_and_saveexec_b64 s[4:5], s[2:3]
	s_cbranch_execz .LBB278_19
.LBB278_23:                             ;   in Loop: Header=BB278_9 Depth=1
	v_div_scale_f32 v26, s[2:3], v24, v24, s22
	v_div_scale_f32 v27, vcc, s22, v24, s22
	v_rcp_f32_e32 v28, v26
	v_fma_f32 v29, -v26, v28, 1.0
	v_fmac_f32_e32 v28, v29, v28
	v_mul_f32_e32 v29, v27, v28
	v_fma_f32 v30, -v26, v29, v27
	v_fmac_f32_e32 v29, v30, v28
	v_fma_f32 v26, -v26, v29, v27
	v_div_fmas_f32 v26, v26, v28, v29
	v_mov_b32_e32 v27, s9
	v_div_fixup_f32 v24, v26, v24, s22
	v_bfe_u32 v26, v24, 16, 1
	v_cmp_o_f32_e32 vcc, v24, v24
	v_add3_u32 v24, v24, v26, s20
	v_cndmask_b32_sdwa v24, v23, v24, vcc dst_sel:DWORD dst_unused:UNUSED_PAD src0_sel:DWORD src1_sel:WORD_1
	v_add_co_u32_e32 v26, vcc, s8, v11
	v_addc_co_u32_e32 v27, vcc, v12, v27, vcc
	global_store_short v[26:27], v24, off
	s_or_b64 exec, exec, s[4:5]
	s_and_saveexec_b64 s[2:3], s[0:1]
	s_cbranch_execz .LBB278_8
.LBB278_24:                             ;   in Loop: Header=BB278_9 Depth=1
	v_div_scale_f32 v24, s[0:1], v25, v25, s22
	v_div_scale_f32 v26, vcc, s22, v25, s22
	v_rcp_f32_e32 v27, v24
	v_fma_f32 v28, -v24, v27, 1.0
	v_fmac_f32_e32 v27, v28, v27
	v_mul_f32_e32 v28, v26, v27
	v_fma_f32 v29, -v24, v28, v26
	v_fmac_f32_e32 v28, v29, v27
	v_fma_f32 v24, -v24, v28, v26
	v_div_fmas_f32 v24, v24, v27, v28
	v_mov_b32_e32 v26, s9
	v_div_fixup_f32 v24, v24, v25, s22
	v_bfe_u32 v25, v24, 16, 1
	v_cmp_o_f32_e32 vcc, v24, v24
	v_add3_u32 v24, v24, v25, s20
	v_cndmask_b32_sdwa v27, v23, v24, vcc dst_sel:DWORD dst_unused:UNUSED_PAD src0_sel:DWORD src1_sel:WORD_1
	v_add_co_u32_e32 v24, vcc, s8, v7
	v_addc_co_u32_e32 v25, vcc, v8, v26, vcc
	global_store_short v[24:25], v27, off
	s_branch .LBB278_8
.LBB278_25:
	s_endpgm
	.section	.rodata,"a",@progbits
	.p2align	6, 0x0
	.amdhsa_kernel _ZN2at6native12_GLOBAL__N_125multi_tensor_apply_kernelINS1_18TensorListMetadataILi2EEENS1_14UnaryOpFunctorIN3c108BFloat16ELi2ELi1ELi1EEEJNS0_10ReciprocalIfEEEEEvT_T0_DpT1_
		.amdhsa_group_segment_fixed_size 0
		.amdhsa_private_segment_fixed_size 0
		.amdhsa_kernarg_size 3408
		.amdhsa_user_sgpr_count 6
		.amdhsa_user_sgpr_private_segment_buffer 1
		.amdhsa_user_sgpr_dispatch_ptr 0
		.amdhsa_user_sgpr_queue_ptr 0
		.amdhsa_user_sgpr_kernarg_segment_ptr 1
		.amdhsa_user_sgpr_dispatch_id 0
		.amdhsa_user_sgpr_flat_scratch_init 0
		.amdhsa_user_sgpr_private_segment_size 0
		.amdhsa_uses_dynamic_stack 0
		.amdhsa_system_sgpr_private_segment_wavefront_offset 0
		.amdhsa_system_sgpr_workgroup_id_x 1
		.amdhsa_system_sgpr_workgroup_id_y 0
		.amdhsa_system_sgpr_workgroup_id_z 0
		.amdhsa_system_sgpr_workgroup_info 0
		.amdhsa_system_vgpr_workitem_id 0
		.amdhsa_next_free_vgpr 33
		.amdhsa_next_free_sgpr 26
		.amdhsa_reserve_vcc 1
		.amdhsa_reserve_flat_scratch 0
		.amdhsa_float_round_mode_32 0
		.amdhsa_float_round_mode_16_64 0
		.amdhsa_float_denorm_mode_32 3
		.amdhsa_float_denorm_mode_16_64 3
		.amdhsa_dx10_clamp 1
		.amdhsa_ieee_mode 1
		.amdhsa_fp16_overflow 0
		.amdhsa_exception_fp_ieee_invalid_op 0
		.amdhsa_exception_fp_denorm_src 0
		.amdhsa_exception_fp_ieee_div_zero 0
		.amdhsa_exception_fp_ieee_overflow 0
		.amdhsa_exception_fp_ieee_underflow 0
		.amdhsa_exception_fp_ieee_inexact 0
		.amdhsa_exception_int_div_zero 0
	.end_amdhsa_kernel
	.section	.text._ZN2at6native12_GLOBAL__N_125multi_tensor_apply_kernelINS1_18TensorListMetadataILi2EEENS1_14UnaryOpFunctorIN3c108BFloat16ELi2ELi1ELi1EEEJNS0_10ReciprocalIfEEEEEvT_T0_DpT1_,"axG",@progbits,_ZN2at6native12_GLOBAL__N_125multi_tensor_apply_kernelINS1_18TensorListMetadataILi2EEENS1_14UnaryOpFunctorIN3c108BFloat16ELi2ELi1ELi1EEEJNS0_10ReciprocalIfEEEEEvT_T0_DpT1_,comdat
.Lfunc_end278:
	.size	_ZN2at6native12_GLOBAL__N_125multi_tensor_apply_kernelINS1_18TensorListMetadataILi2EEENS1_14UnaryOpFunctorIN3c108BFloat16ELi2ELi1ELi1EEEJNS0_10ReciprocalIfEEEEEvT_T0_DpT1_, .Lfunc_end278-_ZN2at6native12_GLOBAL__N_125multi_tensor_apply_kernelINS1_18TensorListMetadataILi2EEENS1_14UnaryOpFunctorIN3c108BFloat16ELi2ELi1ELi1EEEJNS0_10ReciprocalIfEEEEEvT_T0_DpT1_
                                        ; -- End function
	.set _ZN2at6native12_GLOBAL__N_125multi_tensor_apply_kernelINS1_18TensorListMetadataILi2EEENS1_14UnaryOpFunctorIN3c108BFloat16ELi2ELi1ELi1EEEJNS0_10ReciprocalIfEEEEEvT_T0_DpT1_.num_vgpr, 33
	.set _ZN2at6native12_GLOBAL__N_125multi_tensor_apply_kernelINS1_18TensorListMetadataILi2EEENS1_14UnaryOpFunctorIN3c108BFloat16ELi2ELi1ELi1EEEJNS0_10ReciprocalIfEEEEEvT_T0_DpT1_.num_agpr, 0
	.set _ZN2at6native12_GLOBAL__N_125multi_tensor_apply_kernelINS1_18TensorListMetadataILi2EEENS1_14UnaryOpFunctorIN3c108BFloat16ELi2ELi1ELi1EEEJNS0_10ReciprocalIfEEEEEvT_T0_DpT1_.numbered_sgpr, 26
	.set _ZN2at6native12_GLOBAL__N_125multi_tensor_apply_kernelINS1_18TensorListMetadataILi2EEENS1_14UnaryOpFunctorIN3c108BFloat16ELi2ELi1ELi1EEEJNS0_10ReciprocalIfEEEEEvT_T0_DpT1_.num_named_barrier, 0
	.set _ZN2at6native12_GLOBAL__N_125multi_tensor_apply_kernelINS1_18TensorListMetadataILi2EEENS1_14UnaryOpFunctorIN3c108BFloat16ELi2ELi1ELi1EEEJNS0_10ReciprocalIfEEEEEvT_T0_DpT1_.private_seg_size, 0
	.set _ZN2at6native12_GLOBAL__N_125multi_tensor_apply_kernelINS1_18TensorListMetadataILi2EEENS1_14UnaryOpFunctorIN3c108BFloat16ELi2ELi1ELi1EEEJNS0_10ReciprocalIfEEEEEvT_T0_DpT1_.uses_vcc, 1
	.set _ZN2at6native12_GLOBAL__N_125multi_tensor_apply_kernelINS1_18TensorListMetadataILi2EEENS1_14UnaryOpFunctorIN3c108BFloat16ELi2ELi1ELi1EEEJNS0_10ReciprocalIfEEEEEvT_T0_DpT1_.uses_flat_scratch, 0
	.set _ZN2at6native12_GLOBAL__N_125multi_tensor_apply_kernelINS1_18TensorListMetadataILi2EEENS1_14UnaryOpFunctorIN3c108BFloat16ELi2ELi1ELi1EEEJNS0_10ReciprocalIfEEEEEvT_T0_DpT1_.has_dyn_sized_stack, 0
	.set _ZN2at6native12_GLOBAL__N_125multi_tensor_apply_kernelINS1_18TensorListMetadataILi2EEENS1_14UnaryOpFunctorIN3c108BFloat16ELi2ELi1ELi1EEEJNS0_10ReciprocalIfEEEEEvT_T0_DpT1_.has_recursion, 0
	.set _ZN2at6native12_GLOBAL__N_125multi_tensor_apply_kernelINS1_18TensorListMetadataILi2EEENS1_14UnaryOpFunctorIN3c108BFloat16ELi2ELi1ELi1EEEJNS0_10ReciprocalIfEEEEEvT_T0_DpT1_.has_indirect_call, 0
	.section	.AMDGPU.csdata,"",@progbits
; Kernel info:
; codeLenInByte = 2164
; TotalNumSgprs: 30
; NumVgprs: 33
; ScratchSize: 0
; MemoryBound: 0
; FloatMode: 240
; IeeeMode: 1
; LDSByteSize: 0 bytes/workgroup (compile time only)
; SGPRBlocks: 3
; VGPRBlocks: 8
; NumSGPRsForWavesPerEU: 30
; NumVGPRsForWavesPerEU: 33
; Occupancy: 7
; WaveLimiterHint : 0
; COMPUTE_PGM_RSRC2:SCRATCH_EN: 0
; COMPUTE_PGM_RSRC2:USER_SGPR: 6
; COMPUTE_PGM_RSRC2:TRAP_HANDLER: 0
; COMPUTE_PGM_RSRC2:TGID_X_EN: 1
; COMPUTE_PGM_RSRC2:TGID_Y_EN: 0
; COMPUTE_PGM_RSRC2:TGID_Z_EN: 0
; COMPUTE_PGM_RSRC2:TIDIG_COMP_CNT: 0
	.section	.text._ZN2at6native12_GLOBAL__N_125multi_tensor_apply_kernelINS1_18TensorListMetadataILi1EEENS1_14UnaryOpFunctorIdLi1ELi1ELi0EEEJNS0_10ReciprocalIdEEEEEvT_T0_DpT1_,"axG",@progbits,_ZN2at6native12_GLOBAL__N_125multi_tensor_apply_kernelINS1_18TensorListMetadataILi1EEENS1_14UnaryOpFunctorIdLi1ELi1ELi0EEEJNS0_10ReciprocalIdEEEEEvT_T0_DpT1_,comdat
	.globl	_ZN2at6native12_GLOBAL__N_125multi_tensor_apply_kernelINS1_18TensorListMetadataILi1EEENS1_14UnaryOpFunctorIdLi1ELi1ELi0EEEJNS0_10ReciprocalIdEEEEEvT_T0_DpT1_ ; -- Begin function _ZN2at6native12_GLOBAL__N_125multi_tensor_apply_kernelINS1_18TensorListMetadataILi1EEENS1_14UnaryOpFunctorIdLi1ELi1ELi0EEEJNS0_10ReciprocalIdEEEEEvT_T0_DpT1_
	.p2align	8
	.type	_ZN2at6native12_GLOBAL__N_125multi_tensor_apply_kernelINS1_18TensorListMetadataILi1EEENS1_14UnaryOpFunctorIdLi1ELi1ELi0EEEJNS0_10ReciprocalIdEEEEEvT_T0_DpT1_,@function
_ZN2at6native12_GLOBAL__N_125multi_tensor_apply_kernelINS1_18TensorListMetadataILi1EEENS1_14UnaryOpFunctorIdLi1ELi1ELi0EEEJNS0_10ReciprocalIdEEEEEvT_T0_DpT1_: ; @_ZN2at6native12_GLOBAL__N_125multi_tensor_apply_kernelINS1_18TensorListMetadataILi1EEENS1_14UnaryOpFunctorIdLi1ELi1ELi0EEEJNS0_10ReciprocalIdEEEEEvT_T0_DpT1_
; %bb.0:
	v_mov_b32_e32 v1, s6
	global_load_ubyte v1, v1, s[4:5] offset:1760
	s_add_u32 s0, s4, s6
	s_mul_hi_u32 s1, s6, 3
	s_mul_i32 s6, s6, 3
	s_addc_u32 s2, s5, 0
	s_add_u32 s0, s0, s6
	s_addc_u32 s1, s2, s1
	s_load_dword s0, s[0:1], 0x820
	s_mov_b32 s7, 0
	s_waitcnt vmcnt(0)
	v_readfirstlane_b32 s1, v1
	s_lshl_b32 s1, s1, 3
	s_load_dwordx2 s[10:11], s[4:5], 0xd30
	s_load_dwordx2 s[2:3], s[4:5], s1 offset:0x370
	s_load_dwordx2 s[12:13], s[4:5], s1 offset:0x0
	s_waitcnt lgkmcnt(0)
	s_ashr_i32 s1, s0, 31
	s_lshl_b64 s[14:15], s[0:1], 19
	s_lshl_b64 s[0:1], s[0:1], 16
	s_and_b32 s6, s12, 31
	s_sub_u32 s16, s2, s0
	s_subb_u32 s17, s3, s1
	s_and_b32 s0, s2, 3
	s_mov_b32 s1, s7
	s_or_b64 s[0:1], s[6:7], s[0:1]
	s_cmp_eq_u64 s[0:1], 0
	s_cbranch_scc1 .LBB279_21
; %bb.1:
	v_cmp_lt_i64_e64 s[0:1], s[16:17], 1
	s_and_b64 vcc, exec, s[0:1]
	s_cbranch_vccnz .LBB279_20
; %bb.2:
	v_mov_b32_e32 v1, 0x10000
	s_load_dword s2, s[4:5], 0xd44
	v_mov_b32_e32 v2, 0
	v_cmp_lt_i64_e32 vcc, s[16:17], v[1:2]
	s_mov_b64 s[22:23], 0
	s_and_b64 s[0:1], vcc, exec
	v_cmp_lt_u64_e32 vcc, s[16:17], v[1:2]
	s_cselect_b32 s19, s17, 0
	s_cselect_b32 s18, s16, 0x10000
	s_waitcnt lgkmcnt(0)
	s_and_b32 s2, s2, 0xffff
	s_and_b64 s[0:1], vcc, exec
	s_cselect_b32 s21, s17, 0
	s_cselect_b32 s20, s16, 0x10000
	s_lshl_b32 s3, s2, 1
	s_lshl_b32 s26, s2, 2
	s_add_u32 s6, s12, s14
	v_lshlrev_b32_e32 v1, 3, v0
	s_addc_u32 s7, s13, s15
	v_mov_b32_e32 v2, s7
	v_add_co_u32_e32 v1, vcc, s6, v1
	s_mul_i32 s0, s2, 3
	v_addc_co_u32_e32 v2, vcc, 0, v2, vcc
	v_add_co_u32_e32 v13, vcc, s0, v0
	v_addc_co_u32_e64 v14, s[0:1], 0, 0, vcc
	v_add_co_u32_e32 v15, vcc, s3, v0
	v_addc_co_u32_e64 v16, s[0:1], 0, 0, vcc
	v_add_co_u32_e32 v17, vcc, s2, v0
	v_lshlrev_b32_e32 v3, 3, v17
	v_addc_co_u32_e64 v18, s[0:1], 0, 0, vcc
	v_mov_b32_e32 v4, s7
	v_add_co_u32_e32 v3, vcc, s6, v3
	s_lshl_b32 s27, s2, 5
	s_mul_i32 s28, s2, 24
	s_lshl_b32 s29, s2, 4
	v_addc_co_u32_e32 v4, vcc, 0, v4, vcc
	s_branch .LBB279_4
.LBB279_3:                              ;   in Loop: Header=BB279_4 Depth=1
	s_or_b64 exec, exec, s[2:3]
	s_add_u32 s22, s22, s26
	v_add_co_u32_e32 v1, vcc, s27, v1
	s_waitcnt vmcnt(0)
	v_mov_b32_e32 v5, s18
	s_addc_u32 s23, s23, 0
	v_addc_co_u32_e32 v2, vcc, 0, v2, vcc
	v_mov_b32_e32 v6, s19
	v_cmp_lt_i64_e32 vcc, s[22:23], v[5:6]
	v_add_co_u32_e64 v3, s[0:1], s27, v3
	v_addc_co_u32_e64 v4, s[0:1], 0, v4, s[0:1]
	s_cbranch_vccz .LBB279_20
.LBB279_4:                              ; =>This Inner Loop Header: Depth=1
	v_mov_b32_e32 v6, s23
	v_add_co_u32_e32 v5, vcc, s22, v0
	v_addc_co_u32_e32 v6, vcc, 0, v6, vcc
	v_cmp_gt_u64_e32 vcc, s[20:21], v[5:6]
	v_mov_b32_e32 v7, 0
	v_mov_b32_e32 v11, 0
	v_mov_b32_e32 v8, 0
	v_mov_b32_e32 v12, 0
	s_and_saveexec_b64 s[0:1], vcc
	s_cbranch_execz .LBB279_6
; %bb.5:                                ;   in Loop: Header=BB279_4 Depth=1
	global_load_dwordx2 v[11:12], v[1:2], off
.LBB279_6:                              ;   in Loop: Header=BB279_4 Depth=1
	s_or_b64 exec, exec, s[0:1]
	v_mov_b32_e32 v6, s23
	v_add_co_u32_e64 v5, s[0:1], s22, v17
	v_addc_co_u32_e64 v6, s[0:1], v18, v6, s[0:1]
	v_cmp_gt_u64_e64 s[6:7], s[20:21], v[5:6]
	s_and_saveexec_b64 s[0:1], s[6:7]
	s_cbranch_execz .LBB279_8
; %bb.7:                                ;   in Loop: Header=BB279_4 Depth=1
	global_load_dwordx2 v[7:8], v[3:4], off
.LBB279_8:                              ;   in Loop: Header=BB279_4 Depth=1
	s_or_b64 exec, exec, s[0:1]
	v_mov_b32_e32 v6, s23
	v_add_co_u32_e64 v5, s[0:1], s22, v15
	v_addc_co_u32_e64 v6, s[0:1], v16, v6, s[0:1]
	v_cmp_gt_u64_e64 s[2:3], s[20:21], v[5:6]
	v_mov_b32_e32 v5, 0
	v_mov_b32_e32 v9, 0
	;; [unrolled: 1-line block ×4, first 2 shown]
	s_and_saveexec_b64 s[8:9], s[2:3]
	s_cbranch_execz .LBB279_10
; %bb.9:                                ;   in Loop: Header=BB279_4 Depth=1
	v_add_co_u32_e64 v9, s[0:1], s29, v1
	v_addc_co_u32_e64 v10, s[0:1], 0, v2, s[0:1]
	global_load_dwordx2 v[9:10], v[9:10], off
.LBB279_10:                             ;   in Loop: Header=BB279_4 Depth=1
	s_or_b64 exec, exec, s[8:9]
	v_mov_b32_e32 v20, s23
	v_add_co_u32_e64 v19, s[0:1], s22, v13
	v_addc_co_u32_e64 v20, s[0:1], v14, v20, s[0:1]
	v_cmp_gt_u64_e64 s[0:1], s[20:21], v[19:20]
	s_and_saveexec_b64 s[24:25], s[0:1]
	s_cbranch_execnz .LBB279_15
; %bb.11:                               ;   in Loop: Header=BB279_4 Depth=1
	s_or_b64 exec, exec, s[24:25]
	s_and_saveexec_b64 s[8:9], vcc
	s_cbranch_execnz .LBB279_16
.LBB279_12:                             ;   in Loop: Header=BB279_4 Depth=1
	s_or_b64 exec, exec, s[8:9]
	s_and_saveexec_b64 s[8:9], s[6:7]
	s_cbranch_execnz .LBB279_17
.LBB279_13:                             ;   in Loop: Header=BB279_4 Depth=1
	s_or_b64 exec, exec, s[8:9]
	s_and_saveexec_b64 s[6:7], s[2:3]
	s_cbranch_execnz .LBB279_18
.LBB279_14:                             ;   in Loop: Header=BB279_4 Depth=1
	s_or_b64 exec, exec, s[6:7]
	s_and_saveexec_b64 s[2:3], s[0:1]
	s_cbranch_execz .LBB279_3
	s_branch .LBB279_19
.LBB279_15:                             ;   in Loop: Header=BB279_4 Depth=1
	v_add_co_u32_e64 v5, s[8:9], s28, v1
	v_addc_co_u32_e64 v6, s[8:9], 0, v2, s[8:9]
	global_load_dwordx2 v[5:6], v[5:6], off
	s_or_b64 exec, exec, s[24:25]
	s_and_saveexec_b64 s[8:9], vcc
	s_cbranch_execz .LBB279_12
.LBB279_16:                             ;   in Loop: Header=BB279_4 Depth=1
	s_waitcnt vmcnt(0)
	v_div_scale_f64 v[19:20], s[24:25], v[11:12], v[11:12], s[10:11]
	v_div_scale_f64 v[25:26], vcc, s[10:11], v[11:12], s[10:11]
	v_rcp_f64_e32 v[21:22], v[19:20]
	v_fma_f64 v[23:24], -v[19:20], v[21:22], 1.0
	v_fma_f64 v[21:22], v[21:22], v[23:24], v[21:22]
	v_fma_f64 v[23:24], -v[19:20], v[21:22], 1.0
	v_fma_f64 v[21:22], v[21:22], v[23:24], v[21:22]
	v_mul_f64 v[23:24], v[25:26], v[21:22]
	v_fma_f64 v[19:20], -v[19:20], v[23:24], v[25:26]
	v_div_fmas_f64 v[19:20], v[19:20], v[21:22], v[23:24]
	v_div_fixup_f64 v[11:12], v[19:20], v[11:12], s[10:11]
	global_store_dwordx2 v[1:2], v[11:12], off
	s_or_b64 exec, exec, s[8:9]
	s_and_saveexec_b64 s[8:9], s[6:7]
	s_cbranch_execz .LBB279_13
.LBB279_17:                             ;   in Loop: Header=BB279_4 Depth=1
	s_waitcnt vmcnt(0)
	v_div_scale_f64 v[11:12], s[6:7], v[7:8], v[7:8], s[10:11]
	v_div_scale_f64 v[23:24], vcc, s[10:11], v[7:8], s[10:11]
	v_rcp_f64_e32 v[19:20], v[11:12]
	v_fma_f64 v[21:22], -v[11:12], v[19:20], 1.0
	v_fma_f64 v[19:20], v[19:20], v[21:22], v[19:20]
	v_fma_f64 v[21:22], -v[11:12], v[19:20], 1.0
	v_fma_f64 v[19:20], v[19:20], v[21:22], v[19:20]
	v_mul_f64 v[21:22], v[23:24], v[19:20]
	v_fma_f64 v[11:12], -v[11:12], v[21:22], v[23:24]
	v_div_fmas_f64 v[11:12], v[11:12], v[19:20], v[21:22]
	v_div_fixup_f64 v[7:8], v[11:12], v[7:8], s[10:11]
	global_store_dwordx2 v[3:4], v[7:8], off
	s_or_b64 exec, exec, s[8:9]
	s_and_saveexec_b64 s[6:7], s[2:3]
	s_cbranch_execz .LBB279_14
.LBB279_18:                             ;   in Loop: Header=BB279_4 Depth=1
	s_waitcnt vmcnt(0)
	v_div_scale_f64 v[7:8], s[2:3], v[9:10], v[9:10], s[10:11]
	v_div_scale_f64 v[21:22], vcc, s[10:11], v[9:10], s[10:11]
	v_rcp_f64_e32 v[11:12], v[7:8]
	v_fma_f64 v[19:20], -v[7:8], v[11:12], 1.0
	v_fma_f64 v[11:12], v[11:12], v[19:20], v[11:12]
	v_fma_f64 v[19:20], -v[7:8], v[11:12], 1.0
	v_fma_f64 v[11:12], v[11:12], v[19:20], v[11:12]
	v_mul_f64 v[19:20], v[21:22], v[11:12]
	v_fma_f64 v[7:8], -v[7:8], v[19:20], v[21:22]
	v_div_fmas_f64 v[7:8], v[7:8], v[11:12], v[19:20]
	v_div_fixup_f64 v[7:8], v[7:8], v[9:10], s[10:11]
	v_add_co_u32_e32 v9, vcc, s29, v1
	v_addc_co_u32_e32 v10, vcc, 0, v2, vcc
	global_store_dwordx2 v[9:10], v[7:8], off
	s_or_b64 exec, exec, s[6:7]
	s_and_saveexec_b64 s[2:3], s[0:1]
	s_cbranch_execz .LBB279_3
.LBB279_19:                             ;   in Loop: Header=BB279_4 Depth=1
	s_waitcnt vmcnt(0)
	v_div_scale_f64 v[7:8], s[0:1], v[5:6], v[5:6], s[10:11]
	v_div_scale_f64 v[19:20], vcc, s[10:11], v[5:6], s[10:11]
	v_rcp_f64_e32 v[9:10], v[7:8]
	v_fma_f64 v[11:12], -v[7:8], v[9:10], 1.0
	v_fma_f64 v[9:10], v[9:10], v[11:12], v[9:10]
	v_fma_f64 v[11:12], -v[7:8], v[9:10], 1.0
	v_fma_f64 v[9:10], v[9:10], v[11:12], v[9:10]
	v_mul_f64 v[11:12], v[19:20], v[9:10]
	v_fma_f64 v[7:8], -v[7:8], v[11:12], v[19:20]
	v_div_fmas_f64 v[7:8], v[7:8], v[9:10], v[11:12]
	v_div_fixup_f64 v[5:6], v[7:8], v[5:6], s[10:11]
	v_add_co_u32_e32 v7, vcc, s28, v1
	v_addc_co_u32_e32 v8, vcc, 0, v2, vcc
	global_store_dwordx2 v[7:8], v[5:6], off
	s_branch .LBB279_3
.LBB279_20:
	s_cbranch_execz .LBB279_22
	s_branch .LBB279_25
.LBB279_21:
.LBB279_22:
	v_mov_b32_e32 v1, 0x10000
	v_mov_b32_e32 v2, 0
	v_cmp_lt_i64_e32 vcc, s[16:17], v[1:2]
	v_mov_b32_e32 v2, 0
	s_and_b64 s[0:1], vcc, exec
	s_cselect_b32 s3, s17, 0
	s_cselect_b32 s2, s16, 0x10000
	v_lshlrev_b32_e32 v1, 2, v0
	v_cmp_gt_i64_e32 vcc, s[2:3], v[1:2]
	s_and_saveexec_b64 s[0:1], vcc
	s_cbranch_execz .LBB279_25
; %bb.23:
	s_load_dword s0, s[4:5], 0xd44
	v_mov_b32_e32 v1, v2
	v_lshlrev_b32_e32 v2, 5, v0
	s_mov_b64 s[4:5], 0
	s_waitcnt lgkmcnt(0)
	s_and_b32 s6, s0, 0xffff
	s_add_u32 s0, s12, s14
	s_addc_u32 s1, s13, s15
	v_mov_b32_e32 v3, s1
	v_add_co_u32_e32 v2, vcc, s0, v2
	v_addc_co_u32_e32 v3, vcc, 0, v3, vcc
	v_add_co_u32_e32 v2, vcc, 16, v2
	v_addc_co_u32_e32 v3, vcc, 0, v3, vcc
	s_lshl_b32 s7, s6, 5
.LBB279_24:                             ; =>This Inner Loop Header: Depth=1
	global_load_dwordx4 v[4:7], v[2:3], off offset:-16
	global_load_dwordx4 v[8:11], v[2:3], off
	s_waitcnt vmcnt(1)
	v_div_scale_f64 v[12:13], s[0:1], v[4:5], v[4:5], s[10:11]
	v_div_scale_f64 v[16:17], s[0:1], v[6:7], v[6:7], s[10:11]
	v_div_scale_f64 v[20:21], vcc, s[10:11], v[4:5], s[10:11]
	s_waitcnt vmcnt(0)
	v_div_scale_f64 v[24:25], s[0:1], v[8:9], v[8:9], s[10:11]
	v_rcp_f64_e32 v[14:15], v[12:13]
	v_fma_f64 v[18:19], -v[12:13], v[14:15], 1.0
	v_fma_f64 v[14:15], v[14:15], v[18:19], v[14:15]
	v_rcp_f64_e32 v[18:19], v[16:17]
	v_fma_f64 v[22:23], -v[12:13], v[14:15], 1.0
	v_fma_f64 v[14:15], v[14:15], v[22:23], v[14:15]
	v_fma_f64 v[22:23], -v[16:17], v[18:19], 1.0
	v_mul_f64 v[26:27], v[20:21], v[14:15]
	v_fma_f64 v[18:19], v[18:19], v[22:23], v[18:19]
	v_rcp_f64_e32 v[22:23], v[24:25]
	v_fma_f64 v[12:13], -v[12:13], v[26:27], v[20:21]
	v_fma_f64 v[20:21], -v[16:17], v[18:19], 1.0
	v_div_fmas_f64 v[12:13], v[12:13], v[14:15], v[26:27]
	v_div_scale_f64 v[14:15], vcc, s[10:11], v[6:7], s[10:11]
	v_fma_f64 v[26:27], -v[24:25], v[22:23], 1.0
	v_fma_f64 v[18:19], v[18:19], v[20:21], v[18:19]
	v_div_scale_f64 v[20:21], s[0:1], v[10:11], v[10:11], s[10:11]
	v_fma_f64 v[22:23], v[22:23], v[26:27], v[22:23]
	v_div_fixup_f64 v[4:5], v[12:13], v[4:5], s[10:11]
	v_mul_f64 v[26:27], v[14:15], v[18:19]
	v_fma_f64 v[14:15], -v[16:17], v[26:27], v[14:15]
	v_rcp_f64_e32 v[16:17], v[20:21]
	v_div_fmas_f64 v[14:15], v[14:15], v[18:19], v[26:27]
	v_fma_f64 v[18:19], -v[24:25], v[22:23], 1.0
	v_div_scale_f64 v[26:27], vcc, s[10:11], v[8:9], s[10:11]
	v_fma_f64 v[28:29], -v[20:21], v[16:17], 1.0
	v_fma_f64 v[18:19], v[22:23], v[18:19], v[22:23]
	v_div_fixup_f64 v[6:7], v[14:15], v[6:7], s[10:11]
	v_fma_f64 v[16:17], v[16:17], v[28:29], v[16:17]
	v_fma_f64 v[22:23], -v[20:21], v[16:17], 1.0
	v_fma_f64 v[16:17], v[16:17], v[22:23], v[16:17]
	v_mul_f64 v[22:23], v[26:27], v[18:19]
	v_fma_f64 v[24:25], -v[24:25], v[22:23], v[26:27]
	v_div_scale_f64 v[26:27], s[0:1], s[10:11], v[10:11], s[10:11]
	v_div_fmas_f64 v[18:19], v[24:25], v[18:19], v[22:23]
	s_mov_b64 vcc, s[0:1]
	v_mul_f64 v[28:29], v[26:27], v[16:17]
	v_div_fixup_f64 v[8:9], v[18:19], v[8:9], s[10:11]
	v_fma_f64 v[20:21], -v[20:21], v[28:29], v[26:27]
	v_div_fmas_f64 v[16:17], v[20:21], v[16:17], v[28:29]
	v_add_co_u32_e32 v0, vcc, s6, v0
	v_addc_co_u32_e32 v1, vcc, 0, v1, vcc
	v_lshlrev_b64 v[12:13], 2, v[0:1]
	v_cmp_le_i64_e32 vcc, s[2:3], v[12:13]
	s_or_b64 s[4:5], vcc, s[4:5]
	v_div_fixup_f64 v[10:11], v[16:17], v[10:11], s[10:11]
	global_store_dwordx4 v[2:3], v[4:7], off offset:-16
	global_store_dwordx4 v[2:3], v[8:11], off
	v_add_co_u32_e32 v2, vcc, s7, v2
	v_addc_co_u32_e32 v3, vcc, 0, v3, vcc
	s_andn2_b64 exec, exec, s[4:5]
	s_cbranch_execnz .LBB279_24
.LBB279_25:
	s_endpgm
	.section	.rodata,"a",@progbits
	.p2align	6, 0x0
	.amdhsa_kernel _ZN2at6native12_GLOBAL__N_125multi_tensor_apply_kernelINS1_18TensorListMetadataILi1EEENS1_14UnaryOpFunctorIdLi1ELi1ELi0EEEJNS0_10ReciprocalIdEEEEEvT_T0_DpT1_
		.amdhsa_group_segment_fixed_size 0
		.amdhsa_private_segment_fixed_size 0
		.amdhsa_kernarg_size 3640
		.amdhsa_user_sgpr_count 6
		.amdhsa_user_sgpr_private_segment_buffer 1
		.amdhsa_user_sgpr_dispatch_ptr 0
		.amdhsa_user_sgpr_queue_ptr 0
		.amdhsa_user_sgpr_kernarg_segment_ptr 1
		.amdhsa_user_sgpr_dispatch_id 0
		.amdhsa_user_sgpr_flat_scratch_init 0
		.amdhsa_user_sgpr_private_segment_size 0
		.amdhsa_uses_dynamic_stack 0
		.amdhsa_system_sgpr_private_segment_wavefront_offset 0
		.amdhsa_system_sgpr_workgroup_id_x 1
		.amdhsa_system_sgpr_workgroup_id_y 0
		.amdhsa_system_sgpr_workgroup_id_z 0
		.amdhsa_system_sgpr_workgroup_info 0
		.amdhsa_system_vgpr_workitem_id 0
		.amdhsa_next_free_vgpr 30
		.amdhsa_next_free_sgpr 30
		.amdhsa_reserve_vcc 1
		.amdhsa_reserve_flat_scratch 0
		.amdhsa_float_round_mode_32 0
		.amdhsa_float_round_mode_16_64 0
		.amdhsa_float_denorm_mode_32 3
		.amdhsa_float_denorm_mode_16_64 3
		.amdhsa_dx10_clamp 1
		.amdhsa_ieee_mode 1
		.amdhsa_fp16_overflow 0
		.amdhsa_exception_fp_ieee_invalid_op 0
		.amdhsa_exception_fp_denorm_src 0
		.amdhsa_exception_fp_ieee_div_zero 0
		.amdhsa_exception_fp_ieee_overflow 0
		.amdhsa_exception_fp_ieee_underflow 0
		.amdhsa_exception_fp_ieee_inexact 0
		.amdhsa_exception_int_div_zero 0
	.end_amdhsa_kernel
	.section	.text._ZN2at6native12_GLOBAL__N_125multi_tensor_apply_kernelINS1_18TensorListMetadataILi1EEENS1_14UnaryOpFunctorIdLi1ELi1ELi0EEEJNS0_10ReciprocalIdEEEEEvT_T0_DpT1_,"axG",@progbits,_ZN2at6native12_GLOBAL__N_125multi_tensor_apply_kernelINS1_18TensorListMetadataILi1EEENS1_14UnaryOpFunctorIdLi1ELi1ELi0EEEJNS0_10ReciprocalIdEEEEEvT_T0_DpT1_,comdat
.Lfunc_end279:
	.size	_ZN2at6native12_GLOBAL__N_125multi_tensor_apply_kernelINS1_18TensorListMetadataILi1EEENS1_14UnaryOpFunctorIdLi1ELi1ELi0EEEJNS0_10ReciprocalIdEEEEEvT_T0_DpT1_, .Lfunc_end279-_ZN2at6native12_GLOBAL__N_125multi_tensor_apply_kernelINS1_18TensorListMetadataILi1EEENS1_14UnaryOpFunctorIdLi1ELi1ELi0EEEJNS0_10ReciprocalIdEEEEEvT_T0_DpT1_
                                        ; -- End function
	.set _ZN2at6native12_GLOBAL__N_125multi_tensor_apply_kernelINS1_18TensorListMetadataILi1EEENS1_14UnaryOpFunctorIdLi1ELi1ELi0EEEJNS0_10ReciprocalIdEEEEEvT_T0_DpT1_.num_vgpr, 30
	.set _ZN2at6native12_GLOBAL__N_125multi_tensor_apply_kernelINS1_18TensorListMetadataILi1EEENS1_14UnaryOpFunctorIdLi1ELi1ELi0EEEJNS0_10ReciprocalIdEEEEEvT_T0_DpT1_.num_agpr, 0
	.set _ZN2at6native12_GLOBAL__N_125multi_tensor_apply_kernelINS1_18TensorListMetadataILi1EEENS1_14UnaryOpFunctorIdLi1ELi1ELi0EEEJNS0_10ReciprocalIdEEEEEvT_T0_DpT1_.numbered_sgpr, 30
	.set _ZN2at6native12_GLOBAL__N_125multi_tensor_apply_kernelINS1_18TensorListMetadataILi1EEENS1_14UnaryOpFunctorIdLi1ELi1ELi0EEEJNS0_10ReciprocalIdEEEEEvT_T0_DpT1_.num_named_barrier, 0
	.set _ZN2at6native12_GLOBAL__N_125multi_tensor_apply_kernelINS1_18TensorListMetadataILi1EEENS1_14UnaryOpFunctorIdLi1ELi1ELi0EEEJNS0_10ReciprocalIdEEEEEvT_T0_DpT1_.private_seg_size, 0
	.set _ZN2at6native12_GLOBAL__N_125multi_tensor_apply_kernelINS1_18TensorListMetadataILi1EEENS1_14UnaryOpFunctorIdLi1ELi1ELi0EEEJNS0_10ReciprocalIdEEEEEvT_T0_DpT1_.uses_vcc, 1
	.set _ZN2at6native12_GLOBAL__N_125multi_tensor_apply_kernelINS1_18TensorListMetadataILi1EEENS1_14UnaryOpFunctorIdLi1ELi1ELi0EEEJNS0_10ReciprocalIdEEEEEvT_T0_DpT1_.uses_flat_scratch, 0
	.set _ZN2at6native12_GLOBAL__N_125multi_tensor_apply_kernelINS1_18TensorListMetadataILi1EEENS1_14UnaryOpFunctorIdLi1ELi1ELi0EEEJNS0_10ReciprocalIdEEEEEvT_T0_DpT1_.has_dyn_sized_stack, 0
	.set _ZN2at6native12_GLOBAL__N_125multi_tensor_apply_kernelINS1_18TensorListMetadataILi1EEENS1_14UnaryOpFunctorIdLi1ELi1ELi0EEEJNS0_10ReciprocalIdEEEEEvT_T0_DpT1_.has_recursion, 0
	.set _ZN2at6native12_GLOBAL__N_125multi_tensor_apply_kernelINS1_18TensorListMetadataILi1EEENS1_14UnaryOpFunctorIdLi1ELi1ELi0EEEJNS0_10ReciprocalIdEEEEEvT_T0_DpT1_.has_indirect_call, 0
	.section	.AMDGPU.csdata,"",@progbits
; Kernel info:
; codeLenInByte = 1676
; TotalNumSgprs: 34
; NumVgprs: 30
; ScratchSize: 0
; MemoryBound: 0
; FloatMode: 240
; IeeeMode: 1
; LDSByteSize: 0 bytes/workgroup (compile time only)
; SGPRBlocks: 4
; VGPRBlocks: 7
; NumSGPRsForWavesPerEU: 34
; NumVGPRsForWavesPerEU: 30
; Occupancy: 8
; WaveLimiterHint : 0
; COMPUTE_PGM_RSRC2:SCRATCH_EN: 0
; COMPUTE_PGM_RSRC2:USER_SGPR: 6
; COMPUTE_PGM_RSRC2:TRAP_HANDLER: 0
; COMPUTE_PGM_RSRC2:TGID_X_EN: 1
; COMPUTE_PGM_RSRC2:TGID_Y_EN: 0
; COMPUTE_PGM_RSRC2:TGID_Z_EN: 0
; COMPUTE_PGM_RSRC2:TIDIG_COMP_CNT: 0
	.section	.text._ZN2at6native12_GLOBAL__N_125multi_tensor_apply_kernelINS1_18TensorListMetadataILi1EEENS1_14UnaryOpFunctorIfLi1ELi1ELi0EEEJNS0_10ReciprocalIfEEEEEvT_T0_DpT1_,"axG",@progbits,_ZN2at6native12_GLOBAL__N_125multi_tensor_apply_kernelINS1_18TensorListMetadataILi1EEENS1_14UnaryOpFunctorIfLi1ELi1ELi0EEEJNS0_10ReciprocalIfEEEEEvT_T0_DpT1_,comdat
	.globl	_ZN2at6native12_GLOBAL__N_125multi_tensor_apply_kernelINS1_18TensorListMetadataILi1EEENS1_14UnaryOpFunctorIfLi1ELi1ELi0EEEJNS0_10ReciprocalIfEEEEEvT_T0_DpT1_ ; -- Begin function _ZN2at6native12_GLOBAL__N_125multi_tensor_apply_kernelINS1_18TensorListMetadataILi1EEENS1_14UnaryOpFunctorIfLi1ELi1ELi0EEEJNS0_10ReciprocalIfEEEEEvT_T0_DpT1_
	.p2align	8
	.type	_ZN2at6native12_GLOBAL__N_125multi_tensor_apply_kernelINS1_18TensorListMetadataILi1EEENS1_14UnaryOpFunctorIfLi1ELi1ELi0EEEJNS0_10ReciprocalIfEEEEEvT_T0_DpT1_,@function
_ZN2at6native12_GLOBAL__N_125multi_tensor_apply_kernelINS1_18TensorListMetadataILi1EEENS1_14UnaryOpFunctorIfLi1ELi1ELi0EEEJNS0_10ReciprocalIfEEEEEvT_T0_DpT1_: ; @_ZN2at6native12_GLOBAL__N_125multi_tensor_apply_kernelINS1_18TensorListMetadataILi1EEENS1_14UnaryOpFunctorIfLi1ELi1ELi0EEEJNS0_10ReciprocalIfEEEEEvT_T0_DpT1_
; %bb.0:
	v_mov_b32_e32 v1, s6
	global_load_ubyte v1, v1, s[4:5] offset:1760
	s_add_u32 s0, s4, s6
	s_mul_hi_u32 s1, s6, 3
	s_mul_i32 s6, s6, 3
	s_addc_u32 s2, s5, 0
	s_add_u32 s0, s0, s6
	s_addc_u32 s1, s2, s1
	s_load_dword s0, s[0:1], 0x820
	s_mov_b32 s7, 0
	s_waitcnt vmcnt(0)
	v_readfirstlane_b32 s1, v1
	s_lshl_b32 s1, s1, 3
	s_load_dword s24, s[4:5], 0xd2c
	s_load_dwordx2 s[2:3], s[4:5], s1 offset:0x370
	s_load_dwordx2 s[10:11], s[4:5], s1 offset:0x0
	s_waitcnt lgkmcnt(0)
	s_ashr_i32 s1, s0, 31
	s_lshl_b64 s[12:13], s[0:1], 18
	s_lshl_b64 s[0:1], s[0:1], 16
	s_and_b32 s6, s10, 15
	s_sub_u32 s14, s2, s0
	s_subb_u32 s15, s3, s1
	s_and_b32 s0, s2, 3
	s_mov_b32 s1, s7
	s_or_b64 s[0:1], s[6:7], s[0:1]
	s_cmp_eq_u64 s[0:1], 0
	s_cbranch_scc1 .LBB280_21
; %bb.1:
	v_cmp_lt_i64_e64 s[0:1], s[14:15], 1
	s_and_b64 vcc, exec, s[0:1]
	s_cbranch_vccnz .LBB280_20
; %bb.2:
	v_mov_b32_e32 v1, 0x10000
	s_load_dword s2, s[4:5], 0xd3c
	v_mov_b32_e32 v2, 0
	v_cmp_lt_i64_e32 vcc, s[14:15], v[1:2]
	s_mov_b64 s[20:21], 0
	s_and_b64 s[0:1], vcc, exec
	v_cmp_lt_u64_e32 vcc, s[14:15], v[1:2]
	s_cselect_b32 s17, s15, 0
	s_cselect_b32 s16, s14, 0x10000
	s_waitcnt lgkmcnt(0)
	s_and_b32 s2, s2, 0xffff
	s_and_b64 s[0:1], vcc, exec
	s_cselect_b32 s19, s15, 0
	s_cselect_b32 s18, s14, 0x10000
	s_lshl_b32 s3, s2, 1
	s_lshl_b32 s25, s2, 2
	s_add_u32 s6, s10, s12
	v_lshlrev_b32_e32 v1, 2, v0
	s_addc_u32 s7, s11, s13
	v_mov_b32_e32 v2, s7
	v_add_co_u32_e32 v1, vcc, s6, v1
	s_mul_i32 s0, s2, 3
	v_addc_co_u32_e32 v2, vcc, 0, v2, vcc
	v_add_co_u32_e32 v5, vcc, s0, v0
	v_addc_co_u32_e64 v6, s[0:1], 0, 0, vcc
	v_add_co_u32_e32 v7, vcc, s3, v0
	v_addc_co_u32_e64 v8, s[0:1], 0, 0, vcc
	v_add_co_u32_e32 v9, vcc, s2, v0
	v_lshlrev_b32_e32 v3, 2, v9
	v_addc_co_u32_e64 v10, s[0:1], 0, 0, vcc
	v_mov_b32_e32 v4, s7
	v_add_co_u32_e32 v3, vcc, s6, v3
	s_lshl_b32 s26, s2, 4
	s_mul_i32 s27, s2, 12
	s_lshl_b32 s28, s2, 3
	v_addc_co_u32_e32 v4, vcc, 0, v4, vcc
	s_branch .LBB280_4
.LBB280_3:                              ;   in Loop: Header=BB280_4 Depth=1
	s_or_b64 exec, exec, s[2:3]
	s_add_u32 s20, s20, s25
	v_add_co_u32_e32 v1, vcc, s26, v1
	s_waitcnt vmcnt(0)
	v_mov_b32_e32 v11, s16
	s_addc_u32 s21, s21, 0
	v_addc_co_u32_e32 v2, vcc, 0, v2, vcc
	v_mov_b32_e32 v12, s17
	v_cmp_lt_i64_e32 vcc, s[20:21], v[11:12]
	v_add_co_u32_e64 v3, s[0:1], s26, v3
	v_addc_co_u32_e64 v4, s[0:1], 0, v4, s[0:1]
	s_cbranch_vccz .LBB280_20
.LBB280_4:                              ; =>This Inner Loop Header: Depth=1
	v_mov_b32_e32 v12, s21
	v_add_co_u32_e32 v11, vcc, s20, v0
	v_addc_co_u32_e32 v12, vcc, 0, v12, vcc
	v_cmp_gt_u64_e32 vcc, s[18:19], v[11:12]
	v_mov_b32_e32 v14, 0
	s_and_saveexec_b64 s[0:1], vcc
	s_cbranch_execz .LBB280_6
; %bb.5:                                ;   in Loop: Header=BB280_4 Depth=1
	global_load_dword v14, v[1:2], off
.LBB280_6:                              ;   in Loop: Header=BB280_4 Depth=1
	s_or_b64 exec, exec, s[0:1]
	v_mov_b32_e32 v12, s21
	v_add_co_u32_e64 v11, s[0:1], s20, v9
	v_addc_co_u32_e64 v12, s[0:1], v10, v12, s[0:1]
	v_cmp_gt_u64_e64 s[6:7], s[18:19], v[11:12]
	v_mov_b32_e32 v11, 0
	v_mov_b32_e32 v13, 0
	s_and_saveexec_b64 s[0:1], s[6:7]
	s_cbranch_execz .LBB280_8
; %bb.7:                                ;   in Loop: Header=BB280_4 Depth=1
	global_load_dword v13, v[3:4], off
.LBB280_8:                              ;   in Loop: Header=BB280_4 Depth=1
	s_or_b64 exec, exec, s[0:1]
	v_mov_b32_e32 v12, s21
	v_add_co_u32_e64 v15, s[0:1], s20, v7
	v_addc_co_u32_e64 v16, s[0:1], v8, v12, s[0:1]
	v_cmp_gt_u64_e64 s[2:3], s[18:19], v[15:16]
	s_and_saveexec_b64 s[8:9], s[2:3]
	s_cbranch_execz .LBB280_10
; %bb.9:                                ;   in Loop: Header=BB280_4 Depth=1
	v_add_co_u32_e64 v11, s[0:1], s28, v1
	v_addc_co_u32_e64 v12, s[0:1], 0, v2, s[0:1]
	global_load_dword v11, v[11:12], off
.LBB280_10:                             ;   in Loop: Header=BB280_4 Depth=1
	s_or_b64 exec, exec, s[8:9]
	v_mov_b32_e32 v12, s21
	v_add_co_u32_e64 v15, s[0:1], s20, v5
	v_addc_co_u32_e64 v16, s[0:1], v6, v12, s[0:1]
	v_cmp_gt_u64_e64 s[0:1], s[18:19], v[15:16]
	v_mov_b32_e32 v12, 0
	s_and_saveexec_b64 s[22:23], s[0:1]
	s_cbranch_execnz .LBB280_15
; %bb.11:                               ;   in Loop: Header=BB280_4 Depth=1
	s_or_b64 exec, exec, s[22:23]
	s_and_saveexec_b64 s[8:9], vcc
	s_cbranch_execnz .LBB280_16
.LBB280_12:                             ;   in Loop: Header=BB280_4 Depth=1
	s_or_b64 exec, exec, s[8:9]
	s_and_saveexec_b64 s[8:9], s[6:7]
	s_cbranch_execnz .LBB280_17
.LBB280_13:                             ;   in Loop: Header=BB280_4 Depth=1
	s_or_b64 exec, exec, s[8:9]
	s_and_saveexec_b64 s[6:7], s[2:3]
	s_cbranch_execnz .LBB280_18
.LBB280_14:                             ;   in Loop: Header=BB280_4 Depth=1
	s_or_b64 exec, exec, s[6:7]
	s_and_saveexec_b64 s[2:3], s[0:1]
	s_cbranch_execz .LBB280_3
	s_branch .LBB280_19
.LBB280_15:                             ;   in Loop: Header=BB280_4 Depth=1
	v_add_co_u32_e64 v15, s[8:9], s27, v1
	v_addc_co_u32_e64 v16, s[8:9], 0, v2, s[8:9]
	global_load_dword v12, v[15:16], off
	s_or_b64 exec, exec, s[22:23]
	s_and_saveexec_b64 s[8:9], vcc
	s_cbranch_execz .LBB280_12
.LBB280_16:                             ;   in Loop: Header=BB280_4 Depth=1
	s_waitcnt vmcnt(0)
	v_div_scale_f32 v15, s[22:23], v14, v14, s24
	v_div_scale_f32 v16, vcc, s24, v14, s24
	v_rcp_f32_e32 v17, v15
	v_fma_f32 v18, -v15, v17, 1.0
	v_fmac_f32_e32 v17, v18, v17
	v_mul_f32_e32 v18, v16, v17
	v_fma_f32 v19, -v15, v18, v16
	v_fmac_f32_e32 v18, v19, v17
	v_fma_f32 v15, -v15, v18, v16
	v_div_fmas_f32 v15, v15, v17, v18
	v_div_fixup_f32 v14, v15, v14, s24
	global_store_dword v[1:2], v14, off
	s_or_b64 exec, exec, s[8:9]
	s_and_saveexec_b64 s[8:9], s[6:7]
	s_cbranch_execz .LBB280_13
.LBB280_17:                             ;   in Loop: Header=BB280_4 Depth=1
	s_waitcnt vmcnt(0)
	v_div_scale_f32 v14, s[6:7], v13, v13, s24
	v_div_scale_f32 v15, vcc, s24, v13, s24
	v_rcp_f32_e32 v16, v14
	v_fma_f32 v17, -v14, v16, 1.0
	v_fmac_f32_e32 v16, v17, v16
	v_mul_f32_e32 v17, v15, v16
	v_fma_f32 v18, -v14, v17, v15
	v_fmac_f32_e32 v17, v18, v16
	v_fma_f32 v14, -v14, v17, v15
	v_div_fmas_f32 v14, v14, v16, v17
	v_div_fixup_f32 v13, v14, v13, s24
	global_store_dword v[3:4], v13, off
	s_or_b64 exec, exec, s[8:9]
	s_and_saveexec_b64 s[6:7], s[2:3]
	s_cbranch_execz .LBB280_14
.LBB280_18:                             ;   in Loop: Header=BB280_4 Depth=1
	s_waitcnt vmcnt(0)
	v_div_scale_f32 v13, s[2:3], v11, v11, s24
	v_div_scale_f32 v14, vcc, s24, v11, s24
	v_rcp_f32_e32 v15, v13
	v_fma_f32 v16, -v13, v15, 1.0
	v_fmac_f32_e32 v15, v16, v15
	v_mul_f32_e32 v16, v14, v15
	v_fma_f32 v17, -v13, v16, v14
	v_fmac_f32_e32 v16, v17, v15
	v_fma_f32 v13, -v13, v16, v14
	v_div_fmas_f32 v13, v13, v15, v16
	v_div_fixup_f32 v11, v13, v11, s24
	v_add_co_u32_e32 v13, vcc, s28, v1
	v_addc_co_u32_e32 v14, vcc, 0, v2, vcc
	global_store_dword v[13:14], v11, off
	s_or_b64 exec, exec, s[6:7]
	s_and_saveexec_b64 s[2:3], s[0:1]
	s_cbranch_execz .LBB280_3
.LBB280_19:                             ;   in Loop: Header=BB280_4 Depth=1
	s_waitcnt vmcnt(0)
	v_div_scale_f32 v11, s[0:1], v12, v12, s24
	v_div_scale_f32 v13, vcc, s24, v12, s24
	v_rcp_f32_e32 v14, v11
	v_fma_f32 v15, -v11, v14, 1.0
	v_fmac_f32_e32 v14, v15, v14
	v_mul_f32_e32 v15, v13, v14
	v_fma_f32 v16, -v11, v15, v13
	v_fmac_f32_e32 v15, v16, v14
	v_fma_f32 v11, -v11, v15, v13
	v_div_fmas_f32 v11, v11, v14, v15
	v_div_fixup_f32 v13, v11, v12, s24
	v_add_co_u32_e32 v11, vcc, s27, v1
	v_addc_co_u32_e32 v12, vcc, 0, v2, vcc
	global_store_dword v[11:12], v13, off
	s_branch .LBB280_3
.LBB280_20:
	s_cbranch_execz .LBB280_22
	s_branch .LBB280_25
.LBB280_21:
.LBB280_22:
	v_mov_b32_e32 v1, 0x10000
	v_mov_b32_e32 v2, 0
	v_cmp_lt_i64_e32 vcc, s[14:15], v[1:2]
	v_mov_b32_e32 v2, 0
	s_and_b64 s[0:1], vcc, exec
	s_cselect_b32 s1, s15, 0
	s_cselect_b32 s0, s14, 0x10000
	v_lshlrev_b32_e32 v1, 2, v0
	v_cmp_gt_i64_e32 vcc, s[0:1], v[1:2]
	s_and_saveexec_b64 s[2:3], vcc
	s_cbranch_execz .LBB280_25
; %bb.23:
	s_load_dword s2, s[4:5], 0xd3c
	v_mov_b32_e32 v1, v2
	v_lshlrev_b32_e32 v2, 4, v0
	s_waitcnt lgkmcnt(0)
	s_and_b32 s4, s2, 0xffff
	s_add_u32 s2, s10, s12
	s_addc_u32 s3, s11, s13
	v_mov_b32_e32 v3, s3
	v_add_co_u32_e32 v2, vcc, s2, v2
	v_addc_co_u32_e32 v3, vcc, 0, v3, vcc
	v_add_co_u32_e32 v2, vcc, 8, v2
	v_addc_co_u32_e32 v3, vcc, 0, v3, vcc
	s_lshl_b32 s5, s4, 4
	s_mov_b64 s[2:3], 0
.LBB280_24:                             ; =>This Inner Loop Header: Depth=1
	global_load_dwordx4 v[4:7], v[2:3], off offset:-8
	s_waitcnt vmcnt(0)
	v_div_scale_f32 v8, s[6:7], v4, v4, s24
	v_rcp_f32_e32 v9, v8
	v_fma_f32 v10, -v8, v9, 1.0
	v_fmac_f32_e32 v9, v10, v9
	v_div_scale_f32 v10, vcc, s24, v4, s24
	v_mul_f32_e32 v11, v10, v9
	v_fma_f32 v12, -v8, v11, v10
	v_fmac_f32_e32 v11, v12, v9
	v_fma_f32 v8, -v8, v11, v10
	v_div_fmas_f32 v8, v8, v9, v11
	v_div_fixup_f32 v4, v8, v4, s24
	v_div_scale_f32 v8, s[6:7], v5, v5, s24
	v_rcp_f32_e32 v9, v8
	v_fma_f32 v10, -v8, v9, 1.0
	v_fmac_f32_e32 v9, v10, v9
	v_div_scale_f32 v10, vcc, s24, v5, s24
	v_mul_f32_e32 v11, v10, v9
	v_fma_f32 v12, -v8, v11, v10
	v_fmac_f32_e32 v11, v12, v9
	v_fma_f32 v8, -v8, v11, v10
	v_div_fmas_f32 v8, v8, v9, v11
	v_div_fixup_f32 v5, v8, v5, s24
	;; [unrolled: 11-line block ×3, first 2 shown]
	v_div_scale_f32 v8, s[6:7], v7, v7, s24
	v_rcp_f32_e32 v9, v8
	v_fma_f32 v10, -v8, v9, 1.0
	v_fmac_f32_e32 v9, v10, v9
	v_div_scale_f32 v10, vcc, s24, v7, s24
	v_mul_f32_e32 v11, v10, v9
	v_fma_f32 v12, -v8, v11, v10
	v_fmac_f32_e32 v11, v12, v9
	v_fma_f32 v8, -v8, v11, v10
	v_div_fmas_f32 v8, v8, v9, v11
	v_add_co_u32_e32 v0, vcc, s4, v0
	v_addc_co_u32_e32 v1, vcc, 0, v1, vcc
	v_div_fixup_f32 v7, v8, v7, s24
	global_store_dwordx4 v[2:3], v[4:7], off offset:-8
	v_add_co_u32_e32 v2, vcc, s5, v2
	v_lshlrev_b64 v[4:5], 2, v[0:1]
	v_addc_co_u32_e32 v3, vcc, 0, v3, vcc
	v_cmp_le_i64_e32 vcc, s[0:1], v[4:5]
	s_or_b64 s[2:3], vcc, s[2:3]
	s_andn2_b64 exec, exec, s[2:3]
	s_cbranch_execnz .LBB280_24
.LBB280_25:
	s_endpgm
	.section	.rodata,"a",@progbits
	.p2align	6, 0x0
	.amdhsa_kernel _ZN2at6native12_GLOBAL__N_125multi_tensor_apply_kernelINS1_18TensorListMetadataILi1EEENS1_14UnaryOpFunctorIfLi1ELi1ELi0EEEJNS0_10ReciprocalIfEEEEEvT_T0_DpT1_
		.amdhsa_group_segment_fixed_size 0
		.amdhsa_private_segment_fixed_size 0
		.amdhsa_kernarg_size 3632
		.amdhsa_user_sgpr_count 6
		.amdhsa_user_sgpr_private_segment_buffer 1
		.amdhsa_user_sgpr_dispatch_ptr 0
		.amdhsa_user_sgpr_queue_ptr 0
		.amdhsa_user_sgpr_kernarg_segment_ptr 1
		.amdhsa_user_sgpr_dispatch_id 0
		.amdhsa_user_sgpr_flat_scratch_init 0
		.amdhsa_user_sgpr_private_segment_size 0
		.amdhsa_uses_dynamic_stack 0
		.amdhsa_system_sgpr_private_segment_wavefront_offset 0
		.amdhsa_system_sgpr_workgroup_id_x 1
		.amdhsa_system_sgpr_workgroup_id_y 0
		.amdhsa_system_sgpr_workgroup_id_z 0
		.amdhsa_system_sgpr_workgroup_info 0
		.amdhsa_system_vgpr_workitem_id 0
		.amdhsa_next_free_vgpr 20
		.amdhsa_next_free_sgpr 29
		.amdhsa_reserve_vcc 1
		.amdhsa_reserve_flat_scratch 0
		.amdhsa_float_round_mode_32 0
		.amdhsa_float_round_mode_16_64 0
		.amdhsa_float_denorm_mode_32 3
		.amdhsa_float_denorm_mode_16_64 3
		.amdhsa_dx10_clamp 1
		.amdhsa_ieee_mode 1
		.amdhsa_fp16_overflow 0
		.amdhsa_exception_fp_ieee_invalid_op 0
		.amdhsa_exception_fp_denorm_src 0
		.amdhsa_exception_fp_ieee_div_zero 0
		.amdhsa_exception_fp_ieee_overflow 0
		.amdhsa_exception_fp_ieee_underflow 0
		.amdhsa_exception_fp_ieee_inexact 0
		.amdhsa_exception_int_div_zero 0
	.end_amdhsa_kernel
	.section	.text._ZN2at6native12_GLOBAL__N_125multi_tensor_apply_kernelINS1_18TensorListMetadataILi1EEENS1_14UnaryOpFunctorIfLi1ELi1ELi0EEEJNS0_10ReciprocalIfEEEEEvT_T0_DpT1_,"axG",@progbits,_ZN2at6native12_GLOBAL__N_125multi_tensor_apply_kernelINS1_18TensorListMetadataILi1EEENS1_14UnaryOpFunctorIfLi1ELi1ELi0EEEJNS0_10ReciprocalIfEEEEEvT_T0_DpT1_,comdat
.Lfunc_end280:
	.size	_ZN2at6native12_GLOBAL__N_125multi_tensor_apply_kernelINS1_18TensorListMetadataILi1EEENS1_14UnaryOpFunctorIfLi1ELi1ELi0EEEJNS0_10ReciprocalIfEEEEEvT_T0_DpT1_, .Lfunc_end280-_ZN2at6native12_GLOBAL__N_125multi_tensor_apply_kernelINS1_18TensorListMetadataILi1EEENS1_14UnaryOpFunctorIfLi1ELi1ELi0EEEJNS0_10ReciprocalIfEEEEEvT_T0_DpT1_
                                        ; -- End function
	.set _ZN2at6native12_GLOBAL__N_125multi_tensor_apply_kernelINS1_18TensorListMetadataILi1EEENS1_14UnaryOpFunctorIfLi1ELi1ELi0EEEJNS0_10ReciprocalIfEEEEEvT_T0_DpT1_.num_vgpr, 20
	.set _ZN2at6native12_GLOBAL__N_125multi_tensor_apply_kernelINS1_18TensorListMetadataILi1EEENS1_14UnaryOpFunctorIfLi1ELi1ELi0EEEJNS0_10ReciprocalIfEEEEEvT_T0_DpT1_.num_agpr, 0
	.set _ZN2at6native12_GLOBAL__N_125multi_tensor_apply_kernelINS1_18TensorListMetadataILi1EEENS1_14UnaryOpFunctorIfLi1ELi1ELi0EEEJNS0_10ReciprocalIfEEEEEvT_T0_DpT1_.numbered_sgpr, 29
	.set _ZN2at6native12_GLOBAL__N_125multi_tensor_apply_kernelINS1_18TensorListMetadataILi1EEENS1_14UnaryOpFunctorIfLi1ELi1ELi0EEEJNS0_10ReciprocalIfEEEEEvT_T0_DpT1_.num_named_barrier, 0
	.set _ZN2at6native12_GLOBAL__N_125multi_tensor_apply_kernelINS1_18TensorListMetadataILi1EEENS1_14UnaryOpFunctorIfLi1ELi1ELi0EEEJNS0_10ReciprocalIfEEEEEvT_T0_DpT1_.private_seg_size, 0
	.set _ZN2at6native12_GLOBAL__N_125multi_tensor_apply_kernelINS1_18TensorListMetadataILi1EEENS1_14UnaryOpFunctorIfLi1ELi1ELi0EEEJNS0_10ReciprocalIfEEEEEvT_T0_DpT1_.uses_vcc, 1
	.set _ZN2at6native12_GLOBAL__N_125multi_tensor_apply_kernelINS1_18TensorListMetadataILi1EEENS1_14UnaryOpFunctorIfLi1ELi1ELi0EEEJNS0_10ReciprocalIfEEEEEvT_T0_DpT1_.uses_flat_scratch, 0
	.set _ZN2at6native12_GLOBAL__N_125multi_tensor_apply_kernelINS1_18TensorListMetadataILi1EEENS1_14UnaryOpFunctorIfLi1ELi1ELi0EEEJNS0_10ReciprocalIfEEEEEvT_T0_DpT1_.has_dyn_sized_stack, 0
	.set _ZN2at6native12_GLOBAL__N_125multi_tensor_apply_kernelINS1_18TensorListMetadataILi1EEENS1_14UnaryOpFunctorIfLi1ELi1ELi0EEEJNS0_10ReciprocalIfEEEEEvT_T0_DpT1_.has_recursion, 0
	.set _ZN2at6native12_GLOBAL__N_125multi_tensor_apply_kernelINS1_18TensorListMetadataILi1EEENS1_14UnaryOpFunctorIfLi1ELi1ELi0EEEJNS0_10ReciprocalIfEEEEEvT_T0_DpT1_.has_indirect_call, 0
	.section	.AMDGPU.csdata,"",@progbits
; Kernel info:
; codeLenInByte = 1540
; TotalNumSgprs: 33
; NumVgprs: 20
; ScratchSize: 0
; MemoryBound: 0
; FloatMode: 240
; IeeeMode: 1
; LDSByteSize: 0 bytes/workgroup (compile time only)
; SGPRBlocks: 4
; VGPRBlocks: 4
; NumSGPRsForWavesPerEU: 33
; NumVGPRsForWavesPerEU: 20
; Occupancy: 10
; WaveLimiterHint : 0
; COMPUTE_PGM_RSRC2:SCRATCH_EN: 0
; COMPUTE_PGM_RSRC2:USER_SGPR: 6
; COMPUTE_PGM_RSRC2:TRAP_HANDLER: 0
; COMPUTE_PGM_RSRC2:TGID_X_EN: 1
; COMPUTE_PGM_RSRC2:TGID_Y_EN: 0
; COMPUTE_PGM_RSRC2:TGID_Z_EN: 0
; COMPUTE_PGM_RSRC2:TIDIG_COMP_CNT: 0
	.section	.text._ZN2at6native12_GLOBAL__N_125multi_tensor_apply_kernelINS1_18TensorListMetadataILi1EEENS1_14UnaryOpFunctorIN3c107complexIdEELi1ELi1ELi0EEEJNS0_10ReciprocalIS8_EEEEEvT_T0_DpT1_,"axG",@progbits,_ZN2at6native12_GLOBAL__N_125multi_tensor_apply_kernelINS1_18TensorListMetadataILi1EEENS1_14UnaryOpFunctorIN3c107complexIdEELi1ELi1ELi0EEEJNS0_10ReciprocalIS8_EEEEEvT_T0_DpT1_,comdat
	.globl	_ZN2at6native12_GLOBAL__N_125multi_tensor_apply_kernelINS1_18TensorListMetadataILi1EEENS1_14UnaryOpFunctorIN3c107complexIdEELi1ELi1ELi0EEEJNS0_10ReciprocalIS8_EEEEEvT_T0_DpT1_ ; -- Begin function _ZN2at6native12_GLOBAL__N_125multi_tensor_apply_kernelINS1_18TensorListMetadataILi1EEENS1_14UnaryOpFunctorIN3c107complexIdEELi1ELi1ELi0EEEJNS0_10ReciprocalIS8_EEEEEvT_T0_DpT1_
	.p2align	8
	.type	_ZN2at6native12_GLOBAL__N_125multi_tensor_apply_kernelINS1_18TensorListMetadataILi1EEENS1_14UnaryOpFunctorIN3c107complexIdEELi1ELi1ELi0EEEJNS0_10ReciprocalIS8_EEEEEvT_T0_DpT1_,@function
_ZN2at6native12_GLOBAL__N_125multi_tensor_apply_kernelINS1_18TensorListMetadataILi1EEENS1_14UnaryOpFunctorIN3c107complexIdEELi1ELi1ELi0EEEJNS0_10ReciprocalIS8_EEEEEvT_T0_DpT1_: ; @_ZN2at6native12_GLOBAL__N_125multi_tensor_apply_kernelINS1_18TensorListMetadataILi1EEENS1_14UnaryOpFunctorIN3c107complexIdEELi1ELi1ELi0EEEJNS0_10ReciprocalIS8_EEEEEvT_T0_DpT1_
; %bb.0:
	v_mov_b32_e32 v1, s6
	global_load_ubyte v1, v1, s[4:5] offset:1760
	s_add_u32 s0, s4, s6
	s_mul_hi_u32 s1, s6, 3
	s_mul_i32 s6, s6, 3
	s_addc_u32 s2, s5, 0
	s_add_u32 s0, s0, s6
	s_addc_u32 s1, s2, s1
	s_load_dwordx4 s[12:15], s[4:5], 0xd30
	s_load_dword s2, s[0:1], 0x820
	s_mov_b32 s7, 0
	s_waitcnt vmcnt(0)
	v_readfirstlane_b32 s0, v1
	s_lshl_b32 s3, s0, 3
	s_load_dwordx2 s[16:17], s[4:5], s3 offset:0x0
	s_load_dwordx2 s[0:1], s[4:5], s3 offset:0x370
	s_waitcnt lgkmcnt(0)
	s_ashr_i32 s3, s2, 31
	s_lshl_b64 s[18:19], s[2:3], 20
	s_add_u32 s33, s16, s18
	s_addc_u32 s34, s17, s19
	s_lshl_b64 s[2:3], s[2:3], 16
	s_and_b32 s6, s33, 63
	s_sub_u32 s20, s0, s2
	s_subb_u32 s21, s1, s3
	s_and_b32 s0, s0, 3
	s_mov_b32 s1, s7
	s_or_b64 s[0:1], s[6:7], s[0:1]
	s_cmp_eq_u64 s[0:1], 0
	s_cbranch_scc1 .LBB281_53
; %bb.1:
	v_cmp_lt_i64_e64 s[0:1], s[20:21], 1
	s_and_b64 vcc, exec, s[0:1]
	s_cbranch_vccnz .LBB281_52
; %bb.2:
	v_mov_b32_e32 v1, 0x10000
	s_load_dword s2, s[4:5], 0xd4c
	v_mov_b32_e32 v2, 0
	v_cmp_lt_i64_e32 vcc, s[20:21], v[1:2]
	v_mov_b32_e32 v22, 0
	s_and_b64 s[0:1], vcc, exec
	v_cmp_lt_u64_e32 vcc, s[20:21], v[1:2]
	s_cselect_b32 s23, s21, 0
	s_cselect_b32 s22, s20, 0x10000
	s_waitcnt lgkmcnt(0)
	s_and_b32 s2, s2, 0xffff
	s_and_b64 s[0:1], vcc, exec
	s_mul_i32 s6, s2, 3
	v_add_co_u32_e32 v28, vcc, s2, v0
	v_lshlrev_b32_e32 v21, 4, v0
	v_addc_co_u32_e64 v29, s[0:1], 0, 0, vcc
	v_add_co_u32_e32 v30, vcc, s6, v0
	v_mad_u64_u32 v[22:23], s[0:1], s2, 48, v[21:22]
	v_addc_co_u32_e64 v31, s[0:1], 0, 0, vcc
	s_cselect_b32 s25, s21, 0
	s_cselect_b32 s24, s20, 0x10000
	s_lshl_b32 s0, s2, 5
	s_lshl_b32 s3, s2, 1
	v_add_co_u32_e32 v1, vcc, s0, v21
	v_addc_co_u32_e64 v33, s[0:1], 0, 0, vcc
	v_add_co_u32_e32 v35, vcc, s3, v0
	s_lshl_b32 s35, s2, 2
	s_lshl_b32 s36, s2, 6
	v_or_b32_e32 v22, 8, v22
	v_lshlrev_b32_e32 v32, 4, v28
	v_or_b32_e32 v34, 8, v1
	v_addc_co_u32_e64 v36, s[0:1], 0, 0, vcc
	s_mov_b64 s[26:27], 0
	s_branch .LBB281_4
.LBB281_3:                              ;   in Loop: Header=BB281_4 Depth=1
	s_or_b64 exec, exec, s[0:1]
	s_add_u32 s26, s26, s35
	v_mov_b32_e32 v1, s22
	s_addc_u32 s27, s27, 0
	v_mov_b32_e32 v2, s23
	v_cmp_ge_i64_e32 vcc, s[26:27], v[1:2]
	s_add_u32 s33, s33, s36
	s_addc_u32 s34, s34, 0
	s_cbranch_vccnz .LBB281_52
.LBB281_4:                              ; =>This Inner Loop Header: Depth=1
	v_mov_b32_e32 v2, s27
	v_add_co_u32_e32 v1, vcc, s26, v0
	v_addc_co_u32_e32 v2, vcc, 0, v2, vcc
	v_cmp_gt_u64_e64 s[0:1], s[24:25], v[1:2]
	v_mov_b32_e32 v19, 0
	v_mov_b32_e32 v15, 0
	;; [unrolled: 1-line block ×6, first 2 shown]
	s_and_saveexec_b64 s[2:3], s[0:1]
	s_cbranch_execz .LBB281_6
; %bb.5:                                ;   in Loop: Header=BB281_4 Depth=1
	v_mov_b32_e32 v2, s34
	v_add_co_u32_e32 v1, vcc, s33, v21
	v_addc_co_u32_e32 v2, vcc, 0, v2, vcc
	global_load_dwordx4 v[13:16], v[1:2], off
.LBB281_6:                              ;   in Loop: Header=BB281_4 Depth=1
	s_or_b64 exec, exec, s[2:3]
	v_mov_b32_e32 v2, s27
	v_add_co_u32_e32 v1, vcc, s26, v28
	v_addc_co_u32_e32 v2, vcc, v29, v2, vcc
	v_cmp_gt_u64_e64 s[2:3], s[24:25], v[1:2]
	v_mov_b32_e32 v17, 0
	v_mov_b32_e32 v18, 0
	s_and_saveexec_b64 s[6:7], s[2:3]
	s_cbranch_execz .LBB281_8
; %bb.7:                                ;   in Loop: Header=BB281_4 Depth=1
	v_mov_b32_e32 v2, s34
	v_add_co_u32_e32 v1, vcc, s33, v32
	v_addc_co_u32_e32 v2, vcc, 0, v2, vcc
	global_load_dwordx4 v[17:20], v[1:2], off
.LBB281_8:                              ;   in Loop: Header=BB281_4 Depth=1
	s_or_b64 exec, exec, s[6:7]
	v_mov_b32_e32 v2, s27
	v_add_co_u32_e32 v1, vcc, s26, v35
	v_addc_co_u32_e32 v2, vcc, v36, v2, vcc
	v_cmp_gt_u64_e64 s[6:7], s[24:25], v[1:2]
	v_mov_b32_e32 v3, 0
	v_mov_b32_e32 v11, 0
	;; [unrolled: 1-line block ×6, first 2 shown]
	s_and_saveexec_b64 s[8:9], s[6:7]
	s_cbranch_execz .LBB281_10
; %bb.9:                                ;   in Loop: Header=BB281_4 Depth=1
	v_mov_b32_e32 v2, s34
	v_add_co_u32_e32 v1, vcc, s33, v34
	v_addc_co_u32_e32 v2, vcc, v2, v33, vcc
	global_load_dwordx4 v[9:12], v[1:2], off offset:-8
.LBB281_10:                             ;   in Loop: Header=BB281_4 Depth=1
	s_or_b64 exec, exec, s[8:9]
	v_mov_b32_e32 v2, s27
	v_add_co_u32_e32 v1, vcc, s26, v30
	v_addc_co_u32_e32 v2, vcc, v31, v2, vcc
	v_cmp_gt_u64_e64 s[8:9], s[24:25], v[1:2]
	v_mov_b32_e32 v1, 0
	v_mov_b32_e32 v2, 0
	s_and_saveexec_b64 s[10:11], s[8:9]
	s_cbranch_execz .LBB281_12
; %bb.11:                               ;   in Loop: Header=BB281_4 Depth=1
	v_mov_b32_e32 v2, s34
	v_add_co_u32_e32 v1, vcc, s33, v22
	v_addc_co_u32_e32 v2, vcc, v2, v23, vcc
	global_load_dwordx4 v[1:4], v[1:2], off offset:-8
.LBB281_12:                             ;   in Loop: Header=BB281_4 Depth=1
	s_or_b64 exec, exec, s[10:11]
	s_waitcnt vmcnt(0)
	v_cmp_gt_f64_e32 vcc, 0, v[13:14]
	v_xor_b32_e32 v5, 0x80000000, v14
	v_mov_b32_e32 v24, v13
	v_mov_b32_e32 v26, v15
	v_cndmask_b32_e32 v25, v14, v5, vcc
	v_cmp_gt_f64_e32 vcc, 0, v[15:16]
	v_xor_b32_e32 v5, 0x80000000, v16
	v_cndmask_b32_e32 v27, v16, v5, vcc
	v_cmp_ge_f64_e32 vcc, v[24:25], v[26:27]
                                        ; implicit-def: $vgpr7_vgpr8
	s_and_saveexec_b64 s[10:11], vcc
	s_xor_b64 s[28:29], exec, s[10:11]
	s_cbranch_execz .LBB281_18
; %bb.13:                               ;   in Loop: Header=BB281_4 Depth=1
	v_cmp_neq_f64_e32 vcc, 0, v[13:14]
	v_cmp_neq_f64_e64 s[10:11], 0, v[15:16]
                                        ; implicit-def: $vgpr7_vgpr8
	s_or_b64 s[10:11], s[10:11], vcc
	s_and_saveexec_b64 s[30:31], s[10:11]
	s_xor_b64 s[10:11], exec, s[30:31]
	s_cbranch_execz .LBB281_15
; %bb.14:                               ;   in Loop: Header=BB281_4 Depth=1
	v_div_scale_f64 v[5:6], s[30:31], v[13:14], v[13:14], v[15:16]
	v_rcp_f64_e32 v[7:8], v[5:6]
	v_fma_f64 v[24:25], -v[5:6], v[7:8], 1.0
	v_fma_f64 v[7:8], v[7:8], v[24:25], v[7:8]
	v_div_scale_f64 v[24:25], vcc, v[15:16], v[13:14], v[15:16]
	v_fma_f64 v[26:27], -v[5:6], v[7:8], 1.0
	v_fma_f64 v[7:8], v[7:8], v[26:27], v[7:8]
	v_mul_f64 v[26:27], v[24:25], v[7:8]
	v_fma_f64 v[5:6], -v[5:6], v[26:27], v[24:25]
	v_div_fmas_f64 v[5:6], v[5:6], v[7:8], v[26:27]
	v_div_fixup_f64 v[5:6], v[5:6], v[13:14], v[15:16]
	v_fma_f64 v[7:8], v[15:16], v[5:6], v[13:14]
	v_div_scale_f64 v[13:14], s[30:31], v[7:8], v[7:8], 1.0
	v_rcp_f64_e32 v[15:16], v[13:14]
	v_fma_f64 v[24:25], -v[13:14], v[15:16], 1.0
	v_fma_f64 v[15:16], v[15:16], v[24:25], v[15:16]
	v_div_scale_f64 v[24:25], vcc, 1.0, v[7:8], 1.0
	v_fma_f64 v[26:27], -v[13:14], v[15:16], 1.0
	v_fma_f64 v[15:16], v[15:16], v[26:27], v[15:16]
	v_mul_f64 v[26:27], v[24:25], v[15:16]
	v_fma_f64 v[13:14], -v[13:14], v[26:27], v[24:25]
	v_mov_b32_e32 v25, s15
	v_mov_b32_e32 v24, s14
	v_div_fmas_f64 v[13:14], v[13:14], v[15:16], v[26:27]
	v_mov_b32_e32 v16, s13
	v_mov_b32_e32 v15, s12
	v_fma_f64 v[15:16], s[14:15], v[5:6], v[15:16]
                                        ; implicit-def: $vgpr26_vgpr27
	v_div_fixup_f64 v[7:8], v[13:14], v[7:8], 1.0
	v_fma_f64 v[13:14], -s[12:13], v[5:6], v[24:25]
                                        ; implicit-def: $vgpr24_vgpr25
	v_mul_f64 v[5:6], v[15:16], v[7:8]
	v_mul_f64 v[7:8], v[13:14], v[7:8]
.LBB281_15:                             ;   in Loop: Header=BB281_4 Depth=1
	s_andn2_saveexec_b64 s[30:31], s[10:11]
	s_cbranch_execz .LBB281_17
; %bb.16:                               ;   in Loop: Header=BB281_4 Depth=1
	v_div_scale_f64 v[5:6], s[10:11], v[24:25], v[24:25], s[12:13]
	v_div_scale_f64 v[7:8], s[10:11], v[26:27], v[26:27], s[14:15]
	;; [unrolled: 1-line block ×3, first 2 shown]
	v_rcp_f64_e32 v[13:14], v[5:6]
	v_rcp_f64_e32 v[15:16], v[7:8]
	v_fma_f64 v[37:38], -v[5:6], v[13:14], 1.0
	v_fma_f64 v[39:40], -v[7:8], v[15:16], 1.0
	v_fma_f64 v[13:14], v[13:14], v[37:38], v[13:14]
	v_div_scale_f64 v[37:38], vcc, s[12:13], v[24:25], s[12:13]
	v_fma_f64 v[15:16], v[15:16], v[39:40], v[15:16]
	v_fma_f64 v[39:40], -v[5:6], v[13:14], 1.0
	v_fma_f64 v[43:44], -v[7:8], v[15:16], 1.0
	v_fma_f64 v[13:14], v[13:14], v[39:40], v[13:14]
	v_fma_f64 v[15:16], v[15:16], v[43:44], v[15:16]
	v_mul_f64 v[39:40], v[37:38], v[13:14]
	v_mul_f64 v[43:44], v[41:42], v[15:16]
	v_fma_f64 v[5:6], -v[5:6], v[39:40], v[37:38]
	v_fma_f64 v[7:8], -v[7:8], v[43:44], v[41:42]
	v_div_fmas_f64 v[5:6], v[5:6], v[13:14], v[39:40]
	s_mov_b64 vcc, s[10:11]
	v_div_fmas_f64 v[7:8], v[7:8], v[15:16], v[43:44]
	v_div_fixup_f64 v[5:6], v[5:6], v[24:25], s[12:13]
	v_div_fixup_f64 v[7:8], v[7:8], v[26:27], s[14:15]
.LBB281_17:                             ;   in Loop: Header=BB281_4 Depth=1
	s_or_b64 exec, exec, s[30:31]
                                        ; implicit-def: $vgpr15_vgpr16
.LBB281_18:                             ;   in Loop: Header=BB281_4 Depth=1
	s_andn2_saveexec_b64 s[10:11], s[28:29]
	s_cbranch_execz .LBB281_20
; %bb.19:                               ;   in Loop: Header=BB281_4 Depth=1
	v_div_scale_f64 v[5:6], s[28:29], v[15:16], v[15:16], v[13:14]
	v_rcp_f64_e32 v[7:8], v[5:6]
	v_fma_f64 v[24:25], -v[5:6], v[7:8], 1.0
	v_fma_f64 v[7:8], v[7:8], v[24:25], v[7:8]
	v_div_scale_f64 v[24:25], vcc, v[13:14], v[15:16], v[13:14]
	v_fma_f64 v[26:27], -v[5:6], v[7:8], 1.0
	v_fma_f64 v[7:8], v[7:8], v[26:27], v[7:8]
	v_mul_f64 v[26:27], v[24:25], v[7:8]
	v_fma_f64 v[5:6], -v[5:6], v[26:27], v[24:25]
	v_div_fmas_f64 v[5:6], v[5:6], v[7:8], v[26:27]
	v_div_fixup_f64 v[5:6], v[5:6], v[15:16], v[13:14]
	v_fma_f64 v[7:8], v[13:14], v[5:6], v[15:16]
	v_div_scale_f64 v[13:14], s[28:29], v[7:8], v[7:8], 1.0
	v_rcp_f64_e32 v[15:16], v[13:14]
	v_fma_f64 v[24:25], -v[13:14], v[15:16], 1.0
	v_fma_f64 v[15:16], v[15:16], v[24:25], v[15:16]
	v_div_scale_f64 v[24:25], vcc, 1.0, v[7:8], 1.0
	v_fma_f64 v[26:27], -v[13:14], v[15:16], 1.0
	v_fma_f64 v[15:16], v[15:16], v[26:27], v[15:16]
	v_mul_f64 v[26:27], v[24:25], v[15:16]
	v_fma_f64 v[13:14], -v[13:14], v[26:27], v[24:25]
	v_mov_b32_e32 v25, s13
	v_mov_b32_e32 v24, s12
	v_div_fmas_f64 v[13:14], v[13:14], v[15:16], v[26:27]
	v_mov_b32_e32 v16, s15
	v_mov_b32_e32 v15, s14
	v_fma_f64 v[15:16], s[12:13], v[5:6], v[15:16]
	v_div_fixup_f64 v[7:8], v[13:14], v[7:8], 1.0
	v_fma_f64 v[13:14], s[14:15], v[5:6], -v[24:25]
	v_mul_f64 v[5:6], v[15:16], v[7:8]
	v_mul_f64 v[7:8], v[13:14], v[7:8]
.LBB281_20:                             ;   in Loop: Header=BB281_4 Depth=1
	s_or_b64 exec, exec, s[10:11]
	v_cmp_gt_f64_e32 vcc, 0, v[17:18]
	v_xor_b32_e32 v13, 0x80000000, v18
	v_mov_b32_e32 v24, v17
	v_mov_b32_e32 v26, v19
	v_cndmask_b32_e32 v25, v18, v13, vcc
	v_cmp_gt_f64_e32 vcc, 0, v[19:20]
	v_xor_b32_e32 v13, 0x80000000, v20
	v_cndmask_b32_e32 v27, v20, v13, vcc
	v_cmp_ge_f64_e32 vcc, v[24:25], v[26:27]
                                        ; implicit-def: $vgpr15_vgpr16
	s_and_saveexec_b64 s[10:11], vcc
	s_xor_b64 s[28:29], exec, s[10:11]
	s_cbranch_execz .LBB281_26
; %bb.21:                               ;   in Loop: Header=BB281_4 Depth=1
	v_cmp_neq_f64_e32 vcc, 0, v[17:18]
	v_cmp_neq_f64_e64 s[10:11], 0, v[19:20]
                                        ; implicit-def: $vgpr15_vgpr16
	s_or_b64 s[10:11], s[10:11], vcc
	s_and_saveexec_b64 s[30:31], s[10:11]
	s_xor_b64 s[10:11], exec, s[30:31]
	s_cbranch_execz .LBB281_23
; %bb.22:                               ;   in Loop: Header=BB281_4 Depth=1
	v_div_scale_f64 v[13:14], s[30:31], v[17:18], v[17:18], v[19:20]
	v_rcp_f64_e32 v[15:16], v[13:14]
	v_fma_f64 v[24:25], -v[13:14], v[15:16], 1.0
	v_fma_f64 v[15:16], v[15:16], v[24:25], v[15:16]
	v_div_scale_f64 v[24:25], vcc, v[19:20], v[17:18], v[19:20]
	v_fma_f64 v[26:27], -v[13:14], v[15:16], 1.0
	v_fma_f64 v[15:16], v[15:16], v[26:27], v[15:16]
	v_mul_f64 v[26:27], v[24:25], v[15:16]
	v_fma_f64 v[13:14], -v[13:14], v[26:27], v[24:25]
	v_div_fmas_f64 v[13:14], v[13:14], v[15:16], v[26:27]
	v_div_fixup_f64 v[13:14], v[13:14], v[17:18], v[19:20]
	v_fma_f64 v[15:16], v[19:20], v[13:14], v[17:18]
	v_div_scale_f64 v[17:18], s[30:31], v[15:16], v[15:16], 1.0
	v_rcp_f64_e32 v[19:20], v[17:18]
	v_fma_f64 v[24:25], -v[17:18], v[19:20], 1.0
	v_fma_f64 v[19:20], v[19:20], v[24:25], v[19:20]
	v_div_scale_f64 v[24:25], vcc, 1.0, v[15:16], 1.0
	v_fma_f64 v[26:27], -v[17:18], v[19:20], 1.0
	v_fma_f64 v[19:20], v[19:20], v[26:27], v[19:20]
	v_mul_f64 v[26:27], v[24:25], v[19:20]
	v_fma_f64 v[17:18], -v[17:18], v[26:27], v[24:25]
	v_mov_b32_e32 v25, s15
	v_mov_b32_e32 v24, s14
	v_div_fmas_f64 v[17:18], v[17:18], v[19:20], v[26:27]
	v_mov_b32_e32 v20, s13
	v_mov_b32_e32 v19, s12
	v_fma_f64 v[19:20], s[14:15], v[13:14], v[19:20]
                                        ; implicit-def: $vgpr26_vgpr27
	v_div_fixup_f64 v[15:16], v[17:18], v[15:16], 1.0
	v_fma_f64 v[17:18], -s[12:13], v[13:14], v[24:25]
                                        ; implicit-def: $vgpr24_vgpr25
	v_mul_f64 v[13:14], v[19:20], v[15:16]
	v_mul_f64 v[15:16], v[17:18], v[15:16]
.LBB281_23:                             ;   in Loop: Header=BB281_4 Depth=1
	s_andn2_saveexec_b64 s[30:31], s[10:11]
	s_cbranch_execz .LBB281_25
; %bb.24:                               ;   in Loop: Header=BB281_4 Depth=1
	v_div_scale_f64 v[13:14], s[10:11], v[24:25], v[24:25], s[12:13]
	v_div_scale_f64 v[15:16], s[10:11], v[26:27], v[26:27], s[14:15]
	;; [unrolled: 1-line block ×3, first 2 shown]
	v_rcp_f64_e32 v[17:18], v[13:14]
	v_rcp_f64_e32 v[19:20], v[15:16]
	v_fma_f64 v[37:38], -v[13:14], v[17:18], 1.0
	v_fma_f64 v[39:40], -v[15:16], v[19:20], 1.0
	v_fma_f64 v[17:18], v[17:18], v[37:38], v[17:18]
	v_div_scale_f64 v[37:38], vcc, s[12:13], v[24:25], s[12:13]
	v_fma_f64 v[19:20], v[19:20], v[39:40], v[19:20]
	v_fma_f64 v[39:40], -v[13:14], v[17:18], 1.0
	v_fma_f64 v[43:44], -v[15:16], v[19:20], 1.0
	v_fma_f64 v[17:18], v[17:18], v[39:40], v[17:18]
	v_fma_f64 v[19:20], v[19:20], v[43:44], v[19:20]
	v_mul_f64 v[39:40], v[37:38], v[17:18]
	v_mul_f64 v[43:44], v[41:42], v[19:20]
	v_fma_f64 v[13:14], -v[13:14], v[39:40], v[37:38]
	v_fma_f64 v[15:16], -v[15:16], v[43:44], v[41:42]
	v_div_fmas_f64 v[13:14], v[13:14], v[17:18], v[39:40]
	s_mov_b64 vcc, s[10:11]
	v_div_fmas_f64 v[15:16], v[15:16], v[19:20], v[43:44]
	v_div_fixup_f64 v[13:14], v[13:14], v[24:25], s[12:13]
	v_div_fixup_f64 v[15:16], v[15:16], v[26:27], s[14:15]
.LBB281_25:                             ;   in Loop: Header=BB281_4 Depth=1
	s_or_b64 exec, exec, s[30:31]
                                        ; implicit-def: $vgpr19_vgpr20
.LBB281_26:                             ;   in Loop: Header=BB281_4 Depth=1
	s_andn2_saveexec_b64 s[10:11], s[28:29]
	s_cbranch_execz .LBB281_28
; %bb.27:                               ;   in Loop: Header=BB281_4 Depth=1
	v_div_scale_f64 v[13:14], s[28:29], v[19:20], v[19:20], v[17:18]
	v_rcp_f64_e32 v[15:16], v[13:14]
	v_fma_f64 v[24:25], -v[13:14], v[15:16], 1.0
	v_fma_f64 v[15:16], v[15:16], v[24:25], v[15:16]
	v_div_scale_f64 v[24:25], vcc, v[17:18], v[19:20], v[17:18]
	v_fma_f64 v[26:27], -v[13:14], v[15:16], 1.0
	v_fma_f64 v[15:16], v[15:16], v[26:27], v[15:16]
	v_mul_f64 v[26:27], v[24:25], v[15:16]
	v_fma_f64 v[13:14], -v[13:14], v[26:27], v[24:25]
	v_div_fmas_f64 v[13:14], v[13:14], v[15:16], v[26:27]
	v_div_fixup_f64 v[13:14], v[13:14], v[19:20], v[17:18]
	v_fma_f64 v[15:16], v[17:18], v[13:14], v[19:20]
	v_div_scale_f64 v[17:18], s[28:29], v[15:16], v[15:16], 1.0
	v_rcp_f64_e32 v[19:20], v[17:18]
	v_fma_f64 v[24:25], -v[17:18], v[19:20], 1.0
	v_fma_f64 v[19:20], v[19:20], v[24:25], v[19:20]
	v_div_scale_f64 v[24:25], vcc, 1.0, v[15:16], 1.0
	v_fma_f64 v[26:27], -v[17:18], v[19:20], 1.0
	v_fma_f64 v[19:20], v[19:20], v[26:27], v[19:20]
	v_mul_f64 v[26:27], v[24:25], v[19:20]
	v_fma_f64 v[17:18], -v[17:18], v[26:27], v[24:25]
	v_mov_b32_e32 v25, s13
	v_mov_b32_e32 v24, s12
	v_div_fmas_f64 v[17:18], v[17:18], v[19:20], v[26:27]
	v_mov_b32_e32 v20, s15
	v_mov_b32_e32 v19, s14
	v_fma_f64 v[19:20], s[12:13], v[13:14], v[19:20]
	v_div_fixup_f64 v[15:16], v[17:18], v[15:16], 1.0
	v_fma_f64 v[17:18], s[14:15], v[13:14], -v[24:25]
	v_mul_f64 v[13:14], v[19:20], v[15:16]
	v_mul_f64 v[15:16], v[17:18], v[15:16]
.LBB281_28:                             ;   in Loop: Header=BB281_4 Depth=1
	s_or_b64 exec, exec, s[10:11]
	v_cmp_gt_f64_e32 vcc, 0, v[9:10]
	v_xor_b32_e32 v17, 0x80000000, v10
	v_mov_b32_e32 v24, v9
	v_mov_b32_e32 v26, v11
	v_cndmask_b32_e32 v25, v10, v17, vcc
	v_cmp_gt_f64_e32 vcc, 0, v[11:12]
	v_xor_b32_e32 v17, 0x80000000, v12
	v_cndmask_b32_e32 v27, v12, v17, vcc
	v_cmp_ge_f64_e32 vcc, v[24:25], v[26:27]
                                        ; implicit-def: $vgpr19_vgpr20
	s_and_saveexec_b64 s[10:11], vcc
	s_xor_b64 s[28:29], exec, s[10:11]
	s_cbranch_execz .LBB281_34
; %bb.29:                               ;   in Loop: Header=BB281_4 Depth=1
	v_cmp_neq_f64_e32 vcc, 0, v[9:10]
	v_cmp_neq_f64_e64 s[10:11], 0, v[11:12]
                                        ; implicit-def: $vgpr19_vgpr20
	s_or_b64 s[10:11], s[10:11], vcc
	s_and_saveexec_b64 s[30:31], s[10:11]
	s_xor_b64 s[10:11], exec, s[30:31]
	s_cbranch_execz .LBB281_31
; %bb.30:                               ;   in Loop: Header=BB281_4 Depth=1
	v_div_scale_f64 v[17:18], s[30:31], v[9:10], v[9:10], v[11:12]
	v_rcp_f64_e32 v[19:20], v[17:18]
	v_fma_f64 v[24:25], -v[17:18], v[19:20], 1.0
	v_fma_f64 v[19:20], v[19:20], v[24:25], v[19:20]
	v_div_scale_f64 v[24:25], vcc, v[11:12], v[9:10], v[11:12]
	v_fma_f64 v[26:27], -v[17:18], v[19:20], 1.0
	v_fma_f64 v[19:20], v[19:20], v[26:27], v[19:20]
	v_mul_f64 v[26:27], v[24:25], v[19:20]
	v_fma_f64 v[17:18], -v[17:18], v[26:27], v[24:25]
	v_div_fmas_f64 v[17:18], v[17:18], v[19:20], v[26:27]
	v_div_fixup_f64 v[17:18], v[17:18], v[9:10], v[11:12]
	v_fma_f64 v[9:10], v[11:12], v[17:18], v[9:10]
	v_div_scale_f64 v[11:12], s[30:31], v[9:10], v[9:10], 1.0
	v_rcp_f64_e32 v[19:20], v[11:12]
	v_fma_f64 v[24:25], -v[11:12], v[19:20], 1.0
	v_fma_f64 v[19:20], v[19:20], v[24:25], v[19:20]
	v_div_scale_f64 v[24:25], vcc, 1.0, v[9:10], 1.0
	v_fma_f64 v[26:27], -v[11:12], v[19:20], 1.0
	v_fma_f64 v[19:20], v[19:20], v[26:27], v[19:20]
	v_mul_f64 v[26:27], v[24:25], v[19:20]
	v_fma_f64 v[11:12], -v[11:12], v[26:27], v[24:25]
	v_mov_b32_e32 v25, s15
	v_mov_b32_e32 v24, s14
	v_div_fmas_f64 v[11:12], v[11:12], v[19:20], v[26:27]
	v_mov_b32_e32 v20, s13
	v_mov_b32_e32 v19, s12
	v_fma_f64 v[19:20], s[14:15], v[17:18], v[19:20]
                                        ; implicit-def: $vgpr26_vgpr27
	v_div_fixup_f64 v[9:10], v[11:12], v[9:10], 1.0
	v_fma_f64 v[11:12], -s[12:13], v[17:18], v[24:25]
                                        ; implicit-def: $vgpr24_vgpr25
	v_mul_f64 v[17:18], v[19:20], v[9:10]
	v_mul_f64 v[19:20], v[11:12], v[9:10]
.LBB281_31:                             ;   in Loop: Header=BB281_4 Depth=1
	s_andn2_saveexec_b64 s[30:31], s[10:11]
	s_cbranch_execz .LBB281_33
; %bb.32:                               ;   in Loop: Header=BB281_4 Depth=1
	v_div_scale_f64 v[9:10], s[10:11], v[24:25], v[24:25], s[12:13]
	v_div_scale_f64 v[11:12], s[10:11], v[26:27], v[26:27], s[14:15]
	;; [unrolled: 1-line block ×3, first 2 shown]
	v_rcp_f64_e32 v[17:18], v[9:10]
	v_rcp_f64_e32 v[19:20], v[11:12]
	v_fma_f64 v[37:38], -v[9:10], v[17:18], 1.0
	v_fma_f64 v[39:40], -v[11:12], v[19:20], 1.0
	v_fma_f64 v[17:18], v[17:18], v[37:38], v[17:18]
	v_div_scale_f64 v[37:38], vcc, s[12:13], v[24:25], s[12:13]
	v_fma_f64 v[19:20], v[19:20], v[39:40], v[19:20]
	v_fma_f64 v[39:40], -v[9:10], v[17:18], 1.0
	v_fma_f64 v[43:44], -v[11:12], v[19:20], 1.0
	v_fma_f64 v[17:18], v[17:18], v[39:40], v[17:18]
	v_fma_f64 v[19:20], v[19:20], v[43:44], v[19:20]
	v_mul_f64 v[39:40], v[37:38], v[17:18]
	v_mul_f64 v[43:44], v[41:42], v[19:20]
	v_fma_f64 v[9:10], -v[9:10], v[39:40], v[37:38]
	v_fma_f64 v[11:12], -v[11:12], v[43:44], v[41:42]
	v_div_fmas_f64 v[9:10], v[9:10], v[17:18], v[39:40]
	s_mov_b64 vcc, s[10:11]
	v_div_fmas_f64 v[11:12], v[11:12], v[19:20], v[43:44]
	v_div_fixup_f64 v[17:18], v[9:10], v[24:25], s[12:13]
	v_div_fixup_f64 v[19:20], v[11:12], v[26:27], s[14:15]
.LBB281_33:                             ;   in Loop: Header=BB281_4 Depth=1
	s_or_b64 exec, exec, s[30:31]
                                        ; implicit-def: $vgpr11_vgpr12
.LBB281_34:                             ;   in Loop: Header=BB281_4 Depth=1
	s_andn2_saveexec_b64 s[10:11], s[28:29]
	s_cbranch_execz .LBB281_36
; %bb.35:                               ;   in Loop: Header=BB281_4 Depth=1
	v_div_scale_f64 v[17:18], s[28:29], v[11:12], v[11:12], v[9:10]
	v_rcp_f64_e32 v[19:20], v[17:18]
	v_fma_f64 v[24:25], -v[17:18], v[19:20], 1.0
	v_fma_f64 v[19:20], v[19:20], v[24:25], v[19:20]
	v_div_scale_f64 v[24:25], vcc, v[9:10], v[11:12], v[9:10]
	v_fma_f64 v[26:27], -v[17:18], v[19:20], 1.0
	v_fma_f64 v[19:20], v[19:20], v[26:27], v[19:20]
	v_mul_f64 v[26:27], v[24:25], v[19:20]
	v_fma_f64 v[17:18], -v[17:18], v[26:27], v[24:25]
	v_div_fmas_f64 v[17:18], v[17:18], v[19:20], v[26:27]
	v_div_fixup_f64 v[17:18], v[17:18], v[11:12], v[9:10]
	v_fma_f64 v[9:10], v[9:10], v[17:18], v[11:12]
	v_div_scale_f64 v[11:12], s[28:29], v[9:10], v[9:10], 1.0
	v_rcp_f64_e32 v[19:20], v[11:12]
	v_fma_f64 v[24:25], -v[11:12], v[19:20], 1.0
	v_fma_f64 v[19:20], v[19:20], v[24:25], v[19:20]
	v_div_scale_f64 v[24:25], vcc, 1.0, v[9:10], 1.0
	v_fma_f64 v[26:27], -v[11:12], v[19:20], 1.0
	v_fma_f64 v[19:20], v[19:20], v[26:27], v[19:20]
	v_mul_f64 v[26:27], v[24:25], v[19:20]
	v_fma_f64 v[11:12], -v[11:12], v[26:27], v[24:25]
	v_mov_b32_e32 v25, s13
	v_mov_b32_e32 v24, s12
	v_div_fmas_f64 v[11:12], v[11:12], v[19:20], v[26:27]
	v_mov_b32_e32 v20, s15
	v_mov_b32_e32 v19, s14
	v_fma_f64 v[19:20], s[12:13], v[17:18], v[19:20]
	v_div_fixup_f64 v[9:10], v[11:12], v[9:10], 1.0
	v_fma_f64 v[11:12], s[14:15], v[17:18], -v[24:25]
	v_mul_f64 v[17:18], v[19:20], v[9:10]
	v_mul_f64 v[19:20], v[11:12], v[9:10]
.LBB281_36:                             ;   in Loop: Header=BB281_4 Depth=1
	s_or_b64 exec, exec, s[10:11]
	v_cmp_gt_f64_e32 vcc, 0, v[1:2]
	v_xor_b32_e32 v9, 0x80000000, v2
	v_mov_b32_e32 v24, v1
	v_mov_b32_e32 v26, v3
	v_cndmask_b32_e32 v25, v2, v9, vcc
	v_cmp_gt_f64_e32 vcc, 0, v[3:4]
	v_xor_b32_e32 v9, 0x80000000, v4
	v_cndmask_b32_e32 v27, v4, v9, vcc
	v_cmp_ge_f64_e32 vcc, v[24:25], v[26:27]
                                        ; implicit-def: $vgpr11_vgpr12
	s_and_saveexec_b64 s[10:11], vcc
	s_xor_b64 s[28:29], exec, s[10:11]
	s_cbranch_execnz .LBB281_42
; %bb.37:                               ;   in Loop: Header=BB281_4 Depth=1
	s_andn2_saveexec_b64 s[10:11], s[28:29]
	s_cbranch_execnz .LBB281_47
.LBB281_38:                             ;   in Loop: Header=BB281_4 Depth=1
	s_or_b64 exec, exec, s[10:11]
	s_and_saveexec_b64 s[10:11], s[0:1]
	s_xor_b64 s[0:1], exec, s[10:11]
	s_cbranch_execnz .LBB281_48
.LBB281_39:                             ;   in Loop: Header=BB281_4 Depth=1
	s_or_b64 exec, exec, s[0:1]
	s_and_saveexec_b64 s[0:1], s[2:3]
	s_cbranch_execnz .LBB281_49
.LBB281_40:                             ;   in Loop: Header=BB281_4 Depth=1
	s_or_b64 exec, exec, s[0:1]
	s_and_saveexec_b64 s[0:1], s[6:7]
	s_cbranch_execnz .LBB281_50
.LBB281_41:                             ;   in Loop: Header=BB281_4 Depth=1
	s_or_b64 exec, exec, s[0:1]
	s_and_saveexec_b64 s[0:1], s[8:9]
	s_cbranch_execz .LBB281_3
	s_branch .LBB281_51
.LBB281_42:                             ;   in Loop: Header=BB281_4 Depth=1
	v_cmp_neq_f64_e32 vcc, 0, v[1:2]
	v_cmp_neq_f64_e64 s[10:11], 0, v[3:4]
                                        ; implicit-def: $vgpr11_vgpr12
	s_or_b64 s[10:11], s[10:11], vcc
	s_and_saveexec_b64 s[30:31], s[10:11]
	s_xor_b64 s[10:11], exec, s[30:31]
	s_cbranch_execz .LBB281_44
; %bb.43:                               ;   in Loop: Header=BB281_4 Depth=1
	v_div_scale_f64 v[9:10], s[30:31], v[1:2], v[1:2], v[3:4]
	v_rcp_f64_e32 v[11:12], v[9:10]
	v_fma_f64 v[24:25], -v[9:10], v[11:12], 1.0
	v_fma_f64 v[11:12], v[11:12], v[24:25], v[11:12]
	v_div_scale_f64 v[24:25], vcc, v[3:4], v[1:2], v[3:4]
	v_fma_f64 v[26:27], -v[9:10], v[11:12], 1.0
	v_fma_f64 v[11:12], v[11:12], v[26:27], v[11:12]
	v_mul_f64 v[26:27], v[24:25], v[11:12]
	v_fma_f64 v[9:10], -v[9:10], v[26:27], v[24:25]
	v_div_fmas_f64 v[9:10], v[9:10], v[11:12], v[26:27]
	v_div_fixup_f64 v[9:10], v[9:10], v[1:2], v[3:4]
	v_fma_f64 v[1:2], v[3:4], v[9:10], v[1:2]
	v_div_scale_f64 v[3:4], s[30:31], v[1:2], v[1:2], 1.0
	v_rcp_f64_e32 v[11:12], v[3:4]
	v_fma_f64 v[24:25], -v[3:4], v[11:12], 1.0
	v_fma_f64 v[11:12], v[11:12], v[24:25], v[11:12]
	v_div_scale_f64 v[24:25], vcc, 1.0, v[1:2], 1.0
	v_fma_f64 v[26:27], -v[3:4], v[11:12], 1.0
	v_fma_f64 v[11:12], v[11:12], v[26:27], v[11:12]
	v_mul_f64 v[26:27], v[24:25], v[11:12]
	v_fma_f64 v[3:4], -v[3:4], v[26:27], v[24:25]
	v_mov_b32_e32 v25, s15
	v_mov_b32_e32 v24, s14
	v_div_fmas_f64 v[3:4], v[3:4], v[11:12], v[26:27]
	v_mov_b32_e32 v11, s12
	v_mov_b32_e32 v12, s13
	v_fma_f64 v[11:12], s[14:15], v[9:10], v[11:12]
                                        ; implicit-def: $vgpr26_vgpr27
	v_div_fixup_f64 v[1:2], v[3:4], v[1:2], 1.0
	v_fma_f64 v[3:4], -s[12:13], v[9:10], v[24:25]
                                        ; implicit-def: $vgpr24_vgpr25
	v_mul_f64 v[9:10], v[11:12], v[1:2]
	v_mul_f64 v[11:12], v[3:4], v[1:2]
.LBB281_44:                             ;   in Loop: Header=BB281_4 Depth=1
	s_andn2_saveexec_b64 s[30:31], s[10:11]
	s_cbranch_execz .LBB281_46
; %bb.45:                               ;   in Loop: Header=BB281_4 Depth=1
	v_div_scale_f64 v[1:2], s[10:11], v[24:25], v[24:25], s[12:13]
	v_div_scale_f64 v[3:4], s[10:11], v[26:27], v[26:27], s[14:15]
	;; [unrolled: 1-line block ×3, first 2 shown]
	v_rcp_f64_e32 v[9:10], v[1:2]
	v_rcp_f64_e32 v[11:12], v[3:4]
	v_fma_f64 v[37:38], -v[1:2], v[9:10], 1.0
	v_fma_f64 v[39:40], -v[3:4], v[11:12], 1.0
	v_fma_f64 v[9:10], v[9:10], v[37:38], v[9:10]
	v_div_scale_f64 v[37:38], vcc, s[12:13], v[24:25], s[12:13]
	v_fma_f64 v[11:12], v[11:12], v[39:40], v[11:12]
	v_fma_f64 v[39:40], -v[1:2], v[9:10], 1.0
	v_fma_f64 v[43:44], -v[3:4], v[11:12], 1.0
	v_fma_f64 v[9:10], v[9:10], v[39:40], v[9:10]
	v_fma_f64 v[11:12], v[11:12], v[43:44], v[11:12]
	v_mul_f64 v[39:40], v[37:38], v[9:10]
	v_mul_f64 v[43:44], v[41:42], v[11:12]
	v_fma_f64 v[1:2], -v[1:2], v[39:40], v[37:38]
	v_fma_f64 v[3:4], -v[3:4], v[43:44], v[41:42]
	v_div_fmas_f64 v[1:2], v[1:2], v[9:10], v[39:40]
	s_mov_b64 vcc, s[10:11]
	v_div_fmas_f64 v[3:4], v[3:4], v[11:12], v[43:44]
	v_div_fixup_f64 v[9:10], v[1:2], v[24:25], s[12:13]
	v_div_fixup_f64 v[11:12], v[3:4], v[26:27], s[14:15]
.LBB281_46:                             ;   in Loop: Header=BB281_4 Depth=1
	s_or_b64 exec, exec, s[30:31]
                                        ; implicit-def: $vgpr3_vgpr4
	s_andn2_saveexec_b64 s[10:11], s[28:29]
	s_cbranch_execz .LBB281_38
.LBB281_47:                             ;   in Loop: Header=BB281_4 Depth=1
	v_div_scale_f64 v[9:10], s[28:29], v[3:4], v[3:4], v[1:2]
	v_rcp_f64_e32 v[11:12], v[9:10]
	v_fma_f64 v[24:25], -v[9:10], v[11:12], 1.0
	v_fma_f64 v[11:12], v[11:12], v[24:25], v[11:12]
	v_div_scale_f64 v[24:25], vcc, v[1:2], v[3:4], v[1:2]
	v_fma_f64 v[26:27], -v[9:10], v[11:12], 1.0
	v_fma_f64 v[11:12], v[11:12], v[26:27], v[11:12]
	v_mul_f64 v[26:27], v[24:25], v[11:12]
	v_fma_f64 v[9:10], -v[9:10], v[26:27], v[24:25]
	v_div_fmas_f64 v[9:10], v[9:10], v[11:12], v[26:27]
	v_div_fixup_f64 v[9:10], v[9:10], v[3:4], v[1:2]
	v_fma_f64 v[1:2], v[1:2], v[9:10], v[3:4]
	v_div_scale_f64 v[3:4], s[28:29], v[1:2], v[1:2], 1.0
	v_rcp_f64_e32 v[11:12], v[3:4]
	v_fma_f64 v[24:25], -v[3:4], v[11:12], 1.0
	v_fma_f64 v[11:12], v[11:12], v[24:25], v[11:12]
	v_div_scale_f64 v[24:25], vcc, 1.0, v[1:2], 1.0
	v_fma_f64 v[26:27], -v[3:4], v[11:12], 1.0
	v_fma_f64 v[11:12], v[11:12], v[26:27], v[11:12]
	v_mul_f64 v[26:27], v[24:25], v[11:12]
	v_fma_f64 v[3:4], -v[3:4], v[26:27], v[24:25]
	v_mov_b32_e32 v25, s13
	v_mov_b32_e32 v24, s12
	v_div_fmas_f64 v[3:4], v[3:4], v[11:12], v[26:27]
	v_mov_b32_e32 v11, s14
	v_mov_b32_e32 v12, s15
	v_fma_f64 v[11:12], s[12:13], v[9:10], v[11:12]
	v_div_fixup_f64 v[1:2], v[3:4], v[1:2], 1.0
	v_fma_f64 v[3:4], s[14:15], v[9:10], -v[24:25]
	v_mul_f64 v[9:10], v[11:12], v[1:2]
	v_mul_f64 v[11:12], v[3:4], v[1:2]
	s_or_b64 exec, exec, s[10:11]
	s_and_saveexec_b64 s[10:11], s[0:1]
	s_xor_b64 s[0:1], exec, s[10:11]
	s_cbranch_execz .LBB281_39
.LBB281_48:                             ;   in Loop: Header=BB281_4 Depth=1
	v_mov_b32_e32 v2, s34
	v_add_co_u32_e32 v1, vcc, s33, v21
	v_addc_co_u32_e32 v2, vcc, 0, v2, vcc
	global_store_dwordx4 v[1:2], v[5:8], off
	s_or_b64 exec, exec, s[0:1]
	s_and_saveexec_b64 s[0:1], s[2:3]
	s_cbranch_execz .LBB281_40
.LBB281_49:                             ;   in Loop: Header=BB281_4 Depth=1
	v_mov_b32_e32 v2, s34
	v_add_co_u32_e32 v1, vcc, s33, v32
	v_addc_co_u32_e32 v2, vcc, 0, v2, vcc
	global_store_dwordx4 v[1:2], v[13:16], off
	s_or_b64 exec, exec, s[0:1]
	s_and_saveexec_b64 s[0:1], s[6:7]
	s_cbranch_execz .LBB281_41
.LBB281_50:                             ;   in Loop: Header=BB281_4 Depth=1
	v_mov_b32_e32 v2, s34
	v_add_co_u32_e32 v1, vcc, s33, v34
	v_addc_co_u32_e32 v2, vcc, v2, v33, vcc
	global_store_dwordx4 v[1:2], v[17:20], off offset:-8
	s_or_b64 exec, exec, s[0:1]
	s_and_saveexec_b64 s[0:1], s[8:9]
	s_cbranch_execz .LBB281_3
.LBB281_51:                             ;   in Loop: Header=BB281_4 Depth=1
	v_mov_b32_e32 v2, s34
	v_add_co_u32_e32 v1, vcc, s33, v22
	v_addc_co_u32_e32 v2, vcc, v2, v23, vcc
	global_store_dwordx4 v[1:2], v[9:12], off offset:-8
	s_branch .LBB281_3
.LBB281_52:
	s_cbranch_execz .LBB281_54
	s_branch .LBB281_89
.LBB281_53:
.LBB281_54:
	v_mov_b32_e32 v1, 0x10000
	v_mov_b32_e32 v2, 0
	v_cmp_lt_i64_e32 vcc, s[20:21], v[1:2]
	v_mov_b32_e32 v2, 0
	s_and_b64 s[0:1], vcc, exec
	s_cselect_b32 s3, s21, 0
	s_cselect_b32 s2, s20, 0x10000
	v_lshlrev_b32_e32 v1, 2, v0
	v_cmp_gt_i64_e32 vcc, s[2:3], v[1:2]
	s_and_saveexec_b64 s[0:1], vcc
	s_cbranch_execz .LBB281_89
; %bb.55:
	s_load_dword s0, s[4:5], 0xd4c
	v_mov_b32_e32 v1, v2
	v_lshlrev_b32_e32 v2, 6, v0
	s_mov_b64 s[4:5], 0
	s_waitcnt lgkmcnt(0)
	s_and_b32 s10, s0, 0xffff
	s_add_u32 s0, s16, s18
	s_addc_u32 s1, s17, s19
	v_mov_b32_e32 v3, s1
	v_add_co_u32_e32 v22, vcc, s0, v2
	v_addc_co_u32_e32 v23, vcc, 0, v3, vcc
	s_lshl_b32 s11, s10, 6
	s_branch .LBB281_57
.LBB281_56:                             ;   in Loop: Header=BB281_57 Depth=1
	s_or_b64 exec, exec, s[0:1]
	v_add_co_u32_e32 v0, vcc, s10, v0
	v_addc_co_u32_e32 v1, vcc, 0, v1, vcc
	v_lshlrev_b64 v[2:3], 2, v[0:1]
	global_store_dwordx4 v[22:23], v[6:9], off
	global_store_dwordx4 v[22:23], v[14:17], off offset:16
	v_cmp_le_i64_e32 vcc, s[2:3], v[2:3]
	global_store_dwordx4 v[22:23], v[18:21], off offset:32
	global_store_dwordx4 v[22:23], v[10:13], off offset:48
	s_or_b64 s[4:5], vcc, s[4:5]
	v_add_co_u32_e32 v22, vcc, s11, v22
	v_addc_co_u32_e32 v23, vcc, 0, v23, vcc
	s_andn2_b64 exec, exec, s[4:5]
	s_cbranch_execz .LBB281_89
.LBB281_57:                             ; =>This Inner Loop Header: Depth=1
	global_load_dwordx4 v[14:17], v[22:23], off
	global_load_dwordx4 v[18:21], v[22:23], off offset:16
	global_load_dwordx4 v[2:5], v[22:23], off offset:48
	;; [unrolled: 1-line block ×3, first 2 shown]
	s_waitcnt vmcnt(3)
	v_cmp_gt_f64_e32 vcc, 0, v[14:15]
	v_xor_b32_e32 v6, 0x80000000, v15
	v_xor_b32_e32 v7, 0x80000000, v17
	v_mov_b32_e32 v24, v14
	v_mov_b32_e32 v26, v16
	v_cndmask_b32_e32 v25, v15, v6, vcc
	v_cmp_gt_f64_e32 vcc, 0, v[16:17]
	v_cndmask_b32_e32 v27, v17, v7, vcc
	v_cmp_ge_f64_e32 vcc, v[24:25], v[26:27]
                                        ; implicit-def: $vgpr8_vgpr9
	s_and_saveexec_b64 s[0:1], vcc
	s_xor_b64 s[6:7], exec, s[0:1]
	s_cbranch_execz .LBB281_63
; %bb.58:                               ;   in Loop: Header=BB281_57 Depth=1
	v_cmp_neq_f64_e32 vcc, 0, v[14:15]
	v_cmp_neq_f64_e64 s[0:1], 0, v[16:17]
                                        ; implicit-def: $vgpr8_vgpr9
	s_or_b64 s[0:1], vcc, s[0:1]
	s_and_saveexec_b64 s[8:9], s[0:1]
	s_xor_b64 s[0:1], exec, s[8:9]
	s_cbranch_execz .LBB281_60
; %bb.59:                               ;   in Loop: Header=BB281_57 Depth=1
	v_div_scale_f64 v[6:7], s[8:9], v[14:15], v[14:15], v[16:17]
	v_rcp_f64_e32 v[8:9], v[6:7]
	v_fma_f64 v[24:25], -v[6:7], v[8:9], 1.0
	v_fma_f64 v[8:9], v[8:9], v[24:25], v[8:9]
	v_div_scale_f64 v[24:25], vcc, v[16:17], v[14:15], v[16:17]
	v_fma_f64 v[26:27], -v[6:7], v[8:9], 1.0
	v_fma_f64 v[8:9], v[8:9], v[26:27], v[8:9]
	v_mul_f64 v[26:27], v[24:25], v[8:9]
	v_fma_f64 v[6:7], -v[6:7], v[26:27], v[24:25]
	v_div_fmas_f64 v[6:7], v[6:7], v[8:9], v[26:27]
	v_div_fixup_f64 v[6:7], v[6:7], v[14:15], v[16:17]
	v_fma_f64 v[8:9], v[16:17], v[6:7], v[14:15]
	v_div_scale_f64 v[14:15], s[8:9], v[8:9], v[8:9], 1.0
	v_rcp_f64_e32 v[16:17], v[14:15]
	v_fma_f64 v[24:25], -v[14:15], v[16:17], 1.0
	v_fma_f64 v[16:17], v[16:17], v[24:25], v[16:17]
	v_div_scale_f64 v[24:25], vcc, 1.0, v[8:9], 1.0
	v_fma_f64 v[26:27], -v[14:15], v[16:17], 1.0
	v_fma_f64 v[16:17], v[16:17], v[26:27], v[16:17]
	v_mul_f64 v[26:27], v[24:25], v[16:17]
	v_fma_f64 v[14:15], -v[14:15], v[26:27], v[24:25]
	v_mov_b32_e32 v25, s15
	v_mov_b32_e32 v24, s14
	v_div_fmas_f64 v[14:15], v[14:15], v[16:17], v[26:27]
	v_mov_b32_e32 v17, s13
	v_mov_b32_e32 v16, s12
	v_fma_f64 v[16:17], s[14:15], v[6:7], v[16:17]
                                        ; implicit-def: $vgpr26_vgpr27
	v_div_fixup_f64 v[8:9], v[14:15], v[8:9], 1.0
	v_fma_f64 v[14:15], -s[12:13], v[6:7], v[24:25]
                                        ; implicit-def: $vgpr24_vgpr25
	v_mul_f64 v[6:7], v[16:17], v[8:9]
	v_mul_f64 v[8:9], v[14:15], v[8:9]
.LBB281_60:                             ;   in Loop: Header=BB281_57 Depth=1
	s_andn2_saveexec_b64 s[8:9], s[0:1]
	s_cbranch_execz .LBB281_62
; %bb.61:                               ;   in Loop: Header=BB281_57 Depth=1
	v_div_scale_f64 v[6:7], s[0:1], v[24:25], v[24:25], s[12:13]
	v_div_scale_f64 v[8:9], s[0:1], v[26:27], v[26:27], s[14:15]
	;; [unrolled: 1-line block ×3, first 2 shown]
	v_rcp_f64_e32 v[14:15], v[6:7]
	v_rcp_f64_e32 v[16:17], v[8:9]
	v_fma_f64 v[28:29], -v[6:7], v[14:15], 1.0
	v_fma_f64 v[30:31], -v[8:9], v[16:17], 1.0
	v_fma_f64 v[14:15], v[14:15], v[28:29], v[14:15]
	v_div_scale_f64 v[28:29], vcc, s[12:13], v[24:25], s[12:13]
	v_fma_f64 v[16:17], v[16:17], v[30:31], v[16:17]
	v_fma_f64 v[30:31], -v[6:7], v[14:15], 1.0
	v_fma_f64 v[34:35], -v[8:9], v[16:17], 1.0
	v_fma_f64 v[14:15], v[14:15], v[30:31], v[14:15]
	v_fma_f64 v[16:17], v[16:17], v[34:35], v[16:17]
	v_mul_f64 v[30:31], v[28:29], v[14:15]
	v_mul_f64 v[34:35], v[32:33], v[16:17]
	v_fma_f64 v[6:7], -v[6:7], v[30:31], v[28:29]
	v_fma_f64 v[8:9], -v[8:9], v[34:35], v[32:33]
	v_div_fmas_f64 v[6:7], v[6:7], v[14:15], v[30:31]
	s_mov_b64 vcc, s[0:1]
	v_div_fmas_f64 v[8:9], v[8:9], v[16:17], v[34:35]
	v_div_fixup_f64 v[6:7], v[6:7], v[24:25], s[12:13]
	v_div_fixup_f64 v[8:9], v[8:9], v[26:27], s[14:15]
.LBB281_62:                             ;   in Loop: Header=BB281_57 Depth=1
	s_or_b64 exec, exec, s[8:9]
                                        ; implicit-def: $vgpr16_vgpr17
.LBB281_63:                             ;   in Loop: Header=BB281_57 Depth=1
	s_andn2_saveexec_b64 s[0:1], s[6:7]
	s_cbranch_execz .LBB281_65
; %bb.64:                               ;   in Loop: Header=BB281_57 Depth=1
	v_div_scale_f64 v[6:7], s[6:7], v[16:17], v[16:17], v[14:15]
	v_rcp_f64_e32 v[8:9], v[6:7]
	v_fma_f64 v[24:25], -v[6:7], v[8:9], 1.0
	v_fma_f64 v[8:9], v[8:9], v[24:25], v[8:9]
	v_div_scale_f64 v[24:25], vcc, v[14:15], v[16:17], v[14:15]
	v_fma_f64 v[26:27], -v[6:7], v[8:9], 1.0
	v_fma_f64 v[8:9], v[8:9], v[26:27], v[8:9]
	v_mul_f64 v[26:27], v[24:25], v[8:9]
	v_fma_f64 v[6:7], -v[6:7], v[26:27], v[24:25]
	v_div_fmas_f64 v[6:7], v[6:7], v[8:9], v[26:27]
	v_div_fixup_f64 v[6:7], v[6:7], v[16:17], v[14:15]
	v_fma_f64 v[8:9], v[14:15], v[6:7], v[16:17]
	v_div_scale_f64 v[14:15], s[6:7], v[8:9], v[8:9], 1.0
	v_rcp_f64_e32 v[16:17], v[14:15]
	v_fma_f64 v[24:25], -v[14:15], v[16:17], 1.0
	v_fma_f64 v[16:17], v[16:17], v[24:25], v[16:17]
	v_div_scale_f64 v[24:25], vcc, 1.0, v[8:9], 1.0
	v_fma_f64 v[26:27], -v[14:15], v[16:17], 1.0
	v_fma_f64 v[16:17], v[16:17], v[26:27], v[16:17]
	v_mul_f64 v[26:27], v[24:25], v[16:17]
	v_fma_f64 v[14:15], -v[14:15], v[26:27], v[24:25]
	v_mov_b32_e32 v25, s13
	v_mov_b32_e32 v24, s12
	v_div_fmas_f64 v[14:15], v[14:15], v[16:17], v[26:27]
	v_mov_b32_e32 v17, s15
	v_mov_b32_e32 v16, s14
	v_fma_f64 v[16:17], s[12:13], v[6:7], v[16:17]
	v_div_fixup_f64 v[8:9], v[14:15], v[8:9], 1.0
	v_fma_f64 v[14:15], s[14:15], v[6:7], -v[24:25]
	v_mul_f64 v[6:7], v[16:17], v[8:9]
	v_mul_f64 v[8:9], v[14:15], v[8:9]
.LBB281_65:                             ;   in Loop: Header=BB281_57 Depth=1
	s_or_b64 exec, exec, s[0:1]
	s_waitcnt vmcnt(2)
	v_cmp_gt_f64_e32 vcc, 0, v[18:19]
	v_xor_b32_e32 v14, 0x80000000, v19
	v_mov_b32_e32 v24, v18
	v_mov_b32_e32 v26, v20
	v_cndmask_b32_e32 v25, v19, v14, vcc
	v_cmp_gt_f64_e32 vcc, 0, v[20:21]
	v_xor_b32_e32 v14, 0x80000000, v21
	v_cndmask_b32_e32 v27, v21, v14, vcc
	v_cmp_ge_f64_e32 vcc, v[24:25], v[26:27]
                                        ; implicit-def: $vgpr16_vgpr17
	s_and_saveexec_b64 s[0:1], vcc
	s_xor_b64 s[6:7], exec, s[0:1]
	s_cbranch_execz .LBB281_71
; %bb.66:                               ;   in Loop: Header=BB281_57 Depth=1
	v_cmp_neq_f64_e32 vcc, 0, v[18:19]
	v_cmp_neq_f64_e64 s[0:1], 0, v[20:21]
                                        ; implicit-def: $vgpr16_vgpr17
	s_or_b64 s[0:1], vcc, s[0:1]
	s_and_saveexec_b64 s[8:9], s[0:1]
	s_xor_b64 s[0:1], exec, s[8:9]
	s_cbranch_execz .LBB281_68
; %bb.67:                               ;   in Loop: Header=BB281_57 Depth=1
	v_div_scale_f64 v[14:15], s[8:9], v[18:19], v[18:19], v[20:21]
	v_rcp_f64_e32 v[16:17], v[14:15]
	v_fma_f64 v[24:25], -v[14:15], v[16:17], 1.0
	v_fma_f64 v[16:17], v[16:17], v[24:25], v[16:17]
	v_div_scale_f64 v[24:25], vcc, v[20:21], v[18:19], v[20:21]
	v_fma_f64 v[26:27], -v[14:15], v[16:17], 1.0
	v_fma_f64 v[16:17], v[16:17], v[26:27], v[16:17]
	v_mul_f64 v[26:27], v[24:25], v[16:17]
	v_fma_f64 v[14:15], -v[14:15], v[26:27], v[24:25]
	v_div_fmas_f64 v[14:15], v[14:15], v[16:17], v[26:27]
	v_div_fixup_f64 v[14:15], v[14:15], v[18:19], v[20:21]
	v_fma_f64 v[16:17], v[20:21], v[14:15], v[18:19]
	v_div_scale_f64 v[18:19], s[8:9], v[16:17], v[16:17], 1.0
	v_rcp_f64_e32 v[20:21], v[18:19]
	v_fma_f64 v[24:25], -v[18:19], v[20:21], 1.0
	v_fma_f64 v[20:21], v[20:21], v[24:25], v[20:21]
	v_div_scale_f64 v[24:25], vcc, 1.0, v[16:17], 1.0
	v_fma_f64 v[26:27], -v[18:19], v[20:21], 1.0
	v_fma_f64 v[20:21], v[20:21], v[26:27], v[20:21]
	v_mul_f64 v[26:27], v[24:25], v[20:21]
	v_fma_f64 v[18:19], -v[18:19], v[26:27], v[24:25]
	v_mov_b32_e32 v25, s15
	v_mov_b32_e32 v24, s14
	v_div_fmas_f64 v[18:19], v[18:19], v[20:21], v[26:27]
	v_mov_b32_e32 v21, s13
	v_mov_b32_e32 v20, s12
	v_fma_f64 v[20:21], s[14:15], v[14:15], v[20:21]
                                        ; implicit-def: $vgpr26_vgpr27
	v_div_fixup_f64 v[16:17], v[18:19], v[16:17], 1.0
	v_fma_f64 v[18:19], -s[12:13], v[14:15], v[24:25]
                                        ; implicit-def: $vgpr24_vgpr25
	v_mul_f64 v[14:15], v[20:21], v[16:17]
	v_mul_f64 v[16:17], v[18:19], v[16:17]
.LBB281_68:                             ;   in Loop: Header=BB281_57 Depth=1
	s_andn2_saveexec_b64 s[8:9], s[0:1]
	s_cbranch_execz .LBB281_70
; %bb.69:                               ;   in Loop: Header=BB281_57 Depth=1
	v_div_scale_f64 v[14:15], s[0:1], v[24:25], v[24:25], s[12:13]
	v_div_scale_f64 v[16:17], s[0:1], v[26:27], v[26:27], s[14:15]
	;; [unrolled: 1-line block ×3, first 2 shown]
	v_rcp_f64_e32 v[18:19], v[14:15]
	v_rcp_f64_e32 v[20:21], v[16:17]
	v_fma_f64 v[28:29], -v[14:15], v[18:19], 1.0
	v_fma_f64 v[30:31], -v[16:17], v[20:21], 1.0
	v_fma_f64 v[18:19], v[18:19], v[28:29], v[18:19]
	v_div_scale_f64 v[28:29], vcc, s[12:13], v[24:25], s[12:13]
	v_fma_f64 v[20:21], v[20:21], v[30:31], v[20:21]
	v_fma_f64 v[30:31], -v[14:15], v[18:19], 1.0
	v_fma_f64 v[34:35], -v[16:17], v[20:21], 1.0
	v_fma_f64 v[18:19], v[18:19], v[30:31], v[18:19]
	v_fma_f64 v[20:21], v[20:21], v[34:35], v[20:21]
	v_mul_f64 v[30:31], v[28:29], v[18:19]
	v_mul_f64 v[34:35], v[32:33], v[20:21]
	v_fma_f64 v[14:15], -v[14:15], v[30:31], v[28:29]
	v_fma_f64 v[16:17], -v[16:17], v[34:35], v[32:33]
	v_div_fmas_f64 v[14:15], v[14:15], v[18:19], v[30:31]
	s_mov_b64 vcc, s[0:1]
	v_div_fmas_f64 v[16:17], v[16:17], v[20:21], v[34:35]
	v_div_fixup_f64 v[14:15], v[14:15], v[24:25], s[12:13]
	v_div_fixup_f64 v[16:17], v[16:17], v[26:27], s[14:15]
.LBB281_70:                             ;   in Loop: Header=BB281_57 Depth=1
	s_or_b64 exec, exec, s[8:9]
                                        ; implicit-def: $vgpr20_vgpr21
.LBB281_71:                             ;   in Loop: Header=BB281_57 Depth=1
	s_andn2_saveexec_b64 s[0:1], s[6:7]
	s_cbranch_execz .LBB281_73
; %bb.72:                               ;   in Loop: Header=BB281_57 Depth=1
	v_div_scale_f64 v[14:15], s[6:7], v[20:21], v[20:21], v[18:19]
	v_rcp_f64_e32 v[16:17], v[14:15]
	v_fma_f64 v[24:25], -v[14:15], v[16:17], 1.0
	v_fma_f64 v[16:17], v[16:17], v[24:25], v[16:17]
	v_div_scale_f64 v[24:25], vcc, v[18:19], v[20:21], v[18:19]
	v_fma_f64 v[26:27], -v[14:15], v[16:17], 1.0
	v_fma_f64 v[16:17], v[16:17], v[26:27], v[16:17]
	v_mul_f64 v[26:27], v[24:25], v[16:17]
	v_fma_f64 v[14:15], -v[14:15], v[26:27], v[24:25]
	v_div_fmas_f64 v[14:15], v[14:15], v[16:17], v[26:27]
	v_div_fixup_f64 v[14:15], v[14:15], v[20:21], v[18:19]
	v_fma_f64 v[16:17], v[18:19], v[14:15], v[20:21]
	v_div_scale_f64 v[18:19], s[6:7], v[16:17], v[16:17], 1.0
	v_rcp_f64_e32 v[20:21], v[18:19]
	v_fma_f64 v[24:25], -v[18:19], v[20:21], 1.0
	v_fma_f64 v[20:21], v[20:21], v[24:25], v[20:21]
	v_div_scale_f64 v[24:25], vcc, 1.0, v[16:17], 1.0
	v_fma_f64 v[26:27], -v[18:19], v[20:21], 1.0
	v_fma_f64 v[20:21], v[20:21], v[26:27], v[20:21]
	v_mul_f64 v[26:27], v[24:25], v[20:21]
	v_fma_f64 v[18:19], -v[18:19], v[26:27], v[24:25]
	v_mov_b32_e32 v25, s13
	v_mov_b32_e32 v24, s12
	v_div_fmas_f64 v[18:19], v[18:19], v[20:21], v[26:27]
	v_mov_b32_e32 v21, s15
	v_mov_b32_e32 v20, s14
	v_fma_f64 v[20:21], s[12:13], v[14:15], v[20:21]
	v_div_fixup_f64 v[16:17], v[18:19], v[16:17], 1.0
	v_fma_f64 v[18:19], s[14:15], v[14:15], -v[24:25]
	v_mul_f64 v[14:15], v[20:21], v[16:17]
	v_mul_f64 v[16:17], v[18:19], v[16:17]
.LBB281_73:                             ;   in Loop: Header=BB281_57 Depth=1
	s_or_b64 exec, exec, s[0:1]
	s_waitcnt vmcnt(0)
	v_cmp_gt_f64_e32 vcc, 0, v[10:11]
	v_xor_b32_e32 v18, 0x80000000, v11
	v_mov_b32_e32 v24, v10
	v_mov_b32_e32 v26, v12
	v_cndmask_b32_e32 v25, v11, v18, vcc
	v_cmp_gt_f64_e32 vcc, 0, v[12:13]
	v_xor_b32_e32 v18, 0x80000000, v13
	v_cndmask_b32_e32 v27, v13, v18, vcc
	v_cmp_ge_f64_e32 vcc, v[24:25], v[26:27]
                                        ; implicit-def: $vgpr20_vgpr21
	s_and_saveexec_b64 s[0:1], vcc
	s_xor_b64 s[6:7], exec, s[0:1]
	s_cbranch_execz .LBB281_79
; %bb.74:                               ;   in Loop: Header=BB281_57 Depth=1
	v_cmp_neq_f64_e32 vcc, 0, v[10:11]
	v_cmp_neq_f64_e64 s[0:1], 0, v[12:13]
                                        ; implicit-def: $vgpr20_vgpr21
	s_or_b64 s[0:1], vcc, s[0:1]
	s_and_saveexec_b64 s[8:9], s[0:1]
	s_xor_b64 s[0:1], exec, s[8:9]
	s_cbranch_execz .LBB281_76
; %bb.75:                               ;   in Loop: Header=BB281_57 Depth=1
	v_div_scale_f64 v[18:19], s[8:9], v[10:11], v[10:11], v[12:13]
	v_rcp_f64_e32 v[20:21], v[18:19]
	v_fma_f64 v[24:25], -v[18:19], v[20:21], 1.0
	v_fma_f64 v[20:21], v[20:21], v[24:25], v[20:21]
	v_div_scale_f64 v[24:25], vcc, v[12:13], v[10:11], v[12:13]
	v_fma_f64 v[26:27], -v[18:19], v[20:21], 1.0
	v_fma_f64 v[20:21], v[20:21], v[26:27], v[20:21]
	v_mul_f64 v[26:27], v[24:25], v[20:21]
	v_fma_f64 v[18:19], -v[18:19], v[26:27], v[24:25]
	v_div_fmas_f64 v[18:19], v[18:19], v[20:21], v[26:27]
	v_div_fixup_f64 v[18:19], v[18:19], v[10:11], v[12:13]
	v_fma_f64 v[10:11], v[12:13], v[18:19], v[10:11]
	v_div_scale_f64 v[12:13], s[8:9], v[10:11], v[10:11], 1.0
	v_rcp_f64_e32 v[20:21], v[12:13]
	v_fma_f64 v[24:25], -v[12:13], v[20:21], 1.0
	v_fma_f64 v[20:21], v[20:21], v[24:25], v[20:21]
	v_div_scale_f64 v[24:25], vcc, 1.0, v[10:11], 1.0
	v_fma_f64 v[26:27], -v[12:13], v[20:21], 1.0
	v_fma_f64 v[20:21], v[20:21], v[26:27], v[20:21]
	v_mul_f64 v[26:27], v[24:25], v[20:21]
	v_fma_f64 v[12:13], -v[12:13], v[26:27], v[24:25]
	v_mov_b32_e32 v25, s15
	v_mov_b32_e32 v24, s14
	v_div_fmas_f64 v[12:13], v[12:13], v[20:21], v[26:27]
	v_mov_b32_e32 v21, s13
	v_mov_b32_e32 v20, s12
	v_fma_f64 v[20:21], s[14:15], v[18:19], v[20:21]
                                        ; implicit-def: $vgpr26_vgpr27
	v_div_fixup_f64 v[10:11], v[12:13], v[10:11], 1.0
	v_fma_f64 v[12:13], -s[12:13], v[18:19], v[24:25]
                                        ; implicit-def: $vgpr24_vgpr25
	v_mul_f64 v[18:19], v[20:21], v[10:11]
	v_mul_f64 v[20:21], v[12:13], v[10:11]
.LBB281_76:                             ;   in Loop: Header=BB281_57 Depth=1
	s_andn2_saveexec_b64 s[8:9], s[0:1]
	s_cbranch_execz .LBB281_78
; %bb.77:                               ;   in Loop: Header=BB281_57 Depth=1
	v_div_scale_f64 v[10:11], s[0:1], v[24:25], v[24:25], s[12:13]
	v_div_scale_f64 v[12:13], s[0:1], v[26:27], v[26:27], s[14:15]
	;; [unrolled: 1-line block ×3, first 2 shown]
	v_rcp_f64_e32 v[18:19], v[10:11]
	v_rcp_f64_e32 v[20:21], v[12:13]
	v_fma_f64 v[28:29], -v[10:11], v[18:19], 1.0
	v_fma_f64 v[30:31], -v[12:13], v[20:21], 1.0
	v_fma_f64 v[18:19], v[18:19], v[28:29], v[18:19]
	v_div_scale_f64 v[28:29], vcc, s[12:13], v[24:25], s[12:13]
	v_fma_f64 v[20:21], v[20:21], v[30:31], v[20:21]
	v_fma_f64 v[30:31], -v[10:11], v[18:19], 1.0
	v_fma_f64 v[34:35], -v[12:13], v[20:21], 1.0
	v_fma_f64 v[18:19], v[18:19], v[30:31], v[18:19]
	v_fma_f64 v[20:21], v[20:21], v[34:35], v[20:21]
	v_mul_f64 v[30:31], v[28:29], v[18:19]
	v_mul_f64 v[34:35], v[32:33], v[20:21]
	v_fma_f64 v[10:11], -v[10:11], v[30:31], v[28:29]
	v_fma_f64 v[12:13], -v[12:13], v[34:35], v[32:33]
	v_div_fmas_f64 v[10:11], v[10:11], v[18:19], v[30:31]
	s_mov_b64 vcc, s[0:1]
	v_div_fmas_f64 v[12:13], v[12:13], v[20:21], v[34:35]
	v_div_fixup_f64 v[18:19], v[10:11], v[24:25], s[12:13]
	v_div_fixup_f64 v[20:21], v[12:13], v[26:27], s[14:15]
.LBB281_78:                             ;   in Loop: Header=BB281_57 Depth=1
	s_or_b64 exec, exec, s[8:9]
                                        ; implicit-def: $vgpr12_vgpr13
.LBB281_79:                             ;   in Loop: Header=BB281_57 Depth=1
	s_andn2_saveexec_b64 s[0:1], s[6:7]
	s_cbranch_execz .LBB281_81
; %bb.80:                               ;   in Loop: Header=BB281_57 Depth=1
	v_div_scale_f64 v[18:19], s[6:7], v[12:13], v[12:13], v[10:11]
	v_rcp_f64_e32 v[20:21], v[18:19]
	v_fma_f64 v[24:25], -v[18:19], v[20:21], 1.0
	v_fma_f64 v[20:21], v[20:21], v[24:25], v[20:21]
	v_div_scale_f64 v[24:25], vcc, v[10:11], v[12:13], v[10:11]
	v_fma_f64 v[26:27], -v[18:19], v[20:21], 1.0
	v_fma_f64 v[20:21], v[20:21], v[26:27], v[20:21]
	v_mul_f64 v[26:27], v[24:25], v[20:21]
	v_fma_f64 v[18:19], -v[18:19], v[26:27], v[24:25]
	v_div_fmas_f64 v[18:19], v[18:19], v[20:21], v[26:27]
	v_div_fixup_f64 v[18:19], v[18:19], v[12:13], v[10:11]
	v_fma_f64 v[10:11], v[10:11], v[18:19], v[12:13]
	v_div_scale_f64 v[12:13], s[6:7], v[10:11], v[10:11], 1.0
	v_rcp_f64_e32 v[20:21], v[12:13]
	v_fma_f64 v[24:25], -v[12:13], v[20:21], 1.0
	v_fma_f64 v[20:21], v[20:21], v[24:25], v[20:21]
	v_div_scale_f64 v[24:25], vcc, 1.0, v[10:11], 1.0
	v_fma_f64 v[26:27], -v[12:13], v[20:21], 1.0
	v_fma_f64 v[20:21], v[20:21], v[26:27], v[20:21]
	v_mul_f64 v[26:27], v[24:25], v[20:21]
	v_fma_f64 v[12:13], -v[12:13], v[26:27], v[24:25]
	v_mov_b32_e32 v25, s13
	v_mov_b32_e32 v24, s12
	v_div_fmas_f64 v[12:13], v[12:13], v[20:21], v[26:27]
	v_mov_b32_e32 v21, s15
	v_mov_b32_e32 v20, s14
	v_fma_f64 v[20:21], s[12:13], v[18:19], v[20:21]
	v_div_fixup_f64 v[10:11], v[12:13], v[10:11], 1.0
	v_fma_f64 v[12:13], s[14:15], v[18:19], -v[24:25]
	v_mul_f64 v[18:19], v[20:21], v[10:11]
	v_mul_f64 v[20:21], v[12:13], v[10:11]
.LBB281_81:                             ;   in Loop: Header=BB281_57 Depth=1
	s_or_b64 exec, exec, s[0:1]
	v_cmp_gt_f64_e32 vcc, 0, v[2:3]
	v_xor_b32_e32 v10, 0x80000000, v3
	v_mov_b32_e32 v24, v2
	v_mov_b32_e32 v26, v4
	v_cndmask_b32_e32 v25, v3, v10, vcc
	v_cmp_gt_f64_e32 vcc, 0, v[4:5]
	v_xor_b32_e32 v10, 0x80000000, v5
	v_cndmask_b32_e32 v27, v5, v10, vcc
	v_cmp_ge_f64_e32 vcc, v[24:25], v[26:27]
                                        ; implicit-def: $vgpr12_vgpr13
	s_and_saveexec_b64 s[0:1], vcc
	s_xor_b64 s[6:7], exec, s[0:1]
	s_cbranch_execz .LBB281_87
; %bb.82:                               ;   in Loop: Header=BB281_57 Depth=1
	v_cmp_neq_f64_e32 vcc, 0, v[2:3]
	v_cmp_neq_f64_e64 s[0:1], 0, v[4:5]
                                        ; implicit-def: $vgpr12_vgpr13
	s_or_b64 s[0:1], vcc, s[0:1]
	s_and_saveexec_b64 s[8:9], s[0:1]
	s_xor_b64 s[0:1], exec, s[8:9]
	s_cbranch_execz .LBB281_84
; %bb.83:                               ;   in Loop: Header=BB281_57 Depth=1
	v_div_scale_f64 v[10:11], s[8:9], v[2:3], v[2:3], v[4:5]
	v_rcp_f64_e32 v[12:13], v[10:11]
	v_fma_f64 v[24:25], -v[10:11], v[12:13], 1.0
	v_fma_f64 v[12:13], v[12:13], v[24:25], v[12:13]
	v_div_scale_f64 v[24:25], vcc, v[4:5], v[2:3], v[4:5]
	v_fma_f64 v[26:27], -v[10:11], v[12:13], 1.0
	v_fma_f64 v[12:13], v[12:13], v[26:27], v[12:13]
	v_mul_f64 v[26:27], v[24:25], v[12:13]
	v_fma_f64 v[10:11], -v[10:11], v[26:27], v[24:25]
	v_div_fmas_f64 v[10:11], v[10:11], v[12:13], v[26:27]
	v_div_fixup_f64 v[10:11], v[10:11], v[2:3], v[4:5]
	v_fma_f64 v[2:3], v[4:5], v[10:11], v[2:3]
	v_div_scale_f64 v[4:5], s[8:9], v[2:3], v[2:3], 1.0
	v_rcp_f64_e32 v[12:13], v[4:5]
	v_fma_f64 v[24:25], -v[4:5], v[12:13], 1.0
	v_fma_f64 v[12:13], v[12:13], v[24:25], v[12:13]
	v_div_scale_f64 v[24:25], vcc, 1.0, v[2:3], 1.0
	v_fma_f64 v[26:27], -v[4:5], v[12:13], 1.0
	v_fma_f64 v[12:13], v[12:13], v[26:27], v[12:13]
	v_mul_f64 v[26:27], v[24:25], v[12:13]
	v_fma_f64 v[4:5], -v[4:5], v[26:27], v[24:25]
	v_mov_b32_e32 v25, s15
	v_mov_b32_e32 v24, s14
	v_div_fmas_f64 v[4:5], v[4:5], v[12:13], v[26:27]
	v_mov_b32_e32 v12, s12
	v_mov_b32_e32 v13, s13
	v_fma_f64 v[12:13], s[14:15], v[10:11], v[12:13]
                                        ; implicit-def: $vgpr26_vgpr27
	v_div_fixup_f64 v[2:3], v[4:5], v[2:3], 1.0
	v_fma_f64 v[4:5], -s[12:13], v[10:11], v[24:25]
                                        ; implicit-def: $vgpr24_vgpr25
	v_mul_f64 v[10:11], v[12:13], v[2:3]
	v_mul_f64 v[12:13], v[4:5], v[2:3]
.LBB281_84:                             ;   in Loop: Header=BB281_57 Depth=1
	s_andn2_saveexec_b64 s[8:9], s[0:1]
	s_cbranch_execz .LBB281_86
; %bb.85:                               ;   in Loop: Header=BB281_57 Depth=1
	v_div_scale_f64 v[2:3], s[0:1], v[24:25], v[24:25], s[12:13]
	v_div_scale_f64 v[4:5], s[0:1], v[26:27], v[26:27], s[14:15]
	;; [unrolled: 1-line block ×3, first 2 shown]
	v_rcp_f64_e32 v[10:11], v[2:3]
	v_rcp_f64_e32 v[12:13], v[4:5]
	v_fma_f64 v[28:29], -v[2:3], v[10:11], 1.0
	v_fma_f64 v[30:31], -v[4:5], v[12:13], 1.0
	v_fma_f64 v[10:11], v[10:11], v[28:29], v[10:11]
	v_div_scale_f64 v[28:29], vcc, s[12:13], v[24:25], s[12:13]
	v_fma_f64 v[12:13], v[12:13], v[30:31], v[12:13]
	v_fma_f64 v[30:31], -v[2:3], v[10:11], 1.0
	v_fma_f64 v[34:35], -v[4:5], v[12:13], 1.0
	v_fma_f64 v[10:11], v[10:11], v[30:31], v[10:11]
	v_fma_f64 v[12:13], v[12:13], v[34:35], v[12:13]
	v_mul_f64 v[30:31], v[28:29], v[10:11]
	v_mul_f64 v[34:35], v[32:33], v[12:13]
	v_fma_f64 v[2:3], -v[2:3], v[30:31], v[28:29]
	v_fma_f64 v[4:5], -v[4:5], v[34:35], v[32:33]
	v_div_fmas_f64 v[2:3], v[2:3], v[10:11], v[30:31]
	s_mov_b64 vcc, s[0:1]
	v_div_fmas_f64 v[4:5], v[4:5], v[12:13], v[34:35]
	v_div_fixup_f64 v[10:11], v[2:3], v[24:25], s[12:13]
	v_div_fixup_f64 v[12:13], v[4:5], v[26:27], s[14:15]
.LBB281_86:                             ;   in Loop: Header=BB281_57 Depth=1
	s_or_b64 exec, exec, s[8:9]
                                        ; implicit-def: $vgpr4_vgpr5
.LBB281_87:                             ;   in Loop: Header=BB281_57 Depth=1
	s_andn2_saveexec_b64 s[0:1], s[6:7]
	s_cbranch_execz .LBB281_56
; %bb.88:                               ;   in Loop: Header=BB281_57 Depth=1
	v_div_scale_f64 v[10:11], s[6:7], v[4:5], v[4:5], v[2:3]
	v_rcp_f64_e32 v[12:13], v[10:11]
	v_fma_f64 v[24:25], -v[10:11], v[12:13], 1.0
	v_fma_f64 v[12:13], v[12:13], v[24:25], v[12:13]
	v_div_scale_f64 v[24:25], vcc, v[2:3], v[4:5], v[2:3]
	v_fma_f64 v[26:27], -v[10:11], v[12:13], 1.0
	v_fma_f64 v[12:13], v[12:13], v[26:27], v[12:13]
	v_mul_f64 v[26:27], v[24:25], v[12:13]
	v_fma_f64 v[10:11], -v[10:11], v[26:27], v[24:25]
	v_div_fmas_f64 v[10:11], v[10:11], v[12:13], v[26:27]
	v_div_fixup_f64 v[10:11], v[10:11], v[4:5], v[2:3]
	v_fma_f64 v[2:3], v[2:3], v[10:11], v[4:5]
	v_div_scale_f64 v[4:5], s[6:7], v[2:3], v[2:3], 1.0
	v_rcp_f64_e32 v[12:13], v[4:5]
	v_fma_f64 v[24:25], -v[4:5], v[12:13], 1.0
	v_fma_f64 v[12:13], v[12:13], v[24:25], v[12:13]
	v_div_scale_f64 v[24:25], vcc, 1.0, v[2:3], 1.0
	v_fma_f64 v[26:27], -v[4:5], v[12:13], 1.0
	v_fma_f64 v[12:13], v[12:13], v[26:27], v[12:13]
	v_mul_f64 v[26:27], v[24:25], v[12:13]
	v_fma_f64 v[4:5], -v[4:5], v[26:27], v[24:25]
	v_mov_b32_e32 v25, s13
	v_mov_b32_e32 v24, s12
	v_div_fmas_f64 v[4:5], v[4:5], v[12:13], v[26:27]
	v_mov_b32_e32 v12, s14
	v_mov_b32_e32 v13, s15
	v_fma_f64 v[12:13], s[12:13], v[10:11], v[12:13]
	v_div_fixup_f64 v[2:3], v[4:5], v[2:3], 1.0
	v_fma_f64 v[4:5], s[14:15], v[10:11], -v[24:25]
	v_mul_f64 v[10:11], v[12:13], v[2:3]
	v_mul_f64 v[12:13], v[4:5], v[2:3]
	s_branch .LBB281_56
.LBB281_89:
	s_endpgm
	.section	.rodata,"a",@progbits
	.p2align	6, 0x0
	.amdhsa_kernel _ZN2at6native12_GLOBAL__N_125multi_tensor_apply_kernelINS1_18TensorListMetadataILi1EEENS1_14UnaryOpFunctorIN3c107complexIdEELi1ELi1ELi0EEEJNS0_10ReciprocalIS8_EEEEEvT_T0_DpT1_
		.amdhsa_group_segment_fixed_size 0
		.amdhsa_private_segment_fixed_size 0
		.amdhsa_kernarg_size 3648
		.amdhsa_user_sgpr_count 6
		.amdhsa_user_sgpr_private_segment_buffer 1
		.amdhsa_user_sgpr_dispatch_ptr 0
		.amdhsa_user_sgpr_queue_ptr 0
		.amdhsa_user_sgpr_kernarg_segment_ptr 1
		.amdhsa_user_sgpr_dispatch_id 0
		.amdhsa_user_sgpr_flat_scratch_init 0
		.amdhsa_user_sgpr_private_segment_size 0
		.amdhsa_uses_dynamic_stack 0
		.amdhsa_system_sgpr_private_segment_wavefront_offset 0
		.amdhsa_system_sgpr_workgroup_id_x 1
		.amdhsa_system_sgpr_workgroup_id_y 0
		.amdhsa_system_sgpr_workgroup_id_z 0
		.amdhsa_system_sgpr_workgroup_info 0
		.amdhsa_system_vgpr_workitem_id 0
		.amdhsa_next_free_vgpr 45
		.amdhsa_next_free_sgpr 37
		.amdhsa_reserve_vcc 1
		.amdhsa_reserve_flat_scratch 0
		.amdhsa_float_round_mode_32 0
		.amdhsa_float_round_mode_16_64 0
		.amdhsa_float_denorm_mode_32 3
		.amdhsa_float_denorm_mode_16_64 3
		.amdhsa_dx10_clamp 1
		.amdhsa_ieee_mode 1
		.amdhsa_fp16_overflow 0
		.amdhsa_exception_fp_ieee_invalid_op 0
		.amdhsa_exception_fp_denorm_src 0
		.amdhsa_exception_fp_ieee_div_zero 0
		.amdhsa_exception_fp_ieee_overflow 0
		.amdhsa_exception_fp_ieee_underflow 0
		.amdhsa_exception_fp_ieee_inexact 0
		.amdhsa_exception_int_div_zero 0
	.end_amdhsa_kernel
	.section	.text._ZN2at6native12_GLOBAL__N_125multi_tensor_apply_kernelINS1_18TensorListMetadataILi1EEENS1_14UnaryOpFunctorIN3c107complexIdEELi1ELi1ELi0EEEJNS0_10ReciprocalIS8_EEEEEvT_T0_DpT1_,"axG",@progbits,_ZN2at6native12_GLOBAL__N_125multi_tensor_apply_kernelINS1_18TensorListMetadataILi1EEENS1_14UnaryOpFunctorIN3c107complexIdEELi1ELi1ELi0EEEJNS0_10ReciprocalIS8_EEEEEvT_T0_DpT1_,comdat
.Lfunc_end281:
	.size	_ZN2at6native12_GLOBAL__N_125multi_tensor_apply_kernelINS1_18TensorListMetadataILi1EEENS1_14UnaryOpFunctorIN3c107complexIdEELi1ELi1ELi0EEEJNS0_10ReciprocalIS8_EEEEEvT_T0_DpT1_, .Lfunc_end281-_ZN2at6native12_GLOBAL__N_125multi_tensor_apply_kernelINS1_18TensorListMetadataILi1EEENS1_14UnaryOpFunctorIN3c107complexIdEELi1ELi1ELi0EEEJNS0_10ReciprocalIS8_EEEEEvT_T0_DpT1_
                                        ; -- End function
	.set _ZN2at6native12_GLOBAL__N_125multi_tensor_apply_kernelINS1_18TensorListMetadataILi1EEENS1_14UnaryOpFunctorIN3c107complexIdEELi1ELi1ELi0EEEJNS0_10ReciprocalIS8_EEEEEvT_T0_DpT1_.num_vgpr, 45
	.set _ZN2at6native12_GLOBAL__N_125multi_tensor_apply_kernelINS1_18TensorListMetadataILi1EEENS1_14UnaryOpFunctorIN3c107complexIdEELi1ELi1ELi0EEEJNS0_10ReciprocalIS8_EEEEEvT_T0_DpT1_.num_agpr, 0
	.set _ZN2at6native12_GLOBAL__N_125multi_tensor_apply_kernelINS1_18TensorListMetadataILi1EEENS1_14UnaryOpFunctorIN3c107complexIdEELi1ELi1ELi0EEEJNS0_10ReciprocalIS8_EEEEEvT_T0_DpT1_.numbered_sgpr, 37
	.set _ZN2at6native12_GLOBAL__N_125multi_tensor_apply_kernelINS1_18TensorListMetadataILi1EEENS1_14UnaryOpFunctorIN3c107complexIdEELi1ELi1ELi0EEEJNS0_10ReciprocalIS8_EEEEEvT_T0_DpT1_.num_named_barrier, 0
	.set _ZN2at6native12_GLOBAL__N_125multi_tensor_apply_kernelINS1_18TensorListMetadataILi1EEENS1_14UnaryOpFunctorIN3c107complexIdEELi1ELi1ELi0EEEJNS0_10ReciprocalIS8_EEEEEvT_T0_DpT1_.private_seg_size, 0
	.set _ZN2at6native12_GLOBAL__N_125multi_tensor_apply_kernelINS1_18TensorListMetadataILi1EEENS1_14UnaryOpFunctorIN3c107complexIdEELi1ELi1ELi0EEEJNS0_10ReciprocalIS8_EEEEEvT_T0_DpT1_.uses_vcc, 1
	.set _ZN2at6native12_GLOBAL__N_125multi_tensor_apply_kernelINS1_18TensorListMetadataILi1EEENS1_14UnaryOpFunctorIN3c107complexIdEELi1ELi1ELi0EEEJNS0_10ReciprocalIS8_EEEEEvT_T0_DpT1_.uses_flat_scratch, 0
	.set _ZN2at6native12_GLOBAL__N_125multi_tensor_apply_kernelINS1_18TensorListMetadataILi1EEENS1_14UnaryOpFunctorIN3c107complexIdEELi1ELi1ELi0EEEJNS0_10ReciprocalIS8_EEEEEvT_T0_DpT1_.has_dyn_sized_stack, 0
	.set _ZN2at6native12_GLOBAL__N_125multi_tensor_apply_kernelINS1_18TensorListMetadataILi1EEENS1_14UnaryOpFunctorIN3c107complexIdEELi1ELi1ELi0EEEJNS0_10ReciprocalIS8_EEEEEvT_T0_DpT1_.has_recursion, 0
	.set _ZN2at6native12_GLOBAL__N_125multi_tensor_apply_kernelINS1_18TensorListMetadataILi1EEENS1_14UnaryOpFunctorIN3c107complexIdEELi1ELi1ELi0EEEJNS0_10ReciprocalIS8_EEEEEvT_T0_DpT1_.has_indirect_call, 0
	.section	.AMDGPU.csdata,"",@progbits
; Kernel info:
; codeLenInByte = 6908
; TotalNumSgprs: 41
; NumVgprs: 45
; ScratchSize: 0
; MemoryBound: 1
; FloatMode: 240
; IeeeMode: 1
; LDSByteSize: 0 bytes/workgroup (compile time only)
; SGPRBlocks: 5
; VGPRBlocks: 11
; NumSGPRsForWavesPerEU: 41
; NumVGPRsForWavesPerEU: 45
; Occupancy: 5
; WaveLimiterHint : 0
; COMPUTE_PGM_RSRC2:SCRATCH_EN: 0
; COMPUTE_PGM_RSRC2:USER_SGPR: 6
; COMPUTE_PGM_RSRC2:TRAP_HANDLER: 0
; COMPUTE_PGM_RSRC2:TGID_X_EN: 1
; COMPUTE_PGM_RSRC2:TGID_Y_EN: 0
; COMPUTE_PGM_RSRC2:TGID_Z_EN: 0
; COMPUTE_PGM_RSRC2:TIDIG_COMP_CNT: 0
	.section	.text._ZN2at6native12_GLOBAL__N_125multi_tensor_apply_kernelINS1_18TensorListMetadataILi1EEENS1_14UnaryOpFunctorIN3c107complexIfEELi1ELi1ELi0EEEJNS0_10ReciprocalIS8_EEEEEvT_T0_DpT1_,"axG",@progbits,_ZN2at6native12_GLOBAL__N_125multi_tensor_apply_kernelINS1_18TensorListMetadataILi1EEENS1_14UnaryOpFunctorIN3c107complexIfEELi1ELi1ELi0EEEJNS0_10ReciprocalIS8_EEEEEvT_T0_DpT1_,comdat
	.globl	_ZN2at6native12_GLOBAL__N_125multi_tensor_apply_kernelINS1_18TensorListMetadataILi1EEENS1_14UnaryOpFunctorIN3c107complexIfEELi1ELi1ELi0EEEJNS0_10ReciprocalIS8_EEEEEvT_T0_DpT1_ ; -- Begin function _ZN2at6native12_GLOBAL__N_125multi_tensor_apply_kernelINS1_18TensorListMetadataILi1EEENS1_14UnaryOpFunctorIN3c107complexIfEELi1ELi1ELi0EEEJNS0_10ReciprocalIS8_EEEEEvT_T0_DpT1_
	.p2align	8
	.type	_ZN2at6native12_GLOBAL__N_125multi_tensor_apply_kernelINS1_18TensorListMetadataILi1EEENS1_14UnaryOpFunctorIN3c107complexIfEELi1ELi1ELi0EEEJNS0_10ReciprocalIS8_EEEEEvT_T0_DpT1_,@function
_ZN2at6native12_GLOBAL__N_125multi_tensor_apply_kernelINS1_18TensorListMetadataILi1EEENS1_14UnaryOpFunctorIN3c107complexIfEELi1ELi1ELi0EEEJNS0_10ReciprocalIS8_EEEEEvT_T0_DpT1_: ; @_ZN2at6native12_GLOBAL__N_125multi_tensor_apply_kernelINS1_18TensorListMetadataILi1EEENS1_14UnaryOpFunctorIN3c107complexIfEELi1ELi1ELi0EEEJNS0_10ReciprocalIS8_EEEEEvT_T0_DpT1_
; %bb.0:
	v_mov_b32_e32 v1, s6
	global_load_ubyte v1, v1, s[4:5] offset:1760
	s_add_u32 s0, s4, s6
	s_mul_hi_u32 s1, s6, 3
	s_mul_i32 s6, s6, 3
	s_addc_u32 s2, s5, 0
	s_add_u32 s0, s0, s6
	s_addc_u32 s1, s2, s1
	s_load_dword s0, s[0:1], 0x820
	s_mov_b32 s7, 0
	s_waitcnt vmcnt(0)
	v_readfirstlane_b32 s1, v1
	s_lshl_b32 s1, s1, 3
	s_load_dwordx2 s[12:13], s[4:5], 0xd30
	s_load_dwordx2 s[14:15], s[4:5], s1 offset:0x0
	s_load_dwordx2 s[2:3], s[4:5], s1 offset:0x370
	s_waitcnt lgkmcnt(0)
	s_ashr_i32 s1, s0, 31
	s_lshl_b64 s[16:17], s[0:1], 19
	s_add_u32 s28, s14, s16
	s_addc_u32 s29, s15, s17
	s_lshl_b64 s[0:1], s[0:1], 16
	s_and_b32 s6, s28, 31
	s_sub_u32 s18, s2, s0
	s_subb_u32 s19, s3, s1
	s_and_b32 s0, s2, 3
	s_mov_b32 s1, s7
	s_or_b64 s[0:1], s[6:7], s[0:1]
	s_cmp_eq_u64 s[0:1], 0
	s_cbranch_scc1 .LBB282_53
; %bb.1:
	v_cmp_lt_i64_e64 s[0:1], s[18:19], 1
	s_and_b64 vcc, exec, s[0:1]
	s_cbranch_vccnz .LBB282_52
; %bb.2:
	v_mov_b32_e32 v3, 0x10000
	s_load_dword s2, s[4:5], 0xd44
	v_mov_b32_e32 v4, 0
	v_cmp_lt_i64_e32 vcc, s[18:19], v[3:4]
	v_mov_b32_e32 v2, 0
	s_and_b64 s[0:1], vcc, exec
	v_cmp_lt_u64_e32 vcc, s[18:19], v[3:4]
	s_cselect_b32 s21, s19, 0
	s_cselect_b32 s20, s18, 0x10000
	s_waitcnt lgkmcnt(0)
	s_and_b32 s2, s2, 0xffff
	s_and_b64 s[0:1], vcc, exec
	s_mul_i32 s6, s2, 3
	v_add_co_u32_e32 v14, vcc, s2, v0
	v_lshlrev_b32_e32 v1, 3, v0
	v_addc_co_u32_e64 v15, s[0:1], 0, 0, vcc
	v_add_co_u32_e32 v16, vcc, s6, v0
	v_mad_u64_u32 v[2:3], s[0:1], s2, 24, v[1:2]
	v_addc_co_u32_e64 v17, s[0:1], 0, 0, vcc
	s_cselect_b32 s23, s19, 0
	s_cselect_b32 s22, s18, 0x10000
	s_lshl_b32 s0, s2, 4
	s_lshl_b32 s3, s2, 1
	v_add_co_u32_e32 v4, vcc, s0, v1
	v_addc_co_u32_e64 v19, s[0:1], 0, 0, vcc
	v_add_co_u32_e32 v21, vcc, s3, v0
	s_lshl_b32 s30, s2, 2
	s_lshl_b32 s31, s2, 5
	v_or_b32_e32 v2, 4, v2
	v_lshlrev_b32_e32 v18, 3, v14
	v_or_b32_e32 v20, 4, v4
	v_addc_co_u32_e64 v22, s[0:1], 0, 0, vcc
	s_mov_b64 s[24:25], 0
	s_branch .LBB282_4
.LBB282_3:                              ;   in Loop: Header=BB282_4 Depth=1
	s_or_b64 exec, exec, s[0:1]
	s_add_u32 s24, s24, s30
	v_mov_b32_e32 v4, s20
	s_addc_u32 s25, s25, 0
	v_mov_b32_e32 v5, s21
	v_cmp_ge_i64_e32 vcc, s[24:25], v[4:5]
	s_add_u32 s28, s28, s31
	s_addc_u32 s29, s29, 0
	s_cbranch_vccnz .LBB282_52
.LBB282_4:                              ; =>This Inner Loop Header: Depth=1
	v_mov_b32_e32 v5, s25
	v_add_co_u32_e32 v4, vcc, s24, v0
	v_addc_co_u32_e32 v5, vcc, 0, v5, vcc
	v_cmp_gt_u64_e64 s[0:1], s[22:23], v[4:5]
	v_mov_b32_e32 v11, 0
	v_mov_b32_e32 v10, 0
	s_and_saveexec_b64 s[2:3], s[0:1]
	s_cbranch_execz .LBB282_6
; %bb.5:                                ;   in Loop: Header=BB282_4 Depth=1
	v_mov_b32_e32 v5, s29
	v_add_co_u32_e32 v4, vcc, s28, v1
	v_addc_co_u32_e32 v5, vcc, 0, v5, vcc
	global_load_dwordx2 v[10:11], v[4:5], off
.LBB282_6:                              ;   in Loop: Header=BB282_4 Depth=1
	s_or_b64 exec, exec, s[2:3]
	v_mov_b32_e32 v5, s25
	v_add_co_u32_e32 v4, vcc, s24, v14
	v_addc_co_u32_e32 v5, vcc, v15, v5, vcc
	v_cmp_gt_u64_e64 s[2:3], s[22:23], v[4:5]
	v_mov_b32_e32 v9, 0
	v_mov_b32_e32 v13, 0
	;; [unrolled: 1-line block ×3, first 2 shown]
	s_and_saveexec_b64 s[6:7], s[2:3]
	s_cbranch_execz .LBB282_8
; %bb.7:                                ;   in Loop: Header=BB282_4 Depth=1
	v_mov_b32_e32 v5, s29
	v_add_co_u32_e32 v4, vcc, s28, v18
	v_addc_co_u32_e32 v5, vcc, 0, v5, vcc
	global_load_dwordx2 v[12:13], v[4:5], off
.LBB282_8:                              ;   in Loop: Header=BB282_4 Depth=1
	s_or_b64 exec, exec, s[6:7]
	v_mov_b32_e32 v5, s25
	v_add_co_u32_e32 v4, vcc, s24, v21
	v_addc_co_u32_e32 v5, vcc, v22, v5, vcc
	v_cmp_gt_u64_e64 s[6:7], s[22:23], v[4:5]
	v_mov_b32_e32 v8, 0
	s_and_saveexec_b64 s[8:9], s[6:7]
	s_cbranch_execz .LBB282_10
; %bb.9:                                ;   in Loop: Header=BB282_4 Depth=1
	v_mov_b32_e32 v5, s29
	v_add_co_u32_e32 v4, vcc, s28, v20
	v_addc_co_u32_e32 v5, vcc, v5, v19, vcc
	global_load_dwordx2 v[8:9], v[4:5], off offset:-4
.LBB282_10:                             ;   in Loop: Header=BB282_4 Depth=1
	s_or_b64 exec, exec, s[8:9]
	v_mov_b32_e32 v5, s25
	v_add_co_u32_e32 v4, vcc, s24, v16
	v_addc_co_u32_e32 v5, vcc, v17, v5, vcc
	v_cmp_gt_u64_e64 s[8:9], s[22:23], v[4:5]
	v_mov_b32_e32 v5, 0
	v_mov_b32_e32 v4, 0
	s_and_saveexec_b64 s[10:11], s[8:9]
	s_cbranch_execz .LBB282_12
; %bb.11:                               ;   in Loop: Header=BB282_4 Depth=1
	v_mov_b32_e32 v5, s29
	v_add_co_u32_e32 v4, vcc, s28, v2
	v_addc_co_u32_e32 v5, vcc, v5, v3, vcc
	global_load_dwordx2 v[4:5], v[4:5], off offset:-4
.LBB282_12:                             ;   in Loop: Header=BB282_4 Depth=1
	s_or_b64 exec, exec, s[10:11]
	s_waitcnt vmcnt(0)
	v_cmp_gt_f32_e32 vcc, 0, v10
	v_cndmask_b32_e64 v24, v10, -v10, vcc
	v_cmp_gt_f32_e32 vcc, 0, v11
	v_cndmask_b32_e64 v23, v11, -v11, vcc
	v_cmp_ge_f32_e32 vcc, v24, v23
                                        ; implicit-def: $vgpr7
	s_and_saveexec_b64 s[10:11], vcc
	s_xor_b64 s[26:27], exec, s[10:11]
	s_cbranch_execz .LBB282_18
; %bb.13:                               ;   in Loop: Header=BB282_4 Depth=1
	v_cmp_neq_f32_e32 vcc, 0, v10
	v_cmp_neq_f32_e64 s[10:11], 0, v11
	s_or_b64 s[10:11], s[10:11], vcc
                                        ; implicit-def: $vgpr7
	s_and_saveexec_b64 s[34:35], s[10:11]
	s_xor_b64 s[10:11], exec, s[34:35]
	s_cbranch_execz .LBB282_15
; %bb.14:                               ;   in Loop: Header=BB282_4 Depth=1
	v_div_scale_f32 v6, s[34:35], v10, v10, v11
	v_div_scale_f32 v7, vcc, v11, v10, v11
	v_rcp_f32_e32 v23, v6
	v_fma_f32 v24, -v6, v23, 1.0
	v_fmac_f32_e32 v23, v24, v23
	v_mul_f32_e32 v24, v7, v23
	v_fma_f32 v25, -v6, v24, v7
	v_fmac_f32_e32 v24, v25, v23
	v_fma_f32 v6, -v6, v24, v7
	v_div_fmas_f32 v6, v6, v23, v24
	v_div_fixup_f32 v6, v6, v10, v11
	v_fmac_f32_e32 v10, v11, v6
	v_div_scale_f32 v7, s[34:35], v10, v10, 1.0
	v_div_scale_f32 v11, vcc, 1.0, v10, 1.0
	v_rcp_f32_e32 v23, v7
	v_fma_f32 v24, -v7, v23, 1.0
	v_fmac_f32_e32 v23, v24, v23
	v_mul_f32_e32 v24, v11, v23
	v_fma_f32 v25, -v7, v24, v11
	v_fmac_f32_e32 v24, v25, v23
	v_fma_f32 v7, -v7, v24, v11
	v_div_fmas_f32 v7, v7, v23, v24
	v_mov_b32_e32 v11, s12
	v_mov_b32_e32 v23, s13
	v_fma_f32 v11, s13, v6, v11
	v_fma_f32 v23, -v6, s12, v23
                                        ; implicit-def: $vgpr24
	v_div_fixup_f32 v7, v7, v10, 1.0
	v_mul_f32_e32 v6, v11, v7
	v_mul_f32_e32 v7, v23, v7
                                        ; implicit-def: $vgpr23
.LBB282_15:                             ;   in Loop: Header=BB282_4 Depth=1
	s_andn2_saveexec_b64 s[10:11], s[10:11]
	s_cbranch_execz .LBB282_17
; %bb.16:                               ;   in Loop: Header=BB282_4 Depth=1
	v_div_scale_f32 v6, s[34:35], v24, v24, s12
	v_rcp_f32_e32 v7, v6
	v_fma_f32 v10, -v6, v7, 1.0
	v_fmac_f32_e32 v7, v10, v7
	v_div_scale_f32 v10, vcc, s12, v24, s12
	v_mul_f32_e32 v11, v10, v7
	v_fma_f32 v25, -v6, v11, v10
	v_fmac_f32_e32 v11, v25, v7
	v_fma_f32 v6, -v6, v11, v10
	v_div_fmas_f32 v6, v6, v7, v11
	v_div_scale_f32 v7, s[34:35], v23, v23, s13
	v_div_fixup_f32 v6, v6, v24, s12
	v_rcp_f32_e32 v10, v7
	v_fma_f32 v11, -v7, v10, 1.0
	v_fmac_f32_e32 v10, v11, v10
	v_div_scale_f32 v11, vcc, s13, v23, s13
	v_mul_f32_e32 v24, v11, v10
	v_fma_f32 v25, -v7, v24, v11
	v_fmac_f32_e32 v24, v25, v10
	v_fma_f32 v7, -v7, v24, v11
	v_div_fmas_f32 v7, v7, v10, v24
	v_div_fixup_f32 v7, v7, v23, s13
.LBB282_17:                             ;   in Loop: Header=BB282_4 Depth=1
	s_or_b64 exec, exec, s[10:11]
                                        ; implicit-def: $vgpr11
.LBB282_18:                             ;   in Loop: Header=BB282_4 Depth=1
	s_andn2_saveexec_b64 s[10:11], s[26:27]
	s_cbranch_execz .LBB282_20
; %bb.19:                               ;   in Loop: Header=BB282_4 Depth=1
	v_div_scale_f32 v6, s[26:27], v11, v11, v10
	v_div_scale_f32 v7, vcc, v10, v11, v10
	v_rcp_f32_e32 v23, v6
	v_fma_f32 v24, -v6, v23, 1.0
	v_fmac_f32_e32 v23, v24, v23
	v_mul_f32_e32 v24, v7, v23
	v_fma_f32 v25, -v6, v24, v7
	v_fmac_f32_e32 v24, v25, v23
	v_fma_f32 v6, -v6, v24, v7
	v_div_fmas_f32 v6, v6, v23, v24
	v_div_fixup_f32 v6, v6, v11, v10
	v_fmac_f32_e32 v11, v10, v6
	v_div_scale_f32 v7, s[26:27], v11, v11, 1.0
	v_div_scale_f32 v10, vcc, 1.0, v11, 1.0
	v_rcp_f32_e32 v23, v7
	v_fma_f32 v24, -v7, v23, 1.0
	v_fmac_f32_e32 v23, v24, v23
	v_mul_f32_e32 v24, v10, v23
	v_fma_f32 v25, -v7, v24, v10
	v_fmac_f32_e32 v24, v25, v23
	v_fma_f32 v7, -v7, v24, v10
	v_div_fmas_f32 v7, v7, v23, v24
	v_mov_b32_e32 v10, s13
	v_mov_b32_e32 v23, s12
	v_fma_f32 v10, s12, v6, v10
	v_fma_f32 v23, v6, s13, -v23
	v_div_fixup_f32 v7, v7, v11, 1.0
	v_mul_f32_e32 v6, v10, v7
	v_mul_f32_e32 v7, v23, v7
.LBB282_20:                             ;   in Loop: Header=BB282_4 Depth=1
	s_or_b64 exec, exec, s[10:11]
	v_cmp_gt_f32_e32 vcc, 0, v12
	v_cndmask_b32_e64 v24, v12, -v12, vcc
	v_cmp_gt_f32_e32 vcc, 0, v13
	v_cndmask_b32_e64 v23, v13, -v13, vcc
	v_cmp_ge_f32_e32 vcc, v24, v23
                                        ; implicit-def: $vgpr11
	s_and_saveexec_b64 s[10:11], vcc
	s_xor_b64 s[26:27], exec, s[10:11]
	s_cbranch_execz .LBB282_26
; %bb.21:                               ;   in Loop: Header=BB282_4 Depth=1
	v_cmp_neq_f32_e32 vcc, 0, v12
	v_cmp_neq_f32_e64 s[10:11], 0, v13
	s_or_b64 s[10:11], s[10:11], vcc
                                        ; implicit-def: $vgpr11
	s_and_saveexec_b64 s[34:35], s[10:11]
	s_xor_b64 s[10:11], exec, s[34:35]
	s_cbranch_execz .LBB282_23
; %bb.22:                               ;   in Loop: Header=BB282_4 Depth=1
	v_div_scale_f32 v10, s[34:35], v12, v12, v13
	v_div_scale_f32 v11, vcc, v13, v12, v13
	v_rcp_f32_e32 v23, v10
	v_fma_f32 v24, -v10, v23, 1.0
	v_fmac_f32_e32 v23, v24, v23
	v_mul_f32_e32 v24, v11, v23
	v_fma_f32 v25, -v10, v24, v11
	v_fmac_f32_e32 v24, v25, v23
	v_fma_f32 v10, -v10, v24, v11
	v_div_fmas_f32 v10, v10, v23, v24
	v_div_fixup_f32 v10, v10, v12, v13
	v_fmac_f32_e32 v12, v13, v10
	v_div_scale_f32 v11, s[34:35], v12, v12, 1.0
	v_div_scale_f32 v13, vcc, 1.0, v12, 1.0
	v_rcp_f32_e32 v23, v11
	v_fma_f32 v24, -v11, v23, 1.0
	v_fmac_f32_e32 v23, v24, v23
	v_mul_f32_e32 v24, v13, v23
	v_fma_f32 v25, -v11, v24, v13
	v_fmac_f32_e32 v24, v25, v23
	v_fma_f32 v11, -v11, v24, v13
	v_div_fmas_f32 v11, v11, v23, v24
	v_mov_b32_e32 v13, s12
	v_mov_b32_e32 v23, s13
	v_fma_f32 v13, s13, v10, v13
	v_fma_f32 v23, -v10, s12, v23
                                        ; implicit-def: $vgpr24
	v_div_fixup_f32 v11, v11, v12, 1.0
	v_mul_f32_e32 v10, v13, v11
	v_mul_f32_e32 v11, v23, v11
                                        ; implicit-def: $vgpr23
.LBB282_23:                             ;   in Loop: Header=BB282_4 Depth=1
	s_andn2_saveexec_b64 s[10:11], s[10:11]
	s_cbranch_execz .LBB282_25
; %bb.24:                               ;   in Loop: Header=BB282_4 Depth=1
	v_div_scale_f32 v10, s[34:35], v24, v24, s12
	v_rcp_f32_e32 v11, v10
	v_fma_f32 v12, -v10, v11, 1.0
	v_fmac_f32_e32 v11, v12, v11
	v_div_scale_f32 v12, vcc, s12, v24, s12
	v_mul_f32_e32 v13, v12, v11
	v_fma_f32 v25, -v10, v13, v12
	v_fmac_f32_e32 v13, v25, v11
	v_fma_f32 v10, -v10, v13, v12
	v_div_fmas_f32 v10, v10, v11, v13
	v_div_scale_f32 v11, s[34:35], v23, v23, s13
	v_div_fixup_f32 v10, v10, v24, s12
	v_rcp_f32_e32 v12, v11
	v_fma_f32 v13, -v11, v12, 1.0
	v_fmac_f32_e32 v12, v13, v12
	v_div_scale_f32 v13, vcc, s13, v23, s13
	v_mul_f32_e32 v24, v13, v12
	v_fma_f32 v25, -v11, v24, v13
	v_fmac_f32_e32 v24, v25, v12
	v_fma_f32 v11, -v11, v24, v13
	v_div_fmas_f32 v11, v11, v12, v24
	v_div_fixup_f32 v11, v11, v23, s13
.LBB282_25:                             ;   in Loop: Header=BB282_4 Depth=1
	s_or_b64 exec, exec, s[10:11]
                                        ; implicit-def: $vgpr13
.LBB282_26:                             ;   in Loop: Header=BB282_4 Depth=1
	s_andn2_saveexec_b64 s[10:11], s[26:27]
	s_cbranch_execz .LBB282_28
; %bb.27:                               ;   in Loop: Header=BB282_4 Depth=1
	v_div_scale_f32 v10, s[26:27], v13, v13, v12
	v_div_scale_f32 v11, vcc, v12, v13, v12
	v_rcp_f32_e32 v23, v10
	v_fma_f32 v24, -v10, v23, 1.0
	v_fmac_f32_e32 v23, v24, v23
	v_mul_f32_e32 v24, v11, v23
	v_fma_f32 v25, -v10, v24, v11
	v_fmac_f32_e32 v24, v25, v23
	v_fma_f32 v10, -v10, v24, v11
	v_div_fmas_f32 v10, v10, v23, v24
	v_div_fixup_f32 v10, v10, v13, v12
	v_fmac_f32_e32 v13, v12, v10
	v_div_scale_f32 v11, s[26:27], v13, v13, 1.0
	v_div_scale_f32 v12, vcc, 1.0, v13, 1.0
	v_rcp_f32_e32 v23, v11
	v_fma_f32 v24, -v11, v23, 1.0
	v_fmac_f32_e32 v23, v24, v23
	v_mul_f32_e32 v24, v12, v23
	v_fma_f32 v25, -v11, v24, v12
	v_fmac_f32_e32 v24, v25, v23
	v_fma_f32 v11, -v11, v24, v12
	v_div_fmas_f32 v11, v11, v23, v24
	v_mov_b32_e32 v12, s13
	v_mov_b32_e32 v23, s12
	v_fma_f32 v12, s12, v10, v12
	v_fma_f32 v23, v10, s13, -v23
	v_div_fixup_f32 v11, v11, v13, 1.0
	v_mul_f32_e32 v10, v12, v11
	v_mul_f32_e32 v11, v23, v11
.LBB282_28:                             ;   in Loop: Header=BB282_4 Depth=1
	s_or_b64 exec, exec, s[10:11]
	v_cmp_gt_f32_e32 vcc, 0, v8
	v_cndmask_b32_e64 v24, v8, -v8, vcc
	v_cmp_gt_f32_e32 vcc, 0, v9
	v_cndmask_b32_e64 v23, v9, -v9, vcc
	v_cmp_ge_f32_e32 vcc, v24, v23
                                        ; implicit-def: $vgpr13
	s_and_saveexec_b64 s[10:11], vcc
	s_xor_b64 s[26:27], exec, s[10:11]
	s_cbranch_execz .LBB282_34
; %bb.29:                               ;   in Loop: Header=BB282_4 Depth=1
	v_cmp_neq_f32_e32 vcc, 0, v8
	v_cmp_neq_f32_e64 s[10:11], 0, v9
	s_or_b64 s[10:11], s[10:11], vcc
                                        ; implicit-def: $vgpr13
	s_and_saveexec_b64 s[34:35], s[10:11]
	s_xor_b64 s[10:11], exec, s[34:35]
	s_cbranch_execz .LBB282_31
; %bb.30:                               ;   in Loop: Header=BB282_4 Depth=1
	v_div_scale_f32 v12, s[34:35], v8, v8, v9
	v_div_scale_f32 v13, vcc, v9, v8, v9
	v_rcp_f32_e32 v23, v12
	v_fma_f32 v24, -v12, v23, 1.0
	v_fmac_f32_e32 v23, v24, v23
	v_mul_f32_e32 v24, v13, v23
	v_fma_f32 v25, -v12, v24, v13
	v_fmac_f32_e32 v24, v25, v23
	v_fma_f32 v12, -v12, v24, v13
	v_div_fmas_f32 v12, v12, v23, v24
	v_div_fixup_f32 v12, v12, v8, v9
	v_fmac_f32_e32 v8, v9, v12
	v_div_scale_f32 v9, s[34:35], v8, v8, 1.0
	v_div_scale_f32 v13, vcc, 1.0, v8, 1.0
	v_rcp_f32_e32 v23, v9
	v_fma_f32 v24, -v9, v23, 1.0
	v_fmac_f32_e32 v23, v24, v23
	v_mul_f32_e32 v24, v13, v23
	v_fma_f32 v25, -v9, v24, v13
	v_fmac_f32_e32 v24, v25, v23
	v_fma_f32 v9, -v9, v24, v13
	v_div_fmas_f32 v9, v9, v23, v24
	v_mov_b32_e32 v13, s12
	v_mov_b32_e32 v23, s13
	v_fma_f32 v13, s13, v12, v13
	v_fma_f32 v23, -v12, s12, v23
                                        ; implicit-def: $vgpr24
	v_div_fixup_f32 v8, v9, v8, 1.0
	v_mul_f32_e32 v12, v13, v8
	v_mul_f32_e32 v13, v23, v8
                                        ; implicit-def: $vgpr23
.LBB282_31:                             ;   in Loop: Header=BB282_4 Depth=1
	s_andn2_saveexec_b64 s[10:11], s[10:11]
	s_cbranch_execz .LBB282_33
; %bb.32:                               ;   in Loop: Header=BB282_4 Depth=1
	v_div_scale_f32 v8, s[34:35], v24, v24, s12
	v_rcp_f32_e32 v9, v8
	v_fma_f32 v12, -v8, v9, 1.0
	v_fmac_f32_e32 v9, v12, v9
	v_div_scale_f32 v12, vcc, s12, v24, s12
	v_mul_f32_e32 v13, v12, v9
	v_fma_f32 v25, -v8, v13, v12
	v_fmac_f32_e32 v13, v25, v9
	v_fma_f32 v8, -v8, v13, v12
	v_div_fmas_f32 v8, v8, v9, v13
	v_div_fixup_f32 v12, v8, v24, s12
	v_div_scale_f32 v8, s[34:35], v23, v23, s13
	v_rcp_f32_e32 v9, v8
	v_fma_f32 v13, -v8, v9, 1.0
	v_fmac_f32_e32 v9, v13, v9
	v_div_scale_f32 v13, vcc, s13, v23, s13
	v_mul_f32_e32 v24, v13, v9
	v_fma_f32 v25, -v8, v24, v13
	v_fmac_f32_e32 v24, v25, v9
	v_fma_f32 v8, -v8, v24, v13
	v_div_fmas_f32 v8, v8, v9, v24
	v_div_fixup_f32 v13, v8, v23, s13
.LBB282_33:                             ;   in Loop: Header=BB282_4 Depth=1
	s_or_b64 exec, exec, s[10:11]
                                        ; implicit-def: $vgpr9
.LBB282_34:                             ;   in Loop: Header=BB282_4 Depth=1
	s_andn2_saveexec_b64 s[10:11], s[26:27]
	s_cbranch_execz .LBB282_36
; %bb.35:                               ;   in Loop: Header=BB282_4 Depth=1
	v_div_scale_f32 v12, s[26:27], v9, v9, v8
	v_div_scale_f32 v13, vcc, v8, v9, v8
	v_rcp_f32_e32 v23, v12
	v_fma_f32 v24, -v12, v23, 1.0
	v_fmac_f32_e32 v23, v24, v23
	v_mul_f32_e32 v24, v13, v23
	v_fma_f32 v25, -v12, v24, v13
	v_fmac_f32_e32 v24, v25, v23
	v_fma_f32 v12, -v12, v24, v13
	v_div_fmas_f32 v12, v12, v23, v24
	v_div_fixup_f32 v12, v12, v9, v8
	v_fmac_f32_e32 v9, v8, v12
	v_div_scale_f32 v8, s[26:27], v9, v9, 1.0
	v_div_scale_f32 v13, vcc, 1.0, v9, 1.0
	v_rcp_f32_e32 v23, v8
	v_fma_f32 v24, -v8, v23, 1.0
	v_fmac_f32_e32 v23, v24, v23
	v_mul_f32_e32 v24, v13, v23
	v_fma_f32 v25, -v8, v24, v13
	v_fmac_f32_e32 v24, v25, v23
	v_fma_f32 v8, -v8, v24, v13
	v_div_fmas_f32 v8, v8, v23, v24
	v_mov_b32_e32 v13, s13
	v_mov_b32_e32 v23, s12
	v_fma_f32 v13, s12, v12, v13
	v_fma_f32 v23, v12, s13, -v23
	v_div_fixup_f32 v8, v8, v9, 1.0
	v_mul_f32_e32 v12, v13, v8
	v_mul_f32_e32 v13, v23, v8
.LBB282_36:                             ;   in Loop: Header=BB282_4 Depth=1
	s_or_b64 exec, exec, s[10:11]
	v_cmp_gt_f32_e32 vcc, 0, v4
	v_cndmask_b32_e64 v24, v4, -v4, vcc
	v_cmp_gt_f32_e32 vcc, 0, v5
	v_cndmask_b32_e64 v23, v5, -v5, vcc
	v_cmp_ge_f32_e32 vcc, v24, v23
                                        ; implicit-def: $vgpr9
	s_and_saveexec_b64 s[10:11], vcc
	s_xor_b64 s[26:27], exec, s[10:11]
	s_cbranch_execnz .LBB282_42
; %bb.37:                               ;   in Loop: Header=BB282_4 Depth=1
	s_andn2_saveexec_b64 s[10:11], s[26:27]
	s_cbranch_execnz .LBB282_47
.LBB282_38:                             ;   in Loop: Header=BB282_4 Depth=1
	s_or_b64 exec, exec, s[10:11]
	s_and_saveexec_b64 s[10:11], s[0:1]
	s_xor_b64 s[0:1], exec, s[10:11]
	s_cbranch_execnz .LBB282_48
.LBB282_39:                             ;   in Loop: Header=BB282_4 Depth=1
	s_or_b64 exec, exec, s[0:1]
	s_and_saveexec_b64 s[0:1], s[2:3]
	s_cbranch_execnz .LBB282_49
.LBB282_40:                             ;   in Loop: Header=BB282_4 Depth=1
	s_or_b64 exec, exec, s[0:1]
	s_and_saveexec_b64 s[0:1], s[6:7]
	s_cbranch_execnz .LBB282_50
.LBB282_41:                             ;   in Loop: Header=BB282_4 Depth=1
	s_or_b64 exec, exec, s[0:1]
	s_and_saveexec_b64 s[0:1], s[8:9]
	s_cbranch_execz .LBB282_3
	s_branch .LBB282_51
.LBB282_42:                             ;   in Loop: Header=BB282_4 Depth=1
	v_cmp_neq_f32_e32 vcc, 0, v4
	v_cmp_neq_f32_e64 s[10:11], 0, v5
	s_or_b64 s[10:11], s[10:11], vcc
                                        ; implicit-def: $vgpr9
	s_and_saveexec_b64 s[34:35], s[10:11]
	s_xor_b64 s[10:11], exec, s[34:35]
	s_cbranch_execz .LBB282_44
; %bb.43:                               ;   in Loop: Header=BB282_4 Depth=1
	v_div_scale_f32 v8, s[34:35], v4, v4, v5
	v_div_scale_f32 v9, vcc, v5, v4, v5
	v_rcp_f32_e32 v23, v8
	v_fma_f32 v24, -v8, v23, 1.0
	v_fmac_f32_e32 v23, v24, v23
	v_mul_f32_e32 v24, v9, v23
	v_fma_f32 v25, -v8, v24, v9
	v_fmac_f32_e32 v24, v25, v23
	v_fma_f32 v8, -v8, v24, v9
	v_div_fmas_f32 v8, v8, v23, v24
	v_div_fixup_f32 v8, v8, v4, v5
	v_fmac_f32_e32 v4, v5, v8
	v_div_scale_f32 v5, s[34:35], v4, v4, 1.0
	v_div_scale_f32 v9, vcc, 1.0, v4, 1.0
	v_rcp_f32_e32 v23, v5
	v_fma_f32 v24, -v5, v23, 1.0
	v_fmac_f32_e32 v23, v24, v23
	v_mul_f32_e32 v24, v9, v23
	v_fma_f32 v25, -v5, v24, v9
	v_fmac_f32_e32 v24, v25, v23
	v_fma_f32 v5, -v5, v24, v9
	v_div_fmas_f32 v5, v5, v23, v24
	v_mov_b32_e32 v9, s12
	v_mov_b32_e32 v23, s13
	v_fma_f32 v9, s13, v8, v9
	v_fma_f32 v23, -v8, s12, v23
                                        ; implicit-def: $vgpr24
	v_div_fixup_f32 v4, v5, v4, 1.0
	v_mul_f32_e32 v8, v9, v4
	v_mul_f32_e32 v9, v23, v4
                                        ; implicit-def: $vgpr23
.LBB282_44:                             ;   in Loop: Header=BB282_4 Depth=1
	s_andn2_saveexec_b64 s[10:11], s[10:11]
	s_cbranch_execz .LBB282_46
; %bb.45:                               ;   in Loop: Header=BB282_4 Depth=1
	v_div_scale_f32 v4, s[34:35], v24, v24, s12
	v_rcp_f32_e32 v5, v4
	v_fma_f32 v8, -v4, v5, 1.0
	v_fmac_f32_e32 v5, v8, v5
	v_div_scale_f32 v8, vcc, s12, v24, s12
	v_mul_f32_e32 v9, v8, v5
	v_fma_f32 v25, -v4, v9, v8
	v_fmac_f32_e32 v9, v25, v5
	v_fma_f32 v4, -v4, v9, v8
	v_div_fmas_f32 v4, v4, v5, v9
	v_div_fixup_f32 v8, v4, v24, s12
	v_div_scale_f32 v4, s[34:35], v23, v23, s13
	v_rcp_f32_e32 v5, v4
	v_fma_f32 v9, -v4, v5, 1.0
	v_fmac_f32_e32 v5, v9, v5
	v_div_scale_f32 v9, vcc, s13, v23, s13
	v_mul_f32_e32 v24, v9, v5
	v_fma_f32 v25, -v4, v24, v9
	v_fmac_f32_e32 v24, v25, v5
	v_fma_f32 v4, -v4, v24, v9
	v_div_fmas_f32 v4, v4, v5, v24
	v_div_fixup_f32 v9, v4, v23, s13
.LBB282_46:                             ;   in Loop: Header=BB282_4 Depth=1
	s_or_b64 exec, exec, s[10:11]
                                        ; implicit-def: $vgpr5
	s_andn2_saveexec_b64 s[10:11], s[26:27]
	s_cbranch_execz .LBB282_38
.LBB282_47:                             ;   in Loop: Header=BB282_4 Depth=1
	v_div_scale_f32 v8, s[26:27], v5, v5, v4
	v_div_scale_f32 v9, vcc, v4, v5, v4
	v_rcp_f32_e32 v23, v8
	v_fma_f32 v24, -v8, v23, 1.0
	v_fmac_f32_e32 v23, v24, v23
	v_mul_f32_e32 v24, v9, v23
	v_fma_f32 v25, -v8, v24, v9
	v_fmac_f32_e32 v24, v25, v23
	v_fma_f32 v8, -v8, v24, v9
	v_div_fmas_f32 v8, v8, v23, v24
	v_div_fixup_f32 v8, v8, v5, v4
	v_fmac_f32_e32 v5, v4, v8
	v_div_scale_f32 v4, s[26:27], v5, v5, 1.0
	v_div_scale_f32 v9, vcc, 1.0, v5, 1.0
	v_rcp_f32_e32 v23, v4
	v_fma_f32 v24, -v4, v23, 1.0
	v_fmac_f32_e32 v23, v24, v23
	v_mul_f32_e32 v24, v9, v23
	v_fma_f32 v25, -v4, v24, v9
	v_fmac_f32_e32 v24, v25, v23
	v_fma_f32 v4, -v4, v24, v9
	v_div_fmas_f32 v4, v4, v23, v24
	v_mov_b32_e32 v9, s13
	v_mov_b32_e32 v23, s12
	v_fma_f32 v9, s12, v8, v9
	v_fma_f32 v23, v8, s13, -v23
	v_div_fixup_f32 v4, v4, v5, 1.0
	v_mul_f32_e32 v8, v9, v4
	v_mul_f32_e32 v9, v23, v4
	s_or_b64 exec, exec, s[10:11]
	s_and_saveexec_b64 s[10:11], s[0:1]
	s_xor_b64 s[0:1], exec, s[10:11]
	s_cbranch_execz .LBB282_39
.LBB282_48:                             ;   in Loop: Header=BB282_4 Depth=1
	v_mov_b32_e32 v5, s29
	v_add_co_u32_e32 v4, vcc, s28, v1
	v_addc_co_u32_e32 v5, vcc, 0, v5, vcc
	global_store_dwordx2 v[4:5], v[6:7], off
	s_or_b64 exec, exec, s[0:1]
	s_and_saveexec_b64 s[0:1], s[2:3]
	s_cbranch_execz .LBB282_40
.LBB282_49:                             ;   in Loop: Header=BB282_4 Depth=1
	v_mov_b32_e32 v5, s29
	v_add_co_u32_e32 v4, vcc, s28, v18
	v_addc_co_u32_e32 v5, vcc, 0, v5, vcc
	global_store_dwordx2 v[4:5], v[10:11], off
	s_or_b64 exec, exec, s[0:1]
	s_and_saveexec_b64 s[0:1], s[6:7]
	s_cbranch_execz .LBB282_41
.LBB282_50:                             ;   in Loop: Header=BB282_4 Depth=1
	v_mov_b32_e32 v5, s29
	v_add_co_u32_e32 v4, vcc, s28, v20
	v_addc_co_u32_e32 v5, vcc, v5, v19, vcc
	global_store_dwordx2 v[4:5], v[12:13], off offset:-4
	s_or_b64 exec, exec, s[0:1]
	s_and_saveexec_b64 s[0:1], s[8:9]
	s_cbranch_execz .LBB282_3
.LBB282_51:                             ;   in Loop: Header=BB282_4 Depth=1
	v_mov_b32_e32 v5, s29
	v_add_co_u32_e32 v4, vcc, s28, v2
	v_addc_co_u32_e32 v5, vcc, v5, v3, vcc
	global_store_dwordx2 v[4:5], v[8:9], off offset:-4
	s_branch .LBB282_3
.LBB282_52:
	s_cbranch_execz .LBB282_54
	s_branch .LBB282_89
.LBB282_53:
.LBB282_54:
	v_mov_b32_e32 v1, 0x10000
	v_mov_b32_e32 v2, 0
	v_cmp_lt_i64_e32 vcc, s[18:19], v[1:2]
	v_mov_b32_e32 v2, 0
	s_and_b64 s[0:1], vcc, exec
	s_cselect_b32 s3, s19, 0
	s_cselect_b32 s2, s18, 0x10000
	v_lshlrev_b32_e32 v1, 2, v0
	v_cmp_gt_i64_e32 vcc, s[2:3], v[1:2]
	s_and_saveexec_b64 s[0:1], vcc
	s_cbranch_execz .LBB282_89
; %bb.55:
	s_load_dword s0, s[4:5], 0xd44
	v_mov_b32_e32 v1, v2
	v_lshlrev_b32_e32 v2, 5, v0
	s_mov_b64 s[4:5], 0
	s_waitcnt lgkmcnt(0)
	s_and_b32 s10, s0, 0xffff
	s_add_u32 s0, s14, s16
	s_addc_u32 s1, s15, s17
	v_mov_b32_e32 v3, s1
	v_add_co_u32_e32 v14, vcc, s0, v2
	v_addc_co_u32_e32 v15, vcc, 0, v3, vcc
	s_lshl_b32 s11, s10, 5
	s_branch .LBB282_57
.LBB282_56:                             ;   in Loop: Header=BB282_57 Depth=1
	s_or_b64 exec, exec, s[0:1]
	v_add_co_u32_e32 v0, vcc, s10, v0
	v_addc_co_u32_e32 v1, vcc, 0, v1, vcc
	v_lshlrev_b64 v[2:3], 2, v[0:1]
	global_store_dwordx4 v[14:15], v[6:9], off
	v_cmp_le_i64_e32 vcc, s[2:3], v[2:3]
	global_store_dwordx4 v[14:15], v[10:13], off offset:16
	s_or_b64 s[4:5], vcc, s[4:5]
	v_add_co_u32_e32 v14, vcc, s11, v14
	v_addc_co_u32_e32 v15, vcc, 0, v15, vcc
	s_andn2_b64 exec, exec, s[4:5]
	s_cbranch_execz .LBB282_89
.LBB282_57:                             ; =>This Inner Loop Header: Depth=1
	global_load_dwordx4 v[10:13], v[14:15], off
	global_load_dwordx4 v[2:5], v[14:15], off offset:16
                                        ; implicit-def: $vgpr7
	s_waitcnt vmcnt(1)
	v_cmp_gt_f32_e32 vcc, 0, v10
	v_cndmask_b32_e64 v8, v10, -v10, vcc
	v_cmp_gt_f32_e32 vcc, 0, v11
	v_cndmask_b32_e64 v9, v11, -v11, vcc
	v_cmp_ge_f32_e32 vcc, v8, v9
	s_and_saveexec_b64 s[0:1], vcc
	s_xor_b64 s[6:7], exec, s[0:1]
	s_cbranch_execz .LBB282_63
; %bb.58:                               ;   in Loop: Header=BB282_57 Depth=1
	v_cmp_neq_f32_e32 vcc, 0, v10
	v_cmp_neq_f32_e64 s[0:1], 0, v11
	s_or_b64 s[0:1], vcc, s[0:1]
                                        ; implicit-def: $vgpr7
	s_and_saveexec_b64 s[8:9], s[0:1]
	s_xor_b64 s[0:1], exec, s[8:9]
	s_cbranch_execz .LBB282_60
; %bb.59:                               ;   in Loop: Header=BB282_57 Depth=1
	v_div_scale_f32 v6, s[8:9], v10, v10, v11
	v_div_scale_f32 v7, vcc, v11, v10, v11
	v_rcp_f32_e32 v8, v6
	v_fma_f32 v9, -v6, v8, 1.0
	v_fmac_f32_e32 v8, v9, v8
	v_mul_f32_e32 v9, v7, v8
	v_fma_f32 v16, -v6, v9, v7
	v_fmac_f32_e32 v9, v16, v8
	v_fma_f32 v6, -v6, v9, v7
	v_div_fmas_f32 v6, v6, v8, v9
	v_div_fixup_f32 v6, v6, v10, v11
	v_fma_f32 v7, v11, v6, v10
	v_div_scale_f32 v8, s[8:9], v7, v7, 1.0
	v_div_scale_f32 v9, vcc, 1.0, v7, 1.0
	v_rcp_f32_e32 v16, v8
	v_fma_f32 v17, -v8, v16, 1.0
	v_fmac_f32_e32 v16, v17, v16
	v_mul_f32_e32 v17, v9, v16
	v_fma_f32 v18, -v8, v17, v9
	v_fmac_f32_e32 v17, v18, v16
	v_fma_f32 v8, -v8, v17, v9
	v_div_fmas_f32 v8, v8, v16, v17
	v_mov_b32_e32 v9, s12
	v_mov_b32_e32 v16, s13
	v_fma_f32 v9, s13, v6, v9
	v_fma_f32 v16, -v6, s12, v16
	v_div_fixup_f32 v7, v8, v7, 1.0
	v_mul_f32_e32 v6, v9, v7
	v_mul_f32_e32 v7, v16, v7
                                        ; implicit-def: $vgpr8
                                        ; implicit-def: $vgpr9
.LBB282_60:                             ;   in Loop: Header=BB282_57 Depth=1
	s_andn2_saveexec_b64 s[8:9], s[0:1]
	s_cbranch_execz .LBB282_62
; %bb.61:                               ;   in Loop: Header=BB282_57 Depth=1
	v_div_scale_f32 v6, s[0:1], v8, v8, s12
	v_div_scale_f32 v7, s[0:1], v9, v9, s13
	v_div_scale_f32 v16, vcc, s12, v8, s12
	v_div_scale_f32 v17, s[0:1], s13, v9, s13
	v_rcp_f32_e32 v18, v6
	v_rcp_f32_e32 v19, v7
	v_fma_f32 v20, -v6, v18, 1.0
	v_fmac_f32_e32 v18, v20, v18
	v_fma_f32 v21, -v7, v19, 1.0
	v_fmac_f32_e32 v19, v21, v19
	v_mul_f32_e32 v20, v16, v18
	v_mul_f32_e32 v21, v17, v19
	v_fma_f32 v22, -v6, v20, v16
	v_fma_f32 v23, -v7, v21, v17
	v_fmac_f32_e32 v20, v22, v18
	v_fmac_f32_e32 v21, v23, v19
	v_fma_f32 v6, -v6, v20, v16
	v_fma_f32 v7, -v7, v21, v17
	v_div_fmas_f32 v6, v6, v18, v20
	s_mov_b64 vcc, s[0:1]
	v_div_fmas_f32 v7, v7, v19, v21
	v_div_fixup_f32 v6, v6, v8, s12
	v_div_fixup_f32 v7, v7, v9, s13
.LBB282_62:                             ;   in Loop: Header=BB282_57 Depth=1
	s_or_b64 exec, exec, s[8:9]
.LBB282_63:                             ;   in Loop: Header=BB282_57 Depth=1
	s_andn2_saveexec_b64 s[0:1], s[6:7]
	s_cbranch_execz .LBB282_65
; %bb.64:                               ;   in Loop: Header=BB282_57 Depth=1
	v_div_scale_f32 v6, s[6:7], v11, v11, v10
	v_div_scale_f32 v7, vcc, v10, v11, v10
	v_rcp_f32_e32 v8, v6
	v_fma_f32 v9, -v6, v8, 1.0
	v_fmac_f32_e32 v8, v9, v8
	v_mul_f32_e32 v9, v7, v8
	v_fma_f32 v16, -v6, v9, v7
	v_fmac_f32_e32 v9, v16, v8
	v_fma_f32 v6, -v6, v9, v7
	v_div_fmas_f32 v6, v6, v8, v9
	v_div_fixup_f32 v6, v6, v11, v10
	v_fma_f32 v7, v10, v6, v11
	v_div_scale_f32 v8, s[6:7], v7, v7, 1.0
	v_div_scale_f32 v9, vcc, 1.0, v7, 1.0
	v_rcp_f32_e32 v10, v8
	v_fma_f32 v11, -v8, v10, 1.0
	v_fmac_f32_e32 v10, v11, v10
	v_mul_f32_e32 v11, v9, v10
	v_fma_f32 v16, -v8, v11, v9
	v_fmac_f32_e32 v11, v16, v10
	v_fma_f32 v8, -v8, v11, v9
	v_div_fmas_f32 v8, v8, v10, v11
	v_mov_b32_e32 v9, s13
	v_mov_b32_e32 v10, s12
	v_fma_f32 v9, s12, v6, v9
	v_fma_f32 v10, v6, s13, -v10
	v_div_fixup_f32 v7, v8, v7, 1.0
	v_mul_f32_e32 v6, v9, v7
	v_mul_f32_e32 v7, v10, v7
.LBB282_65:                             ;   in Loop: Header=BB282_57 Depth=1
	s_or_b64 exec, exec, s[0:1]
	v_cmp_gt_f32_e32 vcc, 0, v12
	v_cndmask_b32_e64 v10, v12, -v12, vcc
	v_cmp_gt_f32_e32 vcc, 0, v13
	v_cndmask_b32_e64 v11, v13, -v13, vcc
	v_cmp_ge_f32_e32 vcc, v10, v11
	s_and_saveexec_b64 s[0:1], vcc
	s_xor_b64 s[6:7], exec, s[0:1]
	s_cbranch_execz .LBB282_71
; %bb.66:                               ;   in Loop: Header=BB282_57 Depth=1
	v_cmp_neq_f32_e32 vcc, 0, v12
	v_cmp_neq_f32_e64 s[0:1], 0, v13
	s_or_b64 s[0:1], vcc, s[0:1]
	s_and_saveexec_b64 s[8:9], s[0:1]
	s_xor_b64 s[0:1], exec, s[8:9]
	s_cbranch_execz .LBB282_68
; %bb.67:                               ;   in Loop: Header=BB282_57 Depth=1
	v_div_scale_f32 v8, s[8:9], v12, v12, v13
	v_div_scale_f32 v9, vcc, v13, v12, v13
	v_rcp_f32_e32 v10, v8
	v_fma_f32 v11, -v8, v10, 1.0
	v_fmac_f32_e32 v10, v11, v10
	v_mul_f32_e32 v11, v9, v10
	v_fma_f32 v16, -v8, v11, v9
	v_fmac_f32_e32 v11, v16, v10
	v_fma_f32 v8, -v8, v11, v9
	v_div_fmas_f32 v8, v8, v10, v11
	v_div_fixup_f32 v8, v8, v12, v13
	v_fmac_f32_e32 v12, v13, v8
	v_div_scale_f32 v9, s[8:9], v12, v12, 1.0
	v_div_scale_f32 v10, vcc, 1.0, v12, 1.0
	v_rcp_f32_e32 v11, v9
	v_fma_f32 v13, -v9, v11, 1.0
	v_fmac_f32_e32 v11, v13, v11
	v_mul_f32_e32 v13, v10, v11
	v_fma_f32 v16, -v9, v13, v10
	v_fmac_f32_e32 v13, v16, v11
	v_fma_f32 v9, -v9, v13, v10
	v_div_fmas_f32 v9, v9, v11, v13
	v_mov_b32_e32 v10, s12
	v_mov_b32_e32 v11, s13
	v_fma_f32 v10, s13, v8, v10
	v_fma_f32 v11, -v8, s12, v11
	v_div_fixup_f32 v9, v9, v12, 1.0
	v_mul_f32_e32 v8, v10, v9
	v_mul_f32_e32 v9, v11, v9
                                        ; implicit-def: $vgpr10
                                        ; implicit-def: $vgpr11
.LBB282_68:                             ;   in Loop: Header=BB282_57 Depth=1
	s_andn2_saveexec_b64 s[8:9], s[0:1]
	s_cbranch_execz .LBB282_70
; %bb.69:                               ;   in Loop: Header=BB282_57 Depth=1
	v_div_scale_f32 v8, s[0:1], v10, v10, s12
	v_div_scale_f32 v9, s[0:1], v11, v11, s13
	v_div_scale_f32 v12, vcc, s12, v10, s12
	v_div_scale_f32 v13, s[0:1], s13, v11, s13
	v_rcp_f32_e32 v16, v8
	v_rcp_f32_e32 v17, v9
	v_fma_f32 v18, -v8, v16, 1.0
	v_fmac_f32_e32 v16, v18, v16
	v_fma_f32 v19, -v9, v17, 1.0
	v_fmac_f32_e32 v17, v19, v17
	v_mul_f32_e32 v18, v12, v16
	v_mul_f32_e32 v19, v13, v17
	v_fma_f32 v20, -v8, v18, v12
	v_fma_f32 v21, -v9, v19, v13
	v_fmac_f32_e32 v18, v20, v16
	v_fmac_f32_e32 v19, v21, v17
	v_fma_f32 v8, -v8, v18, v12
	v_fma_f32 v9, -v9, v19, v13
	v_div_fmas_f32 v8, v8, v16, v18
	s_mov_b64 vcc, s[0:1]
	v_div_fmas_f32 v9, v9, v17, v19
	v_div_fixup_f32 v8, v8, v10, s12
	v_div_fixup_f32 v9, v9, v11, s13
.LBB282_70:                             ;   in Loop: Header=BB282_57 Depth=1
	s_or_b64 exec, exec, s[8:9]
                                        ; implicit-def: $vgpr10_vgpr11_vgpr12_vgpr13
.LBB282_71:                             ;   in Loop: Header=BB282_57 Depth=1
	s_andn2_saveexec_b64 s[0:1], s[6:7]
	s_cbranch_execz .LBB282_73
; %bb.72:                               ;   in Loop: Header=BB282_57 Depth=1
	v_div_scale_f32 v8, s[6:7], v13, v13, v12
	v_div_scale_f32 v9, vcc, v12, v13, v12
	v_rcp_f32_e32 v10, v8
	v_fma_f32 v11, -v8, v10, 1.0
	v_fmac_f32_e32 v10, v11, v10
	v_mul_f32_e32 v11, v9, v10
	v_fma_f32 v16, -v8, v11, v9
	v_fmac_f32_e32 v11, v16, v10
	v_fma_f32 v8, -v8, v11, v9
	v_div_fmas_f32 v8, v8, v10, v11
	v_div_fixup_f32 v8, v8, v13, v12
	v_fmac_f32_e32 v13, v12, v8
	v_div_scale_f32 v9, s[6:7], v13, v13, 1.0
	v_div_scale_f32 v10, vcc, 1.0, v13, 1.0
	v_rcp_f32_e32 v11, v9
	v_fma_f32 v12, -v9, v11, 1.0
	v_fmac_f32_e32 v11, v12, v11
	v_mul_f32_e32 v12, v10, v11
	v_fma_f32 v16, -v9, v12, v10
	v_fmac_f32_e32 v12, v16, v11
	v_fma_f32 v9, -v9, v12, v10
	v_div_fmas_f32 v9, v9, v11, v12
	v_mov_b32_e32 v10, s13
	v_mov_b32_e32 v11, s12
	v_fma_f32 v10, s12, v8, v10
	v_fma_f32 v11, v8, s13, -v11
	v_div_fixup_f32 v9, v9, v13, 1.0
	v_mul_f32_e32 v8, v10, v9
	v_mul_f32_e32 v9, v11, v9
.LBB282_73:                             ;   in Loop: Header=BB282_57 Depth=1
	s_or_b64 exec, exec, s[0:1]
	s_waitcnt vmcnt(0)
	v_cmp_gt_f32_e32 vcc, 0, v2
	v_cndmask_b32_e64 v12, v2, -v2, vcc
	v_cmp_gt_f32_e32 vcc, 0, v3
	v_cndmask_b32_e64 v13, v3, -v3, vcc
	v_cmp_ge_f32_e32 vcc, v12, v13
                                        ; implicit-def: $vgpr11
	s_and_saveexec_b64 s[0:1], vcc
	s_xor_b64 s[6:7], exec, s[0:1]
	s_cbranch_execz .LBB282_79
; %bb.74:                               ;   in Loop: Header=BB282_57 Depth=1
	v_cmp_neq_f32_e32 vcc, 0, v2
	v_cmp_neq_f32_e64 s[0:1], 0, v3
	s_or_b64 s[0:1], vcc, s[0:1]
                                        ; implicit-def: $vgpr11
	s_and_saveexec_b64 s[8:9], s[0:1]
	s_xor_b64 s[0:1], exec, s[8:9]
	s_cbranch_execz .LBB282_76
; %bb.75:                               ;   in Loop: Header=BB282_57 Depth=1
	v_div_scale_f32 v10, s[8:9], v2, v2, v3
	v_div_scale_f32 v11, vcc, v3, v2, v3
	v_rcp_f32_e32 v12, v10
	v_fma_f32 v13, -v10, v12, 1.0
	v_fmac_f32_e32 v12, v13, v12
	v_mul_f32_e32 v13, v11, v12
	v_fma_f32 v16, -v10, v13, v11
	v_fmac_f32_e32 v13, v16, v12
	v_fma_f32 v10, -v10, v13, v11
	v_div_fmas_f32 v10, v10, v12, v13
	v_div_fixup_f32 v10, v10, v2, v3
	v_fma_f32 v11, v3, v10, v2
	v_div_scale_f32 v12, s[8:9], v11, v11, 1.0
	v_div_scale_f32 v13, vcc, 1.0, v11, 1.0
	v_rcp_f32_e32 v16, v12
	v_fma_f32 v17, -v12, v16, 1.0
	v_fmac_f32_e32 v16, v17, v16
	v_mul_f32_e32 v17, v13, v16
	v_fma_f32 v18, -v12, v17, v13
	v_fmac_f32_e32 v17, v18, v16
	v_fma_f32 v12, -v12, v17, v13
	v_div_fmas_f32 v12, v12, v16, v17
	v_mov_b32_e32 v13, s12
	v_mov_b32_e32 v16, s13
	v_fma_f32 v13, s13, v10, v13
	v_fma_f32 v16, -v10, s12, v16
	v_div_fixup_f32 v11, v12, v11, 1.0
	v_mul_f32_e32 v10, v13, v11
	v_mul_f32_e32 v11, v16, v11
                                        ; implicit-def: $vgpr12
                                        ; implicit-def: $vgpr13
.LBB282_76:                             ;   in Loop: Header=BB282_57 Depth=1
	s_andn2_saveexec_b64 s[8:9], s[0:1]
	s_cbranch_execz .LBB282_78
; %bb.77:                               ;   in Loop: Header=BB282_57 Depth=1
	v_div_scale_f32 v10, s[0:1], v12, v12, s12
	v_div_scale_f32 v11, s[0:1], v13, v13, s13
	v_div_scale_f32 v16, vcc, s12, v12, s12
	v_div_scale_f32 v17, s[0:1], s13, v13, s13
	v_rcp_f32_e32 v18, v10
	v_rcp_f32_e32 v19, v11
	v_fma_f32 v20, -v10, v18, 1.0
	v_fmac_f32_e32 v18, v20, v18
	v_fma_f32 v21, -v11, v19, 1.0
	v_fmac_f32_e32 v19, v21, v19
	v_mul_f32_e32 v20, v16, v18
	v_mul_f32_e32 v21, v17, v19
	v_fma_f32 v22, -v10, v20, v16
	v_fma_f32 v23, -v11, v21, v17
	v_fmac_f32_e32 v20, v22, v18
	v_fmac_f32_e32 v21, v23, v19
	v_fma_f32 v10, -v10, v20, v16
	v_fma_f32 v11, -v11, v21, v17
	v_div_fmas_f32 v10, v10, v18, v20
	s_mov_b64 vcc, s[0:1]
	v_div_fmas_f32 v11, v11, v19, v21
	v_div_fixup_f32 v10, v10, v12, s12
	v_div_fixup_f32 v11, v11, v13, s13
.LBB282_78:                             ;   in Loop: Header=BB282_57 Depth=1
	s_or_b64 exec, exec, s[8:9]
.LBB282_79:                             ;   in Loop: Header=BB282_57 Depth=1
	s_andn2_saveexec_b64 s[0:1], s[6:7]
	s_cbranch_execz .LBB282_81
; %bb.80:                               ;   in Loop: Header=BB282_57 Depth=1
	v_div_scale_f32 v10, s[6:7], v3, v3, v2
	v_div_scale_f32 v11, vcc, v2, v3, v2
	v_rcp_f32_e32 v12, v10
	v_fma_f32 v13, -v10, v12, 1.0
	v_fmac_f32_e32 v12, v13, v12
	v_mul_f32_e32 v13, v11, v12
	v_fma_f32 v16, -v10, v13, v11
	v_fmac_f32_e32 v13, v16, v12
	v_fma_f32 v10, -v10, v13, v11
	v_div_fmas_f32 v10, v10, v12, v13
	v_div_fixup_f32 v10, v10, v3, v2
	v_fma_f32 v2, v2, v10, v3
	v_div_scale_f32 v3, s[6:7], v2, v2, 1.0
	v_div_scale_f32 v11, vcc, 1.0, v2, 1.0
	v_rcp_f32_e32 v12, v3
	v_fma_f32 v13, -v3, v12, 1.0
	v_fmac_f32_e32 v12, v13, v12
	v_mul_f32_e32 v13, v11, v12
	v_fma_f32 v16, -v3, v13, v11
	v_fmac_f32_e32 v13, v16, v12
	v_fma_f32 v3, -v3, v13, v11
	v_div_fmas_f32 v3, v3, v12, v13
	v_mov_b32_e32 v11, s13
	v_mov_b32_e32 v12, s12
	v_fma_f32 v11, s12, v10, v11
	v_fma_f32 v12, v10, s13, -v12
	v_div_fixup_f32 v2, v3, v2, 1.0
	v_mul_f32_e32 v10, v11, v2
	v_mul_f32_e32 v11, v12, v2
.LBB282_81:                             ;   in Loop: Header=BB282_57 Depth=1
	s_or_b64 exec, exec, s[0:1]
	v_cmp_gt_f32_e32 vcc, 0, v4
	v_cndmask_b32_e64 v2, v4, -v4, vcc
	v_cmp_gt_f32_e32 vcc, 0, v5
	v_cndmask_b32_e64 v3, v5, -v5, vcc
	v_cmp_ge_f32_e32 vcc, v2, v3
	s_and_saveexec_b64 s[0:1], vcc
	s_xor_b64 s[6:7], exec, s[0:1]
	s_cbranch_execz .LBB282_87
; %bb.82:                               ;   in Loop: Header=BB282_57 Depth=1
	v_cmp_neq_f32_e32 vcc, 0, v4
	v_cmp_neq_f32_e64 s[0:1], 0, v5
	s_or_b64 s[0:1], vcc, s[0:1]
	s_and_saveexec_b64 s[8:9], s[0:1]
	s_xor_b64 s[0:1], exec, s[8:9]
	s_cbranch_execz .LBB282_84
; %bb.83:                               ;   in Loop: Header=BB282_57 Depth=1
	v_div_scale_f32 v2, s[8:9], v4, v4, v5
	v_div_scale_f32 v3, vcc, v5, v4, v5
	v_rcp_f32_e32 v12, v2
	v_fma_f32 v13, -v2, v12, 1.0
	v_fmac_f32_e32 v12, v13, v12
	v_mul_f32_e32 v13, v3, v12
	v_fma_f32 v16, -v2, v13, v3
	v_fmac_f32_e32 v13, v16, v12
	v_fma_f32 v2, -v2, v13, v3
	v_div_fmas_f32 v2, v2, v12, v13
	v_div_fixup_f32 v2, v2, v4, v5
	v_fmac_f32_e32 v4, v5, v2
	v_div_scale_f32 v3, s[8:9], v4, v4, 1.0
	v_div_scale_f32 v5, vcc, 1.0, v4, 1.0
	v_rcp_f32_e32 v12, v3
	v_fma_f32 v13, -v3, v12, 1.0
	v_fmac_f32_e32 v12, v13, v12
	v_mul_f32_e32 v13, v5, v12
	v_fma_f32 v16, -v3, v13, v5
	v_fmac_f32_e32 v13, v16, v12
	v_fma_f32 v3, -v3, v13, v5
	v_div_fmas_f32 v3, v3, v12, v13
	v_mov_b32_e32 v5, s12
	v_mov_b32_e32 v12, s13
	v_fma_f32 v5, s13, v2, v5
	v_fma_f32 v2, -v2, s12, v12
	v_div_fixup_f32 v3, v3, v4, 1.0
	v_mul_f32_e32 v12, v5, v3
	v_mul_f32_e32 v13, v2, v3
                                        ; implicit-def: $vgpr2
                                        ; implicit-def: $vgpr3
.LBB282_84:                             ;   in Loop: Header=BB282_57 Depth=1
	s_andn2_saveexec_b64 s[8:9], s[0:1]
	s_cbranch_execz .LBB282_86
; %bb.85:                               ;   in Loop: Header=BB282_57 Depth=1
	v_div_scale_f32 v4, s[0:1], v2, v2, s12
	v_div_scale_f32 v5, s[0:1], v3, v3, s13
	v_div_scale_f32 v12, vcc, s12, v2, s12
	v_div_scale_f32 v13, s[0:1], s13, v3, s13
	v_rcp_f32_e32 v16, v4
	v_rcp_f32_e32 v17, v5
	v_fma_f32 v18, -v4, v16, 1.0
	v_fmac_f32_e32 v16, v18, v16
	v_fma_f32 v19, -v5, v17, 1.0
	v_fmac_f32_e32 v17, v19, v17
	v_mul_f32_e32 v18, v12, v16
	v_mul_f32_e32 v19, v13, v17
	v_fma_f32 v20, -v4, v18, v12
	v_fma_f32 v21, -v5, v19, v13
	v_fmac_f32_e32 v18, v20, v16
	v_fmac_f32_e32 v19, v21, v17
	v_fma_f32 v4, -v4, v18, v12
	v_fma_f32 v5, -v5, v19, v13
	v_div_fmas_f32 v4, v4, v16, v18
	s_mov_b64 vcc, s[0:1]
	v_div_fmas_f32 v5, v5, v17, v19
	v_div_fixup_f32 v12, v4, v2, s12
	v_div_fixup_f32 v13, v5, v3, s13
.LBB282_86:                             ;   in Loop: Header=BB282_57 Depth=1
	s_or_b64 exec, exec, s[8:9]
                                        ; implicit-def: $vgpr2_vgpr3_vgpr4_vgpr5
.LBB282_87:                             ;   in Loop: Header=BB282_57 Depth=1
	s_andn2_saveexec_b64 s[0:1], s[6:7]
	s_cbranch_execz .LBB282_56
; %bb.88:                               ;   in Loop: Header=BB282_57 Depth=1
	v_div_scale_f32 v2, s[6:7], v5, v5, v4
	v_div_scale_f32 v3, vcc, v4, v5, v4
	v_rcp_f32_e32 v12, v2
	v_fma_f32 v13, -v2, v12, 1.0
	v_fmac_f32_e32 v12, v13, v12
	v_mul_f32_e32 v13, v3, v12
	v_fma_f32 v16, -v2, v13, v3
	v_fmac_f32_e32 v13, v16, v12
	v_fma_f32 v2, -v2, v13, v3
	v_div_fmas_f32 v2, v2, v12, v13
	v_div_fixup_f32 v2, v2, v5, v4
	v_fmac_f32_e32 v5, v4, v2
	v_div_scale_f32 v3, s[6:7], v5, v5, 1.0
	v_div_scale_f32 v4, vcc, 1.0, v5, 1.0
	v_rcp_f32_e32 v12, v3
	v_fma_f32 v13, -v3, v12, 1.0
	v_fmac_f32_e32 v12, v13, v12
	v_mul_f32_e32 v13, v4, v12
	v_fma_f32 v16, -v3, v13, v4
	v_fmac_f32_e32 v13, v16, v12
	v_fma_f32 v3, -v3, v13, v4
	v_div_fmas_f32 v3, v3, v12, v13
	v_mov_b32_e32 v4, s13
	v_mov_b32_e32 v12, s12
	v_fma_f32 v4, s12, v2, v4
	v_fma_f32 v2, v2, s13, -v12
	v_div_fixup_f32 v3, v3, v5, 1.0
	v_mul_f32_e32 v12, v4, v3
	v_mul_f32_e32 v13, v2, v3
	s_branch .LBB282_56
.LBB282_89:
	s_endpgm
	.section	.rodata,"a",@progbits
	.p2align	6, 0x0
	.amdhsa_kernel _ZN2at6native12_GLOBAL__N_125multi_tensor_apply_kernelINS1_18TensorListMetadataILi1EEENS1_14UnaryOpFunctorIN3c107complexIfEELi1ELi1ELi0EEEJNS0_10ReciprocalIS8_EEEEEvT_T0_DpT1_
		.amdhsa_group_segment_fixed_size 0
		.amdhsa_private_segment_fixed_size 0
		.amdhsa_kernarg_size 3640
		.amdhsa_user_sgpr_count 6
		.amdhsa_user_sgpr_private_segment_buffer 1
		.amdhsa_user_sgpr_dispatch_ptr 0
		.amdhsa_user_sgpr_queue_ptr 0
		.amdhsa_user_sgpr_kernarg_segment_ptr 1
		.amdhsa_user_sgpr_dispatch_id 0
		.amdhsa_user_sgpr_flat_scratch_init 0
		.amdhsa_user_sgpr_private_segment_size 0
		.amdhsa_uses_dynamic_stack 0
		.amdhsa_system_sgpr_private_segment_wavefront_offset 0
		.amdhsa_system_sgpr_workgroup_id_x 1
		.amdhsa_system_sgpr_workgroup_id_y 0
		.amdhsa_system_sgpr_workgroup_id_z 0
		.amdhsa_system_sgpr_workgroup_info 0
		.amdhsa_system_vgpr_workitem_id 0
		.amdhsa_next_free_vgpr 26
		.amdhsa_next_free_sgpr 36
		.amdhsa_reserve_vcc 1
		.amdhsa_reserve_flat_scratch 0
		.amdhsa_float_round_mode_32 0
		.amdhsa_float_round_mode_16_64 0
		.amdhsa_float_denorm_mode_32 3
		.amdhsa_float_denorm_mode_16_64 3
		.amdhsa_dx10_clamp 1
		.amdhsa_ieee_mode 1
		.amdhsa_fp16_overflow 0
		.amdhsa_exception_fp_ieee_invalid_op 0
		.amdhsa_exception_fp_denorm_src 0
		.amdhsa_exception_fp_ieee_div_zero 0
		.amdhsa_exception_fp_ieee_overflow 0
		.amdhsa_exception_fp_ieee_underflow 0
		.amdhsa_exception_fp_ieee_inexact 0
		.amdhsa_exception_int_div_zero 0
	.end_amdhsa_kernel
	.section	.text._ZN2at6native12_GLOBAL__N_125multi_tensor_apply_kernelINS1_18TensorListMetadataILi1EEENS1_14UnaryOpFunctorIN3c107complexIfEELi1ELi1ELi0EEEJNS0_10ReciprocalIS8_EEEEEvT_T0_DpT1_,"axG",@progbits,_ZN2at6native12_GLOBAL__N_125multi_tensor_apply_kernelINS1_18TensorListMetadataILi1EEENS1_14UnaryOpFunctorIN3c107complexIfEELi1ELi1ELi0EEEJNS0_10ReciprocalIS8_EEEEEvT_T0_DpT1_,comdat
.Lfunc_end282:
	.size	_ZN2at6native12_GLOBAL__N_125multi_tensor_apply_kernelINS1_18TensorListMetadataILi1EEENS1_14UnaryOpFunctorIN3c107complexIfEELi1ELi1ELi0EEEJNS0_10ReciprocalIS8_EEEEEvT_T0_DpT1_, .Lfunc_end282-_ZN2at6native12_GLOBAL__N_125multi_tensor_apply_kernelINS1_18TensorListMetadataILi1EEENS1_14UnaryOpFunctorIN3c107complexIfEELi1ELi1ELi0EEEJNS0_10ReciprocalIS8_EEEEEvT_T0_DpT1_
                                        ; -- End function
	.set _ZN2at6native12_GLOBAL__N_125multi_tensor_apply_kernelINS1_18TensorListMetadataILi1EEENS1_14UnaryOpFunctorIN3c107complexIfEELi1ELi1ELi0EEEJNS0_10ReciprocalIS8_EEEEEvT_T0_DpT1_.num_vgpr, 26
	.set _ZN2at6native12_GLOBAL__N_125multi_tensor_apply_kernelINS1_18TensorListMetadataILi1EEENS1_14UnaryOpFunctorIN3c107complexIfEELi1ELi1ELi0EEEJNS0_10ReciprocalIS8_EEEEEvT_T0_DpT1_.num_agpr, 0
	.set _ZN2at6native12_GLOBAL__N_125multi_tensor_apply_kernelINS1_18TensorListMetadataILi1EEENS1_14UnaryOpFunctorIN3c107complexIfEELi1ELi1ELi0EEEJNS0_10ReciprocalIS8_EEEEEvT_T0_DpT1_.numbered_sgpr, 36
	.set _ZN2at6native12_GLOBAL__N_125multi_tensor_apply_kernelINS1_18TensorListMetadataILi1EEENS1_14UnaryOpFunctorIN3c107complexIfEELi1ELi1ELi0EEEJNS0_10ReciprocalIS8_EEEEEvT_T0_DpT1_.num_named_barrier, 0
	.set _ZN2at6native12_GLOBAL__N_125multi_tensor_apply_kernelINS1_18TensorListMetadataILi1EEENS1_14UnaryOpFunctorIN3c107complexIfEELi1ELi1ELi0EEEJNS0_10ReciprocalIS8_EEEEEvT_T0_DpT1_.private_seg_size, 0
	.set _ZN2at6native12_GLOBAL__N_125multi_tensor_apply_kernelINS1_18TensorListMetadataILi1EEENS1_14UnaryOpFunctorIN3c107complexIfEELi1ELi1ELi0EEEJNS0_10ReciprocalIS8_EEEEEvT_T0_DpT1_.uses_vcc, 1
	.set _ZN2at6native12_GLOBAL__N_125multi_tensor_apply_kernelINS1_18TensorListMetadataILi1EEENS1_14UnaryOpFunctorIN3c107complexIfEELi1ELi1ELi0EEEJNS0_10ReciprocalIS8_EEEEEvT_T0_DpT1_.uses_flat_scratch, 0
	.set _ZN2at6native12_GLOBAL__N_125multi_tensor_apply_kernelINS1_18TensorListMetadataILi1EEENS1_14UnaryOpFunctorIN3c107complexIfEELi1ELi1ELi0EEEJNS0_10ReciprocalIS8_EEEEEvT_T0_DpT1_.has_dyn_sized_stack, 0
	.set _ZN2at6native12_GLOBAL__N_125multi_tensor_apply_kernelINS1_18TensorListMetadataILi1EEENS1_14UnaryOpFunctorIN3c107complexIfEELi1ELi1ELi0EEEJNS0_10ReciprocalIS8_EEEEEvT_T0_DpT1_.has_recursion, 0
	.set _ZN2at6native12_GLOBAL__N_125multi_tensor_apply_kernelINS1_18TensorListMetadataILi1EEENS1_14UnaryOpFunctorIN3c107complexIfEELi1ELi1ELi0EEEJNS0_10ReciprocalIS8_EEEEEvT_T0_DpT1_.has_indirect_call, 0
	.section	.AMDGPU.csdata,"",@progbits
; Kernel info:
; codeLenInByte = 5816
; TotalNumSgprs: 40
; NumVgprs: 26
; ScratchSize: 0
; MemoryBound: 0
; FloatMode: 240
; IeeeMode: 1
; LDSByteSize: 0 bytes/workgroup (compile time only)
; SGPRBlocks: 4
; VGPRBlocks: 6
; NumSGPRsForWavesPerEU: 40
; NumVGPRsForWavesPerEU: 26
; Occupancy: 9
; WaveLimiterHint : 0
; COMPUTE_PGM_RSRC2:SCRATCH_EN: 0
; COMPUTE_PGM_RSRC2:USER_SGPR: 6
; COMPUTE_PGM_RSRC2:TRAP_HANDLER: 0
; COMPUTE_PGM_RSRC2:TGID_X_EN: 1
; COMPUTE_PGM_RSRC2:TGID_Y_EN: 0
; COMPUTE_PGM_RSRC2:TGID_Z_EN: 0
; COMPUTE_PGM_RSRC2:TIDIG_COMP_CNT: 0
	.section	.text._ZN2at6native12_GLOBAL__N_125multi_tensor_apply_kernelINS1_18TensorListMetadataILi1EEENS1_14UnaryOpFunctorIN3c104HalfELi1ELi1ELi0EEEJNS0_10ReciprocalIfEEEEEvT_T0_DpT1_,"axG",@progbits,_ZN2at6native12_GLOBAL__N_125multi_tensor_apply_kernelINS1_18TensorListMetadataILi1EEENS1_14UnaryOpFunctorIN3c104HalfELi1ELi1ELi0EEEJNS0_10ReciprocalIfEEEEEvT_T0_DpT1_,comdat
	.globl	_ZN2at6native12_GLOBAL__N_125multi_tensor_apply_kernelINS1_18TensorListMetadataILi1EEENS1_14UnaryOpFunctorIN3c104HalfELi1ELi1ELi0EEEJNS0_10ReciprocalIfEEEEEvT_T0_DpT1_ ; -- Begin function _ZN2at6native12_GLOBAL__N_125multi_tensor_apply_kernelINS1_18TensorListMetadataILi1EEENS1_14UnaryOpFunctorIN3c104HalfELi1ELi1ELi0EEEJNS0_10ReciprocalIfEEEEEvT_T0_DpT1_
	.p2align	8
	.type	_ZN2at6native12_GLOBAL__N_125multi_tensor_apply_kernelINS1_18TensorListMetadataILi1EEENS1_14UnaryOpFunctorIN3c104HalfELi1ELi1ELi0EEEJNS0_10ReciprocalIfEEEEEvT_T0_DpT1_,@function
_ZN2at6native12_GLOBAL__N_125multi_tensor_apply_kernelINS1_18TensorListMetadataILi1EEENS1_14UnaryOpFunctorIN3c104HalfELi1ELi1ELi0EEEJNS0_10ReciprocalIfEEEEEvT_T0_DpT1_: ; @_ZN2at6native12_GLOBAL__N_125multi_tensor_apply_kernelINS1_18TensorListMetadataILi1EEENS1_14UnaryOpFunctorIN3c104HalfELi1ELi1ELi0EEEJNS0_10ReciprocalIfEEEEEvT_T0_DpT1_
; %bb.0:
	v_mov_b32_e32 v1, s6
	global_load_ubyte v1, v1, s[4:5] offset:1760
	s_add_u32 s0, s4, s6
	s_mul_hi_u32 s1, s6, 3
	s_mul_i32 s6, s6, 3
	s_addc_u32 s2, s5, 0
	s_add_u32 s0, s0, s6
	s_addc_u32 s1, s2, s1
	s_load_dword s0, s[0:1], 0x820
	s_mov_b32 s7, 0
	s_waitcnt vmcnt(0)
	v_readfirstlane_b32 s1, v1
	s_lshl_b32 s1, s1, 3
	s_load_dword s24, s[4:5], 0xd2c
	s_load_dwordx2 s[2:3], s[4:5], s1 offset:0x370
	s_load_dwordx2 s[10:11], s[4:5], s1 offset:0x0
	s_waitcnt lgkmcnt(0)
	s_ashr_i32 s1, s0, 31
	s_lshl_b64 s[12:13], s[0:1], 17
	s_lshl_b64 s[0:1], s[0:1], 16
	s_and_b32 s6, s10, 7
	s_sub_u32 s14, s2, s0
	s_subb_u32 s15, s3, s1
	s_and_b32 s0, s2, 3
	s_mov_b32 s1, s7
	s_or_b64 s[0:1], s[6:7], s[0:1]
	s_cmp_eq_u64 s[0:1], 0
	s_cbranch_scc1 .LBB283_21
; %bb.1:
	v_cmp_lt_i64_e64 s[0:1], s[14:15], 1
	s_and_b64 vcc, exec, s[0:1]
	s_cbranch_vccnz .LBB283_20
; %bb.2:
	v_mov_b32_e32 v1, 0x10000
	s_load_dword s2, s[4:5], 0xd3c
	v_mov_b32_e32 v2, 0
	v_cmp_lt_i64_e32 vcc, s[14:15], v[1:2]
	s_mov_b64 s[20:21], 0
	s_and_b64 s[0:1], vcc, exec
	v_cmp_lt_u64_e32 vcc, s[14:15], v[1:2]
	s_cselect_b32 s17, s15, 0
	s_cselect_b32 s16, s14, 0x10000
	s_waitcnt lgkmcnt(0)
	s_and_b32 s2, s2, 0xffff
	s_and_b64 s[0:1], vcc, exec
	s_cselect_b32 s19, s15, 0
	s_cselect_b32 s18, s14, 0x10000
	s_lshl_b32 s3, s2, 1
	s_lshl_b32 s25, s2, 2
	s_add_u32 s6, s10, s12
	v_lshlrev_b32_e32 v1, 1, v0
	s_addc_u32 s7, s11, s13
	v_mov_b32_e32 v2, s7
	v_add_co_u32_e32 v1, vcc, s6, v1
	s_mul_i32 s0, s2, 3
	v_addc_co_u32_e32 v2, vcc, 0, v2, vcc
	v_add_co_u32_e32 v5, vcc, s0, v0
	v_addc_co_u32_e64 v6, s[0:1], 0, 0, vcc
	v_add_co_u32_e32 v7, vcc, s3, v0
	v_addc_co_u32_e64 v8, s[0:1], 0, 0, vcc
	v_add_co_u32_e32 v9, vcc, s2, v0
	v_lshlrev_b32_e32 v3, 1, v9
	v_addc_co_u32_e64 v10, s[0:1], 0, 0, vcc
	v_mov_b32_e32 v4, s7
	v_add_co_u32_e32 v3, vcc, s6, v3
	s_lshl_b32 s26, s2, 3
	s_mul_i32 s27, s2, 6
	v_addc_co_u32_e32 v4, vcc, 0, v4, vcc
	s_branch .LBB283_4
.LBB283_3:                              ;   in Loop: Header=BB283_4 Depth=1
	s_or_b64 exec, exec, s[2:3]
	s_add_u32 s20, s20, s25
	v_add_co_u32_e32 v1, vcc, s26, v1
	v_mov_b32_e32 v11, s16
	s_addc_u32 s21, s21, 0
	v_addc_co_u32_e32 v2, vcc, 0, v2, vcc
	v_mov_b32_e32 v12, s17
	v_cmp_lt_i64_e32 vcc, s[20:21], v[11:12]
	v_add_co_u32_e64 v3, s[0:1], s26, v3
	v_addc_co_u32_e64 v4, s[0:1], 0, v4, s[0:1]
	s_cbranch_vccz .LBB283_20
.LBB283_4:                              ; =>This Inner Loop Header: Depth=1
	v_mov_b32_e32 v12, s21
	v_add_co_u32_e32 v11, vcc, s20, v0
	v_addc_co_u32_e32 v12, vcc, 0, v12, vcc
	v_cmp_gt_u64_e32 vcc, s[18:19], v[11:12]
	v_mov_b32_e32 v14, 0
	s_and_saveexec_b64 s[0:1], vcc
	s_cbranch_execz .LBB283_6
; %bb.5:                                ;   in Loop: Header=BB283_4 Depth=1
	global_load_ushort v11, v[1:2], off
	s_waitcnt vmcnt(0)
	v_cvt_f32_f16_e32 v14, v11
.LBB283_6:                              ;   in Loop: Header=BB283_4 Depth=1
	s_or_b64 exec, exec, s[0:1]
	v_mov_b32_e32 v12, s21
	v_add_co_u32_e64 v11, s[0:1], s20, v9
	v_addc_co_u32_e64 v12, s[0:1], v10, v12, s[0:1]
	v_cmp_gt_u64_e64 s[6:7], s[18:19], v[11:12]
	v_mov_b32_e32 v11, 0
	v_mov_b32_e32 v13, 0
	s_and_saveexec_b64 s[0:1], s[6:7]
	s_cbranch_execz .LBB283_8
; %bb.7:                                ;   in Loop: Header=BB283_4 Depth=1
	global_load_ushort v12, v[3:4], off
	s_waitcnt vmcnt(0)
	v_cvt_f32_f16_e32 v13, v12
.LBB283_8:                              ;   in Loop: Header=BB283_4 Depth=1
	s_or_b64 exec, exec, s[0:1]
	v_mov_b32_e32 v12, s21
	v_add_co_u32_e64 v15, s[0:1], s20, v7
	v_addc_co_u32_e64 v16, s[0:1], v8, v12, s[0:1]
	v_cmp_gt_u64_e64 s[2:3], s[18:19], v[15:16]
	s_and_saveexec_b64 s[8:9], s[2:3]
	s_cbranch_execz .LBB283_10
; %bb.9:                                ;   in Loop: Header=BB283_4 Depth=1
	v_add_co_u32_e64 v11, s[0:1], s25, v1
	v_addc_co_u32_e64 v12, s[0:1], 0, v2, s[0:1]
	global_load_ushort v11, v[11:12], off
	s_waitcnt vmcnt(0)
	v_cvt_f32_f16_e32 v11, v11
.LBB283_10:                             ;   in Loop: Header=BB283_4 Depth=1
	s_or_b64 exec, exec, s[8:9]
	v_mov_b32_e32 v12, s21
	v_add_co_u32_e64 v15, s[0:1], s20, v5
	v_addc_co_u32_e64 v16, s[0:1], v6, v12, s[0:1]
	v_cmp_gt_u64_e64 s[0:1], s[18:19], v[15:16]
	v_mov_b32_e32 v12, 0
	s_and_saveexec_b64 s[22:23], s[0:1]
	s_cbranch_execnz .LBB283_15
; %bb.11:                               ;   in Loop: Header=BB283_4 Depth=1
	s_or_b64 exec, exec, s[22:23]
	s_and_saveexec_b64 s[8:9], vcc
	s_cbranch_execnz .LBB283_16
.LBB283_12:                             ;   in Loop: Header=BB283_4 Depth=1
	s_or_b64 exec, exec, s[8:9]
	s_and_saveexec_b64 s[8:9], s[6:7]
	s_cbranch_execnz .LBB283_17
.LBB283_13:                             ;   in Loop: Header=BB283_4 Depth=1
	s_or_b64 exec, exec, s[8:9]
	s_and_saveexec_b64 s[6:7], s[2:3]
	s_cbranch_execnz .LBB283_18
.LBB283_14:                             ;   in Loop: Header=BB283_4 Depth=1
	s_or_b64 exec, exec, s[6:7]
	s_and_saveexec_b64 s[2:3], s[0:1]
	s_cbranch_execz .LBB283_3
	s_branch .LBB283_19
.LBB283_15:                             ;   in Loop: Header=BB283_4 Depth=1
	v_add_co_u32_e64 v15, s[8:9], s27, v1
	v_addc_co_u32_e64 v16, s[8:9], 0, v2, s[8:9]
	global_load_ushort v12, v[15:16], off
	s_waitcnt vmcnt(0)
	v_cvt_f32_f16_e32 v12, v12
	s_or_b64 exec, exec, s[22:23]
	s_and_saveexec_b64 s[8:9], vcc
	s_cbranch_execz .LBB283_12
.LBB283_16:                             ;   in Loop: Header=BB283_4 Depth=1
	v_div_scale_f32 v15, s[22:23], v14, v14, s24
	v_div_scale_f32 v16, vcc, s24, v14, s24
	v_rcp_f32_e32 v17, v15
	v_fma_f32 v18, -v15, v17, 1.0
	v_fmac_f32_e32 v17, v18, v17
	v_mul_f32_e32 v18, v16, v17
	v_fma_f32 v19, -v15, v18, v16
	v_fmac_f32_e32 v18, v19, v17
	v_fma_f32 v15, -v15, v18, v16
	v_div_fmas_f32 v15, v15, v17, v18
	v_div_fixup_f32 v14, v15, v14, s24
	v_cvt_f16_f32_e32 v14, v14
	global_store_short v[1:2], v14, off
	s_or_b64 exec, exec, s[8:9]
	s_and_saveexec_b64 s[8:9], s[6:7]
	s_cbranch_execz .LBB283_13
.LBB283_17:                             ;   in Loop: Header=BB283_4 Depth=1
	v_div_scale_f32 v14, s[6:7], v13, v13, s24
	v_div_scale_f32 v15, vcc, s24, v13, s24
	v_rcp_f32_e32 v16, v14
	v_fma_f32 v17, -v14, v16, 1.0
	v_fmac_f32_e32 v16, v17, v16
	v_mul_f32_e32 v17, v15, v16
	v_fma_f32 v18, -v14, v17, v15
	v_fmac_f32_e32 v17, v18, v16
	v_fma_f32 v14, -v14, v17, v15
	v_div_fmas_f32 v14, v14, v16, v17
	v_div_fixup_f32 v13, v14, v13, s24
	v_cvt_f16_f32_e32 v13, v13
	global_store_short v[3:4], v13, off
	s_or_b64 exec, exec, s[8:9]
	s_and_saveexec_b64 s[6:7], s[2:3]
	s_cbranch_execz .LBB283_14
.LBB283_18:                             ;   in Loop: Header=BB283_4 Depth=1
	v_div_scale_f32 v13, s[2:3], v11, v11, s24
	v_div_scale_f32 v14, vcc, s24, v11, s24
	v_rcp_f32_e32 v15, v13
	v_fma_f32 v16, -v13, v15, 1.0
	v_fmac_f32_e32 v15, v16, v15
	v_mul_f32_e32 v16, v14, v15
	v_fma_f32 v17, -v13, v16, v14
	v_fmac_f32_e32 v16, v17, v15
	v_fma_f32 v13, -v13, v16, v14
	v_div_fmas_f32 v13, v13, v15, v16
	v_div_fixup_f32 v11, v13, v11, s24
	v_cvt_f16_f32_e32 v11, v11
	v_add_co_u32_e32 v13, vcc, s25, v1
	v_addc_co_u32_e32 v14, vcc, 0, v2, vcc
	global_store_short v[13:14], v11, off
	s_or_b64 exec, exec, s[6:7]
	s_and_saveexec_b64 s[2:3], s[0:1]
	s_cbranch_execz .LBB283_3
.LBB283_19:                             ;   in Loop: Header=BB283_4 Depth=1
	v_div_scale_f32 v11, s[0:1], v12, v12, s24
	v_div_scale_f32 v13, vcc, s24, v12, s24
	v_rcp_f32_e32 v14, v11
	v_fma_f32 v15, -v11, v14, 1.0
	v_fmac_f32_e32 v14, v15, v14
	v_mul_f32_e32 v15, v13, v14
	v_fma_f32 v16, -v11, v15, v13
	v_fmac_f32_e32 v15, v16, v14
	v_fma_f32 v11, -v11, v15, v13
	v_div_fmas_f32 v11, v11, v14, v15
	v_div_fixup_f32 v11, v11, v12, s24
	v_cvt_f16_f32_e32 v13, v11
	v_add_co_u32_e32 v11, vcc, s27, v1
	v_addc_co_u32_e32 v12, vcc, 0, v2, vcc
	global_store_short v[11:12], v13, off
	s_branch .LBB283_3
.LBB283_20:
	s_cbranch_execz .LBB283_22
	s_branch .LBB283_25
.LBB283_21:
.LBB283_22:
	v_mov_b32_e32 v1, 0x10000
	v_mov_b32_e32 v2, 0
	v_cmp_lt_i64_e32 vcc, s[14:15], v[1:2]
	v_mov_b32_e32 v2, 0
	s_and_b64 s[0:1], vcc, exec
	s_cselect_b32 s1, s15, 0
	s_cselect_b32 s0, s14, 0x10000
	v_lshlrev_b32_e32 v1, 2, v0
	v_cmp_gt_i64_e32 vcc, s[0:1], v[1:2]
	s_and_saveexec_b64 s[2:3], vcc
	s_cbranch_execz .LBB283_25
; %bb.23:
	s_load_dword s2, s[4:5], 0xd3c
	v_mov_b32_e32 v1, v2
	v_lshlrev_b32_e32 v2, 3, v0
	s_waitcnt lgkmcnt(0)
	s_and_b32 s4, s2, 0xffff
	s_add_u32 s2, s10, s12
	s_addc_u32 s3, s11, s13
	v_mov_b32_e32 v3, s3
	v_add_co_u32_e32 v2, vcc, s2, v2
	v_addc_co_u32_e32 v3, vcc, 0, v3, vcc
	v_add_co_u32_e32 v2, vcc, 4, v2
	v_addc_co_u32_e32 v3, vcc, 0, v3, vcc
	s_lshl_b32 s5, s4, 3
	s_mov_b64 s[2:3], 0
.LBB283_24:                             ; =>This Inner Loop Header: Depth=1
	global_load_dwordx2 v[4:5], v[2:3], off offset:-4
	s_waitcnt vmcnt(0)
	v_cvt_f32_f16_e32 v6, v4
	v_cvt_f32_f16_sdwa v4, v4 dst_sel:DWORD dst_unused:UNUSED_PAD src0_sel:WORD_1
	v_div_scale_f32 v7, s[6:7], v6, v6, s24
	v_rcp_f32_e32 v8, v7
	v_fma_f32 v9, -v7, v8, 1.0
	v_fmac_f32_e32 v8, v9, v8
	v_div_scale_f32 v9, vcc, s24, v6, s24
	v_mul_f32_e32 v10, v9, v8
	v_fma_f32 v11, -v7, v10, v9
	v_fmac_f32_e32 v10, v11, v8
	v_fma_f32 v7, -v7, v10, v9
	v_div_fmas_f32 v7, v7, v8, v10
	v_div_fixup_f32 v6, v7, v6, s24
	v_div_scale_f32 v7, s[6:7], v4, v4, s24
	v_cvt_f16_f32_e32 v6, v6
	v_rcp_f32_e32 v8, v7
	v_fma_f32 v9, -v7, v8, 1.0
	v_fmac_f32_e32 v8, v9, v8
	v_div_scale_f32 v9, vcc, s24, v4, s24
	v_mul_f32_e32 v10, v9, v8
	v_fma_f32 v11, -v7, v10, v9
	v_fmac_f32_e32 v10, v11, v8
	v_fma_f32 v7, -v7, v10, v9
	v_div_fmas_f32 v7, v7, v8, v10
	v_div_fixup_f32 v4, v7, v4, s24
	v_cvt_f32_f16_e32 v7, v5
	v_cvt_f32_f16_sdwa v5, v5 dst_sel:DWORD dst_unused:UNUSED_PAD src0_sel:WORD_1
	v_cvt_f16_f32_e32 v4, v4
	v_div_scale_f32 v8, s[6:7], v7, v7, s24
	v_pack_b32_f16 v4, v6, v4
	v_rcp_f32_e32 v9, v8
	v_fma_f32 v10, -v8, v9, 1.0
	v_fmac_f32_e32 v9, v10, v9
	v_div_scale_f32 v10, vcc, s24, v7, s24
	v_mul_f32_e32 v11, v10, v9
	v_fma_f32 v12, -v8, v11, v10
	v_fmac_f32_e32 v11, v12, v9
	v_fma_f32 v8, -v8, v11, v10
	v_div_fmas_f32 v8, v8, v9, v11
	v_div_fixup_f32 v7, v8, v7, s24
	v_div_scale_f32 v8, s[6:7], v5, v5, s24
	v_cvt_f16_f32_e32 v7, v7
	v_rcp_f32_e32 v9, v8
	v_fma_f32 v10, -v8, v9, 1.0
	v_fmac_f32_e32 v9, v10, v9
	v_div_scale_f32 v10, vcc, s24, v5, s24
	v_mul_f32_e32 v11, v10, v9
	v_fma_f32 v12, -v8, v11, v10
	v_fmac_f32_e32 v11, v12, v9
	v_fma_f32 v8, -v8, v11, v10
	v_div_fmas_f32 v8, v8, v9, v11
	v_add_co_u32_e32 v0, vcc, s4, v0
	v_addc_co_u32_e32 v1, vcc, 0, v1, vcc
	v_div_fixup_f32 v5, v8, v5, s24
	v_cvt_f16_f32_e32 v5, v5
	v_pack_b32_f16 v5, v7, v5
	global_store_dwordx2 v[2:3], v[4:5], off offset:-4
	v_lshlrev_b64 v[4:5], 2, v[0:1]
	v_add_co_u32_e32 v2, vcc, s5, v2
	v_addc_co_u32_e32 v3, vcc, 0, v3, vcc
	v_cmp_le_i64_e32 vcc, s[0:1], v[4:5]
	s_or_b64 s[2:3], vcc, s[2:3]
	s_andn2_b64 exec, exec, s[2:3]
	s_cbranch_execnz .LBB283_24
.LBB283_25:
	s_endpgm
	.section	.rodata,"a",@progbits
	.p2align	6, 0x0
	.amdhsa_kernel _ZN2at6native12_GLOBAL__N_125multi_tensor_apply_kernelINS1_18TensorListMetadataILi1EEENS1_14UnaryOpFunctorIN3c104HalfELi1ELi1ELi0EEEJNS0_10ReciprocalIfEEEEEvT_T0_DpT1_
		.amdhsa_group_segment_fixed_size 0
		.amdhsa_private_segment_fixed_size 0
		.amdhsa_kernarg_size 3632
		.amdhsa_user_sgpr_count 6
		.amdhsa_user_sgpr_private_segment_buffer 1
		.amdhsa_user_sgpr_dispatch_ptr 0
		.amdhsa_user_sgpr_queue_ptr 0
		.amdhsa_user_sgpr_kernarg_segment_ptr 1
		.amdhsa_user_sgpr_dispatch_id 0
		.amdhsa_user_sgpr_flat_scratch_init 0
		.amdhsa_user_sgpr_private_segment_size 0
		.amdhsa_uses_dynamic_stack 0
		.amdhsa_system_sgpr_private_segment_wavefront_offset 0
		.amdhsa_system_sgpr_workgroup_id_x 1
		.amdhsa_system_sgpr_workgroup_id_y 0
		.amdhsa_system_sgpr_workgroup_id_z 0
		.amdhsa_system_sgpr_workgroup_info 0
		.amdhsa_system_vgpr_workitem_id 0
		.amdhsa_next_free_vgpr 20
		.amdhsa_next_free_sgpr 28
		.amdhsa_reserve_vcc 1
		.amdhsa_reserve_flat_scratch 0
		.amdhsa_float_round_mode_32 0
		.amdhsa_float_round_mode_16_64 0
		.amdhsa_float_denorm_mode_32 3
		.amdhsa_float_denorm_mode_16_64 3
		.amdhsa_dx10_clamp 1
		.amdhsa_ieee_mode 1
		.amdhsa_fp16_overflow 0
		.amdhsa_exception_fp_ieee_invalid_op 0
		.amdhsa_exception_fp_denorm_src 0
		.amdhsa_exception_fp_ieee_div_zero 0
		.amdhsa_exception_fp_ieee_overflow 0
		.amdhsa_exception_fp_ieee_underflow 0
		.amdhsa_exception_fp_ieee_inexact 0
		.amdhsa_exception_int_div_zero 0
	.end_amdhsa_kernel
	.section	.text._ZN2at6native12_GLOBAL__N_125multi_tensor_apply_kernelINS1_18TensorListMetadataILi1EEENS1_14UnaryOpFunctorIN3c104HalfELi1ELi1ELi0EEEJNS0_10ReciprocalIfEEEEEvT_T0_DpT1_,"axG",@progbits,_ZN2at6native12_GLOBAL__N_125multi_tensor_apply_kernelINS1_18TensorListMetadataILi1EEENS1_14UnaryOpFunctorIN3c104HalfELi1ELi1ELi0EEEJNS0_10ReciprocalIfEEEEEvT_T0_DpT1_,comdat
.Lfunc_end283:
	.size	_ZN2at6native12_GLOBAL__N_125multi_tensor_apply_kernelINS1_18TensorListMetadataILi1EEENS1_14UnaryOpFunctorIN3c104HalfELi1ELi1ELi0EEEJNS0_10ReciprocalIfEEEEEvT_T0_DpT1_, .Lfunc_end283-_ZN2at6native12_GLOBAL__N_125multi_tensor_apply_kernelINS1_18TensorListMetadataILi1EEENS1_14UnaryOpFunctorIN3c104HalfELi1ELi1ELi0EEEJNS0_10ReciprocalIfEEEEEvT_T0_DpT1_
                                        ; -- End function
	.set _ZN2at6native12_GLOBAL__N_125multi_tensor_apply_kernelINS1_18TensorListMetadataILi1EEENS1_14UnaryOpFunctorIN3c104HalfELi1ELi1ELi0EEEJNS0_10ReciprocalIfEEEEEvT_T0_DpT1_.num_vgpr, 20
	.set _ZN2at6native12_GLOBAL__N_125multi_tensor_apply_kernelINS1_18TensorListMetadataILi1EEENS1_14UnaryOpFunctorIN3c104HalfELi1ELi1ELi0EEEJNS0_10ReciprocalIfEEEEEvT_T0_DpT1_.num_agpr, 0
	.set _ZN2at6native12_GLOBAL__N_125multi_tensor_apply_kernelINS1_18TensorListMetadataILi1EEENS1_14UnaryOpFunctorIN3c104HalfELi1ELi1ELi0EEEJNS0_10ReciprocalIfEEEEEvT_T0_DpT1_.numbered_sgpr, 28
	.set _ZN2at6native12_GLOBAL__N_125multi_tensor_apply_kernelINS1_18TensorListMetadataILi1EEENS1_14UnaryOpFunctorIN3c104HalfELi1ELi1ELi0EEEJNS0_10ReciprocalIfEEEEEvT_T0_DpT1_.num_named_barrier, 0
	.set _ZN2at6native12_GLOBAL__N_125multi_tensor_apply_kernelINS1_18TensorListMetadataILi1EEENS1_14UnaryOpFunctorIN3c104HalfELi1ELi1ELi0EEEJNS0_10ReciprocalIfEEEEEvT_T0_DpT1_.private_seg_size, 0
	.set _ZN2at6native12_GLOBAL__N_125multi_tensor_apply_kernelINS1_18TensorListMetadataILi1EEENS1_14UnaryOpFunctorIN3c104HalfELi1ELi1ELi0EEEJNS0_10ReciprocalIfEEEEEvT_T0_DpT1_.uses_vcc, 1
	.set _ZN2at6native12_GLOBAL__N_125multi_tensor_apply_kernelINS1_18TensorListMetadataILi1EEENS1_14UnaryOpFunctorIN3c104HalfELi1ELi1ELi0EEEJNS0_10ReciprocalIfEEEEEvT_T0_DpT1_.uses_flat_scratch, 0
	.set _ZN2at6native12_GLOBAL__N_125multi_tensor_apply_kernelINS1_18TensorListMetadataILi1EEENS1_14UnaryOpFunctorIN3c104HalfELi1ELi1ELi0EEEJNS0_10ReciprocalIfEEEEEvT_T0_DpT1_.has_dyn_sized_stack, 0
	.set _ZN2at6native12_GLOBAL__N_125multi_tensor_apply_kernelINS1_18TensorListMetadataILi1EEENS1_14UnaryOpFunctorIN3c104HalfELi1ELi1ELi0EEEJNS0_10ReciprocalIfEEEEEvT_T0_DpT1_.has_recursion, 0
	.set _ZN2at6native12_GLOBAL__N_125multi_tensor_apply_kernelINS1_18TensorListMetadataILi1EEENS1_14UnaryOpFunctorIN3c104HalfELi1ELi1ELi0EEEJNS0_10ReciprocalIfEEEEEvT_T0_DpT1_.has_indirect_call, 0
	.section	.AMDGPU.csdata,"",@progbits
; Kernel info:
; codeLenInByte = 1620
; TotalNumSgprs: 32
; NumVgprs: 20
; ScratchSize: 0
; MemoryBound: 0
; FloatMode: 240
; IeeeMode: 1
; LDSByteSize: 0 bytes/workgroup (compile time only)
; SGPRBlocks: 3
; VGPRBlocks: 4
; NumSGPRsForWavesPerEU: 32
; NumVGPRsForWavesPerEU: 20
; Occupancy: 10
; WaveLimiterHint : 0
; COMPUTE_PGM_RSRC2:SCRATCH_EN: 0
; COMPUTE_PGM_RSRC2:USER_SGPR: 6
; COMPUTE_PGM_RSRC2:TRAP_HANDLER: 0
; COMPUTE_PGM_RSRC2:TGID_X_EN: 1
; COMPUTE_PGM_RSRC2:TGID_Y_EN: 0
; COMPUTE_PGM_RSRC2:TGID_Z_EN: 0
; COMPUTE_PGM_RSRC2:TIDIG_COMP_CNT: 0
	.section	.text._ZN2at6native12_GLOBAL__N_125multi_tensor_apply_kernelINS1_18TensorListMetadataILi1EEENS1_14UnaryOpFunctorIN3c108BFloat16ELi1ELi1ELi0EEEJNS0_10ReciprocalIfEEEEEvT_T0_DpT1_,"axG",@progbits,_ZN2at6native12_GLOBAL__N_125multi_tensor_apply_kernelINS1_18TensorListMetadataILi1EEENS1_14UnaryOpFunctorIN3c108BFloat16ELi1ELi1ELi0EEEJNS0_10ReciprocalIfEEEEEvT_T0_DpT1_,comdat
	.globl	_ZN2at6native12_GLOBAL__N_125multi_tensor_apply_kernelINS1_18TensorListMetadataILi1EEENS1_14UnaryOpFunctorIN3c108BFloat16ELi1ELi1ELi0EEEJNS0_10ReciprocalIfEEEEEvT_T0_DpT1_ ; -- Begin function _ZN2at6native12_GLOBAL__N_125multi_tensor_apply_kernelINS1_18TensorListMetadataILi1EEENS1_14UnaryOpFunctorIN3c108BFloat16ELi1ELi1ELi0EEEJNS0_10ReciprocalIfEEEEEvT_T0_DpT1_
	.p2align	8
	.type	_ZN2at6native12_GLOBAL__N_125multi_tensor_apply_kernelINS1_18TensorListMetadataILi1EEENS1_14UnaryOpFunctorIN3c108BFloat16ELi1ELi1ELi0EEEJNS0_10ReciprocalIfEEEEEvT_T0_DpT1_,@function
_ZN2at6native12_GLOBAL__N_125multi_tensor_apply_kernelINS1_18TensorListMetadataILi1EEENS1_14UnaryOpFunctorIN3c108BFloat16ELi1ELi1ELi0EEEJNS0_10ReciprocalIfEEEEEvT_T0_DpT1_: ; @_ZN2at6native12_GLOBAL__N_125multi_tensor_apply_kernelINS1_18TensorListMetadataILi1EEENS1_14UnaryOpFunctorIN3c108BFloat16ELi1ELi1ELi0EEEJNS0_10ReciprocalIfEEEEEvT_T0_DpT1_
; %bb.0:
	v_mov_b32_e32 v1, s6
	global_load_ubyte v1, v1, s[4:5] offset:1760
	s_add_u32 s0, s4, s6
	s_mul_hi_u32 s1, s6, 3
	s_mul_i32 s6, s6, 3
	s_addc_u32 s2, s5, 0
	s_add_u32 s0, s0, s6
	s_addc_u32 s1, s2, s1
	s_load_dword s0, s[0:1], 0x820
	s_mov_b32 s7, 0
	s_waitcnt vmcnt(0)
	v_readfirstlane_b32 s1, v1
	s_lshl_b32 s1, s1, 3
	s_load_dword s24, s[4:5], 0xd2c
	s_load_dwordx2 s[2:3], s[4:5], s1 offset:0x370
	s_load_dwordx2 s[10:11], s[4:5], s1 offset:0x0
	s_waitcnt lgkmcnt(0)
	s_ashr_i32 s1, s0, 31
	s_lshl_b64 s[12:13], s[0:1], 17
	s_lshl_b64 s[0:1], s[0:1], 16
	s_and_b32 s6, s10, 7
	s_sub_u32 s14, s2, s0
	s_subb_u32 s15, s3, s1
	s_and_b32 s0, s2, 3
	s_mov_b32 s1, s7
	s_or_b64 s[0:1], s[6:7], s[0:1]
	s_cmp_eq_u64 s[0:1], 0
	s_cbranch_scc1 .LBB284_21
; %bb.1:
	v_cmp_lt_i64_e64 s[0:1], s[14:15], 1
	s_and_b64 vcc, exec, s[0:1]
	s_cbranch_vccnz .LBB284_20
; %bb.2:
	v_mov_b32_e32 v1, 0x10000
	s_load_dword s2, s[4:5], 0xd3c
	v_mov_b32_e32 v2, 0
	v_cmp_lt_i64_e32 vcc, s[14:15], v[1:2]
	s_mov_b64 s[20:21], 0
	s_and_b64 s[0:1], vcc, exec
	v_cmp_lt_u64_e32 vcc, s[14:15], v[1:2]
	s_cselect_b32 s17, s15, 0
	s_cselect_b32 s16, s14, 0x10000
	s_waitcnt lgkmcnt(0)
	s_and_b32 s2, s2, 0xffff
	s_and_b64 s[0:1], vcc, exec
	s_cselect_b32 s19, s15, 0
	s_cselect_b32 s18, s14, 0x10000
	s_lshl_b32 s3, s2, 1
	s_lshl_b32 s25, s2, 2
	s_add_u32 s6, s10, s12
	v_lshlrev_b32_e32 v1, 1, v0
	s_addc_u32 s7, s11, s13
	v_mov_b32_e32 v2, s7
	v_add_co_u32_e32 v1, vcc, s6, v1
	s_mul_i32 s0, s2, 3
	v_addc_co_u32_e32 v2, vcc, 0, v2, vcc
	v_add_co_u32_e32 v5, vcc, s0, v0
	v_addc_co_u32_e64 v6, s[0:1], 0, 0, vcc
	v_add_co_u32_e32 v7, vcc, s3, v0
	v_addc_co_u32_e64 v8, s[0:1], 0, 0, vcc
	v_add_co_u32_e32 v9, vcc, s2, v0
	v_lshlrev_b32_e32 v3, 1, v9
	v_addc_co_u32_e64 v10, s[0:1], 0, 0, vcc
	v_mov_b32_e32 v4, s7
	v_add_co_u32_e32 v3, vcc, s6, v3
	s_lshl_b32 s26, s2, 3
	s_mul_i32 s27, s2, 6
	v_addc_co_u32_e32 v4, vcc, 0, v4, vcc
	s_movk_i32 s28, 0x7fff
	v_mov_b32_e32 v11, 0x7fc0
	s_branch .LBB284_4
.LBB284_3:                              ;   in Loop: Header=BB284_4 Depth=1
	s_or_b64 exec, exec, s[2:3]
	s_add_u32 s20, s20, s25
	v_add_co_u32_e32 v1, vcc, s26, v1
	v_mov_b32_e32 v12, s16
	s_addc_u32 s21, s21, 0
	v_addc_co_u32_e32 v2, vcc, 0, v2, vcc
	v_mov_b32_e32 v13, s17
	v_cmp_lt_i64_e32 vcc, s[20:21], v[12:13]
	v_add_co_u32_e64 v3, s[0:1], s26, v3
	v_addc_co_u32_e64 v4, s[0:1], 0, v4, s[0:1]
	s_cbranch_vccz .LBB284_20
.LBB284_4:                              ; =>This Inner Loop Header: Depth=1
	v_mov_b32_e32 v13, s21
	v_add_co_u32_e32 v12, vcc, s20, v0
	v_addc_co_u32_e32 v13, vcc, 0, v13, vcc
	v_cmp_gt_u64_e32 vcc, s[18:19], v[12:13]
	v_mov_b32_e32 v15, 0
	s_and_saveexec_b64 s[0:1], vcc
	s_cbranch_execz .LBB284_6
; %bb.5:                                ;   in Loop: Header=BB284_4 Depth=1
	global_load_ushort v12, v[1:2], off
	s_waitcnt vmcnt(0)
	v_lshlrev_b32_e32 v15, 16, v12
.LBB284_6:                              ;   in Loop: Header=BB284_4 Depth=1
	s_or_b64 exec, exec, s[0:1]
	v_mov_b32_e32 v13, s21
	v_add_co_u32_e64 v12, s[0:1], s20, v9
	v_addc_co_u32_e64 v13, s[0:1], v10, v13, s[0:1]
	v_cmp_gt_u64_e64 s[6:7], s[18:19], v[12:13]
	v_mov_b32_e32 v12, 0
	v_mov_b32_e32 v14, 0
	s_and_saveexec_b64 s[0:1], s[6:7]
	s_cbranch_execz .LBB284_8
; %bb.7:                                ;   in Loop: Header=BB284_4 Depth=1
	global_load_ushort v13, v[3:4], off
	s_waitcnt vmcnt(0)
	v_lshlrev_b32_e32 v14, 16, v13
.LBB284_8:                              ;   in Loop: Header=BB284_4 Depth=1
	s_or_b64 exec, exec, s[0:1]
	v_mov_b32_e32 v13, s21
	v_add_co_u32_e64 v16, s[0:1], s20, v7
	v_addc_co_u32_e64 v17, s[0:1], v8, v13, s[0:1]
	v_cmp_gt_u64_e64 s[2:3], s[18:19], v[16:17]
	s_and_saveexec_b64 s[8:9], s[2:3]
	s_cbranch_execz .LBB284_10
; %bb.9:                                ;   in Loop: Header=BB284_4 Depth=1
	v_add_co_u32_e64 v12, s[0:1], s25, v1
	v_addc_co_u32_e64 v13, s[0:1], 0, v2, s[0:1]
	global_load_ushort v12, v[12:13], off
	s_waitcnt vmcnt(0)
	v_lshlrev_b32_e32 v12, 16, v12
.LBB284_10:                             ;   in Loop: Header=BB284_4 Depth=1
	s_or_b64 exec, exec, s[8:9]
	v_mov_b32_e32 v13, s21
	v_add_co_u32_e64 v16, s[0:1], s20, v5
	v_addc_co_u32_e64 v17, s[0:1], v6, v13, s[0:1]
	v_cmp_gt_u64_e64 s[0:1], s[18:19], v[16:17]
	v_mov_b32_e32 v13, 0
	s_and_saveexec_b64 s[22:23], s[0:1]
	s_cbranch_execnz .LBB284_15
; %bb.11:                               ;   in Loop: Header=BB284_4 Depth=1
	s_or_b64 exec, exec, s[22:23]
	s_and_saveexec_b64 s[8:9], vcc
	s_cbranch_execnz .LBB284_16
.LBB284_12:                             ;   in Loop: Header=BB284_4 Depth=1
	s_or_b64 exec, exec, s[8:9]
	s_and_saveexec_b64 s[8:9], s[6:7]
	s_cbranch_execnz .LBB284_17
.LBB284_13:                             ;   in Loop: Header=BB284_4 Depth=1
	s_or_b64 exec, exec, s[8:9]
	s_and_saveexec_b64 s[6:7], s[2:3]
	s_cbranch_execnz .LBB284_18
.LBB284_14:                             ;   in Loop: Header=BB284_4 Depth=1
	s_or_b64 exec, exec, s[6:7]
	s_and_saveexec_b64 s[2:3], s[0:1]
	s_cbranch_execz .LBB284_3
	s_branch .LBB284_19
.LBB284_15:                             ;   in Loop: Header=BB284_4 Depth=1
	v_add_co_u32_e64 v16, s[8:9], s27, v1
	v_addc_co_u32_e64 v17, s[8:9], 0, v2, s[8:9]
	global_load_ushort v13, v[16:17], off
	s_waitcnt vmcnt(0)
	v_lshlrev_b32_e32 v13, 16, v13
	s_or_b64 exec, exec, s[22:23]
	s_and_saveexec_b64 s[8:9], vcc
	s_cbranch_execz .LBB284_12
.LBB284_16:                             ;   in Loop: Header=BB284_4 Depth=1
	v_div_scale_f32 v16, s[22:23], v15, v15, s24
	v_div_scale_f32 v17, vcc, s24, v15, s24
	v_rcp_f32_e32 v18, v16
	v_fma_f32 v19, -v16, v18, 1.0
	v_fmac_f32_e32 v18, v19, v18
	v_mul_f32_e32 v19, v17, v18
	v_fma_f32 v20, -v16, v19, v17
	v_fmac_f32_e32 v19, v20, v18
	v_fma_f32 v16, -v16, v19, v17
	v_div_fmas_f32 v16, v16, v18, v19
	v_div_fixup_f32 v15, v16, v15, s24
	v_bfe_u32 v16, v15, 16, 1
	v_cmp_o_f32_e32 vcc, v15, v15
	v_add3_u32 v15, v15, v16, s28
	v_cndmask_b32_sdwa v15, v11, v15, vcc dst_sel:DWORD dst_unused:UNUSED_PAD src0_sel:DWORD src1_sel:WORD_1
	global_store_short v[1:2], v15, off
	s_or_b64 exec, exec, s[8:9]
	s_and_saveexec_b64 s[8:9], s[6:7]
	s_cbranch_execz .LBB284_13
.LBB284_17:                             ;   in Loop: Header=BB284_4 Depth=1
	v_div_scale_f32 v15, s[6:7], v14, v14, s24
	v_div_scale_f32 v16, vcc, s24, v14, s24
	v_rcp_f32_e32 v17, v15
	v_fma_f32 v18, -v15, v17, 1.0
	v_fmac_f32_e32 v17, v18, v17
	v_mul_f32_e32 v18, v16, v17
	v_fma_f32 v19, -v15, v18, v16
	v_fmac_f32_e32 v18, v19, v17
	v_fma_f32 v15, -v15, v18, v16
	v_div_fmas_f32 v15, v15, v17, v18
	v_div_fixup_f32 v14, v15, v14, s24
	v_bfe_u32 v15, v14, 16, 1
	v_cmp_o_f32_e32 vcc, v14, v14
	v_add3_u32 v14, v14, v15, s28
	v_cndmask_b32_sdwa v14, v11, v14, vcc dst_sel:DWORD dst_unused:UNUSED_PAD src0_sel:DWORD src1_sel:WORD_1
	global_store_short v[3:4], v14, off
	s_or_b64 exec, exec, s[8:9]
	s_and_saveexec_b64 s[6:7], s[2:3]
	s_cbranch_execz .LBB284_14
.LBB284_18:                             ;   in Loop: Header=BB284_4 Depth=1
	v_div_scale_f32 v14, s[2:3], v12, v12, s24
	v_div_scale_f32 v15, vcc, s24, v12, s24
	v_rcp_f32_e32 v16, v14
	v_fma_f32 v17, -v14, v16, 1.0
	v_fmac_f32_e32 v16, v17, v16
	v_mul_f32_e32 v17, v15, v16
	v_fma_f32 v18, -v14, v17, v15
	v_fmac_f32_e32 v17, v18, v16
	v_fma_f32 v14, -v14, v17, v15
	v_div_fmas_f32 v14, v14, v16, v17
	v_div_fixup_f32 v12, v14, v12, s24
	v_bfe_u32 v14, v12, 16, 1
	v_cmp_o_f32_e32 vcc, v12, v12
	v_add3_u32 v12, v12, v14, s28
	v_cndmask_b32_sdwa v12, v11, v12, vcc dst_sel:DWORD dst_unused:UNUSED_PAD src0_sel:DWORD src1_sel:WORD_1
	v_add_co_u32_e32 v14, vcc, s25, v1
	v_addc_co_u32_e32 v15, vcc, 0, v2, vcc
	global_store_short v[14:15], v12, off
	s_or_b64 exec, exec, s[6:7]
	s_and_saveexec_b64 s[2:3], s[0:1]
	s_cbranch_execz .LBB284_3
.LBB284_19:                             ;   in Loop: Header=BB284_4 Depth=1
	v_div_scale_f32 v12, s[0:1], v13, v13, s24
	v_div_scale_f32 v14, vcc, s24, v13, s24
	v_rcp_f32_e32 v15, v12
	v_fma_f32 v16, -v12, v15, 1.0
	v_fmac_f32_e32 v15, v16, v15
	v_mul_f32_e32 v16, v14, v15
	v_fma_f32 v17, -v12, v16, v14
	v_fmac_f32_e32 v16, v17, v15
	v_fma_f32 v12, -v12, v16, v14
	v_div_fmas_f32 v12, v12, v15, v16
	v_div_fixup_f32 v12, v12, v13, s24
	v_bfe_u32 v13, v12, 16, 1
	v_cmp_o_f32_e32 vcc, v12, v12
	v_add3_u32 v12, v12, v13, s28
	v_cndmask_b32_sdwa v14, v11, v12, vcc dst_sel:DWORD dst_unused:UNUSED_PAD src0_sel:DWORD src1_sel:WORD_1
	v_add_co_u32_e32 v12, vcc, s27, v1
	v_addc_co_u32_e32 v13, vcc, 0, v2, vcc
	global_store_short v[12:13], v14, off
	s_branch .LBB284_3
.LBB284_20:
	s_cbranch_execz .LBB284_22
	s_branch .LBB284_25
.LBB284_21:
.LBB284_22:
	v_mov_b32_e32 v1, 0x10000
	v_mov_b32_e32 v2, 0
	v_cmp_lt_i64_e32 vcc, s[14:15], v[1:2]
	v_mov_b32_e32 v2, 0
	s_and_b64 s[0:1], vcc, exec
	s_cselect_b32 s7, s15, 0
	s_cselect_b32 s6, s14, 0x10000
	v_lshlrev_b32_e32 v1, 2, v0
	v_cmp_gt_i64_e32 vcc, s[6:7], v[1:2]
	s_and_saveexec_b64 s[0:1], vcc
	s_cbranch_execz .LBB284_25
; %bb.23:
	s_load_dword s0, s[4:5], 0xd3c
	v_mov_b32_e32 v1, v2
	v_lshlrev_b32_e32 v2, 3, v0
	s_mov_b64 s[8:9], 0
	v_mov_b32_e32 v4, 0x7fc00000
	s_waitcnt lgkmcnt(0)
	s_and_b32 s14, s0, 0xffff
	s_add_u32 s0, s10, s12
	s_addc_u32 s1, s11, s13
	v_mov_b32_e32 v3, s1
	v_add_co_u32_e32 v2, vcc, s0, v2
	v_addc_co_u32_e32 v3, vcc, 0, v3, vcc
	s_lshl_b32 s10, s14, 3
	s_movk_i32 s11, 0x7fff
	v_mov_b32_e32 v5, 0x7fc0
.LBB284_24:                             ; =>This Inner Loop Header: Depth=1
	global_load_dwordx2 v[6:7], v[2:3], off
	s_waitcnt vmcnt(0)
	v_lshlrev_b32_e32 v9, 16, v6
	v_div_scale_f32 v10, s[0:1], v9, v9, s24
	v_and_b32_e32 v8, 0xffff0000, v6
	v_alignbit_b32 v6, v7, v6, 16
	v_and_b32_e32 v12, 0xffff0000, v7
	v_div_scale_f32 v7, vcc, s24, v9, s24
	v_div_scale_f32 v11, s[0:1], v8, v8, s24
	v_and_b32_e32 v13, 0xffff0000, v6
	v_div_scale_f32 v6, s[0:1], v12, v12, s24
	v_div_scale_f32 v14, s[0:1], v13, v13, s24
	;; [unrolled: 1-line block ×3, first 2 shown]
	v_rcp_f32_e32 v15, v10
	v_fma_f32 v18, -v10, v15, 1.0
	v_fmac_f32_e32 v15, v18, v15
	v_mul_f32_e32 v18, v7, v15
	v_rcp_f32_e32 v17, v11
	v_fma_f32 v19, -v10, v18, v7
	v_fmac_f32_e32 v18, v19, v15
	v_rcp_f32_e32 v19, v6
	v_fma_f32 v7, -v10, v18, v7
	v_rcp_f32_e32 v10, v14
	v_div_fmas_f32 v15, v7, v15, v18
	v_fma_f32 v7, -v11, v17, 1.0
	v_fma_f32 v18, -v6, v19, 1.0
	v_fmac_f32_e32 v17, v7, v17
	v_fma_f32 v7, -v14, v10, 1.0
	v_fmac_f32_e32 v19, v18, v19
	v_mul_f32_e32 v18, v16, v17
	v_fmac_f32_e32 v10, v7, v10
	v_fma_f32 v7, -v11, v18, v16
	v_fmac_f32_e32 v18, v7, v17
	v_div_scale_f32 v7, s[2:3], s24, v12, s24
	v_fma_f32 v11, -v11, v18, v16
	v_div_scale_f32 v16, s[4:5], s24, v13, s24
	s_mov_b64 vcc, s[0:1]
	v_div_fmas_f32 v11, v11, v17, v18
	s_mov_b64 vcc, s[4:5]
	v_mul_f32_e32 v20, v7, v19
	v_fma_f32 v21, -v6, v20, v7
	v_fmac_f32_e32 v20, v21, v19
	v_mul_f32_e32 v21, v16, v10
	v_fma_f32 v22, -v14, v21, v16
	v_fmac_f32_e32 v21, v22, v10
	v_fma_f32 v6, -v6, v20, v7
	v_fma_f32 v7, -v14, v21, v16
	v_div_fmas_f32 v10, v7, v10, v21
	s_mov_b64 vcc, s[2:3]
	v_div_fmas_f32 v14, v6, v19, v20
	v_add_co_u32_e32 v0, vcc, s14, v0
	v_addc_co_u32_e32 v1, vcc, 0, v1, vcc
	v_lshlrev_b64 v[6:7], 2, v[0:1]
	v_div_fixup_f32 v8, v11, v8, s24
	v_cmp_le_i64_e32 vcc, s[6:7], v[6:7]
	v_div_fixup_f32 v6, v15, v9, s24
	v_bfe_u32 v7, v6, 16, 1
	v_add3_u32 v7, v6, v7, s11
	v_bfe_u32 v9, v8, 16, 1
	s_or_b64 s[8:9], vcc, s[8:9]
	v_lshrrev_b32_e32 v7, 16, v7
	v_div_fixup_f32 v10, v10, v13, s24
	v_add3_u32 v9, v8, v9, s11
	v_bfe_u32 v11, v10, 16, 1
	v_div_fixup_f32 v12, v14, v12, s24
	v_cmp_o_f32_e32 vcc, v6, v6
	v_and_b32_e32 v9, 0xffff0000, v9
	v_add3_u32 v11, v10, v11, s11
	v_bfe_u32 v13, v12, 16, 1
	v_cndmask_b32_e32 v6, v5, v7, vcc
	v_cmp_o_f32_e32 vcc, v8, v8
	v_lshrrev_b32_e32 v7, 16, v11
	v_add3_u32 v11, v12, v13, s11
	v_cndmask_b32_e32 v8, v4, v9, vcc
	v_cmp_o_f32_e32 vcc, v10, v10
	v_and_b32_e32 v9, 0xffff0000, v11
	v_cndmask_b32_e32 v7, v5, v7, vcc
	v_cmp_o_f32_e32 vcc, v12, v12
	v_or_b32_e32 v6, v6, v8
	v_cndmask_b32_e32 v8, v4, v9, vcc
	v_or3_b32 v6, v6, 0, 0
	v_or3_b32 v7, 0, v7, v8
	global_store_dwordx2 v[2:3], v[6:7], off
	v_add_co_u32_e32 v2, vcc, s10, v2
	v_addc_co_u32_e32 v3, vcc, 0, v3, vcc
	s_andn2_b64 exec, exec, s[8:9]
	s_cbranch_execnz .LBB284_24
.LBB284_25:
	s_endpgm
	.section	.rodata,"a",@progbits
	.p2align	6, 0x0
	.amdhsa_kernel _ZN2at6native12_GLOBAL__N_125multi_tensor_apply_kernelINS1_18TensorListMetadataILi1EEENS1_14UnaryOpFunctorIN3c108BFloat16ELi1ELi1ELi0EEEJNS0_10ReciprocalIfEEEEEvT_T0_DpT1_
		.amdhsa_group_segment_fixed_size 0
		.amdhsa_private_segment_fixed_size 0
		.amdhsa_kernarg_size 3632
		.amdhsa_user_sgpr_count 6
		.amdhsa_user_sgpr_private_segment_buffer 1
		.amdhsa_user_sgpr_dispatch_ptr 0
		.amdhsa_user_sgpr_queue_ptr 0
		.amdhsa_user_sgpr_kernarg_segment_ptr 1
		.amdhsa_user_sgpr_dispatch_id 0
		.amdhsa_user_sgpr_flat_scratch_init 0
		.amdhsa_user_sgpr_private_segment_size 0
		.amdhsa_uses_dynamic_stack 0
		.amdhsa_system_sgpr_private_segment_wavefront_offset 0
		.amdhsa_system_sgpr_workgroup_id_x 1
		.amdhsa_system_sgpr_workgroup_id_y 0
		.amdhsa_system_sgpr_workgroup_id_z 0
		.amdhsa_system_sgpr_workgroup_info 0
		.amdhsa_system_vgpr_workitem_id 0
		.amdhsa_next_free_vgpr 23
		.amdhsa_next_free_sgpr 29
		.amdhsa_reserve_vcc 1
		.amdhsa_reserve_flat_scratch 0
		.amdhsa_float_round_mode_32 0
		.amdhsa_float_round_mode_16_64 0
		.amdhsa_float_denorm_mode_32 3
		.amdhsa_float_denorm_mode_16_64 3
		.amdhsa_dx10_clamp 1
		.amdhsa_ieee_mode 1
		.amdhsa_fp16_overflow 0
		.amdhsa_exception_fp_ieee_invalid_op 0
		.amdhsa_exception_fp_denorm_src 0
		.amdhsa_exception_fp_ieee_div_zero 0
		.amdhsa_exception_fp_ieee_overflow 0
		.amdhsa_exception_fp_ieee_underflow 0
		.amdhsa_exception_fp_ieee_inexact 0
		.amdhsa_exception_int_div_zero 0
	.end_amdhsa_kernel
	.section	.text._ZN2at6native12_GLOBAL__N_125multi_tensor_apply_kernelINS1_18TensorListMetadataILi1EEENS1_14UnaryOpFunctorIN3c108BFloat16ELi1ELi1ELi0EEEJNS0_10ReciprocalIfEEEEEvT_T0_DpT1_,"axG",@progbits,_ZN2at6native12_GLOBAL__N_125multi_tensor_apply_kernelINS1_18TensorListMetadataILi1EEENS1_14UnaryOpFunctorIN3c108BFloat16ELi1ELi1ELi0EEEJNS0_10ReciprocalIfEEEEEvT_T0_DpT1_,comdat
.Lfunc_end284:
	.size	_ZN2at6native12_GLOBAL__N_125multi_tensor_apply_kernelINS1_18TensorListMetadataILi1EEENS1_14UnaryOpFunctorIN3c108BFloat16ELi1ELi1ELi0EEEJNS0_10ReciprocalIfEEEEEvT_T0_DpT1_, .Lfunc_end284-_ZN2at6native12_GLOBAL__N_125multi_tensor_apply_kernelINS1_18TensorListMetadataILi1EEENS1_14UnaryOpFunctorIN3c108BFloat16ELi1ELi1ELi0EEEJNS0_10ReciprocalIfEEEEEvT_T0_DpT1_
                                        ; -- End function
	.set _ZN2at6native12_GLOBAL__N_125multi_tensor_apply_kernelINS1_18TensorListMetadataILi1EEENS1_14UnaryOpFunctorIN3c108BFloat16ELi1ELi1ELi0EEEJNS0_10ReciprocalIfEEEEEvT_T0_DpT1_.num_vgpr, 23
	.set _ZN2at6native12_GLOBAL__N_125multi_tensor_apply_kernelINS1_18TensorListMetadataILi1EEENS1_14UnaryOpFunctorIN3c108BFloat16ELi1ELi1ELi0EEEJNS0_10ReciprocalIfEEEEEvT_T0_DpT1_.num_agpr, 0
	.set _ZN2at6native12_GLOBAL__N_125multi_tensor_apply_kernelINS1_18TensorListMetadataILi1EEENS1_14UnaryOpFunctorIN3c108BFloat16ELi1ELi1ELi0EEEJNS0_10ReciprocalIfEEEEEvT_T0_DpT1_.numbered_sgpr, 29
	.set _ZN2at6native12_GLOBAL__N_125multi_tensor_apply_kernelINS1_18TensorListMetadataILi1EEENS1_14UnaryOpFunctorIN3c108BFloat16ELi1ELi1ELi0EEEJNS0_10ReciprocalIfEEEEEvT_T0_DpT1_.num_named_barrier, 0
	.set _ZN2at6native12_GLOBAL__N_125multi_tensor_apply_kernelINS1_18TensorListMetadataILi1EEENS1_14UnaryOpFunctorIN3c108BFloat16ELi1ELi1ELi0EEEJNS0_10ReciprocalIfEEEEEvT_T0_DpT1_.private_seg_size, 0
	.set _ZN2at6native12_GLOBAL__N_125multi_tensor_apply_kernelINS1_18TensorListMetadataILi1EEENS1_14UnaryOpFunctorIN3c108BFloat16ELi1ELi1ELi0EEEJNS0_10ReciprocalIfEEEEEvT_T0_DpT1_.uses_vcc, 1
	.set _ZN2at6native12_GLOBAL__N_125multi_tensor_apply_kernelINS1_18TensorListMetadataILi1EEENS1_14UnaryOpFunctorIN3c108BFloat16ELi1ELi1ELi0EEEJNS0_10ReciprocalIfEEEEEvT_T0_DpT1_.uses_flat_scratch, 0
	.set _ZN2at6native12_GLOBAL__N_125multi_tensor_apply_kernelINS1_18TensorListMetadataILi1EEENS1_14UnaryOpFunctorIN3c108BFloat16ELi1ELi1ELi0EEEJNS0_10ReciprocalIfEEEEEvT_T0_DpT1_.has_dyn_sized_stack, 0
	.set _ZN2at6native12_GLOBAL__N_125multi_tensor_apply_kernelINS1_18TensorListMetadataILi1EEENS1_14UnaryOpFunctorIN3c108BFloat16ELi1ELi1ELi0EEEJNS0_10ReciprocalIfEEEEEvT_T0_DpT1_.has_recursion, 0
	.set _ZN2at6native12_GLOBAL__N_125multi_tensor_apply_kernelINS1_18TensorListMetadataILi1EEENS1_14UnaryOpFunctorIN3c108BFloat16ELi1ELi1ELi0EEEJNS0_10ReciprocalIfEEEEEvT_T0_DpT1_.has_indirect_call, 0
	.section	.AMDGPU.csdata,"",@progbits
; Kernel info:
; codeLenInByte = 1872
; TotalNumSgprs: 33
; NumVgprs: 23
; ScratchSize: 0
; MemoryBound: 0
; FloatMode: 240
; IeeeMode: 1
; LDSByteSize: 0 bytes/workgroup (compile time only)
; SGPRBlocks: 4
; VGPRBlocks: 5
; NumSGPRsForWavesPerEU: 33
; NumVGPRsForWavesPerEU: 23
; Occupancy: 10
; WaveLimiterHint : 0
; COMPUTE_PGM_RSRC2:SCRATCH_EN: 0
; COMPUTE_PGM_RSRC2:USER_SGPR: 6
; COMPUTE_PGM_RSRC2:TRAP_HANDLER: 0
; COMPUTE_PGM_RSRC2:TGID_X_EN: 1
; COMPUTE_PGM_RSRC2:TGID_Y_EN: 0
; COMPUTE_PGM_RSRC2:TGID_Z_EN: 0
; COMPUTE_PGM_RSRC2:TIDIG_COMP_CNT: 0
	.section	.text._ZN2at6native12_GLOBAL__N_125multi_tensor_apply_kernelINS1_18TensorListMetadataILi2EEENS1_14UnaryOpFunctorIdLi2ELi1ELi1EEEJNS0_4SignIdEEEEEvT_T0_DpT1_,"axG",@progbits,_ZN2at6native12_GLOBAL__N_125multi_tensor_apply_kernelINS1_18TensorListMetadataILi2EEENS1_14UnaryOpFunctorIdLi2ELi1ELi1EEEJNS0_4SignIdEEEEEvT_T0_DpT1_,comdat
	.globl	_ZN2at6native12_GLOBAL__N_125multi_tensor_apply_kernelINS1_18TensorListMetadataILi2EEENS1_14UnaryOpFunctorIdLi2ELi1ELi1EEEJNS0_4SignIdEEEEEvT_T0_DpT1_ ; -- Begin function _ZN2at6native12_GLOBAL__N_125multi_tensor_apply_kernelINS1_18TensorListMetadataILi2EEENS1_14UnaryOpFunctorIdLi2ELi1ELi1EEEJNS0_4SignIdEEEEEvT_T0_DpT1_
	.p2align	8
	.type	_ZN2at6native12_GLOBAL__N_125multi_tensor_apply_kernelINS1_18TensorListMetadataILi2EEENS1_14UnaryOpFunctorIdLi2ELi1ELi1EEEJNS0_4SignIdEEEEEvT_T0_DpT1_,@function
_ZN2at6native12_GLOBAL__N_125multi_tensor_apply_kernelINS1_18TensorListMetadataILi2EEENS1_14UnaryOpFunctorIdLi2ELi1ELi1EEEJNS0_4SignIdEEEEEvT_T0_DpT1_: ; @_ZN2at6native12_GLOBAL__N_125multi_tensor_apply_kernelINS1_18TensorListMetadataILi2EEENS1_14UnaryOpFunctorIdLi2ELi1ELi1EEEJNS0_4SignIdEEEEEvT_T0_DpT1_
; %bb.0:
	v_mov_b32_e32 v1, s6
	global_load_ubyte v1, v1, s[4:5] offset:1536
	s_add_u32 s0, s4, s6
	s_mul_hi_u32 s2, s6, 3
	s_mul_i32 s6, s6, 3
	s_addc_u32 s7, s5, 0
	s_add_u32 s6, s0, s6
	s_addc_u32 s7, s7, s2
	s_load_dword s6, s[6:7], 0x740
	s_mov_b32 s1, 0
	s_mov_b32 s3, s1
	s_waitcnt lgkmcnt(0)
	s_ashr_i32 s7, s6, 31
	s_lshl_b64 s[8:9], s[6:7], 19
	s_lshl_b64 s[6:7], s[6:7], 16
	s_waitcnt vmcnt(0)
	v_readfirstlane_b32 s0, v1
	s_lshl_b32 s0, s0, 3
	s_load_dwordx2 s[10:11], s[4:5], s0 offset:0x400
	s_load_dwordx2 s[16:17], s[4:5], s0 offset:0x0
	;; [unrolled: 1-line block ×3, first 2 shown]
	s_waitcnt lgkmcnt(0)
	s_add_u32 s0, s16, s8
	s_and_b32 s2, s14, 31
	s_and_b32 s0, s0, 31
	s_sub_u32 s12, s10, s6
	s_subb_u32 s13, s11, s7
	s_and_b32 s6, s10, 3
	s_mov_b32 s7, s1
	s_or_b64 s[2:3], s[2:3], s[6:7]
	s_or_b64 s[0:1], s[2:3], s[0:1]
	s_cmp_eq_u64 s[0:1], 0
	s_mov_b64 s[0:1], -1
	s_cbranch_scc0 .LBB285_5
; %bb.1:
	v_mov_b32_e32 v1, 0x10000
	v_mov_b32_e32 v2, 0
	v_cmp_lt_i64_e32 vcc, s[12:13], v[1:2]
	v_mov_b32_e32 v2, 0
	s_and_b64 s[0:1], vcc, exec
	s_cselect_b32 s11, s13, 0
	s_cselect_b32 s10, s12, 0x10000
	v_lshlrev_b32_e32 v1, 2, v0
	v_cmp_gt_i64_e32 vcc, s[10:11], v[1:2]
	s_and_saveexec_b64 s[18:19], vcc
	s_cbranch_execz .LBB285_4
; %bb.2:
	s_load_dword s0, s[4:5], 0xc5c
	v_mov_b32_e32 v1, v2
	v_lshlrev_b32_e32 v2, 5, v0
	v_mov_b32_e32 v4, s9
	v_add_co_u32_e32 v3, vcc, s8, v2
	s_waitcnt lgkmcnt(0)
	s_and_b32 s22, s0, 0xffff
	v_mov_b32_e32 v2, v1
	v_addc_co_u32_e32 v4, vcc, 0, v4, vcc
	s_lshl_b32 s23, s22, 5
	s_mov_b64 s[20:21], 0
	v_mov_b32_e32 v5, s17
	v_mov_b32_e32 v6, s15
	;; [unrolled: 1-line block ×3, first 2 shown]
.LBB285_3:                              ; =>This Inner Loop Header: Depth=1
	v_add_co_u32_e32 v15, vcc, s16, v3
	v_addc_co_u32_e32 v16, vcc, v5, v4, vcc
	global_load_dwordx4 v[7:10], v[15:16], off offset:16
	global_load_dwordx4 v[11:14], v[15:16], off
	v_add_co_u32_e32 v15, vcc, s14, v3
	v_addc_co_u32_e32 v16, vcc, v6, v4, vcc
	v_add_co_u32_e32 v1, vcc, s22, v1
	v_addc_co_u32_e32 v2, vcc, 0, v2, vcc
	;; [unrolled: 2-line block ×3, first 2 shown]
	v_lshlrev_b64 v[17:18], 2, v[1:2]
	s_waitcnt vmcnt(1)
	v_cmp_lt_f64_e32 vcc, 0, v[7:8]
	s_waitcnt vmcnt(0)
	v_cmp_lt_f64_e64 s[2:3], 0, v[11:12]
	v_cmp_lt_f64_e64 s[0:1], 0, v[9:10]
	v_cmp_gt_f64_e64 s[6:7], 0, v[11:12]
	v_cndmask_b32_e64 v19, 0, 1, vcc
	v_cmp_gt_f64_e32 vcc, 0, v[7:8]
	v_cndmask_b32_e64 v8, 0, 1, s[2:3]
	v_cmp_lt_f64_e64 s[2:3], 0, v[13:14]
	v_cndmask_b32_e64 v7, 0, 1, s[0:1]
	v_cmp_gt_f64_e64 s[0:1], 0, v[9:10]
	v_subbrev_co_u32_e64 v8, s[6:7], 0, v8, s[6:7]
	v_subbrev_co_u32_e32 v11, vcc, 0, v19, vcc
	v_cndmask_b32_e64 v9, 0, 1, s[2:3]
	v_cmp_gt_f64_e64 s[2:3], 0, v[13:14]
	v_subbrev_co_u32_e64 v13, vcc, 0, v7, s[0:1]
	v_cvt_f64_i32_e32 v[7:8], v8
	v_cvt_f64_i32_e32 v[11:12], v11
	;; [unrolled: 1-line block ×3, first 2 shown]
	v_cmp_le_i64_e32 vcc, s[10:11], v[17:18]
	v_subbrev_co_u32_e64 v9, s[2:3], 0, v9, s[2:3]
	v_cvt_f64_i32_e32 v[9:10], v9
	s_or_b64 s[20:21], vcc, s[20:21]
	global_store_dwordx4 v[15:16], v[7:10], off
	global_store_dwordx4 v[15:16], v[11:14], off offset:16
	s_andn2_b64 exec, exec, s[20:21]
	s_cbranch_execnz .LBB285_3
.LBB285_4:
	s_or_b64 exec, exec, s[18:19]
	s_mov_b64 s[0:1], 0
.LBB285_5:
	s_andn2_b64 vcc, exec, s[0:1]
	s_cbranch_vccnz .LBB285_25
; %bb.6:
	v_cmp_lt_i64_e64 s[0:1], s[12:13], 1
	s_and_b64 vcc, exec, s[0:1]
	s_cbranch_vccnz .LBB285_25
; %bb.7:
	v_mov_b32_e32 v1, 0x10000
	s_load_dword s2, s[4:5], 0xc5c
	v_mov_b32_e32 v2, 0
	v_cmp_lt_i64_e32 vcc, s[12:13], v[1:2]
	v_mov_b32_e32 v3, 0
	s_and_b64 s[0:1], vcc, exec
	v_cmp_lt_u64_e32 vcc, s[12:13], v[1:2]
	s_cselect_b32 s11, s13, 0
	s_cselect_b32 s10, s12, 0x10000
	s_waitcnt lgkmcnt(0)
	s_and_b32 s2, s2, 0xffff
	v_lshlrev_b32_e32 v2, 3, v0
	s_and_b64 s[0:1], vcc, exec
	v_mov_b32_e32 v1, s17
	v_add_co_u32_e32 v9, vcc, s16, v2
	v_mad_u64_u32 v[3:4], s[0:1], s2, 24, v[2:3]
	v_addc_co_u32_e32 v10, vcc, 0, v1, vcc
	v_mov_b32_e32 v1, s15
	v_add_co_u32_e32 v11, vcc, s14, v2
	v_addc_co_u32_e32 v12, vcc, 0, v1, vcc
	v_mov_b32_e32 v1, s17
	v_add_co_u32_e32 v13, vcc, s16, v3
	;; [unrolled: 3-line block ×3, first 2 shown]
	s_cselect_b32 s13, s13, 0
	s_cselect_b32 s12, s12, 0x10000
	v_addc_co_u32_e32 v16, vcc, v1, v4, vcc
	s_lshl_b32 s0, s2, 4
	v_add_co_u32_e32 v1, vcc, s0, v2
	v_addc_co_u32_e64 v2, s[0:1], 0, 0, vcc
	v_mov_b32_e32 v3, s17
	v_add_co_u32_e32 v17, vcc, s16, v1
	v_addc_co_u32_e32 v18, vcc, v3, v2, vcc
	v_mov_b32_e32 v3, s15
	v_add_co_u32_e32 v19, vcc, s14, v1
	v_addc_co_u32_e32 v20, vcc, v3, v2, vcc
	v_add_co_u32_e32 v21, vcc, s2, v0
	v_lshlrev_b32_e32 v1, 3, v21
	v_addc_co_u32_e64 v22, s[0:1], 0, 0, vcc
	v_mov_b32_e32 v2, s17
	v_add_co_u32_e32 v23, vcc, s16, v1
	v_addc_co_u32_e32 v24, vcc, 0, v2, vcc
	v_mov_b32_e32 v2, s15
	v_add_co_u32_e32 v25, vcc, s14, v1
	s_mul_i32 s4, s2, 3
	v_addc_co_u32_e32 v26, vcc, 0, v2, vcc
	s_lshl_b32 s3, s2, 1
	v_add_co_u32_e32 v27, vcc, s4, v0
	v_addc_co_u32_e64 v28, s[0:1], 0, 0, vcc
	v_add_co_u32_e32 v29, vcc, s3, v0
	s_lshl_b32 s18, s2, 2
	s_lshl_b32 s19, s2, 5
	s_mov_b64 s[14:15], 0
	v_addc_co_u32_e64 v30, s[0:1], 0, 0, vcc
	s_branch .LBB285_9
.LBB285_8:                              ;   in Loop: Header=BB285_9 Depth=1
	s_or_b64 exec, exec, s[0:1]
	v_add_co_u32_e32 v9, vcc, s19, v9
	v_addc_co_u32_e32 v10, vcc, 0, v10, vcc
	v_add_co_u32_e32 v11, vcc, s19, v11
	v_addc_co_u32_e32 v12, vcc, 0, v12, vcc
	;; [unrolled: 2-line block ×6, first 2 shown]
	s_add_u32 s14, s14, s18
	v_add_co_u32_e32 v23, vcc, s19, v23
	s_waitcnt vmcnt(0)
	v_mov_b32_e32 v1, s10
	s_addc_u32 s15, s15, 0
	v_addc_co_u32_e32 v24, vcc, 0, v24, vcc
	v_mov_b32_e32 v2, s11
	v_cmp_ge_i64_e32 vcc, s[14:15], v[1:2]
	v_add_co_u32_e64 v25, s[0:1], s19, v25
	v_addc_co_u32_e64 v26, s[0:1], 0, v26, s[0:1]
	s_cbranch_vccnz .LBB285_25
.LBB285_9:                              ; =>This Inner Loop Header: Depth=1
	v_mov_b32_e32 v2, s15
	v_add_co_u32_e32 v1, vcc, s14, v0
	v_addc_co_u32_e32 v2, vcc, 0, v2, vcc
	v_cmp_gt_u64_e32 vcc, s[12:13], v[1:2]
	v_mov_b32_e32 v1, 0
	v_mov_b32_e32 v5, 0
	;; [unrolled: 1-line block ×4, first 2 shown]
	s_and_saveexec_b64 s[2:3], vcc
	s_cbranch_execz .LBB285_11
; %bb.10:                               ;   in Loop: Header=BB285_9 Depth=1
	v_mov_b32_e32 v4, s9
	v_add_co_u32_e64 v3, s[0:1], s8, v9
	v_addc_co_u32_e64 v4, s[0:1], v10, v4, s[0:1]
	global_load_dwordx2 v[5:6], v[3:4], off
.LBB285_11:                             ;   in Loop: Header=BB285_9 Depth=1
	s_or_b64 exec, exec, s[2:3]
	v_mov_b32_e32 v4, s15
	v_add_co_u32_e64 v3, s[0:1], s14, v21
	v_addc_co_u32_e64 v4, s[0:1], v22, v4, s[0:1]
	v_cmp_gt_u64_e64 s[0:1], s[12:13], v[3:4]
	s_and_saveexec_b64 s[4:5], s[0:1]
	s_cbranch_execz .LBB285_13
; %bb.12:                               ;   in Loop: Header=BB285_9 Depth=1
	v_mov_b32_e32 v2, s9
	v_add_co_u32_e64 v1, s[2:3], s8, v23
	v_addc_co_u32_e64 v2, s[2:3], v24, v2, s[2:3]
	global_load_dwordx2 v[1:2], v[1:2], off
.LBB285_13:                             ;   in Loop: Header=BB285_9 Depth=1
	s_or_b64 exec, exec, s[4:5]
	v_mov_b32_e32 v4, s15
	v_add_co_u32_e64 v3, s[2:3], s14, v29
	v_addc_co_u32_e64 v4, s[2:3], v30, v4, s[2:3]
	v_cmp_gt_u64_e64 s[2:3], s[12:13], v[3:4]
	v_mov_b32_e32 v3, 0
	v_mov_b32_e32 v7, 0
	;; [unrolled: 1-line block ×4, first 2 shown]
	s_and_saveexec_b64 s[6:7], s[2:3]
	s_cbranch_execz .LBB285_15
; %bb.14:                               ;   in Loop: Header=BB285_9 Depth=1
	v_mov_b32_e32 v8, s9
	v_add_co_u32_e64 v7, s[4:5], s8, v17
	v_addc_co_u32_e64 v8, s[4:5], v18, v8, s[4:5]
	global_load_dwordx2 v[7:8], v[7:8], off
.LBB285_15:                             ;   in Loop: Header=BB285_9 Depth=1
	s_or_b64 exec, exec, s[6:7]
	v_mov_b32_e32 v32, s15
	v_add_co_u32_e64 v31, s[4:5], s14, v27
	v_addc_co_u32_e64 v32, s[4:5], v28, v32, s[4:5]
	v_cmp_gt_u64_e64 s[4:5], s[12:13], v[31:32]
	s_and_saveexec_b64 s[16:17], s[4:5]
	s_cbranch_execnz .LBB285_20
; %bb.16:                               ;   in Loop: Header=BB285_9 Depth=1
	s_or_b64 exec, exec, s[16:17]
	s_and_saveexec_b64 s[6:7], vcc
	s_cbranch_execnz .LBB285_21
.LBB285_17:                             ;   in Loop: Header=BB285_9 Depth=1
	s_or_b64 exec, exec, s[6:7]
	s_and_saveexec_b64 s[6:7], s[0:1]
	s_cbranch_execnz .LBB285_22
.LBB285_18:                             ;   in Loop: Header=BB285_9 Depth=1
	s_or_b64 exec, exec, s[6:7]
	s_and_saveexec_b64 s[0:1], s[2:3]
	s_cbranch_execnz .LBB285_23
.LBB285_19:                             ;   in Loop: Header=BB285_9 Depth=1
	s_or_b64 exec, exec, s[0:1]
	s_and_saveexec_b64 s[0:1], s[4:5]
	s_cbranch_execz .LBB285_8
	s_branch .LBB285_24
.LBB285_20:                             ;   in Loop: Header=BB285_9 Depth=1
	v_mov_b32_e32 v4, s9
	v_add_co_u32_e64 v3, s[6:7], s8, v13
	v_addc_co_u32_e64 v4, s[6:7], v14, v4, s[6:7]
	global_load_dwordx2 v[3:4], v[3:4], off
	s_or_b64 exec, exec, s[16:17]
	s_and_saveexec_b64 s[6:7], vcc
	s_cbranch_execz .LBB285_17
.LBB285_21:                             ;   in Loop: Header=BB285_9 Depth=1
	s_waitcnt vmcnt(0)
	v_cmp_lt_f64_e32 vcc, 0, v[5:6]
	v_mov_b32_e32 v32, s9
	v_cndmask_b32_e64 v31, 0, 1, vcc
	v_cmp_gt_f64_e32 vcc, 0, v[5:6]
	v_subbrev_co_u32_e32 v5, vcc, 0, v31, vcc
	v_cvt_f64_i32_e32 v[5:6], v5
	v_add_co_u32_e32 v31, vcc, s8, v11
	v_addc_co_u32_e32 v32, vcc, v12, v32, vcc
	global_store_dwordx2 v[31:32], v[5:6], off
	s_or_b64 exec, exec, s[6:7]
	s_and_saveexec_b64 s[6:7], s[0:1]
	s_cbranch_execz .LBB285_18
.LBB285_22:                             ;   in Loop: Header=BB285_9 Depth=1
	s_waitcnt vmcnt(0)
	v_cmp_lt_f64_e32 vcc, 0, v[1:2]
	v_mov_b32_e32 v6, s9
	v_cndmask_b32_e64 v5, 0, 1, vcc
	v_cmp_gt_f64_e32 vcc, 0, v[1:2]
	v_subbrev_co_u32_e32 v1, vcc, 0, v5, vcc
	v_cvt_f64_i32_e32 v[1:2], v1
	v_add_co_u32_e32 v5, vcc, s8, v25
	v_addc_co_u32_e32 v6, vcc, v26, v6, vcc
	global_store_dwordx2 v[5:6], v[1:2], off
	s_or_b64 exec, exec, s[6:7]
	s_and_saveexec_b64 s[0:1], s[2:3]
	s_cbranch_execz .LBB285_19
.LBB285_23:                             ;   in Loop: Header=BB285_9 Depth=1
	s_waitcnt vmcnt(0)
	v_cmp_lt_f64_e32 vcc, 0, v[7:8]
	v_mov_b32_e32 v6, s9
	v_cndmask_b32_e64 v1, 0, 1, vcc
	v_cmp_gt_f64_e32 vcc, 0, v[7:8]
	v_subbrev_co_u32_e32 v1, vcc, 0, v1, vcc
	v_cvt_f64_i32_e32 v[1:2], v1
	v_add_co_u32_e32 v5, vcc, s8, v19
	v_addc_co_u32_e32 v6, vcc, v20, v6, vcc
	global_store_dwordx2 v[5:6], v[1:2], off
	s_or_b64 exec, exec, s[0:1]
	s_and_saveexec_b64 s[0:1], s[4:5]
	s_cbranch_execz .LBB285_8
.LBB285_24:                             ;   in Loop: Header=BB285_9 Depth=1
	s_waitcnt vmcnt(0)
	v_cmp_lt_f64_e32 vcc, 0, v[3:4]
	v_cndmask_b32_e64 v1, 0, 1, vcc
	v_cmp_gt_f64_e32 vcc, 0, v[3:4]
	v_mov_b32_e32 v4, s9
	v_subbrev_co_u32_e32 v1, vcc, 0, v1, vcc
	v_cvt_f64_i32_e32 v[1:2], v1
	v_add_co_u32_e32 v3, vcc, s8, v15
	v_addc_co_u32_e32 v4, vcc, v16, v4, vcc
	global_store_dwordx2 v[3:4], v[1:2], off
	s_branch .LBB285_8
.LBB285_25:
	s_endpgm
	.section	.rodata,"a",@progbits
	.p2align	6, 0x0
	.amdhsa_kernel _ZN2at6native12_GLOBAL__N_125multi_tensor_apply_kernelINS1_18TensorListMetadataILi2EEENS1_14UnaryOpFunctorIdLi2ELi1ELi1EEEJNS0_4SignIdEEEEEvT_T0_DpT1_
		.amdhsa_group_segment_fixed_size 0
		.amdhsa_private_segment_fixed_size 0
		.amdhsa_kernarg_size 3408
		.amdhsa_user_sgpr_count 6
		.amdhsa_user_sgpr_private_segment_buffer 1
		.amdhsa_user_sgpr_dispatch_ptr 0
		.amdhsa_user_sgpr_queue_ptr 0
		.amdhsa_user_sgpr_kernarg_segment_ptr 1
		.amdhsa_user_sgpr_dispatch_id 0
		.amdhsa_user_sgpr_flat_scratch_init 0
		.amdhsa_user_sgpr_private_segment_size 0
		.amdhsa_uses_dynamic_stack 0
		.amdhsa_system_sgpr_private_segment_wavefront_offset 0
		.amdhsa_system_sgpr_workgroup_id_x 1
		.amdhsa_system_sgpr_workgroup_id_y 0
		.amdhsa_system_sgpr_workgroup_id_z 0
		.amdhsa_system_sgpr_workgroup_info 0
		.amdhsa_system_vgpr_workitem_id 0
		.amdhsa_next_free_vgpr 33
		.amdhsa_next_free_sgpr 24
		.amdhsa_reserve_vcc 1
		.amdhsa_reserve_flat_scratch 0
		.amdhsa_float_round_mode_32 0
		.amdhsa_float_round_mode_16_64 0
		.amdhsa_float_denorm_mode_32 3
		.amdhsa_float_denorm_mode_16_64 3
		.amdhsa_dx10_clamp 1
		.amdhsa_ieee_mode 1
		.amdhsa_fp16_overflow 0
		.amdhsa_exception_fp_ieee_invalid_op 0
		.amdhsa_exception_fp_denorm_src 0
		.amdhsa_exception_fp_ieee_div_zero 0
		.amdhsa_exception_fp_ieee_overflow 0
		.amdhsa_exception_fp_ieee_underflow 0
		.amdhsa_exception_fp_ieee_inexact 0
		.amdhsa_exception_int_div_zero 0
	.end_amdhsa_kernel
	.section	.text._ZN2at6native12_GLOBAL__N_125multi_tensor_apply_kernelINS1_18TensorListMetadataILi2EEENS1_14UnaryOpFunctorIdLi2ELi1ELi1EEEJNS0_4SignIdEEEEEvT_T0_DpT1_,"axG",@progbits,_ZN2at6native12_GLOBAL__N_125multi_tensor_apply_kernelINS1_18TensorListMetadataILi2EEENS1_14UnaryOpFunctorIdLi2ELi1ELi1EEEJNS0_4SignIdEEEEEvT_T0_DpT1_,comdat
.Lfunc_end285:
	.size	_ZN2at6native12_GLOBAL__N_125multi_tensor_apply_kernelINS1_18TensorListMetadataILi2EEENS1_14UnaryOpFunctorIdLi2ELi1ELi1EEEJNS0_4SignIdEEEEEvT_T0_DpT1_, .Lfunc_end285-_ZN2at6native12_GLOBAL__N_125multi_tensor_apply_kernelINS1_18TensorListMetadataILi2EEENS1_14UnaryOpFunctorIdLi2ELi1ELi1EEEJNS0_4SignIdEEEEEvT_T0_DpT1_
                                        ; -- End function
	.set _ZN2at6native12_GLOBAL__N_125multi_tensor_apply_kernelINS1_18TensorListMetadataILi2EEENS1_14UnaryOpFunctorIdLi2ELi1ELi1EEEJNS0_4SignIdEEEEEvT_T0_DpT1_.num_vgpr, 33
	.set _ZN2at6native12_GLOBAL__N_125multi_tensor_apply_kernelINS1_18TensorListMetadataILi2EEENS1_14UnaryOpFunctorIdLi2ELi1ELi1EEEJNS0_4SignIdEEEEEvT_T0_DpT1_.num_agpr, 0
	.set _ZN2at6native12_GLOBAL__N_125multi_tensor_apply_kernelINS1_18TensorListMetadataILi2EEENS1_14UnaryOpFunctorIdLi2ELi1ELi1EEEJNS0_4SignIdEEEEEvT_T0_DpT1_.numbered_sgpr, 24
	.set _ZN2at6native12_GLOBAL__N_125multi_tensor_apply_kernelINS1_18TensorListMetadataILi2EEENS1_14UnaryOpFunctorIdLi2ELi1ELi1EEEJNS0_4SignIdEEEEEvT_T0_DpT1_.num_named_barrier, 0
	.set _ZN2at6native12_GLOBAL__N_125multi_tensor_apply_kernelINS1_18TensorListMetadataILi2EEENS1_14UnaryOpFunctorIdLi2ELi1ELi1EEEJNS0_4SignIdEEEEEvT_T0_DpT1_.private_seg_size, 0
	.set _ZN2at6native12_GLOBAL__N_125multi_tensor_apply_kernelINS1_18TensorListMetadataILi2EEENS1_14UnaryOpFunctorIdLi2ELi1ELi1EEEJNS0_4SignIdEEEEEvT_T0_DpT1_.uses_vcc, 1
	.set _ZN2at6native12_GLOBAL__N_125multi_tensor_apply_kernelINS1_18TensorListMetadataILi2EEENS1_14UnaryOpFunctorIdLi2ELi1ELi1EEEJNS0_4SignIdEEEEEvT_T0_DpT1_.uses_flat_scratch, 0
	.set _ZN2at6native12_GLOBAL__N_125multi_tensor_apply_kernelINS1_18TensorListMetadataILi2EEENS1_14UnaryOpFunctorIdLi2ELi1ELi1EEEJNS0_4SignIdEEEEEvT_T0_DpT1_.has_dyn_sized_stack, 0
	.set _ZN2at6native12_GLOBAL__N_125multi_tensor_apply_kernelINS1_18TensorListMetadataILi2EEENS1_14UnaryOpFunctorIdLi2ELi1ELi1EEEJNS0_4SignIdEEEEEvT_T0_DpT1_.has_recursion, 0
	.set _ZN2at6native12_GLOBAL__N_125multi_tensor_apply_kernelINS1_18TensorListMetadataILi2EEENS1_14UnaryOpFunctorIdLi2ELi1ELi1EEEJNS0_4SignIdEEEEEvT_T0_DpT1_.has_indirect_call, 0
	.section	.AMDGPU.csdata,"",@progbits
; Kernel info:
; codeLenInByte = 1488
; TotalNumSgprs: 28
; NumVgprs: 33
; ScratchSize: 0
; MemoryBound: 0
; FloatMode: 240
; IeeeMode: 1
; LDSByteSize: 0 bytes/workgroup (compile time only)
; SGPRBlocks: 3
; VGPRBlocks: 8
; NumSGPRsForWavesPerEU: 28
; NumVGPRsForWavesPerEU: 33
; Occupancy: 7
; WaveLimiterHint : 0
; COMPUTE_PGM_RSRC2:SCRATCH_EN: 0
; COMPUTE_PGM_RSRC2:USER_SGPR: 6
; COMPUTE_PGM_RSRC2:TRAP_HANDLER: 0
; COMPUTE_PGM_RSRC2:TGID_X_EN: 1
; COMPUTE_PGM_RSRC2:TGID_Y_EN: 0
; COMPUTE_PGM_RSRC2:TGID_Z_EN: 0
; COMPUTE_PGM_RSRC2:TIDIG_COMP_CNT: 0
	.section	.text._ZN2at6native12_GLOBAL__N_125multi_tensor_apply_kernelINS1_18TensorListMetadataILi2EEENS1_14UnaryOpFunctorIfLi2ELi1ELi1EEEJNS0_4SignIfEEEEEvT_T0_DpT1_,"axG",@progbits,_ZN2at6native12_GLOBAL__N_125multi_tensor_apply_kernelINS1_18TensorListMetadataILi2EEENS1_14UnaryOpFunctorIfLi2ELi1ELi1EEEJNS0_4SignIfEEEEEvT_T0_DpT1_,comdat
	.globl	_ZN2at6native12_GLOBAL__N_125multi_tensor_apply_kernelINS1_18TensorListMetadataILi2EEENS1_14UnaryOpFunctorIfLi2ELi1ELi1EEEJNS0_4SignIfEEEEEvT_T0_DpT1_ ; -- Begin function _ZN2at6native12_GLOBAL__N_125multi_tensor_apply_kernelINS1_18TensorListMetadataILi2EEENS1_14UnaryOpFunctorIfLi2ELi1ELi1EEEJNS0_4SignIfEEEEEvT_T0_DpT1_
	.p2align	8
	.type	_ZN2at6native12_GLOBAL__N_125multi_tensor_apply_kernelINS1_18TensorListMetadataILi2EEENS1_14UnaryOpFunctorIfLi2ELi1ELi1EEEJNS0_4SignIfEEEEEvT_T0_DpT1_,@function
_ZN2at6native12_GLOBAL__N_125multi_tensor_apply_kernelINS1_18TensorListMetadataILi2EEENS1_14UnaryOpFunctorIfLi2ELi1ELi1EEEJNS0_4SignIfEEEEEvT_T0_DpT1_: ; @_ZN2at6native12_GLOBAL__N_125multi_tensor_apply_kernelINS1_18TensorListMetadataILi2EEENS1_14UnaryOpFunctorIfLi2ELi1ELi1EEEJNS0_4SignIfEEEEEvT_T0_DpT1_
; %bb.0:
	v_mov_b32_e32 v1, s6
	global_load_ubyte v1, v1, s[4:5] offset:1536
	s_add_u32 s0, s4, s6
	s_mul_hi_u32 s2, s6, 3
	s_mul_i32 s6, s6, 3
	s_addc_u32 s7, s5, 0
	s_add_u32 s6, s0, s6
	s_addc_u32 s7, s7, s2
	s_load_dword s6, s[6:7], 0x740
	s_mov_b32 s1, 0
	s_mov_b32 s3, s1
	s_waitcnt lgkmcnt(0)
	s_ashr_i32 s7, s6, 31
	s_lshl_b64 s[12:13], s[6:7], 18
	s_lshl_b64 s[6:7], s[6:7], 16
	s_waitcnt vmcnt(0)
	v_readfirstlane_b32 s0, v1
	s_lshl_b32 s0, s0, 3
	s_load_dwordx2 s[8:9], s[4:5], s0 offset:0x400
	s_load_dwordx2 s[16:17], s[4:5], s0 offset:0x0
	;; [unrolled: 1-line block ×3, first 2 shown]
	s_waitcnt lgkmcnt(0)
	s_add_u32 s0, s16, s12
	s_and_b32 s2, s14, 15
	s_and_b32 s0, s0, 15
	s_sub_u32 s18, s8, s6
	s_subb_u32 s19, s9, s7
	s_and_b32 s6, s8, 3
	s_mov_b32 s7, s1
	s_or_b64 s[2:3], s[2:3], s[6:7]
	s_or_b64 s[0:1], s[2:3], s[0:1]
	s_cmp_eq_u64 s[0:1], 0
	s_mov_b64 s[0:1], -1
	s_cbranch_scc0 .LBB286_5
; %bb.1:
	v_mov_b32_e32 v1, 0x10000
	v_mov_b32_e32 v2, 0
	v_cmp_lt_i64_e32 vcc, s[18:19], v[1:2]
	v_mov_b32_e32 v2, 0
	s_and_b64 s[0:1], vcc, exec
	s_cselect_b32 s21, s19, 0
	s_cselect_b32 s20, s18, 0x10000
	v_lshlrev_b32_e32 v1, 2, v0
	v_cmp_gt_i64_e32 vcc, s[20:21], v[1:2]
	s_and_saveexec_b64 s[22:23], vcc
	s_cbranch_execz .LBB286_4
; %bb.2:
	s_load_dword s0, s[4:5], 0xc5c
	v_mov_b32_e32 v1, v2
	v_lshlrev_b32_e32 v2, 4, v0
	v_mov_b32_e32 v4, s13
	v_add_co_u32_e32 v3, vcc, s12, v2
	s_waitcnt lgkmcnt(0)
	s_and_b32 s26, s0, 0xffff
	v_mov_b32_e32 v2, v1
	v_addc_co_u32_e32 v4, vcc, 0, v4, vcc
	s_lshl_b32 s27, s26, 4
	s_mov_b64 s[24:25], 0
	v_mov_b32_e32 v5, s17
	v_mov_b32_e32 v6, s15
	;; [unrolled: 1-line block ×3, first 2 shown]
.LBB286_3:                              ; =>This Inner Loop Header: Depth=1
	v_add_co_u32_e32 v7, vcc, s16, v3
	v_addc_co_u32_e32 v8, vcc, v5, v4, vcc
	global_load_dwordx4 v[7:10], v[7:8], off
	v_add_co_u32_e32 v11, vcc, s14, v3
	v_addc_co_u32_e32 v12, vcc, v6, v4, vcc
	v_add_co_u32_e32 v1, vcc, s26, v1
	v_addc_co_u32_e32 v2, vcc, 0, v2, vcc
	v_lshlrev_b64 v[13:14], 2, v[1:2]
	v_add_co_u32_e32 v3, vcc, s27, v3
	v_cmp_le_i64_e64 s[0:1], s[20:21], v[13:14]
	v_addc_co_u32_e32 v4, vcc, 0, v4, vcc
	s_or_b64 s[24:25], s[0:1], s[24:25]
	s_waitcnt vmcnt(0)
	v_cmp_lt_f32_e64 s[2:3], 0, v7
	v_cndmask_b32_e64 v13, 0, 1, s[2:3]
	v_cmp_lt_f32_e64 s[2:3], 0, v8
	v_cmp_lt_f32_e64 s[6:7], 0, v9
	;; [unrolled: 1-line block ×3, first 2 shown]
	v_cndmask_b32_e64 v14, 0, 1, s[2:3]
	v_cmp_gt_f32_e64 s[2:3], 0, v8
	v_cndmask_b32_e64 v8, 0, 1, s[6:7]
	v_cmp_gt_f32_e64 s[6:7], 0, v9
	;; [unrolled: 2-line block ×3, first 2 shown]
	v_cmp_gt_f32_e64 s[10:11], 0, v7
	v_subbrev_co_u32_e64 v7, s[10:11], 0, v13, s[10:11]
	v_subbrev_co_u32_e64 v10, s[2:3], 0, v14, s[2:3]
	;; [unrolled: 1-line block ×4, first 2 shown]
	v_cvt_f32_i32_e32 v7, v7
	v_cvt_f32_i32_e32 v8, v10
	;; [unrolled: 1-line block ×4, first 2 shown]
	global_store_dwordx4 v[11:12], v[7:10], off
	s_andn2_b64 exec, exec, s[24:25]
	s_cbranch_execnz .LBB286_3
.LBB286_4:
	s_or_b64 exec, exec, s[22:23]
	s_mov_b64 s[0:1], 0
.LBB286_5:
	s_andn2_b64 vcc, exec, s[0:1]
	s_cbranch_vccnz .LBB286_25
; %bb.6:
	v_cmp_lt_i64_e64 s[0:1], s[18:19], 1
	s_and_b64 vcc, exec, s[0:1]
	s_cbranch_vccnz .LBB286_25
; %bb.7:
	v_mov_b32_e32 v1, 0x10000
	s_load_dword s2, s[4:5], 0xc5c
	v_mov_b32_e32 v2, 0
	v_cmp_lt_i64_e32 vcc, s[18:19], v[1:2]
	v_mov_b32_e32 v10, 0
	s_and_b64 s[0:1], vcc, exec
	v_cmp_lt_u64_e32 vcc, s[18:19], v[1:2]
	s_cselect_b32 s9, s19, 0
	s_cselect_b32 s8, s18, 0x10000
	s_waitcnt lgkmcnt(0)
	s_and_b32 s2, s2, 0xffff
	v_lshlrev_b32_e32 v9, 2, v0
	s_and_b64 s[0:1], vcc, exec
	v_mov_b32_e32 v2, s17
	v_add_co_u32_e32 v1, vcc, s16, v9
	v_mad_u64_u32 v[7:8], s[0:1], s2, 12, v[9:10]
	v_addc_co_u32_e32 v2, vcc, 0, v2, vcc
	v_mov_b32_e32 v4, s15
	v_add_co_u32_e32 v3, vcc, s14, v9
	v_addc_co_u32_e32 v4, vcc, 0, v4, vcc
	v_mov_b32_e32 v6, s17
	v_add_co_u32_e32 v5, vcc, s16, v7
	;; [unrolled: 3-line block ×3, first 2 shown]
	s_cselect_b32 s11, s19, 0
	s_cselect_b32 s10, s18, 0x10000
	v_addc_co_u32_e32 v8, vcc, v10, v8, vcc
	s_lshl_b32 s0, s2, 3
	v_add_co_u32_e32 v11, vcc, s0, v9
	v_addc_co_u32_e64 v12, s[0:1], 0, 0, vcc
	v_mov_b32_e32 v10, s17
	v_add_co_u32_e32 v9, vcc, s16, v11
	v_addc_co_u32_e32 v10, vcc, v10, v12, vcc
	v_mov_b32_e32 v13, s15
	v_add_co_u32_e32 v11, vcc, s14, v11
	v_addc_co_u32_e32 v12, vcc, v13, v12, vcc
	v_add_co_u32_e32 v13, vcc, s2, v0
	v_lshlrev_b32_e32 v17, 2, v13
	v_addc_co_u32_e64 v14, s[0:1], 0, 0, vcc
	v_mov_b32_e32 v16, s17
	v_add_co_u32_e32 v15, vcc, s16, v17
	v_addc_co_u32_e32 v16, vcc, 0, v16, vcc
	v_mov_b32_e32 v18, s15
	v_add_co_u32_e32 v17, vcc, s14, v17
	s_mul_i32 s4, s2, 3
	v_addc_co_u32_e32 v18, vcc, 0, v18, vcc
	s_lshl_b32 s3, s2, 1
	v_add_co_u32_e32 v19, vcc, s4, v0
	v_addc_co_u32_e64 v20, s[0:1], 0, 0, vcc
	v_add_co_u32_e32 v21, vcc, s3, v0
	s_lshl_b32 s18, s2, 2
	s_lshl_b32 s19, s2, 4
	s_mov_b64 s[14:15], 0
	v_addc_co_u32_e64 v22, s[0:1], 0, 0, vcc
	s_branch .LBB286_9
.LBB286_8:                              ;   in Loop: Header=BB286_9 Depth=1
	s_or_b64 exec, exec, s[0:1]
	v_add_co_u32_e32 v1, vcc, s19, v1
	v_addc_co_u32_e32 v2, vcc, 0, v2, vcc
	v_add_co_u32_e32 v3, vcc, s19, v3
	v_addc_co_u32_e32 v4, vcc, 0, v4, vcc
	v_add_co_u32_e32 v5, vcc, s19, v5
	v_addc_co_u32_e32 v6, vcc, 0, v6, vcc
	v_add_co_u32_e32 v7, vcc, s19, v7
	v_addc_co_u32_e32 v8, vcc, 0, v8, vcc
	v_add_co_u32_e32 v9, vcc, s19, v9
	v_addc_co_u32_e32 v10, vcc, 0, v10, vcc
	v_add_co_u32_e32 v11, vcc, s19, v11
	v_addc_co_u32_e32 v12, vcc, 0, v12, vcc
	s_add_u32 s14, s14, s18
	v_add_co_u32_e32 v15, vcc, s19, v15
	s_waitcnt vmcnt(0)
	v_mov_b32_e32 v24, s9
	s_addc_u32 s15, s15, 0
	v_addc_co_u32_e32 v16, vcc, 0, v16, vcc
	v_mov_b32_e32 v23, s8
	v_cmp_ge_i64_e32 vcc, s[14:15], v[23:24]
	v_add_co_u32_e64 v17, s[0:1], s19, v17
	v_addc_co_u32_e64 v18, s[0:1], 0, v18, s[0:1]
	s_cbranch_vccnz .LBB286_25
.LBB286_9:                              ; =>This Inner Loop Header: Depth=1
	v_mov_b32_e32 v24, s15
	v_add_co_u32_e32 v23, vcc, s14, v0
	v_addc_co_u32_e32 v24, vcc, 0, v24, vcc
	v_cmp_gt_u64_e32 vcc, s[10:11], v[23:24]
	v_mov_b32_e32 v24, 0
	s_and_saveexec_b64 s[2:3], vcc
	s_cbranch_execz .LBB286_11
; %bb.10:                               ;   in Loop: Header=BB286_9 Depth=1
	v_mov_b32_e32 v24, s13
	v_add_co_u32_e64 v23, s[0:1], s12, v1
	v_addc_co_u32_e64 v24, s[0:1], v2, v24, s[0:1]
	global_load_dword v24, v[23:24], off
.LBB286_11:                             ;   in Loop: Header=BB286_9 Depth=1
	s_or_b64 exec, exec, s[2:3]
	v_mov_b32_e32 v23, s15
	v_add_co_u32_e64 v25, s[0:1], s14, v13
	v_addc_co_u32_e64 v26, s[0:1], v14, v23, s[0:1]
	v_cmp_gt_u64_e64 s[0:1], s[10:11], v[25:26]
	v_mov_b32_e32 v23, 0
	v_mov_b32_e32 v25, 0
	s_and_saveexec_b64 s[4:5], s[0:1]
	s_cbranch_execz .LBB286_13
; %bb.12:                               ;   in Loop: Header=BB286_9 Depth=1
	v_mov_b32_e32 v26, s13
	v_add_co_u32_e64 v25, s[2:3], s12, v15
	v_addc_co_u32_e64 v26, s[2:3], v16, v26, s[2:3]
	global_load_dword v25, v[25:26], off
.LBB286_13:                             ;   in Loop: Header=BB286_9 Depth=1
	s_or_b64 exec, exec, s[4:5]
	v_mov_b32_e32 v27, s15
	v_add_co_u32_e64 v26, s[2:3], s14, v21
	v_addc_co_u32_e64 v27, s[2:3], v22, v27, s[2:3]
	v_cmp_gt_u64_e64 s[2:3], s[10:11], v[26:27]
	s_and_saveexec_b64 s[6:7], s[2:3]
	s_cbranch_execz .LBB286_15
; %bb.14:                               ;   in Loop: Header=BB286_9 Depth=1
	v_mov_b32_e32 v23, s13
	v_add_co_u32_e64 v26, s[4:5], s12, v9
	v_addc_co_u32_e64 v27, s[4:5], v10, v23, s[4:5]
	global_load_dword v23, v[26:27], off
.LBB286_15:                             ;   in Loop: Header=BB286_9 Depth=1
	s_or_b64 exec, exec, s[6:7]
	v_mov_b32_e32 v27, s15
	v_add_co_u32_e64 v26, s[4:5], s14, v19
	v_addc_co_u32_e64 v27, s[4:5], v20, v27, s[4:5]
	v_cmp_gt_u64_e64 s[4:5], s[10:11], v[26:27]
	v_mov_b32_e32 v26, 0
	s_and_saveexec_b64 s[16:17], s[4:5]
	s_cbranch_execnz .LBB286_20
; %bb.16:                               ;   in Loop: Header=BB286_9 Depth=1
	s_or_b64 exec, exec, s[16:17]
	s_and_saveexec_b64 s[6:7], vcc
	s_cbranch_execnz .LBB286_21
.LBB286_17:                             ;   in Loop: Header=BB286_9 Depth=1
	s_or_b64 exec, exec, s[6:7]
	s_and_saveexec_b64 s[6:7], s[0:1]
	s_cbranch_execnz .LBB286_22
.LBB286_18:                             ;   in Loop: Header=BB286_9 Depth=1
	s_or_b64 exec, exec, s[6:7]
	s_and_saveexec_b64 s[0:1], s[2:3]
	s_cbranch_execnz .LBB286_23
.LBB286_19:                             ;   in Loop: Header=BB286_9 Depth=1
	s_or_b64 exec, exec, s[0:1]
	s_and_saveexec_b64 s[0:1], s[4:5]
	s_cbranch_execz .LBB286_8
	s_branch .LBB286_24
.LBB286_20:                             ;   in Loop: Header=BB286_9 Depth=1
	v_mov_b32_e32 v27, s13
	v_add_co_u32_e64 v26, s[6:7], s12, v5
	v_addc_co_u32_e64 v27, s[6:7], v6, v27, s[6:7]
	global_load_dword v26, v[26:27], off
	s_or_b64 exec, exec, s[16:17]
	s_and_saveexec_b64 s[6:7], vcc
	s_cbranch_execz .LBB286_17
.LBB286_21:                             ;   in Loop: Header=BB286_9 Depth=1
	s_waitcnt vmcnt(0)
	v_cmp_lt_f32_e32 vcc, 0, v24
	v_cndmask_b32_e64 v27, 0, 1, vcc
	v_cmp_gt_f32_e32 vcc, 0, v24
	v_subbrev_co_u32_e32 v24, vcc, 0, v27, vcc
	v_cvt_f32_i32_e32 v24, v24
	v_mov_b32_e32 v28, s13
	v_add_co_u32_e32 v27, vcc, s12, v3
	v_addc_co_u32_e32 v28, vcc, v4, v28, vcc
	global_store_dword v[27:28], v24, off
	s_or_b64 exec, exec, s[6:7]
	s_and_saveexec_b64 s[6:7], s[0:1]
	s_cbranch_execz .LBB286_18
.LBB286_22:                             ;   in Loop: Header=BB286_9 Depth=1
	s_waitcnt vmcnt(0)
	v_cmp_lt_f32_e32 vcc, 0, v25
	v_cndmask_b32_e64 v24, 0, 1, vcc
	v_cmp_gt_f32_e32 vcc, 0, v25
	v_subbrev_co_u32_e32 v24, vcc, 0, v24, vcc
	v_cvt_f32_i32_e32 v27, v24
	v_mov_b32_e32 v25, s13
	v_add_co_u32_e32 v24, vcc, s12, v17
	v_addc_co_u32_e32 v25, vcc, v18, v25, vcc
	global_store_dword v[24:25], v27, off
	s_or_b64 exec, exec, s[6:7]
	s_and_saveexec_b64 s[0:1], s[2:3]
	s_cbranch_execz .LBB286_19
.LBB286_23:                             ;   in Loop: Header=BB286_9 Depth=1
	s_waitcnt vmcnt(0)
	v_cmp_lt_f32_e32 vcc, 0, v23
	v_cndmask_b32_e64 v24, 0, 1, vcc
	v_cmp_gt_f32_e32 vcc, 0, v23
	v_subbrev_co_u32_e32 v23, vcc, 0, v24, vcc
	v_cvt_f32_i32_e32 v25, v23
	v_mov_b32_e32 v24, s13
	v_add_co_u32_e32 v23, vcc, s12, v11
	v_addc_co_u32_e32 v24, vcc, v12, v24, vcc
	global_store_dword v[23:24], v25, off
	s_or_b64 exec, exec, s[0:1]
	s_and_saveexec_b64 s[0:1], s[4:5]
	s_cbranch_execz .LBB286_8
.LBB286_24:                             ;   in Loop: Header=BB286_9 Depth=1
	s_waitcnt vmcnt(0)
	v_cmp_lt_f32_e32 vcc, 0, v26
	v_cndmask_b32_e64 v23, 0, 1, vcc
	v_cmp_gt_f32_e32 vcc, 0, v26
	v_subbrev_co_u32_e32 v23, vcc, 0, v23, vcc
	v_cvt_f32_i32_e32 v25, v23
	v_mov_b32_e32 v24, s13
	v_add_co_u32_e32 v23, vcc, s12, v7
	v_addc_co_u32_e32 v24, vcc, v8, v24, vcc
	global_store_dword v[23:24], v25, off
	s_branch .LBB286_8
.LBB286_25:
	s_endpgm
	.section	.rodata,"a",@progbits
	.p2align	6, 0x0
	.amdhsa_kernel _ZN2at6native12_GLOBAL__N_125multi_tensor_apply_kernelINS1_18TensorListMetadataILi2EEENS1_14UnaryOpFunctorIfLi2ELi1ELi1EEEJNS0_4SignIfEEEEEvT_T0_DpT1_
		.amdhsa_group_segment_fixed_size 0
		.amdhsa_private_segment_fixed_size 0
		.amdhsa_kernarg_size 3408
		.amdhsa_user_sgpr_count 6
		.amdhsa_user_sgpr_private_segment_buffer 1
		.amdhsa_user_sgpr_dispatch_ptr 0
		.amdhsa_user_sgpr_queue_ptr 0
		.amdhsa_user_sgpr_kernarg_segment_ptr 1
		.amdhsa_user_sgpr_dispatch_id 0
		.amdhsa_user_sgpr_flat_scratch_init 0
		.amdhsa_user_sgpr_private_segment_size 0
		.amdhsa_uses_dynamic_stack 0
		.amdhsa_system_sgpr_private_segment_wavefront_offset 0
		.amdhsa_system_sgpr_workgroup_id_x 1
		.amdhsa_system_sgpr_workgroup_id_y 0
		.amdhsa_system_sgpr_workgroup_id_z 0
		.amdhsa_system_sgpr_workgroup_info 0
		.amdhsa_system_vgpr_workitem_id 0
		.amdhsa_next_free_vgpr 29
		.amdhsa_next_free_sgpr 28
		.amdhsa_reserve_vcc 1
		.amdhsa_reserve_flat_scratch 0
		.amdhsa_float_round_mode_32 0
		.amdhsa_float_round_mode_16_64 0
		.amdhsa_float_denorm_mode_32 3
		.amdhsa_float_denorm_mode_16_64 3
		.amdhsa_dx10_clamp 1
		.amdhsa_ieee_mode 1
		.amdhsa_fp16_overflow 0
		.amdhsa_exception_fp_ieee_invalid_op 0
		.amdhsa_exception_fp_denorm_src 0
		.amdhsa_exception_fp_ieee_div_zero 0
		.amdhsa_exception_fp_ieee_overflow 0
		.amdhsa_exception_fp_ieee_underflow 0
		.amdhsa_exception_fp_ieee_inexact 0
		.amdhsa_exception_int_div_zero 0
	.end_amdhsa_kernel
	.section	.text._ZN2at6native12_GLOBAL__N_125multi_tensor_apply_kernelINS1_18TensorListMetadataILi2EEENS1_14UnaryOpFunctorIfLi2ELi1ELi1EEEJNS0_4SignIfEEEEEvT_T0_DpT1_,"axG",@progbits,_ZN2at6native12_GLOBAL__N_125multi_tensor_apply_kernelINS1_18TensorListMetadataILi2EEENS1_14UnaryOpFunctorIfLi2ELi1ELi1EEEJNS0_4SignIfEEEEEvT_T0_DpT1_,comdat
.Lfunc_end286:
	.size	_ZN2at6native12_GLOBAL__N_125multi_tensor_apply_kernelINS1_18TensorListMetadataILi2EEENS1_14UnaryOpFunctorIfLi2ELi1ELi1EEEJNS0_4SignIfEEEEEvT_T0_DpT1_, .Lfunc_end286-_ZN2at6native12_GLOBAL__N_125multi_tensor_apply_kernelINS1_18TensorListMetadataILi2EEENS1_14UnaryOpFunctorIfLi2ELi1ELi1EEEJNS0_4SignIfEEEEEvT_T0_DpT1_
                                        ; -- End function
	.set _ZN2at6native12_GLOBAL__N_125multi_tensor_apply_kernelINS1_18TensorListMetadataILi2EEENS1_14UnaryOpFunctorIfLi2ELi1ELi1EEEJNS0_4SignIfEEEEEvT_T0_DpT1_.num_vgpr, 29
	.set _ZN2at6native12_GLOBAL__N_125multi_tensor_apply_kernelINS1_18TensorListMetadataILi2EEENS1_14UnaryOpFunctorIfLi2ELi1ELi1EEEJNS0_4SignIfEEEEEvT_T0_DpT1_.num_agpr, 0
	.set _ZN2at6native12_GLOBAL__N_125multi_tensor_apply_kernelINS1_18TensorListMetadataILi2EEENS1_14UnaryOpFunctorIfLi2ELi1ELi1EEEJNS0_4SignIfEEEEEvT_T0_DpT1_.numbered_sgpr, 28
	.set _ZN2at6native12_GLOBAL__N_125multi_tensor_apply_kernelINS1_18TensorListMetadataILi2EEENS1_14UnaryOpFunctorIfLi2ELi1ELi1EEEJNS0_4SignIfEEEEEvT_T0_DpT1_.num_named_barrier, 0
	.set _ZN2at6native12_GLOBAL__N_125multi_tensor_apply_kernelINS1_18TensorListMetadataILi2EEENS1_14UnaryOpFunctorIfLi2ELi1ELi1EEEJNS0_4SignIfEEEEEvT_T0_DpT1_.private_seg_size, 0
	.set _ZN2at6native12_GLOBAL__N_125multi_tensor_apply_kernelINS1_18TensorListMetadataILi2EEENS1_14UnaryOpFunctorIfLi2ELi1ELi1EEEJNS0_4SignIfEEEEEvT_T0_DpT1_.uses_vcc, 1
	.set _ZN2at6native12_GLOBAL__N_125multi_tensor_apply_kernelINS1_18TensorListMetadataILi2EEENS1_14UnaryOpFunctorIfLi2ELi1ELi1EEEJNS0_4SignIfEEEEEvT_T0_DpT1_.uses_flat_scratch, 0
	.set _ZN2at6native12_GLOBAL__N_125multi_tensor_apply_kernelINS1_18TensorListMetadataILi2EEENS1_14UnaryOpFunctorIfLi2ELi1ELi1EEEJNS0_4SignIfEEEEEvT_T0_DpT1_.has_dyn_sized_stack, 0
	.set _ZN2at6native12_GLOBAL__N_125multi_tensor_apply_kernelINS1_18TensorListMetadataILi2EEENS1_14UnaryOpFunctorIfLi2ELi1ELi1EEEJNS0_4SignIfEEEEEvT_T0_DpT1_.has_recursion, 0
	.set _ZN2at6native12_GLOBAL__N_125multi_tensor_apply_kernelINS1_18TensorListMetadataILi2EEENS1_14UnaryOpFunctorIfLi2ELi1ELi1EEEJNS0_4SignIfEEEEEvT_T0_DpT1_.has_indirect_call, 0
	.section	.AMDGPU.csdata,"",@progbits
; Kernel info:
; codeLenInByte = 1468
; TotalNumSgprs: 32
; NumVgprs: 29
; ScratchSize: 0
; MemoryBound: 0
; FloatMode: 240
; IeeeMode: 1
; LDSByteSize: 0 bytes/workgroup (compile time only)
; SGPRBlocks: 3
; VGPRBlocks: 7
; NumSGPRsForWavesPerEU: 32
; NumVGPRsForWavesPerEU: 29
; Occupancy: 8
; WaveLimiterHint : 0
; COMPUTE_PGM_RSRC2:SCRATCH_EN: 0
; COMPUTE_PGM_RSRC2:USER_SGPR: 6
; COMPUTE_PGM_RSRC2:TRAP_HANDLER: 0
; COMPUTE_PGM_RSRC2:TGID_X_EN: 1
; COMPUTE_PGM_RSRC2:TGID_Y_EN: 0
; COMPUTE_PGM_RSRC2:TGID_Z_EN: 0
; COMPUTE_PGM_RSRC2:TIDIG_COMP_CNT: 0
	.section	.text._ZN2at6native12_GLOBAL__N_125multi_tensor_apply_kernelINS1_18TensorListMetadataILi2EEENS1_14UnaryOpFunctorIN3c104HalfELi2ELi1ELi1EEEJNS0_4SignIfEEEEEvT_T0_DpT1_,"axG",@progbits,_ZN2at6native12_GLOBAL__N_125multi_tensor_apply_kernelINS1_18TensorListMetadataILi2EEENS1_14UnaryOpFunctorIN3c104HalfELi2ELi1ELi1EEEJNS0_4SignIfEEEEEvT_T0_DpT1_,comdat
	.globl	_ZN2at6native12_GLOBAL__N_125multi_tensor_apply_kernelINS1_18TensorListMetadataILi2EEENS1_14UnaryOpFunctorIN3c104HalfELi2ELi1ELi1EEEJNS0_4SignIfEEEEEvT_T0_DpT1_ ; -- Begin function _ZN2at6native12_GLOBAL__N_125multi_tensor_apply_kernelINS1_18TensorListMetadataILi2EEENS1_14UnaryOpFunctorIN3c104HalfELi2ELi1ELi1EEEJNS0_4SignIfEEEEEvT_T0_DpT1_
	.p2align	8
	.type	_ZN2at6native12_GLOBAL__N_125multi_tensor_apply_kernelINS1_18TensorListMetadataILi2EEENS1_14UnaryOpFunctorIN3c104HalfELi2ELi1ELi1EEEJNS0_4SignIfEEEEEvT_T0_DpT1_,@function
_ZN2at6native12_GLOBAL__N_125multi_tensor_apply_kernelINS1_18TensorListMetadataILi2EEENS1_14UnaryOpFunctorIN3c104HalfELi2ELi1ELi1EEEJNS0_4SignIfEEEEEvT_T0_DpT1_: ; @_ZN2at6native12_GLOBAL__N_125multi_tensor_apply_kernelINS1_18TensorListMetadataILi2EEENS1_14UnaryOpFunctorIN3c104HalfELi2ELi1ELi1EEEJNS0_4SignIfEEEEEvT_T0_DpT1_
; %bb.0:
	v_mov_b32_e32 v1, s6
	global_load_ubyte v1, v1, s[4:5] offset:1536
	s_add_u32 s0, s4, s6
	s_mul_hi_u32 s2, s6, 3
	s_mul_i32 s6, s6, 3
	s_addc_u32 s7, s5, 0
	s_add_u32 s6, s0, s6
	s_addc_u32 s7, s7, s2
	s_load_dword s6, s[6:7], 0x740
	s_mov_b32 s1, 0
	s_mov_b32 s3, s1
	s_waitcnt lgkmcnt(0)
	s_ashr_i32 s7, s6, 31
	s_lshl_b64 s[8:9], s[6:7], 17
	s_lshl_b64 s[6:7], s[6:7], 16
	s_waitcnt vmcnt(0)
	v_readfirstlane_b32 s0, v1
	s_lshl_b32 s0, s0, 3
	s_load_dwordx2 s[10:11], s[4:5], s0 offset:0x400
	s_load_dwordx2 s[16:17], s[4:5], s0 offset:0x0
	s_load_dwordx2 s[14:15], s[4:5], s0 offset:0x200
	s_waitcnt lgkmcnt(0)
	s_add_u32 s0, s16, s8
	s_and_b32 s2, s14, 7
	s_and_b32 s0, s0, 7
	s_sub_u32 s12, s10, s6
	s_subb_u32 s13, s11, s7
	s_and_b32 s6, s10, 3
	s_mov_b32 s7, s1
	s_or_b64 s[2:3], s[2:3], s[6:7]
	s_or_b64 s[0:1], s[2:3], s[0:1]
	s_cmp_eq_u64 s[0:1], 0
	s_mov_b64 s[0:1], -1
	s_cbranch_scc0 .LBB287_5
; %bb.1:
	v_mov_b32_e32 v1, 0x10000
	v_mov_b32_e32 v2, 0
	v_cmp_lt_i64_e32 vcc, s[12:13], v[1:2]
	v_mov_b32_e32 v2, 0
	s_and_b64 s[0:1], vcc, exec
	s_cselect_b32 s11, s13, 0
	s_cselect_b32 s10, s12, 0x10000
	v_lshlrev_b32_e32 v1, 2, v0
	v_cmp_gt_i64_e32 vcc, s[10:11], v[1:2]
	s_and_saveexec_b64 s[18:19], vcc
	s_cbranch_execz .LBB287_4
; %bb.2:
	s_load_dword s0, s[4:5], 0xc5c
	v_lshlrev_b32_e32 v3, 3, v0
	v_mov_b32_e32 v1, v2
	v_mov_b32_e32 v4, s9
	v_add_co_u32_e32 v5, vcc, s8, v3
	s_waitcnt lgkmcnt(0)
	s_and_b32 s22, s0, 0xffff
	v_addc_co_u32_e32 v6, vcc, 0, v4, vcc
	v_mov_b32_e32 v4, v1
	s_lshl_b32 s23, s22, 3
	s_mov_b64 s[20:21], 0
	v_mov_b32_e32 v7, s17
	v_mov_b32_e32 v8, s15
	;; [unrolled: 1-line block ×3, first 2 shown]
.LBB287_3:                              ; =>This Inner Loop Header: Depth=1
	v_add_co_u32_e32 v9, vcc, s16, v5
	v_addc_co_u32_e32 v10, vcc, v7, v6, vcc
	global_load_dwordx2 v[9:10], v[9:10], off
	v_add_co_u32_e32 v11, vcc, s14, v5
	v_addc_co_u32_e32 v12, vcc, v8, v6, vcc
	v_add_co_u32_e32 v3, vcc, s22, v3
	v_addc_co_u32_e32 v4, vcc, 0, v4, vcc
	;; [unrolled: 2-line block ×3, first 2 shown]
	v_lshlrev_b64 v[13:14], 2, v[3:4]
	s_waitcnt vmcnt(0)
	v_cmp_gt_f16_sdwa s[0:1], v9, v2 src0_sel:WORD_1 src1_sel:DWORD
	v_cmp_lt_f16_e32 vcc, 0, v9
	v_cndmask_b32_e64 v15, 0, 1, s[0:1]
	v_cmp_lt_f16_e64 s[0:1], 0, v10
	v_cmp_gt_f16_sdwa s[2:3], v10, v2 src0_sel:WORD_1 src1_sel:DWORD
	v_cndmask_b32_e64 v1, 0, 1, vcc
	v_cmp_lt_f16_sdwa vcc, v9, v2 src0_sel:WORD_1 src1_sel:DWORD
	v_cndmask_b32_e64 v16, 0, 1, s[0:1]
	v_cmp_gt_f16_e64 s[0:1], 0, v10
	v_cndmask_b32_e64 v17, 0, 1, s[2:3]
	v_cmp_lt_f16_sdwa s[2:3], v10, v2 src0_sel:WORD_1 src1_sel:DWORD
	v_cmp_gt_f16_e64 s[6:7], 0, v9
	v_subbrev_co_u32_e64 v1, s[6:7], 0, v1, s[6:7]
	v_subbrev_co_u32_e32 v9, vcc, 0, v15, vcc
	v_subbrev_co_u32_e64 v10, vcc, 0, v16, s[0:1]
	v_subbrev_co_u32_e64 v15, vcc, 0, v17, s[2:3]
	v_cvt_f32_i32_e32 v1, v1
	v_cvt_f32_i32_e32 v9, v9
	;; [unrolled: 1-line block ×4, first 2 shown]
	v_cvt_f16_f32_e32 v1, v1
	v_cvt_f16_f32_e32 v9, v9
	;; [unrolled: 1-line block ×4, first 2 shown]
	v_cmp_le_i64_e32 vcc, s[10:11], v[13:14]
	v_pack_b32_f16 v9, v1, v9
	s_or_b64 s[20:21], vcc, s[20:21]
	v_pack_b32_f16 v10, v10, v15
	global_store_dwordx2 v[11:12], v[9:10], off
	s_andn2_b64 exec, exec, s[20:21]
	s_cbranch_execnz .LBB287_3
.LBB287_4:
	s_or_b64 exec, exec, s[18:19]
	s_mov_b64 s[0:1], 0
.LBB287_5:
	s_andn2_b64 vcc, exec, s[0:1]
	s_cbranch_vccnz .LBB287_25
; %bb.6:
	v_cmp_lt_i64_e64 s[0:1], s[12:13], 1
	s_and_b64 vcc, exec, s[0:1]
	s_cbranch_vccnz .LBB287_25
; %bb.7:
	v_mov_b32_e32 v1, 0x10000
	s_load_dword s2, s[4:5], 0xc5c
	v_mov_b32_e32 v2, 0
	v_cmp_lt_i64_e32 vcc, s[12:13], v[1:2]
	v_mov_b32_e32 v10, 0
	s_and_b64 s[0:1], vcc, exec
	v_cmp_lt_u64_e32 vcc, s[12:13], v[1:2]
	s_cselect_b32 s11, s13, 0
	s_cselect_b32 s10, s12, 0x10000
	s_waitcnt lgkmcnt(0)
	s_and_b32 s2, s2, 0xffff
	v_lshlrev_b32_e32 v9, 1, v0
	s_and_b64 s[0:1], vcc, exec
	v_mov_b32_e32 v2, s17
	v_add_co_u32_e32 v1, vcc, s16, v9
	v_mad_u64_u32 v[7:8], s[0:1], s2, 6, v[9:10]
	v_addc_co_u32_e32 v2, vcc, 0, v2, vcc
	v_mov_b32_e32 v4, s15
	v_add_co_u32_e32 v3, vcc, s14, v9
	v_addc_co_u32_e32 v4, vcc, 0, v4, vcc
	v_mov_b32_e32 v6, s17
	v_add_co_u32_e32 v5, vcc, s16, v7
	;; [unrolled: 3-line block ×3, first 2 shown]
	s_cselect_b32 s13, s13, 0
	s_cselect_b32 s12, s12, 0x10000
	s_lshl_b32 s18, s2, 2
	v_addc_co_u32_e32 v8, vcc, v10, v8, vcc
	v_add_co_u32_e32 v11, vcc, s18, v9
	v_addc_co_u32_e64 v12, s[0:1], 0, 0, vcc
	v_mov_b32_e32 v10, s17
	v_add_co_u32_e32 v9, vcc, s16, v11
	v_addc_co_u32_e32 v10, vcc, v10, v12, vcc
	v_mov_b32_e32 v13, s15
	v_add_co_u32_e32 v11, vcc, s14, v11
	v_addc_co_u32_e32 v12, vcc, v13, v12, vcc
	v_add_co_u32_e32 v13, vcc, s2, v0
	v_lshlrev_b32_e32 v17, 1, v13
	v_addc_co_u32_e64 v14, s[0:1], 0, 0, vcc
	v_mov_b32_e32 v16, s17
	v_add_co_u32_e32 v15, vcc, s16, v17
	v_addc_co_u32_e32 v16, vcc, 0, v16, vcc
	v_mov_b32_e32 v18, s15
	v_add_co_u32_e32 v17, vcc, s14, v17
	s_mul_i32 s4, s2, 3
	v_addc_co_u32_e32 v18, vcc, 0, v18, vcc
	s_lshl_b32 s3, s2, 1
	v_add_co_u32_e32 v19, vcc, s4, v0
	v_addc_co_u32_e64 v20, s[0:1], 0, 0, vcc
	v_add_co_u32_e32 v21, vcc, s3, v0
	s_lshl_b32 s19, s2, 3
	s_mov_b64 s[14:15], 0
	v_addc_co_u32_e64 v22, s[0:1], 0, 0, vcc
	s_branch .LBB287_9
.LBB287_8:                              ;   in Loop: Header=BB287_9 Depth=1
	s_or_b64 exec, exec, s[0:1]
	v_add_co_u32_e32 v1, vcc, s19, v1
	v_addc_co_u32_e32 v2, vcc, 0, v2, vcc
	v_add_co_u32_e32 v3, vcc, s19, v3
	v_addc_co_u32_e32 v4, vcc, 0, v4, vcc
	;; [unrolled: 2-line block ×6, first 2 shown]
	s_add_u32 s14, s14, s18
	v_add_co_u32_e32 v15, vcc, s19, v15
	s_waitcnt vmcnt(0)
	v_mov_b32_e32 v24, s11
	s_addc_u32 s15, s15, 0
	v_addc_co_u32_e32 v16, vcc, 0, v16, vcc
	v_mov_b32_e32 v23, s10
	v_cmp_ge_i64_e32 vcc, s[14:15], v[23:24]
	v_add_co_u32_e64 v17, s[0:1], s19, v17
	v_addc_co_u32_e64 v18, s[0:1], 0, v18, s[0:1]
	s_cbranch_vccnz .LBB287_25
.LBB287_9:                              ; =>This Inner Loop Header: Depth=1
	v_mov_b32_e32 v24, s15
	v_add_co_u32_e32 v23, vcc, s14, v0
	v_addc_co_u32_e32 v24, vcc, 0, v24, vcc
	v_cmp_gt_u64_e32 vcc, s[12:13], v[23:24]
	v_mov_b32_e32 v24, 0
	s_and_saveexec_b64 s[2:3], vcc
	s_cbranch_execz .LBB287_11
; %bb.10:                               ;   in Loop: Header=BB287_9 Depth=1
	v_mov_b32_e32 v24, s9
	v_add_co_u32_e64 v23, s[0:1], s8, v1
	v_addc_co_u32_e64 v24, s[0:1], v2, v24, s[0:1]
	global_load_ushort v24, v[23:24], off
.LBB287_11:                             ;   in Loop: Header=BB287_9 Depth=1
	s_or_b64 exec, exec, s[2:3]
	v_mov_b32_e32 v23, s15
	v_add_co_u32_e64 v25, s[0:1], s14, v13
	v_addc_co_u32_e64 v26, s[0:1], v14, v23, s[0:1]
	v_cmp_gt_u64_e64 s[0:1], s[12:13], v[25:26]
	v_mov_b32_e32 v23, 0
	v_mov_b32_e32 v25, 0
	s_and_saveexec_b64 s[4:5], s[0:1]
	s_cbranch_execz .LBB287_13
; %bb.12:                               ;   in Loop: Header=BB287_9 Depth=1
	v_mov_b32_e32 v26, s9
	v_add_co_u32_e64 v25, s[2:3], s8, v15
	v_addc_co_u32_e64 v26, s[2:3], v16, v26, s[2:3]
	global_load_ushort v25, v[25:26], off
.LBB287_13:                             ;   in Loop: Header=BB287_9 Depth=1
	s_or_b64 exec, exec, s[4:5]
	v_mov_b32_e32 v27, s15
	v_add_co_u32_e64 v26, s[2:3], s14, v21
	v_addc_co_u32_e64 v27, s[2:3], v22, v27, s[2:3]
	v_cmp_gt_u64_e64 s[2:3], s[12:13], v[26:27]
	s_and_saveexec_b64 s[6:7], s[2:3]
	s_cbranch_execz .LBB287_15
; %bb.14:                               ;   in Loop: Header=BB287_9 Depth=1
	v_mov_b32_e32 v23, s9
	v_add_co_u32_e64 v26, s[4:5], s8, v9
	v_addc_co_u32_e64 v27, s[4:5], v10, v23, s[4:5]
	global_load_ushort v23, v[26:27], off
.LBB287_15:                             ;   in Loop: Header=BB287_9 Depth=1
	s_or_b64 exec, exec, s[6:7]
	v_mov_b32_e32 v27, s15
	v_add_co_u32_e64 v26, s[4:5], s14, v19
	v_addc_co_u32_e64 v27, s[4:5], v20, v27, s[4:5]
	v_cmp_gt_u64_e64 s[4:5], s[12:13], v[26:27]
	v_mov_b32_e32 v26, 0
	s_and_saveexec_b64 s[16:17], s[4:5]
	s_cbranch_execnz .LBB287_20
; %bb.16:                               ;   in Loop: Header=BB287_9 Depth=1
	s_or_b64 exec, exec, s[16:17]
	s_and_saveexec_b64 s[6:7], vcc
	s_cbranch_execnz .LBB287_21
.LBB287_17:                             ;   in Loop: Header=BB287_9 Depth=1
	s_or_b64 exec, exec, s[6:7]
	s_and_saveexec_b64 s[6:7], s[0:1]
	s_cbranch_execnz .LBB287_22
.LBB287_18:                             ;   in Loop: Header=BB287_9 Depth=1
	s_or_b64 exec, exec, s[6:7]
	s_and_saveexec_b64 s[0:1], s[2:3]
	s_cbranch_execnz .LBB287_23
.LBB287_19:                             ;   in Loop: Header=BB287_9 Depth=1
	s_or_b64 exec, exec, s[0:1]
	s_and_saveexec_b64 s[0:1], s[4:5]
	s_cbranch_execz .LBB287_8
	s_branch .LBB287_24
.LBB287_20:                             ;   in Loop: Header=BB287_9 Depth=1
	v_mov_b32_e32 v27, s9
	v_add_co_u32_e64 v26, s[6:7], s8, v5
	v_addc_co_u32_e64 v27, s[6:7], v6, v27, s[6:7]
	global_load_ushort v26, v[26:27], off
	s_or_b64 exec, exec, s[16:17]
	s_and_saveexec_b64 s[6:7], vcc
	s_cbranch_execz .LBB287_17
.LBB287_21:                             ;   in Loop: Header=BB287_9 Depth=1
	s_waitcnt vmcnt(0)
	v_cmp_lt_f16_e32 vcc, 0, v24
	v_cndmask_b32_e64 v27, 0, 1, vcc
	v_cmp_gt_f16_e32 vcc, 0, v24
	v_subbrev_co_u32_e32 v24, vcc, 0, v27, vcc
	v_cvt_f32_i32_e32 v24, v24
	v_mov_b32_e32 v28, s9
	v_add_co_u32_e32 v27, vcc, s8, v3
	v_cvt_f16_f32_e32 v24, v24
	v_addc_co_u32_e32 v28, vcc, v4, v28, vcc
	global_store_short v[27:28], v24, off
	s_or_b64 exec, exec, s[6:7]
	s_and_saveexec_b64 s[6:7], s[0:1]
	s_cbranch_execz .LBB287_18
.LBB287_22:                             ;   in Loop: Header=BB287_9 Depth=1
	s_waitcnt vmcnt(0)
	v_cmp_lt_f16_e32 vcc, 0, v25
	v_cndmask_b32_e64 v24, 0, 1, vcc
	v_cmp_gt_f16_e32 vcc, 0, v25
	v_subbrev_co_u32_e32 v24, vcc, 0, v24, vcc
	v_cvt_f32_i32_e32 v24, v24
	v_mov_b32_e32 v25, s9
	v_cvt_f16_f32_e32 v27, v24
	v_add_co_u32_e32 v24, vcc, s8, v17
	v_addc_co_u32_e32 v25, vcc, v18, v25, vcc
	global_store_short v[24:25], v27, off
	s_or_b64 exec, exec, s[6:7]
	s_and_saveexec_b64 s[0:1], s[2:3]
	s_cbranch_execz .LBB287_19
.LBB287_23:                             ;   in Loop: Header=BB287_9 Depth=1
	s_waitcnt vmcnt(0)
	v_cmp_lt_f16_e32 vcc, 0, v23
	v_cndmask_b32_e64 v24, 0, 1, vcc
	v_cmp_gt_f16_e32 vcc, 0, v23
	v_subbrev_co_u32_e32 v23, vcc, 0, v24, vcc
	v_cvt_f32_i32_e32 v23, v23
	v_mov_b32_e32 v24, s9
	v_cvt_f16_f32_e32 v25, v23
	v_add_co_u32_e32 v23, vcc, s8, v11
	v_addc_co_u32_e32 v24, vcc, v12, v24, vcc
	global_store_short v[23:24], v25, off
	s_or_b64 exec, exec, s[0:1]
	s_and_saveexec_b64 s[0:1], s[4:5]
	s_cbranch_execz .LBB287_8
.LBB287_24:                             ;   in Loop: Header=BB287_9 Depth=1
	s_waitcnt vmcnt(0)
	v_cmp_lt_f16_e32 vcc, 0, v26
	v_cndmask_b32_e64 v23, 0, 1, vcc
	v_cmp_gt_f16_e32 vcc, 0, v26
	v_subbrev_co_u32_e32 v23, vcc, 0, v23, vcc
	v_cvt_f32_i32_e32 v23, v23
	v_mov_b32_e32 v24, s9
	v_cvt_f16_f32_e32 v25, v23
	v_add_co_u32_e32 v23, vcc, s8, v7
	v_addc_co_u32_e32 v24, vcc, v8, v24, vcc
	global_store_short v[23:24], v25, off
	s_branch .LBB287_8
.LBB287_25:
	s_endpgm
	.section	.rodata,"a",@progbits
	.p2align	6, 0x0
	.amdhsa_kernel _ZN2at6native12_GLOBAL__N_125multi_tensor_apply_kernelINS1_18TensorListMetadataILi2EEENS1_14UnaryOpFunctorIN3c104HalfELi2ELi1ELi1EEEJNS0_4SignIfEEEEEvT_T0_DpT1_
		.amdhsa_group_segment_fixed_size 0
		.amdhsa_private_segment_fixed_size 0
		.amdhsa_kernarg_size 3408
		.amdhsa_user_sgpr_count 6
		.amdhsa_user_sgpr_private_segment_buffer 1
		.amdhsa_user_sgpr_dispatch_ptr 0
		.amdhsa_user_sgpr_queue_ptr 0
		.amdhsa_user_sgpr_kernarg_segment_ptr 1
		.amdhsa_user_sgpr_dispatch_id 0
		.amdhsa_user_sgpr_flat_scratch_init 0
		.amdhsa_user_sgpr_private_segment_size 0
		.amdhsa_uses_dynamic_stack 0
		.amdhsa_system_sgpr_private_segment_wavefront_offset 0
		.amdhsa_system_sgpr_workgroup_id_x 1
		.amdhsa_system_sgpr_workgroup_id_y 0
		.amdhsa_system_sgpr_workgroup_id_z 0
		.amdhsa_system_sgpr_workgroup_info 0
		.amdhsa_system_vgpr_workitem_id 0
		.amdhsa_next_free_vgpr 29
		.amdhsa_next_free_sgpr 24
		.amdhsa_reserve_vcc 1
		.amdhsa_reserve_flat_scratch 0
		.amdhsa_float_round_mode_32 0
		.amdhsa_float_round_mode_16_64 0
		.amdhsa_float_denorm_mode_32 3
		.amdhsa_float_denorm_mode_16_64 3
		.amdhsa_dx10_clamp 1
		.amdhsa_ieee_mode 1
		.amdhsa_fp16_overflow 0
		.amdhsa_exception_fp_ieee_invalid_op 0
		.amdhsa_exception_fp_denorm_src 0
		.amdhsa_exception_fp_ieee_div_zero 0
		.amdhsa_exception_fp_ieee_overflow 0
		.amdhsa_exception_fp_ieee_underflow 0
		.amdhsa_exception_fp_ieee_inexact 0
		.amdhsa_exception_int_div_zero 0
	.end_amdhsa_kernel
	.section	.text._ZN2at6native12_GLOBAL__N_125multi_tensor_apply_kernelINS1_18TensorListMetadataILi2EEENS1_14UnaryOpFunctorIN3c104HalfELi2ELi1ELi1EEEJNS0_4SignIfEEEEEvT_T0_DpT1_,"axG",@progbits,_ZN2at6native12_GLOBAL__N_125multi_tensor_apply_kernelINS1_18TensorListMetadataILi2EEENS1_14UnaryOpFunctorIN3c104HalfELi2ELi1ELi1EEEJNS0_4SignIfEEEEEvT_T0_DpT1_,comdat
.Lfunc_end287:
	.size	_ZN2at6native12_GLOBAL__N_125multi_tensor_apply_kernelINS1_18TensorListMetadataILi2EEENS1_14UnaryOpFunctorIN3c104HalfELi2ELi1ELi1EEEJNS0_4SignIfEEEEEvT_T0_DpT1_, .Lfunc_end287-_ZN2at6native12_GLOBAL__N_125multi_tensor_apply_kernelINS1_18TensorListMetadataILi2EEENS1_14UnaryOpFunctorIN3c104HalfELi2ELi1ELi1EEEJNS0_4SignIfEEEEEvT_T0_DpT1_
                                        ; -- End function
	.set _ZN2at6native12_GLOBAL__N_125multi_tensor_apply_kernelINS1_18TensorListMetadataILi2EEENS1_14UnaryOpFunctorIN3c104HalfELi2ELi1ELi1EEEJNS0_4SignIfEEEEEvT_T0_DpT1_.num_vgpr, 29
	.set _ZN2at6native12_GLOBAL__N_125multi_tensor_apply_kernelINS1_18TensorListMetadataILi2EEENS1_14UnaryOpFunctorIN3c104HalfELi2ELi1ELi1EEEJNS0_4SignIfEEEEEvT_T0_DpT1_.num_agpr, 0
	.set _ZN2at6native12_GLOBAL__N_125multi_tensor_apply_kernelINS1_18TensorListMetadataILi2EEENS1_14UnaryOpFunctorIN3c104HalfELi2ELi1ELi1EEEJNS0_4SignIfEEEEEvT_T0_DpT1_.numbered_sgpr, 24
	.set _ZN2at6native12_GLOBAL__N_125multi_tensor_apply_kernelINS1_18TensorListMetadataILi2EEENS1_14UnaryOpFunctorIN3c104HalfELi2ELi1ELi1EEEJNS0_4SignIfEEEEEvT_T0_DpT1_.num_named_barrier, 0
	.set _ZN2at6native12_GLOBAL__N_125multi_tensor_apply_kernelINS1_18TensorListMetadataILi2EEENS1_14UnaryOpFunctorIN3c104HalfELi2ELi1ELi1EEEJNS0_4SignIfEEEEEvT_T0_DpT1_.private_seg_size, 0
	.set _ZN2at6native12_GLOBAL__N_125multi_tensor_apply_kernelINS1_18TensorListMetadataILi2EEENS1_14UnaryOpFunctorIN3c104HalfELi2ELi1ELi1EEEJNS0_4SignIfEEEEEvT_T0_DpT1_.uses_vcc, 1
	.set _ZN2at6native12_GLOBAL__N_125multi_tensor_apply_kernelINS1_18TensorListMetadataILi2EEENS1_14UnaryOpFunctorIN3c104HalfELi2ELi1ELi1EEEJNS0_4SignIfEEEEEvT_T0_DpT1_.uses_flat_scratch, 0
	.set _ZN2at6native12_GLOBAL__N_125multi_tensor_apply_kernelINS1_18TensorListMetadataILi2EEENS1_14UnaryOpFunctorIN3c104HalfELi2ELi1ELi1EEEJNS0_4SignIfEEEEEvT_T0_DpT1_.has_dyn_sized_stack, 0
	.set _ZN2at6native12_GLOBAL__N_125multi_tensor_apply_kernelINS1_18TensorListMetadataILi2EEENS1_14UnaryOpFunctorIN3c104HalfELi2ELi1ELi1EEEJNS0_4SignIfEEEEEvT_T0_DpT1_.has_recursion, 0
	.set _ZN2at6native12_GLOBAL__N_125multi_tensor_apply_kernelINS1_18TensorListMetadataILi2EEENS1_14UnaryOpFunctorIN3c104HalfELi2ELi1ELi1EEEJNS0_4SignIfEEEEEvT_T0_DpT1_.has_indirect_call, 0
	.section	.AMDGPU.csdata,"",@progbits
; Kernel info:
; codeLenInByte = 1500
; TotalNumSgprs: 28
; NumVgprs: 29
; ScratchSize: 0
; MemoryBound: 0
; FloatMode: 240
; IeeeMode: 1
; LDSByteSize: 0 bytes/workgroup (compile time only)
; SGPRBlocks: 3
; VGPRBlocks: 7
; NumSGPRsForWavesPerEU: 28
; NumVGPRsForWavesPerEU: 29
; Occupancy: 8
; WaveLimiterHint : 0
; COMPUTE_PGM_RSRC2:SCRATCH_EN: 0
; COMPUTE_PGM_RSRC2:USER_SGPR: 6
; COMPUTE_PGM_RSRC2:TRAP_HANDLER: 0
; COMPUTE_PGM_RSRC2:TGID_X_EN: 1
; COMPUTE_PGM_RSRC2:TGID_Y_EN: 0
; COMPUTE_PGM_RSRC2:TGID_Z_EN: 0
; COMPUTE_PGM_RSRC2:TIDIG_COMP_CNT: 0
	.section	.text._ZN2at6native12_GLOBAL__N_125multi_tensor_apply_kernelINS1_18TensorListMetadataILi2EEENS1_14UnaryOpFunctorIN3c108BFloat16ELi2ELi1ELi1EEEJNS0_4SignIfEEEEEvT_T0_DpT1_,"axG",@progbits,_ZN2at6native12_GLOBAL__N_125multi_tensor_apply_kernelINS1_18TensorListMetadataILi2EEENS1_14UnaryOpFunctorIN3c108BFloat16ELi2ELi1ELi1EEEJNS0_4SignIfEEEEEvT_T0_DpT1_,comdat
	.globl	_ZN2at6native12_GLOBAL__N_125multi_tensor_apply_kernelINS1_18TensorListMetadataILi2EEENS1_14UnaryOpFunctorIN3c108BFloat16ELi2ELi1ELi1EEEJNS0_4SignIfEEEEEvT_T0_DpT1_ ; -- Begin function _ZN2at6native12_GLOBAL__N_125multi_tensor_apply_kernelINS1_18TensorListMetadataILi2EEENS1_14UnaryOpFunctorIN3c108BFloat16ELi2ELi1ELi1EEEJNS0_4SignIfEEEEEvT_T0_DpT1_
	.p2align	8
	.type	_ZN2at6native12_GLOBAL__N_125multi_tensor_apply_kernelINS1_18TensorListMetadataILi2EEENS1_14UnaryOpFunctorIN3c108BFloat16ELi2ELi1ELi1EEEJNS0_4SignIfEEEEEvT_T0_DpT1_,@function
_ZN2at6native12_GLOBAL__N_125multi_tensor_apply_kernelINS1_18TensorListMetadataILi2EEENS1_14UnaryOpFunctorIN3c108BFloat16ELi2ELi1ELi1EEEJNS0_4SignIfEEEEEvT_T0_DpT1_: ; @_ZN2at6native12_GLOBAL__N_125multi_tensor_apply_kernelINS1_18TensorListMetadataILi2EEENS1_14UnaryOpFunctorIN3c108BFloat16ELi2ELi1ELi1EEEJNS0_4SignIfEEEEEvT_T0_DpT1_
; %bb.0:
	v_mov_b32_e32 v1, s6
	global_load_ubyte v1, v1, s[4:5] offset:1536
	s_add_u32 s0, s4, s6
	s_mul_hi_u32 s2, s6, 3
	s_mul_i32 s6, s6, 3
	s_addc_u32 s7, s5, 0
	s_add_u32 s6, s0, s6
	s_addc_u32 s7, s7, s2
	s_load_dword s10, s[6:7], 0x740
	s_mov_b32 s1, 0
	s_mov_b32 s3, s1
	s_waitcnt lgkmcnt(0)
	s_ashr_i32 s11, s10, 31
	s_lshl_b64 s[8:9], s[10:11], 17
	s_lshl_b64 s[10:11], s[10:11], 16
	s_waitcnt vmcnt(0)
	v_readfirstlane_b32 s0, v1
	s_lshl_b32 s0, s0, 3
	s_load_dwordx2 s[16:17], s[4:5], s0 offset:0x400
	s_load_dwordx2 s[14:15], s[4:5], s0 offset:0x0
	;; [unrolled: 1-line block ×3, first 2 shown]
	s_waitcnt lgkmcnt(0)
	s_add_u32 s0, s14, s8
	s_and_b32 s2, s6, 7
	s_and_b32 s0, s0, 7
	s_sub_u32 s12, s16, s10
	s_subb_u32 s13, s17, s11
	s_and_b32 s10, s16, 3
	s_mov_b32 s11, s1
	s_or_b64 s[2:3], s[2:3], s[10:11]
	s_or_b64 s[0:1], s[2:3], s[0:1]
	s_cmp_eq_u64 s[0:1], 0
	s_mov_b64 s[0:1], -1
	s_cbranch_scc0 .LBB288_5
; %bb.1:
	v_mov_b32_e32 v1, 0x10000
	v_mov_b32_e32 v2, 0
	v_cmp_lt_i64_e32 vcc, s[12:13], v[1:2]
	v_mov_b32_e32 v2, 0
	s_and_b64 s[0:1], vcc, exec
	s_cselect_b32 s11, s13, 0
	s_cselect_b32 s10, s12, 0x10000
	v_lshlrev_b32_e32 v1, 2, v0
	v_cmp_gt_i64_e32 vcc, s[10:11], v[1:2]
	s_and_saveexec_b64 s[16:17], vcc
	s_cbranch_execz .LBB288_4
; %bb.2:
	s_load_dword s0, s[4:5], 0xc5c
	v_mov_b32_e32 v1, v2
	v_lshlrev_b32_e32 v2, 3, v0
	v_mov_b32_e32 v4, s9
	v_add_co_u32_e32 v3, vcc, s8, v2
	s_waitcnt lgkmcnt(0)
	s_and_b32 s20, s0, 0xffff
	v_mov_b32_e32 v2, v1
	v_addc_co_u32_e32 v4, vcc, 0, v4, vcc
	s_lshl_b32 s21, s20, 3
	s_mov_b64 s[18:19], 0
	v_mov_b32_e32 v5, s15
	s_mov_b32 s22, 0xffff0000
	s_movk_i32 s23, 0x7fff
	v_mov_b32_e32 v6, s7
	v_mov_b32_e32 v1, v0
.LBB288_3:                              ; =>This Inner Loop Header: Depth=1
	v_add_co_u32_e32 v7, vcc, s14, v3
	v_addc_co_u32_e32 v8, vcc, v5, v4, vcc
	global_load_dwordx2 v[7:8], v[7:8], off
	v_add_co_u32_e32 v9, vcc, s6, v3
	v_addc_co_u32_e32 v10, vcc, v6, v4, vcc
	v_add_co_u32_e32 v1, vcc, s20, v1
	v_addc_co_u32_e32 v2, vcc, 0, v2, vcc
	v_add_co_u32_e32 v3, vcc, s21, v3
	v_lshlrev_b64 v[11:12], 2, v[1:2]
	v_addc_co_u32_e32 v4, vcc, 0, v4, vcc
	v_cmp_le_i64_e32 vcc, s[10:11], v[11:12]
	s_or_b64 s[18:19], vcc, s[18:19]
	s_waitcnt vmcnt(0)
	v_lshlrev_b32_e32 v12, 16, v7
	v_and_b32_e32 v11, 0xffff0000, v7
	v_cmp_lt_f32_e32 vcc, 0, v12
	v_cndmask_b32_e64 v13, 0, 1, vcc
	v_cmp_lt_f32_e32 vcc, 0, v11
	v_alignbit_b32 v7, v8, v7, 16
	v_and_b32_e32 v8, 0xffff0000, v8
	v_cndmask_b32_e64 v14, 0, 1, vcc
	v_cmp_gt_f32_e32 vcc, 0, v11
	v_and_b32_e32 v7, 0xffff0000, v7
	v_cmp_lt_f32_e64 s[0:1], 0, v8
	v_cmp_gt_f32_e64 s[2:3], 0, v12
	v_subbrev_co_u32_e32 v12, vcc, 0, v14, vcc
	v_cndmask_b32_e64 v11, 0, 1, s[0:1]
	v_cmp_gt_f32_e64 s[0:1], 0, v8
	v_cmp_lt_f32_e32 vcc, 0, v7
	v_subbrev_co_u32_e64 v8, s[2:3], 0, v13, s[2:3]
	v_cndmask_b32_e64 v13, 0, 1, vcc
	v_cmp_gt_f32_e32 vcc, 0, v7
	v_subbrev_co_u32_e64 v7, s[0:1], 0, v11, s[0:1]
	v_cvt_f32_i32_e32 v8, v8
	v_cvt_f32_i32_e32 v11, v12
	v_subbrev_co_u32_e32 v12, vcc, 0, v13, vcc
	v_cvt_f32_i32_e32 v7, v7
	v_cvt_f32_i32_e32 v12, v12
	v_bfe_u32 v13, v8, 16, 1
	v_bfe_u32 v14, v11, 16, 1
	v_bfe_u32 v15, v7, 16, 1
	v_add3_u32 v8, v8, v13, s23
	v_bfe_u32 v13, v12, 16, 1
	v_add3_u32 v7, v7, v15, s23
	v_add3_u32 v11, v11, v14, s23
	v_lshrrev_b32_e32 v14, 16, v8
	v_add3_u32 v8, v12, v13, s23
	v_and_b32_e32 v7, 0xffff0000, v7
	v_or_b32_sdwa v8, v7, v8 dst_sel:DWORD dst_unused:UNUSED_PAD src0_sel:DWORD src1_sel:WORD_1
	v_and_or_b32 v7, v11, s22, v14
	global_store_dwordx2 v[9:10], v[7:8], off
	s_andn2_b64 exec, exec, s[18:19]
	s_cbranch_execnz .LBB288_3
.LBB288_4:
	s_or_b64 exec, exec, s[16:17]
	s_mov_b64 s[0:1], 0
.LBB288_5:
	s_andn2_b64 vcc, exec, s[0:1]
	s_cbranch_vccnz .LBB288_25
; %bb.6:
	v_cmp_lt_i64_e64 s[0:1], s[12:13], 1
	s_and_b64 vcc, exec, s[0:1]
	s_cbranch_vccnz .LBB288_25
; %bb.7:
	v_mov_b32_e32 v1, 0x10000
	s_load_dword s2, s[4:5], 0xc5c
	v_mov_b32_e32 v2, 0
	v_cmp_lt_i64_e32 vcc, s[12:13], v[1:2]
	v_mov_b32_e32 v10, 0
	s_and_b64 s[0:1], vcc, exec
	v_cmp_lt_u64_e32 vcc, s[12:13], v[1:2]
	s_cselect_b32 s11, s13, 0
	s_cselect_b32 s10, s12, 0x10000
	s_waitcnt lgkmcnt(0)
	s_and_b32 s2, s2, 0xffff
	v_lshlrev_b32_e32 v9, 1, v0
	s_and_b64 s[0:1], vcc, exec
	v_mov_b32_e32 v2, s15
	v_add_co_u32_e32 v1, vcc, s14, v9
	v_mad_u64_u32 v[7:8], s[0:1], s2, 6, v[9:10]
	v_addc_co_u32_e32 v2, vcc, 0, v2, vcc
	v_mov_b32_e32 v4, s7
	v_add_co_u32_e32 v3, vcc, s6, v9
	v_addc_co_u32_e32 v4, vcc, 0, v4, vcc
	v_mov_b32_e32 v6, s15
	v_add_co_u32_e32 v5, vcc, s14, v7
	;; [unrolled: 3-line block ×3, first 2 shown]
	s_cselect_b32 s13, s13, 0
	s_cselect_b32 s12, s12, 0x10000
	s_lshl_b32 s18, s2, 2
	v_addc_co_u32_e32 v8, vcc, v10, v8, vcc
	v_add_co_u32_e32 v11, vcc, s18, v9
	v_addc_co_u32_e64 v12, s[0:1], 0, 0, vcc
	v_mov_b32_e32 v10, s15
	v_add_co_u32_e32 v9, vcc, s14, v11
	v_addc_co_u32_e32 v10, vcc, v10, v12, vcc
	v_mov_b32_e32 v13, s7
	v_add_co_u32_e32 v11, vcc, s6, v11
	v_addc_co_u32_e32 v12, vcc, v13, v12, vcc
	v_add_co_u32_e32 v13, vcc, s2, v0
	v_lshlrev_b32_e32 v17, 1, v13
	v_addc_co_u32_e64 v14, s[0:1], 0, 0, vcc
	v_mov_b32_e32 v16, s15
	v_add_co_u32_e32 v15, vcc, s14, v17
	v_addc_co_u32_e32 v16, vcc, 0, v16, vcc
	v_mov_b32_e32 v18, s7
	v_add_co_u32_e32 v17, vcc, s6, v17
	s_mul_i32 s4, s2, 3
	v_addc_co_u32_e32 v18, vcc, 0, v18, vcc
	s_lshl_b32 s3, s2, 1
	v_add_co_u32_e32 v19, vcc, s4, v0
	v_addc_co_u32_e64 v20, s[0:1], 0, 0, vcc
	v_add_co_u32_e32 v21, vcc, s3, v0
	s_lshl_b32 s19, s2, 3
	s_mov_b64 s[14:15], 0
	s_movk_i32 s20, 0x7fff
	v_addc_co_u32_e64 v22, s[0:1], 0, 0, vcc
	s_branch .LBB288_9
.LBB288_8:                              ;   in Loop: Header=BB288_9 Depth=1
	s_or_b64 exec, exec, s[0:1]
	v_add_co_u32_e32 v1, vcc, s19, v1
	v_addc_co_u32_e32 v2, vcc, 0, v2, vcc
	v_add_co_u32_e32 v3, vcc, s19, v3
	v_addc_co_u32_e32 v4, vcc, 0, v4, vcc
	;; [unrolled: 2-line block ×6, first 2 shown]
	s_add_u32 s14, s14, s18
	v_add_co_u32_e32 v15, vcc, s19, v15
	v_mov_b32_e32 v24, s11
	s_addc_u32 s15, s15, 0
	v_addc_co_u32_e32 v16, vcc, 0, v16, vcc
	v_mov_b32_e32 v23, s10
	v_cmp_ge_i64_e32 vcc, s[14:15], v[23:24]
	v_add_co_u32_e64 v17, s[0:1], s19, v17
	v_addc_co_u32_e64 v18, s[0:1], 0, v18, s[0:1]
	s_cbranch_vccnz .LBB288_25
.LBB288_9:                              ; =>This Inner Loop Header: Depth=1
	v_mov_b32_e32 v24, s15
	v_add_co_u32_e32 v23, vcc, s14, v0
	v_addc_co_u32_e32 v24, vcc, 0, v24, vcc
	v_cmp_gt_u64_e32 vcc, s[12:13], v[23:24]
	v_mov_b32_e32 v24, 0
	s_and_saveexec_b64 s[2:3], vcc
	s_cbranch_execz .LBB288_11
; %bb.10:                               ;   in Loop: Header=BB288_9 Depth=1
	v_mov_b32_e32 v24, s9
	v_add_co_u32_e64 v23, s[0:1], s8, v1
	v_addc_co_u32_e64 v24, s[0:1], v2, v24, s[0:1]
	global_load_ushort v23, v[23:24], off
	s_waitcnt vmcnt(0)
	v_lshlrev_b32_e32 v24, 16, v23
.LBB288_11:                             ;   in Loop: Header=BB288_9 Depth=1
	s_or_b64 exec, exec, s[2:3]
	v_mov_b32_e32 v23, s15
	v_add_co_u32_e64 v25, s[0:1], s14, v13
	v_addc_co_u32_e64 v26, s[0:1], v14, v23, s[0:1]
	v_cmp_gt_u64_e64 s[0:1], s[12:13], v[25:26]
	v_mov_b32_e32 v23, 0
	v_mov_b32_e32 v25, 0
	s_and_saveexec_b64 s[4:5], s[0:1]
	s_cbranch_execz .LBB288_13
; %bb.12:                               ;   in Loop: Header=BB288_9 Depth=1
	v_mov_b32_e32 v26, s9
	v_add_co_u32_e64 v25, s[2:3], s8, v15
	v_addc_co_u32_e64 v26, s[2:3], v16, v26, s[2:3]
	global_load_ushort v25, v[25:26], off
	s_waitcnt vmcnt(0)
	v_lshlrev_b32_e32 v25, 16, v25
.LBB288_13:                             ;   in Loop: Header=BB288_9 Depth=1
	s_or_b64 exec, exec, s[4:5]
	v_mov_b32_e32 v27, s15
	v_add_co_u32_e64 v26, s[2:3], s14, v21
	v_addc_co_u32_e64 v27, s[2:3], v22, v27, s[2:3]
	v_cmp_gt_u64_e64 s[2:3], s[12:13], v[26:27]
	s_and_saveexec_b64 s[6:7], s[2:3]
	s_cbranch_execz .LBB288_15
; %bb.14:                               ;   in Loop: Header=BB288_9 Depth=1
	v_mov_b32_e32 v23, s9
	v_add_co_u32_e64 v26, s[4:5], s8, v9
	v_addc_co_u32_e64 v27, s[4:5], v10, v23, s[4:5]
	global_load_ushort v23, v[26:27], off
	s_waitcnt vmcnt(0)
	v_lshlrev_b32_e32 v23, 16, v23
.LBB288_15:                             ;   in Loop: Header=BB288_9 Depth=1
	s_or_b64 exec, exec, s[6:7]
	v_mov_b32_e32 v27, s15
	v_add_co_u32_e64 v26, s[4:5], s14, v19
	v_addc_co_u32_e64 v27, s[4:5], v20, v27, s[4:5]
	v_cmp_gt_u64_e64 s[4:5], s[12:13], v[26:27]
	v_mov_b32_e32 v26, 0
	s_and_saveexec_b64 s[16:17], s[4:5]
	s_cbranch_execnz .LBB288_20
; %bb.16:                               ;   in Loop: Header=BB288_9 Depth=1
	s_or_b64 exec, exec, s[16:17]
	s_and_saveexec_b64 s[6:7], vcc
	s_cbranch_execnz .LBB288_21
.LBB288_17:                             ;   in Loop: Header=BB288_9 Depth=1
	s_or_b64 exec, exec, s[6:7]
	s_and_saveexec_b64 s[6:7], s[0:1]
	s_cbranch_execnz .LBB288_22
.LBB288_18:                             ;   in Loop: Header=BB288_9 Depth=1
	s_or_b64 exec, exec, s[6:7]
	s_and_saveexec_b64 s[0:1], s[2:3]
	s_cbranch_execnz .LBB288_23
.LBB288_19:                             ;   in Loop: Header=BB288_9 Depth=1
	s_or_b64 exec, exec, s[0:1]
	s_and_saveexec_b64 s[0:1], s[4:5]
	s_cbranch_execz .LBB288_8
	s_branch .LBB288_24
.LBB288_20:                             ;   in Loop: Header=BB288_9 Depth=1
	v_mov_b32_e32 v27, s9
	v_add_co_u32_e64 v26, s[6:7], s8, v5
	v_addc_co_u32_e64 v27, s[6:7], v6, v27, s[6:7]
	global_load_ushort v26, v[26:27], off
	s_waitcnt vmcnt(0)
	v_lshlrev_b32_e32 v26, 16, v26
	s_or_b64 exec, exec, s[16:17]
	s_and_saveexec_b64 s[6:7], vcc
	s_cbranch_execz .LBB288_17
.LBB288_21:                             ;   in Loop: Header=BB288_9 Depth=1
	v_cmp_lt_f32_e32 vcc, 0, v24
	v_cndmask_b32_e64 v27, 0, 1, vcc
	v_cmp_gt_f32_e32 vcc, 0, v24
	v_subbrev_co_u32_e32 v24, vcc, 0, v27, vcc
	v_cvt_f32_i32_e32 v24, v24
	v_mov_b32_e32 v28, s9
	v_bfe_u32 v27, v24, 16, 1
	v_add3_u32 v24, v24, v27, s20
	v_add_co_u32_e32 v27, vcc, s8, v3
	v_addc_co_u32_e32 v28, vcc, v4, v28, vcc
	global_store_short_d16_hi v[27:28], v24, off
	s_or_b64 exec, exec, s[6:7]
	s_and_saveexec_b64 s[6:7], s[0:1]
	s_cbranch_execz .LBB288_18
.LBB288_22:                             ;   in Loop: Header=BB288_9 Depth=1
	v_cmp_lt_f32_e32 vcc, 0, v25
	v_cndmask_b32_e64 v24, 0, 1, vcc
	v_cmp_gt_f32_e32 vcc, 0, v25
	v_subbrev_co_u32_e32 v24, vcc, 0, v24, vcc
	v_cvt_f32_i32_e32 v24, v24
	v_bfe_u32 v25, v24, 16, 1
	v_add3_u32 v27, v24, v25, s20
	v_mov_b32_e32 v25, s9
	v_add_co_u32_e32 v24, vcc, s8, v17
	v_addc_co_u32_e32 v25, vcc, v18, v25, vcc
	global_store_short_d16_hi v[24:25], v27, off
	s_or_b64 exec, exec, s[6:7]
	s_and_saveexec_b64 s[0:1], s[2:3]
	s_cbranch_execz .LBB288_19
.LBB288_23:                             ;   in Loop: Header=BB288_9 Depth=1
	v_cmp_lt_f32_e32 vcc, 0, v23
	v_cndmask_b32_e64 v24, 0, 1, vcc
	v_cmp_gt_f32_e32 vcc, 0, v23
	v_subbrev_co_u32_e32 v23, vcc, 0, v24, vcc
	v_cvt_f32_i32_e32 v23, v23
	v_bfe_u32 v24, v23, 16, 1
	v_add3_u32 v25, v23, v24, s20
	v_mov_b32_e32 v24, s9
	v_add_co_u32_e32 v23, vcc, s8, v11
	v_addc_co_u32_e32 v24, vcc, v12, v24, vcc
	global_store_short_d16_hi v[23:24], v25, off
	s_or_b64 exec, exec, s[0:1]
	s_and_saveexec_b64 s[0:1], s[4:5]
	s_cbranch_execz .LBB288_8
.LBB288_24:                             ;   in Loop: Header=BB288_9 Depth=1
	v_cmp_lt_f32_e32 vcc, 0, v26
	v_cndmask_b32_e64 v23, 0, 1, vcc
	v_cmp_gt_f32_e32 vcc, 0, v26
	v_subbrev_co_u32_e32 v23, vcc, 0, v23, vcc
	v_cvt_f32_i32_e32 v23, v23
	v_bfe_u32 v24, v23, 16, 1
	v_add3_u32 v25, v23, v24, s20
	v_mov_b32_e32 v24, s9
	v_add_co_u32_e32 v23, vcc, s8, v7
	v_addc_co_u32_e32 v24, vcc, v8, v24, vcc
	global_store_short_d16_hi v[23:24], v25, off
	s_branch .LBB288_8
.LBB288_25:
	s_endpgm
	.section	.rodata,"a",@progbits
	.p2align	6, 0x0
	.amdhsa_kernel _ZN2at6native12_GLOBAL__N_125multi_tensor_apply_kernelINS1_18TensorListMetadataILi2EEENS1_14UnaryOpFunctorIN3c108BFloat16ELi2ELi1ELi1EEEJNS0_4SignIfEEEEEvT_T0_DpT1_
		.amdhsa_group_segment_fixed_size 0
		.amdhsa_private_segment_fixed_size 0
		.amdhsa_kernarg_size 3408
		.amdhsa_user_sgpr_count 6
		.amdhsa_user_sgpr_private_segment_buffer 1
		.amdhsa_user_sgpr_dispatch_ptr 0
		.amdhsa_user_sgpr_queue_ptr 0
		.amdhsa_user_sgpr_kernarg_segment_ptr 1
		.amdhsa_user_sgpr_dispatch_id 0
		.amdhsa_user_sgpr_flat_scratch_init 0
		.amdhsa_user_sgpr_private_segment_size 0
		.amdhsa_uses_dynamic_stack 0
		.amdhsa_system_sgpr_private_segment_wavefront_offset 0
		.amdhsa_system_sgpr_workgroup_id_x 1
		.amdhsa_system_sgpr_workgroup_id_y 0
		.amdhsa_system_sgpr_workgroup_id_z 0
		.amdhsa_system_sgpr_workgroup_info 0
		.amdhsa_system_vgpr_workitem_id 0
		.amdhsa_next_free_vgpr 29
		.amdhsa_next_free_sgpr 24
		.amdhsa_reserve_vcc 1
		.amdhsa_reserve_flat_scratch 0
		.amdhsa_float_round_mode_32 0
		.amdhsa_float_round_mode_16_64 0
		.amdhsa_float_denorm_mode_32 3
		.amdhsa_float_denorm_mode_16_64 3
		.amdhsa_dx10_clamp 1
		.amdhsa_ieee_mode 1
		.amdhsa_fp16_overflow 0
		.amdhsa_exception_fp_ieee_invalid_op 0
		.amdhsa_exception_fp_denorm_src 0
		.amdhsa_exception_fp_ieee_div_zero 0
		.amdhsa_exception_fp_ieee_overflow 0
		.amdhsa_exception_fp_ieee_underflow 0
		.amdhsa_exception_fp_ieee_inexact 0
		.amdhsa_exception_int_div_zero 0
	.end_amdhsa_kernel
	.section	.text._ZN2at6native12_GLOBAL__N_125multi_tensor_apply_kernelINS1_18TensorListMetadataILi2EEENS1_14UnaryOpFunctorIN3c108BFloat16ELi2ELi1ELi1EEEJNS0_4SignIfEEEEEvT_T0_DpT1_,"axG",@progbits,_ZN2at6native12_GLOBAL__N_125multi_tensor_apply_kernelINS1_18TensorListMetadataILi2EEENS1_14UnaryOpFunctorIN3c108BFloat16ELi2ELi1ELi1EEEJNS0_4SignIfEEEEEvT_T0_DpT1_,comdat
.Lfunc_end288:
	.size	_ZN2at6native12_GLOBAL__N_125multi_tensor_apply_kernelINS1_18TensorListMetadataILi2EEENS1_14UnaryOpFunctorIN3c108BFloat16ELi2ELi1ELi1EEEJNS0_4SignIfEEEEEvT_T0_DpT1_, .Lfunc_end288-_ZN2at6native12_GLOBAL__N_125multi_tensor_apply_kernelINS1_18TensorListMetadataILi2EEENS1_14UnaryOpFunctorIN3c108BFloat16ELi2ELi1ELi1EEEJNS0_4SignIfEEEEEvT_T0_DpT1_
                                        ; -- End function
	.set _ZN2at6native12_GLOBAL__N_125multi_tensor_apply_kernelINS1_18TensorListMetadataILi2EEENS1_14UnaryOpFunctorIN3c108BFloat16ELi2ELi1ELi1EEEJNS0_4SignIfEEEEEvT_T0_DpT1_.num_vgpr, 29
	.set _ZN2at6native12_GLOBAL__N_125multi_tensor_apply_kernelINS1_18TensorListMetadataILi2EEENS1_14UnaryOpFunctorIN3c108BFloat16ELi2ELi1ELi1EEEJNS0_4SignIfEEEEEvT_T0_DpT1_.num_agpr, 0
	.set _ZN2at6native12_GLOBAL__N_125multi_tensor_apply_kernelINS1_18TensorListMetadataILi2EEENS1_14UnaryOpFunctorIN3c108BFloat16ELi2ELi1ELi1EEEJNS0_4SignIfEEEEEvT_T0_DpT1_.numbered_sgpr, 24
	.set _ZN2at6native12_GLOBAL__N_125multi_tensor_apply_kernelINS1_18TensorListMetadataILi2EEENS1_14UnaryOpFunctorIN3c108BFloat16ELi2ELi1ELi1EEEJNS0_4SignIfEEEEEvT_T0_DpT1_.num_named_barrier, 0
	.set _ZN2at6native12_GLOBAL__N_125multi_tensor_apply_kernelINS1_18TensorListMetadataILi2EEENS1_14UnaryOpFunctorIN3c108BFloat16ELi2ELi1ELi1EEEJNS0_4SignIfEEEEEvT_T0_DpT1_.private_seg_size, 0
	.set _ZN2at6native12_GLOBAL__N_125multi_tensor_apply_kernelINS1_18TensorListMetadataILi2EEENS1_14UnaryOpFunctorIN3c108BFloat16ELi2ELi1ELi1EEEJNS0_4SignIfEEEEEvT_T0_DpT1_.uses_vcc, 1
	.set _ZN2at6native12_GLOBAL__N_125multi_tensor_apply_kernelINS1_18TensorListMetadataILi2EEENS1_14UnaryOpFunctorIN3c108BFloat16ELi2ELi1ELi1EEEJNS0_4SignIfEEEEEvT_T0_DpT1_.uses_flat_scratch, 0
	.set _ZN2at6native12_GLOBAL__N_125multi_tensor_apply_kernelINS1_18TensorListMetadataILi2EEENS1_14UnaryOpFunctorIN3c108BFloat16ELi2ELi1ELi1EEEJNS0_4SignIfEEEEEvT_T0_DpT1_.has_dyn_sized_stack, 0
	.set _ZN2at6native12_GLOBAL__N_125multi_tensor_apply_kernelINS1_18TensorListMetadataILi2EEENS1_14UnaryOpFunctorIN3c108BFloat16ELi2ELi1ELi1EEEJNS0_4SignIfEEEEEvT_T0_DpT1_.has_recursion, 0
	.set _ZN2at6native12_GLOBAL__N_125multi_tensor_apply_kernelINS1_18TensorListMetadataILi2EEENS1_14UnaryOpFunctorIN3c108BFloat16ELi2ELi1ELi1EEEJNS0_4SignIfEEEEEvT_T0_DpT1_.has_indirect_call, 0
	.section	.AMDGPU.csdata,"",@progbits
; Kernel info:
; codeLenInByte = 1652
; TotalNumSgprs: 28
; NumVgprs: 29
; ScratchSize: 0
; MemoryBound: 0
; FloatMode: 240
; IeeeMode: 1
; LDSByteSize: 0 bytes/workgroup (compile time only)
; SGPRBlocks: 3
; VGPRBlocks: 7
; NumSGPRsForWavesPerEU: 28
; NumVGPRsForWavesPerEU: 29
; Occupancy: 8
; WaveLimiterHint : 0
; COMPUTE_PGM_RSRC2:SCRATCH_EN: 0
; COMPUTE_PGM_RSRC2:USER_SGPR: 6
; COMPUTE_PGM_RSRC2:TRAP_HANDLER: 0
; COMPUTE_PGM_RSRC2:TGID_X_EN: 1
; COMPUTE_PGM_RSRC2:TGID_Y_EN: 0
; COMPUTE_PGM_RSRC2:TGID_Z_EN: 0
; COMPUTE_PGM_RSRC2:TIDIG_COMP_CNT: 0
	.section	.text._ZN2at6native12_GLOBAL__N_125multi_tensor_apply_kernelINS1_18TensorListMetadataILi1EEENS1_14UnaryOpFunctorIdLi1ELi1ELi0EEEJNS0_4SignIdEEEEEvT_T0_DpT1_,"axG",@progbits,_ZN2at6native12_GLOBAL__N_125multi_tensor_apply_kernelINS1_18TensorListMetadataILi1EEENS1_14UnaryOpFunctorIdLi1ELi1ELi0EEEJNS0_4SignIdEEEEEvT_T0_DpT1_,comdat
	.globl	_ZN2at6native12_GLOBAL__N_125multi_tensor_apply_kernelINS1_18TensorListMetadataILi1EEENS1_14UnaryOpFunctorIdLi1ELi1ELi0EEEJNS0_4SignIdEEEEEvT_T0_DpT1_ ; -- Begin function _ZN2at6native12_GLOBAL__N_125multi_tensor_apply_kernelINS1_18TensorListMetadataILi1EEENS1_14UnaryOpFunctorIdLi1ELi1ELi0EEEJNS0_4SignIdEEEEEvT_T0_DpT1_
	.p2align	8
	.type	_ZN2at6native12_GLOBAL__N_125multi_tensor_apply_kernelINS1_18TensorListMetadataILi1EEENS1_14UnaryOpFunctorIdLi1ELi1ELi0EEEJNS0_4SignIdEEEEEvT_T0_DpT1_,@function
_ZN2at6native12_GLOBAL__N_125multi_tensor_apply_kernelINS1_18TensorListMetadataILi1EEENS1_14UnaryOpFunctorIdLi1ELi1ELi0EEEJNS0_4SignIdEEEEEvT_T0_DpT1_: ; @_ZN2at6native12_GLOBAL__N_125multi_tensor_apply_kernelINS1_18TensorListMetadataILi1EEENS1_14UnaryOpFunctorIdLi1ELi1ELi0EEEJNS0_4SignIdEEEEEvT_T0_DpT1_
; %bb.0:
	v_mov_b32_e32 v1, s6
	global_load_ubyte v1, v1, s[4:5] offset:1760
	s_add_u32 s0, s4, s6
	s_mul_hi_u32 s1, s6, 3
	s_mul_i32 s6, s6, 3
	s_addc_u32 s2, s5, 0
	s_add_u32 s0, s0, s6
	s_addc_u32 s1, s2, s1
	s_load_dword s0, s[0:1], 0x820
	s_mov_b32 s7, 0
	s_waitcnt vmcnt(0)
	v_readfirstlane_b32 s1, v1
	s_lshl_b32 s1, s1, 3
	s_load_dwordx2 s[2:3], s[4:5], s1 offset:0x370
	s_load_dwordx2 s[10:11], s[4:5], s1 offset:0x0
	s_waitcnt lgkmcnt(0)
	s_ashr_i32 s1, s0, 31
	s_lshl_b64 s[12:13], s[0:1], 19
	s_lshl_b64 s[0:1], s[0:1], 16
	s_and_b32 s6, s10, 31
	s_sub_u32 s14, s2, s0
	s_subb_u32 s15, s3, s1
	s_and_b32 s0, s2, 3
	s_mov_b32 s1, s7
	s_or_b64 s[0:1], s[6:7], s[0:1]
	s_cmp_eq_u64 s[0:1], 0
	s_cbranch_scc1 .LBB289_21
; %bb.1:
	v_cmp_lt_i64_e64 s[0:1], s[14:15], 1
	s_and_b64 vcc, exec, s[0:1]
	s_cbranch_vccnz .LBB289_20
; %bb.2:
	v_mov_b32_e32 v1, 0x10000
	s_load_dword s2, s[4:5], 0xd3c
	v_mov_b32_e32 v2, 0
	v_cmp_lt_i64_e32 vcc, s[14:15], v[1:2]
	s_mov_b64 s[20:21], 0
	s_and_b64 s[0:1], vcc, exec
	v_cmp_lt_u64_e32 vcc, s[14:15], v[1:2]
	s_cselect_b32 s17, s15, 0
	s_cselect_b32 s16, s14, 0x10000
	s_waitcnt lgkmcnt(0)
	s_and_b32 s2, s2, 0xffff
	s_and_b64 s[0:1], vcc, exec
	s_cselect_b32 s19, s15, 0
	s_cselect_b32 s18, s14, 0x10000
	s_lshl_b32 s3, s2, 1
	s_lshl_b32 s24, s2, 2
	s_add_u32 s6, s10, s12
	v_lshlrev_b32_e32 v1, 3, v0
	s_addc_u32 s7, s11, s13
	v_mov_b32_e32 v2, s7
	v_add_co_u32_e32 v1, vcc, s6, v1
	s_mul_i32 s0, s2, 3
	v_addc_co_u32_e32 v2, vcc, 0, v2, vcc
	v_add_co_u32_e32 v13, vcc, s0, v0
	v_addc_co_u32_e64 v14, s[0:1], 0, 0, vcc
	v_add_co_u32_e32 v15, vcc, s3, v0
	v_addc_co_u32_e64 v16, s[0:1], 0, 0, vcc
	v_add_co_u32_e32 v17, vcc, s2, v0
	v_lshlrev_b32_e32 v3, 3, v17
	v_addc_co_u32_e64 v18, s[0:1], 0, 0, vcc
	v_mov_b32_e32 v4, s7
	v_add_co_u32_e32 v3, vcc, s6, v3
	s_lshl_b32 s25, s2, 5
	s_mul_i32 s26, s2, 24
	s_lshl_b32 s27, s2, 4
	v_addc_co_u32_e32 v4, vcc, 0, v4, vcc
	s_branch .LBB289_4
.LBB289_3:                              ;   in Loop: Header=BB289_4 Depth=1
	s_or_b64 exec, exec, s[0:1]
	s_add_u32 s20, s20, s24
	v_add_co_u32_e32 v1, vcc, s25, v1
	s_waitcnt vmcnt(0)
	v_mov_b32_e32 v5, s16
	s_addc_u32 s21, s21, 0
	v_addc_co_u32_e32 v2, vcc, 0, v2, vcc
	v_mov_b32_e32 v6, s17
	v_cmp_lt_i64_e32 vcc, s[20:21], v[5:6]
	v_add_co_u32_e64 v3, s[0:1], s25, v3
	v_addc_co_u32_e64 v4, s[0:1], 0, v4, s[0:1]
	s_cbranch_vccz .LBB289_20
.LBB289_4:                              ; =>This Inner Loop Header: Depth=1
	v_mov_b32_e32 v6, s21
	v_add_co_u32_e32 v5, vcc, s20, v0
	v_addc_co_u32_e32 v6, vcc, 0, v6, vcc
	v_cmp_gt_u64_e32 vcc, s[18:19], v[5:6]
	v_mov_b32_e32 v5, 0
	v_mov_b32_e32 v9, 0
	;; [unrolled: 1-line block ×4, first 2 shown]
	s_and_saveexec_b64 s[0:1], vcc
	s_cbranch_execz .LBB289_6
; %bb.5:                                ;   in Loop: Header=BB289_4 Depth=1
	global_load_dwordx2 v[9:10], v[1:2], off
.LBB289_6:                              ;   in Loop: Header=BB289_4 Depth=1
	s_or_b64 exec, exec, s[0:1]
	v_mov_b32_e32 v8, s21
	v_add_co_u32_e64 v7, s[0:1], s20, v17
	v_addc_co_u32_e64 v8, s[0:1], v18, v8, s[0:1]
	v_cmp_gt_u64_e64 s[0:1], s[18:19], v[7:8]
	s_and_saveexec_b64 s[2:3], s[0:1]
	s_cbranch_execz .LBB289_8
; %bb.7:                                ;   in Loop: Header=BB289_4 Depth=1
	global_load_dwordx2 v[5:6], v[3:4], off
.LBB289_8:                              ;   in Loop: Header=BB289_4 Depth=1
	s_or_b64 exec, exec, s[2:3]
	v_mov_b32_e32 v8, s21
	v_add_co_u32_e64 v7, s[2:3], s20, v15
	v_addc_co_u32_e64 v8, s[2:3], v16, v8, s[2:3]
	v_cmp_gt_u64_e64 s[2:3], s[18:19], v[7:8]
	v_mov_b32_e32 v7, 0
	v_mov_b32_e32 v11, 0
	;; [unrolled: 1-line block ×4, first 2 shown]
	s_and_saveexec_b64 s[8:9], s[2:3]
	s_cbranch_execz .LBB289_10
; %bb.9:                                ;   in Loop: Header=BB289_4 Depth=1
	v_add_co_u32_e64 v11, s[6:7], s27, v1
	v_addc_co_u32_e64 v12, s[6:7], 0, v2, s[6:7]
	global_load_dwordx2 v[11:12], v[11:12], off
.LBB289_10:                             ;   in Loop: Header=BB289_4 Depth=1
	s_or_b64 exec, exec, s[8:9]
	v_mov_b32_e32 v20, s21
	v_add_co_u32_e64 v19, s[6:7], s20, v13
	v_addc_co_u32_e64 v20, s[6:7], v14, v20, s[6:7]
	v_cmp_gt_u64_e64 s[6:7], s[18:19], v[19:20]
	s_and_saveexec_b64 s[22:23], s[6:7]
	s_cbranch_execnz .LBB289_15
; %bb.11:                               ;   in Loop: Header=BB289_4 Depth=1
	s_or_b64 exec, exec, s[22:23]
	s_and_saveexec_b64 s[8:9], vcc
	s_cbranch_execnz .LBB289_16
.LBB289_12:                             ;   in Loop: Header=BB289_4 Depth=1
	s_or_b64 exec, exec, s[8:9]
	s_and_saveexec_b64 s[8:9], s[0:1]
	s_cbranch_execnz .LBB289_17
.LBB289_13:                             ;   in Loop: Header=BB289_4 Depth=1
	s_or_b64 exec, exec, s[8:9]
	s_and_saveexec_b64 s[0:1], s[2:3]
	s_cbranch_execnz .LBB289_18
.LBB289_14:                             ;   in Loop: Header=BB289_4 Depth=1
	s_or_b64 exec, exec, s[0:1]
	s_and_saveexec_b64 s[0:1], s[6:7]
	s_cbranch_execz .LBB289_3
	s_branch .LBB289_19
.LBB289_15:                             ;   in Loop: Header=BB289_4 Depth=1
	v_add_co_u32_e64 v7, s[8:9], s26, v1
	v_addc_co_u32_e64 v8, s[8:9], 0, v2, s[8:9]
	global_load_dwordx2 v[7:8], v[7:8], off
	s_or_b64 exec, exec, s[22:23]
	s_and_saveexec_b64 s[8:9], vcc
	s_cbranch_execz .LBB289_12
.LBB289_16:                             ;   in Loop: Header=BB289_4 Depth=1
	s_waitcnt vmcnt(0)
	v_cmp_lt_f64_e32 vcc, 0, v[9:10]
	v_cndmask_b32_e64 v19, 0, 1, vcc
	v_cmp_gt_f64_e32 vcc, 0, v[9:10]
	v_subbrev_co_u32_e32 v9, vcc, 0, v19, vcc
	v_cvt_f64_i32_e32 v[9:10], v9
	global_store_dwordx2 v[1:2], v[9:10], off
	s_or_b64 exec, exec, s[8:9]
	s_and_saveexec_b64 s[8:9], s[0:1]
	s_cbranch_execz .LBB289_13
.LBB289_17:                             ;   in Loop: Header=BB289_4 Depth=1
	s_waitcnt vmcnt(0)
	v_cmp_lt_f64_e32 vcc, 0, v[5:6]
	v_cndmask_b32_e64 v9, 0, 1, vcc
	v_cmp_gt_f64_e32 vcc, 0, v[5:6]
	v_subbrev_co_u32_e32 v5, vcc, 0, v9, vcc
	v_cvt_f64_i32_e32 v[5:6], v5
	global_store_dwordx2 v[3:4], v[5:6], off
	s_or_b64 exec, exec, s[8:9]
	s_and_saveexec_b64 s[0:1], s[2:3]
	s_cbranch_execz .LBB289_14
.LBB289_18:                             ;   in Loop: Header=BB289_4 Depth=1
	s_waitcnt vmcnt(0)
	v_cmp_lt_f64_e32 vcc, 0, v[11:12]
	v_cndmask_b32_e64 v5, 0, 1, vcc
	v_cmp_gt_f64_e32 vcc, 0, v[11:12]
	v_subbrev_co_u32_e32 v5, vcc, 0, v5, vcc
	v_cvt_f64_i32_e32 v[5:6], v5
	v_add_co_u32_e32 v9, vcc, s27, v1
	v_addc_co_u32_e32 v10, vcc, 0, v2, vcc
	global_store_dwordx2 v[9:10], v[5:6], off
	s_or_b64 exec, exec, s[0:1]
	s_and_saveexec_b64 s[0:1], s[6:7]
	s_cbranch_execz .LBB289_3
.LBB289_19:                             ;   in Loop: Header=BB289_4 Depth=1
	s_waitcnt vmcnt(0)
	v_cmp_lt_f64_e32 vcc, 0, v[7:8]
	v_cndmask_b32_e64 v5, 0, 1, vcc
	v_cmp_gt_f64_e32 vcc, 0, v[7:8]
	v_subbrev_co_u32_e32 v5, vcc, 0, v5, vcc
	v_cvt_f64_i32_e32 v[5:6], v5
	v_add_co_u32_e32 v7, vcc, s26, v1
	v_addc_co_u32_e32 v8, vcc, 0, v2, vcc
	global_store_dwordx2 v[7:8], v[5:6], off
	s_branch .LBB289_3
.LBB289_20:
	s_cbranch_execz .LBB289_22
	s_branch .LBB289_25
.LBB289_21:
.LBB289_22:
	v_mov_b32_e32 v1, 0x10000
	v_mov_b32_e32 v2, 0
	v_cmp_lt_i64_e32 vcc, s[14:15], v[1:2]
	v_mov_b32_e32 v2, 0
	s_and_b64 s[0:1], vcc, exec
	s_cselect_b32 s3, s15, 0
	s_cselect_b32 s2, s14, 0x10000
	v_lshlrev_b32_e32 v1, 2, v0
	v_cmp_gt_i64_e32 vcc, s[2:3], v[1:2]
	s_and_saveexec_b64 s[0:1], vcc
	s_cbranch_execz .LBB289_25
; %bb.23:
	s_load_dword s0, s[4:5], 0xd3c
	v_mov_b32_e32 v1, v2
	v_lshlrev_b32_e32 v2, 5, v0
	s_mov_b64 s[4:5], 0
	s_waitcnt lgkmcnt(0)
	s_and_b32 s6, s0, 0xffff
	s_add_u32 s0, s10, s12
	s_addc_u32 s1, s11, s13
	v_mov_b32_e32 v3, s1
	v_add_co_u32_e32 v2, vcc, s0, v2
	v_addc_co_u32_e32 v3, vcc, 0, v3, vcc
	v_add_co_u32_e32 v2, vcc, 16, v2
	v_addc_co_u32_e32 v3, vcc, 0, v3, vcc
	s_lshl_b32 s7, s6, 5
.LBB289_24:                             ; =>This Inner Loop Header: Depth=1
	global_load_dwordx4 v[4:7], v[2:3], off offset:-16
	global_load_dwordx4 v[8:11], v[2:3], off
	v_add_co_u32_e32 v0, vcc, s6, v0
	v_addc_co_u32_e32 v1, vcc, 0, v1, vcc
	v_lshlrev_b64 v[12:13], 2, v[0:1]
	v_cmp_le_i64_e32 vcc, s[2:3], v[12:13]
	s_or_b64 s[4:5], vcc, s[4:5]
	s_waitcnt vmcnt(1)
	v_cmp_lt_f64_e64 s[0:1], 0, v[4:5]
	v_cndmask_b32_e64 v12, 0, 1, s[0:1]
	v_cmp_lt_f64_e64 s[0:1], 0, v[6:7]
	v_cndmask_b32_e64 v13, 0, 1, s[0:1]
	s_waitcnt vmcnt(0)
	v_cmp_lt_f64_e64 s[0:1], 0, v[8:9]
	v_cndmask_b32_e64 v14, 0, 1, s[0:1]
	v_cmp_lt_f64_e64 s[0:1], 0, v[10:11]
	v_cndmask_b32_e64 v15, 0, 1, s[0:1]
	v_cmp_gt_f64_e64 s[0:1], 0, v[4:5]
	v_subbrev_co_u32_e64 v4, s[0:1], 0, v12, s[0:1]
	v_cmp_gt_f64_e64 s[0:1], 0, v[6:7]
	v_cvt_f64_i32_e32 v[4:5], v4
	v_subbrev_co_u32_e64 v6, s[0:1], 0, v13, s[0:1]
	v_cmp_gt_f64_e64 s[0:1], 0, v[8:9]
	v_cvt_f64_i32_e32 v[6:7], v6
	;; [unrolled: 3-line block ×3, first 2 shown]
	v_subbrev_co_u32_e64 v10, s[0:1], 0, v15, s[0:1]
	v_cvt_f64_i32_e32 v[10:11], v10
	global_store_dwordx4 v[2:3], v[4:7], off offset:-16
	global_store_dwordx4 v[2:3], v[8:11], off
	v_add_co_u32_e32 v2, vcc, s7, v2
	v_addc_co_u32_e32 v3, vcc, 0, v3, vcc
	s_andn2_b64 exec, exec, s[4:5]
	s_cbranch_execnz .LBB289_24
.LBB289_25:
	s_endpgm
	.section	.rodata,"a",@progbits
	.p2align	6, 0x0
	.amdhsa_kernel _ZN2at6native12_GLOBAL__N_125multi_tensor_apply_kernelINS1_18TensorListMetadataILi1EEENS1_14UnaryOpFunctorIdLi1ELi1ELi0EEEJNS0_4SignIdEEEEEvT_T0_DpT1_
		.amdhsa_group_segment_fixed_size 0
		.amdhsa_private_segment_fixed_size 0
		.amdhsa_kernarg_size 3632
		.amdhsa_user_sgpr_count 6
		.amdhsa_user_sgpr_private_segment_buffer 1
		.amdhsa_user_sgpr_dispatch_ptr 0
		.amdhsa_user_sgpr_queue_ptr 0
		.amdhsa_user_sgpr_kernarg_segment_ptr 1
		.amdhsa_user_sgpr_dispatch_id 0
		.amdhsa_user_sgpr_flat_scratch_init 0
		.amdhsa_user_sgpr_private_segment_size 0
		.amdhsa_uses_dynamic_stack 0
		.amdhsa_system_sgpr_private_segment_wavefront_offset 0
		.amdhsa_system_sgpr_workgroup_id_x 1
		.amdhsa_system_sgpr_workgroup_id_y 0
		.amdhsa_system_sgpr_workgroup_id_z 0
		.amdhsa_system_sgpr_workgroup_info 0
		.amdhsa_system_vgpr_workitem_id 0
		.amdhsa_next_free_vgpr 21
		.amdhsa_next_free_sgpr 28
		.amdhsa_reserve_vcc 1
		.amdhsa_reserve_flat_scratch 0
		.amdhsa_float_round_mode_32 0
		.amdhsa_float_round_mode_16_64 0
		.amdhsa_float_denorm_mode_32 3
		.amdhsa_float_denorm_mode_16_64 3
		.amdhsa_dx10_clamp 1
		.amdhsa_ieee_mode 1
		.amdhsa_fp16_overflow 0
		.amdhsa_exception_fp_ieee_invalid_op 0
		.amdhsa_exception_fp_denorm_src 0
		.amdhsa_exception_fp_ieee_div_zero 0
		.amdhsa_exception_fp_ieee_overflow 0
		.amdhsa_exception_fp_ieee_underflow 0
		.amdhsa_exception_fp_ieee_inexact 0
		.amdhsa_exception_int_div_zero 0
	.end_amdhsa_kernel
	.section	.text._ZN2at6native12_GLOBAL__N_125multi_tensor_apply_kernelINS1_18TensorListMetadataILi1EEENS1_14UnaryOpFunctorIdLi1ELi1ELi0EEEJNS0_4SignIdEEEEEvT_T0_DpT1_,"axG",@progbits,_ZN2at6native12_GLOBAL__N_125multi_tensor_apply_kernelINS1_18TensorListMetadataILi1EEENS1_14UnaryOpFunctorIdLi1ELi1ELi0EEEJNS0_4SignIdEEEEEvT_T0_DpT1_,comdat
.Lfunc_end289:
	.size	_ZN2at6native12_GLOBAL__N_125multi_tensor_apply_kernelINS1_18TensorListMetadataILi1EEENS1_14UnaryOpFunctorIdLi1ELi1ELi0EEEJNS0_4SignIdEEEEEvT_T0_DpT1_, .Lfunc_end289-_ZN2at6native12_GLOBAL__N_125multi_tensor_apply_kernelINS1_18TensorListMetadataILi1EEENS1_14UnaryOpFunctorIdLi1ELi1ELi0EEEJNS0_4SignIdEEEEEvT_T0_DpT1_
                                        ; -- End function
	.set _ZN2at6native12_GLOBAL__N_125multi_tensor_apply_kernelINS1_18TensorListMetadataILi1EEENS1_14UnaryOpFunctorIdLi1ELi1ELi0EEEJNS0_4SignIdEEEEEvT_T0_DpT1_.num_vgpr, 21
	.set _ZN2at6native12_GLOBAL__N_125multi_tensor_apply_kernelINS1_18TensorListMetadataILi1EEENS1_14UnaryOpFunctorIdLi1ELi1ELi0EEEJNS0_4SignIdEEEEEvT_T0_DpT1_.num_agpr, 0
	.set _ZN2at6native12_GLOBAL__N_125multi_tensor_apply_kernelINS1_18TensorListMetadataILi1EEENS1_14UnaryOpFunctorIdLi1ELi1ELi0EEEJNS0_4SignIdEEEEEvT_T0_DpT1_.numbered_sgpr, 28
	.set _ZN2at6native12_GLOBAL__N_125multi_tensor_apply_kernelINS1_18TensorListMetadataILi1EEENS1_14UnaryOpFunctorIdLi1ELi1ELi0EEEJNS0_4SignIdEEEEEvT_T0_DpT1_.num_named_barrier, 0
	.set _ZN2at6native12_GLOBAL__N_125multi_tensor_apply_kernelINS1_18TensorListMetadataILi1EEENS1_14UnaryOpFunctorIdLi1ELi1ELi0EEEJNS0_4SignIdEEEEEvT_T0_DpT1_.private_seg_size, 0
	.set _ZN2at6native12_GLOBAL__N_125multi_tensor_apply_kernelINS1_18TensorListMetadataILi1EEENS1_14UnaryOpFunctorIdLi1ELi1ELi0EEEJNS0_4SignIdEEEEEvT_T0_DpT1_.uses_vcc, 1
	.set _ZN2at6native12_GLOBAL__N_125multi_tensor_apply_kernelINS1_18TensorListMetadataILi1EEENS1_14UnaryOpFunctorIdLi1ELi1ELi0EEEJNS0_4SignIdEEEEEvT_T0_DpT1_.uses_flat_scratch, 0
	.set _ZN2at6native12_GLOBAL__N_125multi_tensor_apply_kernelINS1_18TensorListMetadataILi1EEENS1_14UnaryOpFunctorIdLi1ELi1ELi0EEEJNS0_4SignIdEEEEEvT_T0_DpT1_.has_dyn_sized_stack, 0
	.set _ZN2at6native12_GLOBAL__N_125multi_tensor_apply_kernelINS1_18TensorListMetadataILi1EEENS1_14UnaryOpFunctorIdLi1ELi1ELi0EEEJNS0_4SignIdEEEEEvT_T0_DpT1_.has_recursion, 0
	.set _ZN2at6native12_GLOBAL__N_125multi_tensor_apply_kernelINS1_18TensorListMetadataILi1EEENS1_14UnaryOpFunctorIdLi1ELi1ELi0EEEJNS0_4SignIdEEEEEvT_T0_DpT1_.has_indirect_call, 0
	.section	.AMDGPU.csdata,"",@progbits
; Kernel info:
; codeLenInByte = 1232
; TotalNumSgprs: 32
; NumVgprs: 21
; ScratchSize: 0
; MemoryBound: 0
; FloatMode: 240
; IeeeMode: 1
; LDSByteSize: 0 bytes/workgroup (compile time only)
; SGPRBlocks: 3
; VGPRBlocks: 5
; NumSGPRsForWavesPerEU: 32
; NumVGPRsForWavesPerEU: 21
; Occupancy: 10
; WaveLimiterHint : 0
; COMPUTE_PGM_RSRC2:SCRATCH_EN: 0
; COMPUTE_PGM_RSRC2:USER_SGPR: 6
; COMPUTE_PGM_RSRC2:TRAP_HANDLER: 0
; COMPUTE_PGM_RSRC2:TGID_X_EN: 1
; COMPUTE_PGM_RSRC2:TGID_Y_EN: 0
; COMPUTE_PGM_RSRC2:TGID_Z_EN: 0
; COMPUTE_PGM_RSRC2:TIDIG_COMP_CNT: 0
	.section	.text._ZN2at6native12_GLOBAL__N_125multi_tensor_apply_kernelINS1_18TensorListMetadataILi1EEENS1_14UnaryOpFunctorIfLi1ELi1ELi0EEEJNS0_4SignIfEEEEEvT_T0_DpT1_,"axG",@progbits,_ZN2at6native12_GLOBAL__N_125multi_tensor_apply_kernelINS1_18TensorListMetadataILi1EEENS1_14UnaryOpFunctorIfLi1ELi1ELi0EEEJNS0_4SignIfEEEEEvT_T0_DpT1_,comdat
	.globl	_ZN2at6native12_GLOBAL__N_125multi_tensor_apply_kernelINS1_18TensorListMetadataILi1EEENS1_14UnaryOpFunctorIfLi1ELi1ELi0EEEJNS0_4SignIfEEEEEvT_T0_DpT1_ ; -- Begin function _ZN2at6native12_GLOBAL__N_125multi_tensor_apply_kernelINS1_18TensorListMetadataILi1EEENS1_14UnaryOpFunctorIfLi1ELi1ELi0EEEJNS0_4SignIfEEEEEvT_T0_DpT1_
	.p2align	8
	.type	_ZN2at6native12_GLOBAL__N_125multi_tensor_apply_kernelINS1_18TensorListMetadataILi1EEENS1_14UnaryOpFunctorIfLi1ELi1ELi0EEEJNS0_4SignIfEEEEEvT_T0_DpT1_,@function
_ZN2at6native12_GLOBAL__N_125multi_tensor_apply_kernelINS1_18TensorListMetadataILi1EEENS1_14UnaryOpFunctorIfLi1ELi1ELi0EEEJNS0_4SignIfEEEEEvT_T0_DpT1_: ; @_ZN2at6native12_GLOBAL__N_125multi_tensor_apply_kernelINS1_18TensorListMetadataILi1EEENS1_14UnaryOpFunctorIfLi1ELi1ELi0EEEJNS0_4SignIfEEEEEvT_T0_DpT1_
; %bb.0:
	v_mov_b32_e32 v1, s6
	global_load_ubyte v1, v1, s[4:5] offset:1760
	s_add_u32 s0, s4, s6
	s_mul_hi_u32 s1, s6, 3
	s_mul_i32 s6, s6, 3
	s_addc_u32 s2, s5, 0
	s_add_u32 s0, s0, s6
	s_addc_u32 s1, s2, s1
	s_load_dword s0, s[0:1], 0x820
	s_mov_b32 s7, 0
	s_waitcnt vmcnt(0)
	v_readfirstlane_b32 s1, v1
	s_lshl_b32 s1, s1, 3
	s_load_dwordx2 s[2:3], s[4:5], s1 offset:0x370
	s_load_dwordx2 s[10:11], s[4:5], s1 offset:0x0
	s_waitcnt lgkmcnt(0)
	s_ashr_i32 s1, s0, 31
	s_lshl_b64 s[12:13], s[0:1], 18
	s_lshl_b64 s[0:1], s[0:1], 16
	s_and_b32 s6, s10, 15
	s_sub_u32 s14, s2, s0
	s_subb_u32 s15, s3, s1
	s_and_b32 s0, s2, 3
	s_mov_b32 s1, s7
	s_or_b64 s[0:1], s[6:7], s[0:1]
	s_cmp_eq_u64 s[0:1], 0
	s_cbranch_scc1 .LBB290_21
; %bb.1:
	v_cmp_lt_i64_e64 s[0:1], s[14:15], 1
	s_and_b64 vcc, exec, s[0:1]
	s_cbranch_vccnz .LBB290_20
; %bb.2:
	v_mov_b32_e32 v1, 0x10000
	s_load_dword s2, s[4:5], 0xd3c
	v_mov_b32_e32 v2, 0
	v_cmp_lt_i64_e32 vcc, s[14:15], v[1:2]
	s_mov_b64 s[20:21], 0
	s_and_b64 s[0:1], vcc, exec
	v_cmp_lt_u64_e32 vcc, s[14:15], v[1:2]
	s_cselect_b32 s17, s15, 0
	s_cselect_b32 s16, s14, 0x10000
	s_waitcnt lgkmcnt(0)
	s_and_b32 s2, s2, 0xffff
	s_and_b64 s[0:1], vcc, exec
	s_cselect_b32 s19, s15, 0
	s_cselect_b32 s18, s14, 0x10000
	s_lshl_b32 s3, s2, 1
	s_lshl_b32 s24, s2, 2
	s_add_u32 s6, s10, s12
	v_lshlrev_b32_e32 v1, 2, v0
	s_addc_u32 s7, s11, s13
	v_mov_b32_e32 v2, s7
	v_add_co_u32_e32 v1, vcc, s6, v1
	s_mul_i32 s0, s2, 3
	v_addc_co_u32_e32 v2, vcc, 0, v2, vcc
	v_add_co_u32_e32 v5, vcc, s0, v0
	v_addc_co_u32_e64 v6, s[0:1], 0, 0, vcc
	v_add_co_u32_e32 v7, vcc, s3, v0
	v_addc_co_u32_e64 v8, s[0:1], 0, 0, vcc
	v_add_co_u32_e32 v9, vcc, s2, v0
	v_lshlrev_b32_e32 v3, 2, v9
	v_addc_co_u32_e64 v10, s[0:1], 0, 0, vcc
	v_mov_b32_e32 v4, s7
	v_add_co_u32_e32 v3, vcc, s6, v3
	s_lshl_b32 s25, s2, 4
	s_mul_i32 s26, s2, 12
	s_lshl_b32 s27, s2, 3
	v_addc_co_u32_e32 v4, vcc, 0, v4, vcc
	s_branch .LBB290_4
.LBB290_3:                              ;   in Loop: Header=BB290_4 Depth=1
	s_or_b64 exec, exec, s[0:1]
	s_add_u32 s20, s20, s24
	v_add_co_u32_e32 v1, vcc, s25, v1
	s_waitcnt vmcnt(0)
	v_mov_b32_e32 v11, s16
	s_addc_u32 s21, s21, 0
	v_addc_co_u32_e32 v2, vcc, 0, v2, vcc
	v_mov_b32_e32 v12, s17
	v_cmp_lt_i64_e32 vcc, s[20:21], v[11:12]
	v_add_co_u32_e64 v3, s[0:1], s25, v3
	v_addc_co_u32_e64 v4, s[0:1], 0, v4, s[0:1]
	s_cbranch_vccz .LBB290_20
.LBB290_4:                              ; =>This Inner Loop Header: Depth=1
	v_mov_b32_e32 v12, s21
	v_add_co_u32_e32 v11, vcc, s20, v0
	v_addc_co_u32_e32 v12, vcc, 0, v12, vcc
	v_cmp_gt_u64_e32 vcc, s[18:19], v[11:12]
	v_mov_b32_e32 v12, 0
	s_and_saveexec_b64 s[0:1], vcc
	s_cbranch_execz .LBB290_6
; %bb.5:                                ;   in Loop: Header=BB290_4 Depth=1
	global_load_dword v12, v[1:2], off
.LBB290_6:                              ;   in Loop: Header=BB290_4 Depth=1
	s_or_b64 exec, exec, s[0:1]
	v_mov_b32_e32 v11, s21
	v_add_co_u32_e64 v13, s[0:1], s20, v9
	v_addc_co_u32_e64 v14, s[0:1], v10, v11, s[0:1]
	v_cmp_gt_u64_e64 s[0:1], s[18:19], v[13:14]
	v_mov_b32_e32 v11, 0
	v_mov_b32_e32 v13, 0
	s_and_saveexec_b64 s[2:3], s[0:1]
	s_cbranch_execz .LBB290_8
; %bb.7:                                ;   in Loop: Header=BB290_4 Depth=1
	global_load_dword v13, v[3:4], off
.LBB290_8:                              ;   in Loop: Header=BB290_4 Depth=1
	s_or_b64 exec, exec, s[2:3]
	v_mov_b32_e32 v15, s21
	v_add_co_u32_e64 v14, s[2:3], s20, v7
	v_addc_co_u32_e64 v15, s[2:3], v8, v15, s[2:3]
	v_cmp_gt_u64_e64 s[2:3], s[18:19], v[14:15]
	s_and_saveexec_b64 s[8:9], s[2:3]
	s_cbranch_execz .LBB290_10
; %bb.9:                                ;   in Loop: Header=BB290_4 Depth=1
	v_add_co_u32_e64 v14, s[6:7], s27, v1
	v_addc_co_u32_e64 v15, s[6:7], 0, v2, s[6:7]
	global_load_dword v11, v[14:15], off
.LBB290_10:                             ;   in Loop: Header=BB290_4 Depth=1
	s_or_b64 exec, exec, s[8:9]
	v_mov_b32_e32 v15, s21
	v_add_co_u32_e64 v14, s[6:7], s20, v5
	v_addc_co_u32_e64 v15, s[6:7], v6, v15, s[6:7]
	v_cmp_gt_u64_e64 s[6:7], s[18:19], v[14:15]
	v_mov_b32_e32 v14, 0
	s_and_saveexec_b64 s[22:23], s[6:7]
	s_cbranch_execnz .LBB290_15
; %bb.11:                               ;   in Loop: Header=BB290_4 Depth=1
	s_or_b64 exec, exec, s[22:23]
	s_and_saveexec_b64 s[8:9], vcc
	s_cbranch_execnz .LBB290_16
.LBB290_12:                             ;   in Loop: Header=BB290_4 Depth=1
	s_or_b64 exec, exec, s[8:9]
	s_and_saveexec_b64 s[8:9], s[0:1]
	s_cbranch_execnz .LBB290_17
.LBB290_13:                             ;   in Loop: Header=BB290_4 Depth=1
	s_or_b64 exec, exec, s[8:9]
	s_and_saveexec_b64 s[0:1], s[2:3]
	s_cbranch_execnz .LBB290_18
.LBB290_14:                             ;   in Loop: Header=BB290_4 Depth=1
	s_or_b64 exec, exec, s[0:1]
	s_and_saveexec_b64 s[0:1], s[6:7]
	s_cbranch_execz .LBB290_3
	s_branch .LBB290_19
.LBB290_15:                             ;   in Loop: Header=BB290_4 Depth=1
	v_add_co_u32_e64 v14, s[8:9], s26, v1
	v_addc_co_u32_e64 v15, s[8:9], 0, v2, s[8:9]
	global_load_dword v14, v[14:15], off
	s_or_b64 exec, exec, s[22:23]
	s_and_saveexec_b64 s[8:9], vcc
	s_cbranch_execz .LBB290_12
.LBB290_16:                             ;   in Loop: Header=BB290_4 Depth=1
	s_waitcnt vmcnt(0)
	v_cmp_lt_f32_e32 vcc, 0, v12
	v_cndmask_b32_e64 v15, 0, 1, vcc
	v_cmp_gt_f32_e32 vcc, 0, v12
	v_subbrev_co_u32_e32 v12, vcc, 0, v15, vcc
	v_cvt_f32_i32_e32 v12, v12
	global_store_dword v[1:2], v12, off
	s_or_b64 exec, exec, s[8:9]
	s_and_saveexec_b64 s[8:9], s[0:1]
	s_cbranch_execz .LBB290_13
.LBB290_17:                             ;   in Loop: Header=BB290_4 Depth=1
	s_waitcnt vmcnt(0)
	v_cmp_lt_f32_e32 vcc, 0, v13
	v_cndmask_b32_e64 v12, 0, 1, vcc
	v_cmp_gt_f32_e32 vcc, 0, v13
	v_subbrev_co_u32_e32 v12, vcc, 0, v12, vcc
	v_cvt_f32_i32_e32 v12, v12
	global_store_dword v[3:4], v12, off
	s_or_b64 exec, exec, s[8:9]
	s_and_saveexec_b64 s[0:1], s[2:3]
	s_cbranch_execz .LBB290_14
.LBB290_18:                             ;   in Loop: Header=BB290_4 Depth=1
	s_waitcnt vmcnt(0)
	v_cmp_lt_f32_e32 vcc, 0, v11
	v_cndmask_b32_e64 v12, 0, 1, vcc
	v_cmp_gt_f32_e32 vcc, 0, v11
	v_subbrev_co_u32_e32 v11, vcc, 0, v12, vcc
	v_cvt_f32_i32_e32 v13, v11
	v_add_co_u32_e32 v11, vcc, s27, v1
	v_addc_co_u32_e32 v12, vcc, 0, v2, vcc
	global_store_dword v[11:12], v13, off
	s_or_b64 exec, exec, s[0:1]
	s_and_saveexec_b64 s[0:1], s[6:7]
	s_cbranch_execz .LBB290_3
.LBB290_19:                             ;   in Loop: Header=BB290_4 Depth=1
	s_waitcnt vmcnt(0)
	v_cmp_lt_f32_e32 vcc, 0, v14
	v_cndmask_b32_e64 v11, 0, 1, vcc
	v_cmp_gt_f32_e32 vcc, 0, v14
	v_subbrev_co_u32_e32 v11, vcc, 0, v11, vcc
	v_cvt_f32_i32_e32 v13, v11
	v_add_co_u32_e32 v11, vcc, s26, v1
	v_addc_co_u32_e32 v12, vcc, 0, v2, vcc
	global_store_dword v[11:12], v13, off
	s_branch .LBB290_3
.LBB290_20:
	s_cbranch_execz .LBB290_22
	s_branch .LBB290_25
.LBB290_21:
.LBB290_22:
	v_mov_b32_e32 v1, 0x10000
	v_mov_b32_e32 v2, 0
	v_cmp_lt_i64_e32 vcc, s[14:15], v[1:2]
	v_mov_b32_e32 v2, 0
	s_and_b64 s[0:1], vcc, exec
	s_cselect_b32 s1, s15, 0
	s_cselect_b32 s0, s14, 0x10000
	v_lshlrev_b32_e32 v1, 2, v0
	v_cmp_gt_i64_e32 vcc, s[0:1], v[1:2]
	s_and_saveexec_b64 s[2:3], vcc
	s_cbranch_execz .LBB290_25
; %bb.23:
	s_load_dword s2, s[4:5], 0xd3c
	v_mov_b32_e32 v1, v2
	v_lshlrev_b32_e32 v2, 4, v0
	s_waitcnt lgkmcnt(0)
	s_and_b32 s4, s2, 0xffff
	s_add_u32 s2, s10, s12
	s_addc_u32 s3, s11, s13
	v_mov_b32_e32 v3, s3
	v_add_co_u32_e32 v2, vcc, s2, v2
	v_addc_co_u32_e32 v3, vcc, 0, v3, vcc
	v_add_co_u32_e32 v2, vcc, 8, v2
	v_addc_co_u32_e32 v3, vcc, 0, v3, vcc
	s_lshl_b32 s5, s4, 4
	s_mov_b64 s[2:3], 0
.LBB290_24:                             ; =>This Inner Loop Header: Depth=1
	global_load_dwordx4 v[4:7], v[2:3], off offset:-8
	v_add_co_u32_e32 v0, vcc, s4, v0
	v_addc_co_u32_e32 v1, vcc, 0, v1, vcc
	v_lshlrev_b64 v[8:9], 2, v[0:1]
	s_waitcnt vmcnt(0)
	v_cmp_lt_f32_e32 vcc, 0, v4
	v_cndmask_b32_e64 v10, 0, 1, vcc
	v_cmp_lt_f32_e32 vcc, 0, v5
	v_cndmask_b32_e64 v11, 0, 1, vcc
	;; [unrolled: 2-line block ×4, first 2 shown]
	v_cmp_gt_f32_e32 vcc, 0, v4
	v_subbrev_co_u32_e32 v4, vcc, 0, v10, vcc
	v_cmp_gt_f32_e32 vcc, 0, v5
	v_subbrev_co_u32_e32 v5, vcc, 0, v11, vcc
	;; [unrolled: 2-line block ×4, first 2 shown]
	v_cvt_f32_i32_e32 v4, v4
	v_cvt_f32_i32_e32 v5, v5
	v_cvt_f32_i32_e32 v6, v6
	v_cvt_f32_i32_e32 v7, v7
	v_cmp_le_i64_e32 vcc, s[0:1], v[8:9]
	s_or_b64 s[2:3], vcc, s[2:3]
	global_store_dwordx4 v[2:3], v[4:7], off offset:-8
	v_add_co_u32_e32 v2, vcc, s5, v2
	v_addc_co_u32_e32 v3, vcc, 0, v3, vcc
	s_andn2_b64 exec, exec, s[2:3]
	s_cbranch_execnz .LBB290_24
.LBB290_25:
	s_endpgm
	.section	.rodata,"a",@progbits
	.p2align	6, 0x0
	.amdhsa_kernel _ZN2at6native12_GLOBAL__N_125multi_tensor_apply_kernelINS1_18TensorListMetadataILi1EEENS1_14UnaryOpFunctorIfLi1ELi1ELi0EEEJNS0_4SignIfEEEEEvT_T0_DpT1_
		.amdhsa_group_segment_fixed_size 0
		.amdhsa_private_segment_fixed_size 0
		.amdhsa_kernarg_size 3632
		.amdhsa_user_sgpr_count 6
		.amdhsa_user_sgpr_private_segment_buffer 1
		.amdhsa_user_sgpr_dispatch_ptr 0
		.amdhsa_user_sgpr_queue_ptr 0
		.amdhsa_user_sgpr_kernarg_segment_ptr 1
		.amdhsa_user_sgpr_dispatch_id 0
		.amdhsa_user_sgpr_flat_scratch_init 0
		.amdhsa_user_sgpr_private_segment_size 0
		.amdhsa_uses_dynamic_stack 0
		.amdhsa_system_sgpr_private_segment_wavefront_offset 0
		.amdhsa_system_sgpr_workgroup_id_x 1
		.amdhsa_system_sgpr_workgroup_id_y 0
		.amdhsa_system_sgpr_workgroup_id_z 0
		.amdhsa_system_sgpr_workgroup_info 0
		.amdhsa_system_vgpr_workitem_id 0
		.amdhsa_next_free_vgpr 16
		.amdhsa_next_free_sgpr 28
		.amdhsa_reserve_vcc 1
		.amdhsa_reserve_flat_scratch 0
		.amdhsa_float_round_mode_32 0
		.amdhsa_float_round_mode_16_64 0
		.amdhsa_float_denorm_mode_32 3
		.amdhsa_float_denorm_mode_16_64 3
		.amdhsa_dx10_clamp 1
		.amdhsa_ieee_mode 1
		.amdhsa_fp16_overflow 0
		.amdhsa_exception_fp_ieee_invalid_op 0
		.amdhsa_exception_fp_denorm_src 0
		.amdhsa_exception_fp_ieee_div_zero 0
		.amdhsa_exception_fp_ieee_overflow 0
		.amdhsa_exception_fp_ieee_underflow 0
		.amdhsa_exception_fp_ieee_inexact 0
		.amdhsa_exception_int_div_zero 0
	.end_amdhsa_kernel
	.section	.text._ZN2at6native12_GLOBAL__N_125multi_tensor_apply_kernelINS1_18TensorListMetadataILi1EEENS1_14UnaryOpFunctorIfLi1ELi1ELi0EEEJNS0_4SignIfEEEEEvT_T0_DpT1_,"axG",@progbits,_ZN2at6native12_GLOBAL__N_125multi_tensor_apply_kernelINS1_18TensorListMetadataILi1EEENS1_14UnaryOpFunctorIfLi1ELi1ELi0EEEJNS0_4SignIfEEEEEvT_T0_DpT1_,comdat
.Lfunc_end290:
	.size	_ZN2at6native12_GLOBAL__N_125multi_tensor_apply_kernelINS1_18TensorListMetadataILi1EEENS1_14UnaryOpFunctorIfLi1ELi1ELi0EEEJNS0_4SignIfEEEEEvT_T0_DpT1_, .Lfunc_end290-_ZN2at6native12_GLOBAL__N_125multi_tensor_apply_kernelINS1_18TensorListMetadataILi1EEENS1_14UnaryOpFunctorIfLi1ELi1ELi0EEEJNS0_4SignIfEEEEEvT_T0_DpT1_
                                        ; -- End function
	.set _ZN2at6native12_GLOBAL__N_125multi_tensor_apply_kernelINS1_18TensorListMetadataILi1EEENS1_14UnaryOpFunctorIfLi1ELi1ELi0EEEJNS0_4SignIfEEEEEvT_T0_DpT1_.num_vgpr, 16
	.set _ZN2at6native12_GLOBAL__N_125multi_tensor_apply_kernelINS1_18TensorListMetadataILi1EEENS1_14UnaryOpFunctorIfLi1ELi1ELi0EEEJNS0_4SignIfEEEEEvT_T0_DpT1_.num_agpr, 0
	.set _ZN2at6native12_GLOBAL__N_125multi_tensor_apply_kernelINS1_18TensorListMetadataILi1EEENS1_14UnaryOpFunctorIfLi1ELi1ELi0EEEJNS0_4SignIfEEEEEvT_T0_DpT1_.numbered_sgpr, 28
	.set _ZN2at6native12_GLOBAL__N_125multi_tensor_apply_kernelINS1_18TensorListMetadataILi1EEENS1_14UnaryOpFunctorIfLi1ELi1ELi0EEEJNS0_4SignIfEEEEEvT_T0_DpT1_.num_named_barrier, 0
	.set _ZN2at6native12_GLOBAL__N_125multi_tensor_apply_kernelINS1_18TensorListMetadataILi1EEENS1_14UnaryOpFunctorIfLi1ELi1ELi0EEEJNS0_4SignIfEEEEEvT_T0_DpT1_.private_seg_size, 0
	.set _ZN2at6native12_GLOBAL__N_125multi_tensor_apply_kernelINS1_18TensorListMetadataILi1EEENS1_14UnaryOpFunctorIfLi1ELi1ELi0EEEJNS0_4SignIfEEEEEvT_T0_DpT1_.uses_vcc, 1
	.set _ZN2at6native12_GLOBAL__N_125multi_tensor_apply_kernelINS1_18TensorListMetadataILi1EEENS1_14UnaryOpFunctorIfLi1ELi1ELi0EEEJNS0_4SignIfEEEEEvT_T0_DpT1_.uses_flat_scratch, 0
	.set _ZN2at6native12_GLOBAL__N_125multi_tensor_apply_kernelINS1_18TensorListMetadataILi1EEENS1_14UnaryOpFunctorIfLi1ELi1ELi0EEEJNS0_4SignIfEEEEEvT_T0_DpT1_.has_dyn_sized_stack, 0
	.set _ZN2at6native12_GLOBAL__N_125multi_tensor_apply_kernelINS1_18TensorListMetadataILi1EEENS1_14UnaryOpFunctorIfLi1ELi1ELi0EEEJNS0_4SignIfEEEEEvT_T0_DpT1_.has_recursion, 0
	.set _ZN2at6native12_GLOBAL__N_125multi_tensor_apply_kernelINS1_18TensorListMetadataILi1EEENS1_14UnaryOpFunctorIfLi1ELi1ELi0EEEJNS0_4SignIfEEEEEvT_T0_DpT1_.has_indirect_call, 0
	.section	.AMDGPU.csdata,"",@progbits
; Kernel info:
; codeLenInByte = 1148
; TotalNumSgprs: 32
; NumVgprs: 16
; ScratchSize: 0
; MemoryBound: 0
; FloatMode: 240
; IeeeMode: 1
; LDSByteSize: 0 bytes/workgroup (compile time only)
; SGPRBlocks: 3
; VGPRBlocks: 3
; NumSGPRsForWavesPerEU: 32
; NumVGPRsForWavesPerEU: 16
; Occupancy: 10
; WaveLimiterHint : 0
; COMPUTE_PGM_RSRC2:SCRATCH_EN: 0
; COMPUTE_PGM_RSRC2:USER_SGPR: 6
; COMPUTE_PGM_RSRC2:TRAP_HANDLER: 0
; COMPUTE_PGM_RSRC2:TGID_X_EN: 1
; COMPUTE_PGM_RSRC2:TGID_Y_EN: 0
; COMPUTE_PGM_RSRC2:TGID_Z_EN: 0
; COMPUTE_PGM_RSRC2:TIDIG_COMP_CNT: 0
	.section	.text._ZN2at6native12_GLOBAL__N_125multi_tensor_apply_kernelINS1_18TensorListMetadataILi1EEENS1_14UnaryOpFunctorIN3c104HalfELi1ELi1ELi0EEEJNS0_4SignIfEEEEEvT_T0_DpT1_,"axG",@progbits,_ZN2at6native12_GLOBAL__N_125multi_tensor_apply_kernelINS1_18TensorListMetadataILi1EEENS1_14UnaryOpFunctorIN3c104HalfELi1ELi1ELi0EEEJNS0_4SignIfEEEEEvT_T0_DpT1_,comdat
	.globl	_ZN2at6native12_GLOBAL__N_125multi_tensor_apply_kernelINS1_18TensorListMetadataILi1EEENS1_14UnaryOpFunctorIN3c104HalfELi1ELi1ELi0EEEJNS0_4SignIfEEEEEvT_T0_DpT1_ ; -- Begin function _ZN2at6native12_GLOBAL__N_125multi_tensor_apply_kernelINS1_18TensorListMetadataILi1EEENS1_14UnaryOpFunctorIN3c104HalfELi1ELi1ELi0EEEJNS0_4SignIfEEEEEvT_T0_DpT1_
	.p2align	8
	.type	_ZN2at6native12_GLOBAL__N_125multi_tensor_apply_kernelINS1_18TensorListMetadataILi1EEENS1_14UnaryOpFunctorIN3c104HalfELi1ELi1ELi0EEEJNS0_4SignIfEEEEEvT_T0_DpT1_,@function
_ZN2at6native12_GLOBAL__N_125multi_tensor_apply_kernelINS1_18TensorListMetadataILi1EEENS1_14UnaryOpFunctorIN3c104HalfELi1ELi1ELi0EEEJNS0_4SignIfEEEEEvT_T0_DpT1_: ; @_ZN2at6native12_GLOBAL__N_125multi_tensor_apply_kernelINS1_18TensorListMetadataILi1EEENS1_14UnaryOpFunctorIN3c104HalfELi1ELi1ELi0EEEJNS0_4SignIfEEEEEvT_T0_DpT1_
; %bb.0:
	v_mov_b32_e32 v1, s6
	global_load_ubyte v1, v1, s[4:5] offset:1760
	s_add_u32 s0, s4, s6
	s_mul_hi_u32 s1, s6, 3
	s_mul_i32 s6, s6, 3
	s_addc_u32 s2, s5, 0
	s_add_u32 s0, s0, s6
	s_addc_u32 s1, s2, s1
	s_load_dword s0, s[0:1], 0x820
	s_mov_b32 s7, 0
	s_waitcnt vmcnt(0)
	v_readfirstlane_b32 s1, v1
	s_lshl_b32 s1, s1, 3
	s_load_dwordx2 s[2:3], s[4:5], s1 offset:0x370
	s_load_dwordx2 s[10:11], s[4:5], s1 offset:0x0
	s_waitcnt lgkmcnt(0)
	s_ashr_i32 s1, s0, 31
	s_lshl_b64 s[12:13], s[0:1], 17
	s_lshl_b64 s[0:1], s[0:1], 16
	s_and_b32 s6, s10, 7
	s_sub_u32 s14, s2, s0
	s_subb_u32 s15, s3, s1
	s_and_b32 s0, s2, 3
	s_mov_b32 s1, s7
	s_or_b64 s[0:1], s[6:7], s[0:1]
	s_cmp_eq_u64 s[0:1], 0
	s_cbranch_scc1 .LBB291_21
; %bb.1:
	v_cmp_lt_i64_e64 s[0:1], s[14:15], 1
	s_and_b64 vcc, exec, s[0:1]
	s_cbranch_vccnz .LBB291_20
; %bb.2:
	v_mov_b32_e32 v1, 0x10000
	s_load_dword s2, s[4:5], 0xd3c
	v_mov_b32_e32 v2, 0
	v_cmp_lt_i64_e32 vcc, s[14:15], v[1:2]
	s_mov_b64 s[20:21], 0
	s_and_b64 s[0:1], vcc, exec
	v_cmp_lt_u64_e32 vcc, s[14:15], v[1:2]
	s_cselect_b32 s17, s15, 0
	s_cselect_b32 s16, s14, 0x10000
	s_waitcnt lgkmcnt(0)
	s_and_b32 s2, s2, 0xffff
	s_and_b64 s[0:1], vcc, exec
	s_cselect_b32 s19, s15, 0
	s_cselect_b32 s18, s14, 0x10000
	s_lshl_b32 s3, s2, 1
	s_lshl_b32 s24, s2, 2
	s_add_u32 s6, s10, s12
	v_lshlrev_b32_e32 v1, 1, v0
	s_addc_u32 s7, s11, s13
	v_mov_b32_e32 v2, s7
	v_add_co_u32_e32 v1, vcc, s6, v1
	s_mul_i32 s0, s2, 3
	v_addc_co_u32_e32 v2, vcc, 0, v2, vcc
	v_add_co_u32_e32 v5, vcc, s0, v0
	v_addc_co_u32_e64 v6, s[0:1], 0, 0, vcc
	v_add_co_u32_e32 v7, vcc, s3, v0
	v_addc_co_u32_e64 v8, s[0:1], 0, 0, vcc
	v_add_co_u32_e32 v9, vcc, s2, v0
	v_lshlrev_b32_e32 v3, 1, v9
	v_addc_co_u32_e64 v10, s[0:1], 0, 0, vcc
	v_mov_b32_e32 v4, s7
	v_add_co_u32_e32 v3, vcc, s6, v3
	s_lshl_b32 s25, s2, 3
	s_mul_i32 s26, s2, 6
	v_addc_co_u32_e32 v4, vcc, 0, v4, vcc
	s_branch .LBB291_4
.LBB291_3:                              ;   in Loop: Header=BB291_4 Depth=1
	s_or_b64 exec, exec, s[0:1]
	s_add_u32 s20, s20, s24
	v_add_co_u32_e32 v1, vcc, s25, v1
	s_waitcnt vmcnt(0)
	v_mov_b32_e32 v11, s16
	s_addc_u32 s21, s21, 0
	v_addc_co_u32_e32 v2, vcc, 0, v2, vcc
	v_mov_b32_e32 v12, s17
	v_cmp_lt_i64_e32 vcc, s[20:21], v[11:12]
	v_add_co_u32_e64 v3, s[0:1], s25, v3
	v_addc_co_u32_e64 v4, s[0:1], 0, v4, s[0:1]
	s_cbranch_vccz .LBB291_20
.LBB291_4:                              ; =>This Inner Loop Header: Depth=1
	v_mov_b32_e32 v12, s21
	v_add_co_u32_e32 v11, vcc, s20, v0
	v_addc_co_u32_e32 v12, vcc, 0, v12, vcc
	v_cmp_gt_u64_e32 vcc, s[18:19], v[11:12]
	v_mov_b32_e32 v12, 0
	s_and_saveexec_b64 s[0:1], vcc
	s_cbranch_execz .LBB291_6
; %bb.5:                                ;   in Loop: Header=BB291_4 Depth=1
	global_load_ushort v12, v[1:2], off
.LBB291_6:                              ;   in Loop: Header=BB291_4 Depth=1
	s_or_b64 exec, exec, s[0:1]
	v_mov_b32_e32 v11, s21
	v_add_co_u32_e64 v13, s[0:1], s20, v9
	v_addc_co_u32_e64 v14, s[0:1], v10, v11, s[0:1]
	v_cmp_gt_u64_e64 s[0:1], s[18:19], v[13:14]
	v_mov_b32_e32 v11, 0
	v_mov_b32_e32 v13, 0
	s_and_saveexec_b64 s[2:3], s[0:1]
	s_cbranch_execz .LBB291_8
; %bb.7:                                ;   in Loop: Header=BB291_4 Depth=1
	global_load_ushort v13, v[3:4], off
.LBB291_8:                              ;   in Loop: Header=BB291_4 Depth=1
	s_or_b64 exec, exec, s[2:3]
	v_mov_b32_e32 v15, s21
	v_add_co_u32_e64 v14, s[2:3], s20, v7
	v_addc_co_u32_e64 v15, s[2:3], v8, v15, s[2:3]
	v_cmp_gt_u64_e64 s[2:3], s[18:19], v[14:15]
	s_and_saveexec_b64 s[8:9], s[2:3]
	s_cbranch_execz .LBB291_10
; %bb.9:                                ;   in Loop: Header=BB291_4 Depth=1
	v_add_co_u32_e64 v14, s[6:7], s24, v1
	v_addc_co_u32_e64 v15, s[6:7], 0, v2, s[6:7]
	global_load_ushort v11, v[14:15], off
.LBB291_10:                             ;   in Loop: Header=BB291_4 Depth=1
	s_or_b64 exec, exec, s[8:9]
	v_mov_b32_e32 v15, s21
	v_add_co_u32_e64 v14, s[6:7], s20, v5
	v_addc_co_u32_e64 v15, s[6:7], v6, v15, s[6:7]
	v_cmp_gt_u64_e64 s[6:7], s[18:19], v[14:15]
	v_mov_b32_e32 v14, 0
	s_and_saveexec_b64 s[22:23], s[6:7]
	s_cbranch_execnz .LBB291_15
; %bb.11:                               ;   in Loop: Header=BB291_4 Depth=1
	s_or_b64 exec, exec, s[22:23]
	s_and_saveexec_b64 s[8:9], vcc
	s_cbranch_execnz .LBB291_16
.LBB291_12:                             ;   in Loop: Header=BB291_4 Depth=1
	s_or_b64 exec, exec, s[8:9]
	s_and_saveexec_b64 s[8:9], s[0:1]
	s_cbranch_execnz .LBB291_17
.LBB291_13:                             ;   in Loop: Header=BB291_4 Depth=1
	s_or_b64 exec, exec, s[8:9]
	s_and_saveexec_b64 s[0:1], s[2:3]
	s_cbranch_execnz .LBB291_18
.LBB291_14:                             ;   in Loop: Header=BB291_4 Depth=1
	s_or_b64 exec, exec, s[0:1]
	s_and_saveexec_b64 s[0:1], s[6:7]
	s_cbranch_execz .LBB291_3
	s_branch .LBB291_19
.LBB291_15:                             ;   in Loop: Header=BB291_4 Depth=1
	v_add_co_u32_e64 v14, s[8:9], s26, v1
	v_addc_co_u32_e64 v15, s[8:9], 0, v2, s[8:9]
	global_load_ushort v14, v[14:15], off
	s_or_b64 exec, exec, s[22:23]
	s_and_saveexec_b64 s[8:9], vcc
	s_cbranch_execz .LBB291_12
.LBB291_16:                             ;   in Loop: Header=BB291_4 Depth=1
	s_waitcnt vmcnt(0)
	v_cmp_lt_f16_e32 vcc, 0, v12
	v_cndmask_b32_e64 v15, 0, 1, vcc
	v_cmp_gt_f16_e32 vcc, 0, v12
	v_subbrev_co_u32_e32 v12, vcc, 0, v15, vcc
	v_cvt_f32_i32_e32 v12, v12
	v_cvt_f16_f32_e32 v12, v12
	global_store_short v[1:2], v12, off
	s_or_b64 exec, exec, s[8:9]
	s_and_saveexec_b64 s[8:9], s[0:1]
	s_cbranch_execz .LBB291_13
.LBB291_17:                             ;   in Loop: Header=BB291_4 Depth=1
	s_waitcnt vmcnt(0)
	v_cmp_lt_f16_e32 vcc, 0, v13
	v_cndmask_b32_e64 v12, 0, 1, vcc
	v_cmp_gt_f16_e32 vcc, 0, v13
	v_subbrev_co_u32_e32 v12, vcc, 0, v12, vcc
	v_cvt_f32_i32_e32 v12, v12
	v_cvt_f16_f32_e32 v12, v12
	global_store_short v[3:4], v12, off
	s_or_b64 exec, exec, s[8:9]
	s_and_saveexec_b64 s[0:1], s[2:3]
	s_cbranch_execz .LBB291_14
.LBB291_18:                             ;   in Loop: Header=BB291_4 Depth=1
	s_waitcnt vmcnt(0)
	v_cmp_lt_f16_e32 vcc, 0, v11
	v_cndmask_b32_e64 v12, 0, 1, vcc
	v_cmp_gt_f16_e32 vcc, 0, v11
	v_subbrev_co_u32_e32 v11, vcc, 0, v12, vcc
	v_cvt_f32_i32_e32 v11, v11
	v_cvt_f16_f32_e32 v13, v11
	v_add_co_u32_e32 v11, vcc, s24, v1
	v_addc_co_u32_e32 v12, vcc, 0, v2, vcc
	global_store_short v[11:12], v13, off
	s_or_b64 exec, exec, s[0:1]
	s_and_saveexec_b64 s[0:1], s[6:7]
	s_cbranch_execz .LBB291_3
.LBB291_19:                             ;   in Loop: Header=BB291_4 Depth=1
	s_waitcnt vmcnt(0)
	v_cmp_lt_f16_e32 vcc, 0, v14
	v_cndmask_b32_e64 v11, 0, 1, vcc
	v_cmp_gt_f16_e32 vcc, 0, v14
	v_subbrev_co_u32_e32 v11, vcc, 0, v11, vcc
	v_cvt_f32_i32_e32 v11, v11
	v_cvt_f16_f32_e32 v13, v11
	v_add_co_u32_e32 v11, vcc, s26, v1
	v_addc_co_u32_e32 v12, vcc, 0, v2, vcc
	global_store_short v[11:12], v13, off
	s_branch .LBB291_3
.LBB291_20:
	s_cbranch_execz .LBB291_22
	s_branch .LBB291_25
.LBB291_21:
.LBB291_22:
	v_mov_b32_e32 v1, 0x10000
	v_mov_b32_e32 v2, 0
	v_cmp_lt_i64_e32 vcc, s[14:15], v[1:2]
	v_mov_b32_e32 v2, 0
	s_and_b64 s[0:1], vcc, exec
	s_cselect_b32 s3, s15, 0
	s_cselect_b32 s2, s14, 0x10000
	v_lshlrev_b32_e32 v1, 2, v0
	v_cmp_gt_i64_e32 vcc, s[2:3], v[1:2]
	s_and_saveexec_b64 s[0:1], vcc
	s_cbranch_execz .LBB291_25
; %bb.23:
	s_load_dword s0, s[4:5], 0xd3c
	v_lshlrev_b32_e32 v3, 3, v0
	v_mov_b32_e32 v1, v2
	s_mov_b64 s[4:5], 0
	s_waitcnt lgkmcnt(0)
	s_and_b32 s6, s0, 0xffff
	s_add_u32 s0, s10, s12
	s_addc_u32 s1, s11, s13
	v_mov_b32_e32 v4, s1
	v_add_co_u32_e32 v3, vcc, s0, v3
	v_addc_co_u32_e32 v4, vcc, 0, v4, vcc
	v_add_co_u32_e32 v3, vcc, 4, v3
	v_addc_co_u32_e32 v4, vcc, 0, v4, vcc
	s_lshl_b32 s7, s6, 3
.LBB291_24:                             ; =>This Inner Loop Header: Depth=1
	global_load_dwordx2 v[5:6], v[3:4], off offset:-4
	v_add_co_u32_e32 v0, vcc, s6, v0
	v_addc_co_u32_e32 v1, vcc, 0, v1, vcc
	v_lshlrev_b64 v[7:8], 2, v[0:1]
	v_cmp_le_i64_e32 vcc, s[2:3], v[7:8]
	s_or_b64 s[4:5], vcc, s[4:5]
	s_waitcnt vmcnt(0)
	v_cmp_lt_f16_e64 s[0:1], 0, v5
	v_cndmask_b32_e64 v7, 0, 1, s[0:1]
	v_cmp_gt_f16_sdwa s[0:1], v5, v2 src0_sel:WORD_1 src1_sel:DWORD
	v_cndmask_b32_e64 v8, 0, 1, s[0:1]
	v_cmp_lt_f16_e64 s[0:1], 0, v6
	v_cndmask_b32_e64 v9, 0, 1, s[0:1]
	v_cmp_gt_f16_sdwa s[0:1], v6, v2 src0_sel:WORD_1 src1_sel:DWORD
	v_cndmask_b32_e64 v10, 0, 1, s[0:1]
	v_cmp_gt_f16_e64 s[0:1], 0, v5
	v_subbrev_co_u32_e64 v7, s[0:1], 0, v7, s[0:1]
	v_cmp_lt_f16_sdwa s[0:1], v5, v2 src0_sel:WORD_1 src1_sel:DWORD
	v_subbrev_co_u32_e64 v5, s[0:1], 0, v8, s[0:1]
	v_cmp_gt_f16_e64 s[0:1], 0, v6
	v_subbrev_co_u32_e64 v8, s[0:1], 0, v9, s[0:1]
	v_cmp_lt_f16_sdwa s[0:1], v6, v2 src0_sel:WORD_1 src1_sel:DWORD
	v_subbrev_co_u32_e64 v6, s[0:1], 0, v10, s[0:1]
	v_cvt_f32_i32_e32 v7, v7
	v_cvt_f32_i32_e32 v8, v8
	;; [unrolled: 1-line block ×4, first 2 shown]
	v_cvt_f16_f32_e32 v7, v7
	v_cvt_f16_f32_e32 v8, v8
	;; [unrolled: 1-line block ×4, first 2 shown]
	v_pack_b32_f16 v6, v8, v6
	v_pack_b32_f16 v5, v7, v5
	global_store_dwordx2 v[3:4], v[5:6], off offset:-4
	v_add_co_u32_e32 v3, vcc, s7, v3
	v_addc_co_u32_e32 v4, vcc, 0, v4, vcc
	s_andn2_b64 exec, exec, s[4:5]
	s_cbranch_execnz .LBB291_24
.LBB291_25:
	s_endpgm
	.section	.rodata,"a",@progbits
	.p2align	6, 0x0
	.amdhsa_kernel _ZN2at6native12_GLOBAL__N_125multi_tensor_apply_kernelINS1_18TensorListMetadataILi1EEENS1_14UnaryOpFunctorIN3c104HalfELi1ELi1ELi0EEEJNS0_4SignIfEEEEEvT_T0_DpT1_
		.amdhsa_group_segment_fixed_size 0
		.amdhsa_private_segment_fixed_size 0
		.amdhsa_kernarg_size 3632
		.amdhsa_user_sgpr_count 6
		.amdhsa_user_sgpr_private_segment_buffer 1
		.amdhsa_user_sgpr_dispatch_ptr 0
		.amdhsa_user_sgpr_queue_ptr 0
		.amdhsa_user_sgpr_kernarg_segment_ptr 1
		.amdhsa_user_sgpr_dispatch_id 0
		.amdhsa_user_sgpr_flat_scratch_init 0
		.amdhsa_user_sgpr_private_segment_size 0
		.amdhsa_uses_dynamic_stack 0
		.amdhsa_system_sgpr_private_segment_wavefront_offset 0
		.amdhsa_system_sgpr_workgroup_id_x 1
		.amdhsa_system_sgpr_workgroup_id_y 0
		.amdhsa_system_sgpr_workgroup_id_z 0
		.amdhsa_system_sgpr_workgroup_info 0
		.amdhsa_system_vgpr_workitem_id 0
		.amdhsa_next_free_vgpr 16
		.amdhsa_next_free_sgpr 27
		.amdhsa_reserve_vcc 1
		.amdhsa_reserve_flat_scratch 0
		.amdhsa_float_round_mode_32 0
		.amdhsa_float_round_mode_16_64 0
		.amdhsa_float_denorm_mode_32 3
		.amdhsa_float_denorm_mode_16_64 3
		.amdhsa_dx10_clamp 1
		.amdhsa_ieee_mode 1
		.amdhsa_fp16_overflow 0
		.amdhsa_exception_fp_ieee_invalid_op 0
		.amdhsa_exception_fp_denorm_src 0
		.amdhsa_exception_fp_ieee_div_zero 0
		.amdhsa_exception_fp_ieee_overflow 0
		.amdhsa_exception_fp_ieee_underflow 0
		.amdhsa_exception_fp_ieee_inexact 0
		.amdhsa_exception_int_div_zero 0
	.end_amdhsa_kernel
	.section	.text._ZN2at6native12_GLOBAL__N_125multi_tensor_apply_kernelINS1_18TensorListMetadataILi1EEENS1_14UnaryOpFunctorIN3c104HalfELi1ELi1ELi0EEEJNS0_4SignIfEEEEEvT_T0_DpT1_,"axG",@progbits,_ZN2at6native12_GLOBAL__N_125multi_tensor_apply_kernelINS1_18TensorListMetadataILi1EEENS1_14UnaryOpFunctorIN3c104HalfELi1ELi1ELi0EEEJNS0_4SignIfEEEEEvT_T0_DpT1_,comdat
.Lfunc_end291:
	.size	_ZN2at6native12_GLOBAL__N_125multi_tensor_apply_kernelINS1_18TensorListMetadataILi1EEENS1_14UnaryOpFunctorIN3c104HalfELi1ELi1ELi0EEEJNS0_4SignIfEEEEEvT_T0_DpT1_, .Lfunc_end291-_ZN2at6native12_GLOBAL__N_125multi_tensor_apply_kernelINS1_18TensorListMetadataILi1EEENS1_14UnaryOpFunctorIN3c104HalfELi1ELi1ELi0EEEJNS0_4SignIfEEEEEvT_T0_DpT1_
                                        ; -- End function
	.set _ZN2at6native12_GLOBAL__N_125multi_tensor_apply_kernelINS1_18TensorListMetadataILi1EEENS1_14UnaryOpFunctorIN3c104HalfELi1ELi1ELi0EEEJNS0_4SignIfEEEEEvT_T0_DpT1_.num_vgpr, 16
	.set _ZN2at6native12_GLOBAL__N_125multi_tensor_apply_kernelINS1_18TensorListMetadataILi1EEENS1_14UnaryOpFunctorIN3c104HalfELi1ELi1ELi0EEEJNS0_4SignIfEEEEEvT_T0_DpT1_.num_agpr, 0
	.set _ZN2at6native12_GLOBAL__N_125multi_tensor_apply_kernelINS1_18TensorListMetadataILi1EEENS1_14UnaryOpFunctorIN3c104HalfELi1ELi1ELi0EEEJNS0_4SignIfEEEEEvT_T0_DpT1_.numbered_sgpr, 27
	.set _ZN2at6native12_GLOBAL__N_125multi_tensor_apply_kernelINS1_18TensorListMetadataILi1EEENS1_14UnaryOpFunctorIN3c104HalfELi1ELi1ELi0EEEJNS0_4SignIfEEEEEvT_T0_DpT1_.num_named_barrier, 0
	.set _ZN2at6native12_GLOBAL__N_125multi_tensor_apply_kernelINS1_18TensorListMetadataILi1EEENS1_14UnaryOpFunctorIN3c104HalfELi1ELi1ELi0EEEJNS0_4SignIfEEEEEvT_T0_DpT1_.private_seg_size, 0
	.set _ZN2at6native12_GLOBAL__N_125multi_tensor_apply_kernelINS1_18TensorListMetadataILi1EEENS1_14UnaryOpFunctorIN3c104HalfELi1ELi1ELi0EEEJNS0_4SignIfEEEEEvT_T0_DpT1_.uses_vcc, 1
	.set _ZN2at6native12_GLOBAL__N_125multi_tensor_apply_kernelINS1_18TensorListMetadataILi1EEENS1_14UnaryOpFunctorIN3c104HalfELi1ELi1ELi0EEEJNS0_4SignIfEEEEEvT_T0_DpT1_.uses_flat_scratch, 0
	.set _ZN2at6native12_GLOBAL__N_125multi_tensor_apply_kernelINS1_18TensorListMetadataILi1EEENS1_14UnaryOpFunctorIN3c104HalfELi1ELi1ELi0EEEJNS0_4SignIfEEEEEvT_T0_DpT1_.has_dyn_sized_stack, 0
	.set _ZN2at6native12_GLOBAL__N_125multi_tensor_apply_kernelINS1_18TensorListMetadataILi1EEENS1_14UnaryOpFunctorIN3c104HalfELi1ELi1ELi0EEEJNS0_4SignIfEEEEEvT_T0_DpT1_.has_recursion, 0
	.set _ZN2at6native12_GLOBAL__N_125multi_tensor_apply_kernelINS1_18TensorListMetadataILi1EEENS1_14UnaryOpFunctorIN3c104HalfELi1ELi1ELi0EEEJNS0_4SignIfEEEEEvT_T0_DpT1_.has_indirect_call, 0
	.section	.AMDGPU.csdata,"",@progbits
; Kernel info:
; codeLenInByte = 1240
; TotalNumSgprs: 31
; NumVgprs: 16
; ScratchSize: 0
; MemoryBound: 0
; FloatMode: 240
; IeeeMode: 1
; LDSByteSize: 0 bytes/workgroup (compile time only)
; SGPRBlocks: 3
; VGPRBlocks: 3
; NumSGPRsForWavesPerEU: 31
; NumVGPRsForWavesPerEU: 16
; Occupancy: 10
; WaveLimiterHint : 0
; COMPUTE_PGM_RSRC2:SCRATCH_EN: 0
; COMPUTE_PGM_RSRC2:USER_SGPR: 6
; COMPUTE_PGM_RSRC2:TRAP_HANDLER: 0
; COMPUTE_PGM_RSRC2:TGID_X_EN: 1
; COMPUTE_PGM_RSRC2:TGID_Y_EN: 0
; COMPUTE_PGM_RSRC2:TGID_Z_EN: 0
; COMPUTE_PGM_RSRC2:TIDIG_COMP_CNT: 0
	.section	.text._ZN2at6native12_GLOBAL__N_125multi_tensor_apply_kernelINS1_18TensorListMetadataILi1EEENS1_14UnaryOpFunctorIN3c108BFloat16ELi1ELi1ELi0EEEJNS0_4SignIfEEEEEvT_T0_DpT1_,"axG",@progbits,_ZN2at6native12_GLOBAL__N_125multi_tensor_apply_kernelINS1_18TensorListMetadataILi1EEENS1_14UnaryOpFunctorIN3c108BFloat16ELi1ELi1ELi0EEEJNS0_4SignIfEEEEEvT_T0_DpT1_,comdat
	.globl	_ZN2at6native12_GLOBAL__N_125multi_tensor_apply_kernelINS1_18TensorListMetadataILi1EEENS1_14UnaryOpFunctorIN3c108BFloat16ELi1ELi1ELi0EEEJNS0_4SignIfEEEEEvT_T0_DpT1_ ; -- Begin function _ZN2at6native12_GLOBAL__N_125multi_tensor_apply_kernelINS1_18TensorListMetadataILi1EEENS1_14UnaryOpFunctorIN3c108BFloat16ELi1ELi1ELi0EEEJNS0_4SignIfEEEEEvT_T0_DpT1_
	.p2align	8
	.type	_ZN2at6native12_GLOBAL__N_125multi_tensor_apply_kernelINS1_18TensorListMetadataILi1EEENS1_14UnaryOpFunctorIN3c108BFloat16ELi1ELi1ELi0EEEJNS0_4SignIfEEEEEvT_T0_DpT1_,@function
_ZN2at6native12_GLOBAL__N_125multi_tensor_apply_kernelINS1_18TensorListMetadataILi1EEENS1_14UnaryOpFunctorIN3c108BFloat16ELi1ELi1ELi0EEEJNS0_4SignIfEEEEEvT_T0_DpT1_: ; @_ZN2at6native12_GLOBAL__N_125multi_tensor_apply_kernelINS1_18TensorListMetadataILi1EEENS1_14UnaryOpFunctorIN3c108BFloat16ELi1ELi1ELi0EEEJNS0_4SignIfEEEEEvT_T0_DpT1_
; %bb.0:
	v_mov_b32_e32 v1, s6
	global_load_ubyte v1, v1, s[4:5] offset:1760
	s_add_u32 s0, s4, s6
	s_mul_hi_u32 s1, s6, 3
	s_mul_i32 s6, s6, 3
	s_addc_u32 s2, s5, 0
	s_add_u32 s0, s0, s6
	s_addc_u32 s1, s2, s1
	s_load_dword s0, s[0:1], 0x820
	s_mov_b32 s7, 0
	s_waitcnt vmcnt(0)
	v_readfirstlane_b32 s1, v1
	s_lshl_b32 s1, s1, 3
	s_load_dwordx2 s[2:3], s[4:5], s1 offset:0x370
	s_load_dwordx2 s[10:11], s[4:5], s1 offset:0x0
	s_waitcnt lgkmcnt(0)
	s_ashr_i32 s1, s0, 31
	s_lshl_b64 s[12:13], s[0:1], 17
	s_lshl_b64 s[0:1], s[0:1], 16
	s_and_b32 s6, s10, 7
	s_sub_u32 s14, s2, s0
	s_subb_u32 s15, s3, s1
	s_and_b32 s0, s2, 3
	s_mov_b32 s1, s7
	s_or_b64 s[0:1], s[6:7], s[0:1]
	s_cmp_eq_u64 s[0:1], 0
	s_cbranch_scc1 .LBB292_21
; %bb.1:
	v_cmp_lt_i64_e64 s[0:1], s[14:15], 1
	s_and_b64 vcc, exec, s[0:1]
	s_cbranch_vccnz .LBB292_20
; %bb.2:
	v_mov_b32_e32 v1, 0x10000
	s_load_dword s2, s[4:5], 0xd3c
	v_mov_b32_e32 v2, 0
	v_cmp_lt_i64_e32 vcc, s[14:15], v[1:2]
	s_mov_b64 s[20:21], 0
	s_and_b64 s[0:1], vcc, exec
	v_cmp_lt_u64_e32 vcc, s[14:15], v[1:2]
	s_cselect_b32 s17, s15, 0
	s_cselect_b32 s16, s14, 0x10000
	s_waitcnt lgkmcnt(0)
	s_and_b32 s2, s2, 0xffff
	s_and_b64 s[0:1], vcc, exec
	s_cselect_b32 s19, s15, 0
	s_cselect_b32 s18, s14, 0x10000
	s_lshl_b32 s3, s2, 1
	s_lshl_b32 s24, s2, 2
	s_add_u32 s6, s10, s12
	v_lshlrev_b32_e32 v1, 1, v0
	s_addc_u32 s7, s11, s13
	v_mov_b32_e32 v2, s7
	v_add_co_u32_e32 v1, vcc, s6, v1
	s_mul_i32 s0, s2, 3
	v_addc_co_u32_e32 v2, vcc, 0, v2, vcc
	v_add_co_u32_e32 v5, vcc, s0, v0
	v_addc_co_u32_e64 v6, s[0:1], 0, 0, vcc
	v_add_co_u32_e32 v7, vcc, s3, v0
	v_addc_co_u32_e64 v8, s[0:1], 0, 0, vcc
	v_add_co_u32_e32 v9, vcc, s2, v0
	v_lshlrev_b32_e32 v3, 1, v9
	v_addc_co_u32_e64 v10, s[0:1], 0, 0, vcc
	v_mov_b32_e32 v4, s7
	v_add_co_u32_e32 v3, vcc, s6, v3
	s_lshl_b32 s25, s2, 3
	s_mul_i32 s26, s2, 6
	v_addc_co_u32_e32 v4, vcc, 0, v4, vcc
	s_movk_i32 s27, 0x7fff
	s_branch .LBB292_4
.LBB292_3:                              ;   in Loop: Header=BB292_4 Depth=1
	s_or_b64 exec, exec, s[0:1]
	s_add_u32 s20, s20, s24
	v_add_co_u32_e32 v1, vcc, s25, v1
	v_mov_b32_e32 v11, s16
	s_addc_u32 s21, s21, 0
	v_addc_co_u32_e32 v2, vcc, 0, v2, vcc
	v_mov_b32_e32 v12, s17
	v_cmp_lt_i64_e32 vcc, s[20:21], v[11:12]
	v_add_co_u32_e64 v3, s[0:1], s25, v3
	v_addc_co_u32_e64 v4, s[0:1], 0, v4, s[0:1]
	s_cbranch_vccz .LBB292_20
.LBB292_4:                              ; =>This Inner Loop Header: Depth=1
	v_mov_b32_e32 v12, s21
	v_add_co_u32_e32 v11, vcc, s20, v0
	v_addc_co_u32_e32 v12, vcc, 0, v12, vcc
	v_cmp_gt_u64_e32 vcc, s[18:19], v[11:12]
	v_mov_b32_e32 v12, 0
	s_and_saveexec_b64 s[0:1], vcc
	s_cbranch_execz .LBB292_6
; %bb.5:                                ;   in Loop: Header=BB292_4 Depth=1
	global_load_ushort v11, v[1:2], off
	s_waitcnt vmcnt(0)
	v_lshlrev_b32_e32 v12, 16, v11
.LBB292_6:                              ;   in Loop: Header=BB292_4 Depth=1
	s_or_b64 exec, exec, s[0:1]
	v_mov_b32_e32 v11, s21
	v_add_co_u32_e64 v13, s[0:1], s20, v9
	v_addc_co_u32_e64 v14, s[0:1], v10, v11, s[0:1]
	v_cmp_gt_u64_e64 s[0:1], s[18:19], v[13:14]
	v_mov_b32_e32 v11, 0
	v_mov_b32_e32 v13, 0
	s_and_saveexec_b64 s[2:3], s[0:1]
	s_cbranch_execz .LBB292_8
; %bb.7:                                ;   in Loop: Header=BB292_4 Depth=1
	global_load_ushort v13, v[3:4], off
	s_waitcnt vmcnt(0)
	v_lshlrev_b32_e32 v13, 16, v13
.LBB292_8:                              ;   in Loop: Header=BB292_4 Depth=1
	s_or_b64 exec, exec, s[2:3]
	v_mov_b32_e32 v15, s21
	v_add_co_u32_e64 v14, s[2:3], s20, v7
	v_addc_co_u32_e64 v15, s[2:3], v8, v15, s[2:3]
	v_cmp_gt_u64_e64 s[2:3], s[18:19], v[14:15]
	s_and_saveexec_b64 s[8:9], s[2:3]
	s_cbranch_execz .LBB292_10
; %bb.9:                                ;   in Loop: Header=BB292_4 Depth=1
	v_add_co_u32_e64 v14, s[6:7], s24, v1
	v_addc_co_u32_e64 v15, s[6:7], 0, v2, s[6:7]
	global_load_ushort v11, v[14:15], off
	s_waitcnt vmcnt(0)
	v_lshlrev_b32_e32 v11, 16, v11
.LBB292_10:                             ;   in Loop: Header=BB292_4 Depth=1
	s_or_b64 exec, exec, s[8:9]
	v_mov_b32_e32 v15, s21
	v_add_co_u32_e64 v14, s[6:7], s20, v5
	v_addc_co_u32_e64 v15, s[6:7], v6, v15, s[6:7]
	v_cmp_gt_u64_e64 s[6:7], s[18:19], v[14:15]
	v_mov_b32_e32 v14, 0
	s_and_saveexec_b64 s[22:23], s[6:7]
	s_cbranch_execnz .LBB292_15
; %bb.11:                               ;   in Loop: Header=BB292_4 Depth=1
	s_or_b64 exec, exec, s[22:23]
	s_and_saveexec_b64 s[8:9], vcc
	s_cbranch_execnz .LBB292_16
.LBB292_12:                             ;   in Loop: Header=BB292_4 Depth=1
	s_or_b64 exec, exec, s[8:9]
	s_and_saveexec_b64 s[8:9], s[0:1]
	s_cbranch_execnz .LBB292_17
.LBB292_13:                             ;   in Loop: Header=BB292_4 Depth=1
	s_or_b64 exec, exec, s[8:9]
	s_and_saveexec_b64 s[0:1], s[2:3]
	s_cbranch_execnz .LBB292_18
.LBB292_14:                             ;   in Loop: Header=BB292_4 Depth=1
	s_or_b64 exec, exec, s[0:1]
	s_and_saveexec_b64 s[0:1], s[6:7]
	s_cbranch_execz .LBB292_3
	s_branch .LBB292_19
.LBB292_15:                             ;   in Loop: Header=BB292_4 Depth=1
	v_add_co_u32_e64 v14, s[8:9], s26, v1
	v_addc_co_u32_e64 v15, s[8:9], 0, v2, s[8:9]
	global_load_ushort v14, v[14:15], off
	s_waitcnt vmcnt(0)
	v_lshlrev_b32_e32 v14, 16, v14
	s_or_b64 exec, exec, s[22:23]
	s_and_saveexec_b64 s[8:9], vcc
	s_cbranch_execz .LBB292_12
.LBB292_16:                             ;   in Loop: Header=BB292_4 Depth=1
	v_cmp_lt_f32_e32 vcc, 0, v12
	v_cndmask_b32_e64 v15, 0, 1, vcc
	v_cmp_gt_f32_e32 vcc, 0, v12
	v_subbrev_co_u32_e32 v12, vcc, 0, v15, vcc
	v_cvt_f32_i32_e32 v12, v12
	v_bfe_u32 v15, v12, 16, 1
	v_add3_u32 v12, v12, v15, s27
	global_store_short_d16_hi v[1:2], v12, off
	s_or_b64 exec, exec, s[8:9]
	s_and_saveexec_b64 s[8:9], s[0:1]
	s_cbranch_execz .LBB292_13
.LBB292_17:                             ;   in Loop: Header=BB292_4 Depth=1
	v_cmp_lt_f32_e32 vcc, 0, v13
	v_cndmask_b32_e64 v12, 0, 1, vcc
	v_cmp_gt_f32_e32 vcc, 0, v13
	v_subbrev_co_u32_e32 v12, vcc, 0, v12, vcc
	v_cvt_f32_i32_e32 v12, v12
	v_bfe_u32 v13, v12, 16, 1
	v_add3_u32 v12, v12, v13, s27
	global_store_short_d16_hi v[3:4], v12, off
	s_or_b64 exec, exec, s[8:9]
	s_and_saveexec_b64 s[0:1], s[2:3]
	s_cbranch_execz .LBB292_14
.LBB292_18:                             ;   in Loop: Header=BB292_4 Depth=1
	v_cmp_lt_f32_e32 vcc, 0, v11
	v_cndmask_b32_e64 v12, 0, 1, vcc
	v_cmp_gt_f32_e32 vcc, 0, v11
	v_subbrev_co_u32_e32 v11, vcc, 0, v12, vcc
	v_cvt_f32_i32_e32 v11, v11
	v_bfe_u32 v12, v11, 16, 1
	v_add3_u32 v13, v11, v12, s27
	v_add_co_u32_e32 v11, vcc, s24, v1
	v_addc_co_u32_e32 v12, vcc, 0, v2, vcc
	global_store_short_d16_hi v[11:12], v13, off
	s_or_b64 exec, exec, s[0:1]
	s_and_saveexec_b64 s[0:1], s[6:7]
	s_cbranch_execz .LBB292_3
.LBB292_19:                             ;   in Loop: Header=BB292_4 Depth=1
	v_cmp_lt_f32_e32 vcc, 0, v14
	v_cndmask_b32_e64 v11, 0, 1, vcc
	v_cmp_gt_f32_e32 vcc, 0, v14
	v_subbrev_co_u32_e32 v11, vcc, 0, v11, vcc
	v_cvt_f32_i32_e32 v11, v11
	v_bfe_u32 v12, v11, 16, 1
	v_add3_u32 v13, v11, v12, s27
	v_add_co_u32_e32 v11, vcc, s26, v1
	v_addc_co_u32_e32 v12, vcc, 0, v2, vcc
	global_store_short_d16_hi v[11:12], v13, off
	s_branch .LBB292_3
.LBB292_20:
	s_cbranch_execz .LBB292_22
	s_branch .LBB292_25
.LBB292_21:
.LBB292_22:
	v_mov_b32_e32 v1, 0x10000
	v_mov_b32_e32 v2, 0
	v_cmp_lt_i64_e32 vcc, s[14:15], v[1:2]
	v_mov_b32_e32 v2, 0
	s_and_b64 s[0:1], vcc, exec
	s_cselect_b32 s1, s15, 0
	s_cselect_b32 s0, s14, 0x10000
	v_lshlrev_b32_e32 v1, 2, v0
	v_cmp_gt_i64_e32 vcc, s[0:1], v[1:2]
	s_and_saveexec_b64 s[2:3], vcc
	s_cbranch_execz .LBB292_25
; %bb.23:
	s_load_dword s2, s[4:5], 0xd3c
	v_mov_b32_e32 v1, v2
	v_lshlrev_b32_e32 v2, 3, v0
	s_mov_b32 s6, 0xffff0000
	s_movk_i32 s7, 0x7fff
	s_waitcnt lgkmcnt(0)
	s_and_b32 s4, s2, 0xffff
	s_add_u32 s2, s10, s12
	s_addc_u32 s3, s11, s13
	v_mov_b32_e32 v3, s3
	v_add_co_u32_e32 v2, vcc, s2, v2
	v_addc_co_u32_e32 v3, vcc, 0, v3, vcc
	s_lshl_b32 s5, s4, 3
	s_mov_b64 s[2:3], 0
.LBB292_24:                             ; =>This Inner Loop Header: Depth=1
	global_load_dwordx2 v[4:5], v[2:3], off
	v_add_co_u32_e32 v0, vcc, s4, v0
	v_addc_co_u32_e32 v1, vcc, 0, v1, vcc
	v_lshlrev_b64 v[6:7], 2, v[0:1]
	v_cmp_le_i64_e32 vcc, s[0:1], v[6:7]
	s_or_b64 s[2:3], vcc, s[2:3]
	s_waitcnt vmcnt(0)
	v_lshlrev_b32_e32 v7, 16, v4
	v_and_b32_e32 v6, 0xffff0000, v4
	v_cmp_lt_f32_e32 vcc, 0, v7
	v_alignbit_b32 v4, v5, v4, 16
	v_and_b32_e32 v5, 0xffff0000, v5
	v_cndmask_b32_e64 v8, 0, 1, vcc
	v_cmp_lt_f32_e32 vcc, 0, v6
	v_cndmask_b32_e64 v9, 0, 1, vcc
	v_cmp_lt_f32_e32 vcc, 0, v5
	v_cndmask_b32_e64 v10, 0, 1, vcc
	v_cmp_gt_f32_e32 vcc, 0, v7
	v_subbrev_co_u32_e32 v7, vcc, 0, v8, vcc
	v_cmp_gt_f32_e32 vcc, 0, v6
	v_and_b32_e32 v4, 0xffff0000, v4
	v_subbrev_co_u32_e32 v6, vcc, 0, v9, vcc
	v_cmp_lt_f32_e32 vcc, 0, v4
	v_cndmask_b32_e64 v8, 0, 1, vcc
	v_cmp_gt_f32_e32 vcc, 0, v5
	v_subbrev_co_u32_e32 v5, vcc, 0, v10, vcc
	v_cmp_gt_f32_e32 vcc, 0, v4
	v_cvt_f32_i32_e32 v7, v7
	v_subbrev_co_u32_e32 v4, vcc, 0, v8, vcc
	v_cvt_f32_i32_e32 v5, v5
	v_cvt_f32_i32_e32 v6, v6
	;; [unrolled: 1-line block ×3, first 2 shown]
	v_bfe_u32 v8, v7, 16, 1
	v_bfe_u32 v10, v5, 16, 1
	;; [unrolled: 1-line block ×3, first 2 shown]
	v_add3_u32 v7, v7, v8, s7
	v_bfe_u32 v8, v4, 16, 1
	v_add3_u32 v5, v5, v10, s7
	v_add3_u32 v6, v6, v9, s7
	v_lshrrev_b32_e32 v7, 16, v7
	v_add3_u32 v4, v4, v8, s7
	v_and_b32_e32 v5, 0xffff0000, v5
	v_or_b32_sdwa v5, v5, v4 dst_sel:DWORD dst_unused:UNUSED_PAD src0_sel:DWORD src1_sel:WORD_1
	v_and_or_b32 v4, v6, s6, v7
	global_store_dwordx2 v[2:3], v[4:5], off
	v_add_co_u32_e32 v2, vcc, s5, v2
	v_addc_co_u32_e32 v3, vcc, 0, v3, vcc
	s_andn2_b64 exec, exec, s[2:3]
	s_cbranch_execnz .LBB292_24
.LBB292_25:
	s_endpgm
	.section	.rodata,"a",@progbits
	.p2align	6, 0x0
	.amdhsa_kernel _ZN2at6native12_GLOBAL__N_125multi_tensor_apply_kernelINS1_18TensorListMetadataILi1EEENS1_14UnaryOpFunctorIN3c108BFloat16ELi1ELi1ELi0EEEJNS0_4SignIfEEEEEvT_T0_DpT1_
		.amdhsa_group_segment_fixed_size 0
		.amdhsa_private_segment_fixed_size 0
		.amdhsa_kernarg_size 3632
		.amdhsa_user_sgpr_count 6
		.amdhsa_user_sgpr_private_segment_buffer 1
		.amdhsa_user_sgpr_dispatch_ptr 0
		.amdhsa_user_sgpr_queue_ptr 0
		.amdhsa_user_sgpr_kernarg_segment_ptr 1
		.amdhsa_user_sgpr_dispatch_id 0
		.amdhsa_user_sgpr_flat_scratch_init 0
		.amdhsa_user_sgpr_private_segment_size 0
		.amdhsa_uses_dynamic_stack 0
		.amdhsa_system_sgpr_private_segment_wavefront_offset 0
		.amdhsa_system_sgpr_workgroup_id_x 1
		.amdhsa_system_sgpr_workgroup_id_y 0
		.amdhsa_system_sgpr_workgroup_id_z 0
		.amdhsa_system_sgpr_workgroup_info 0
		.amdhsa_system_vgpr_workitem_id 0
		.amdhsa_next_free_vgpr 16
		.amdhsa_next_free_sgpr 28
		.amdhsa_reserve_vcc 1
		.amdhsa_reserve_flat_scratch 0
		.amdhsa_float_round_mode_32 0
		.amdhsa_float_round_mode_16_64 0
		.amdhsa_float_denorm_mode_32 3
		.amdhsa_float_denorm_mode_16_64 3
		.amdhsa_dx10_clamp 1
		.amdhsa_ieee_mode 1
		.amdhsa_fp16_overflow 0
		.amdhsa_exception_fp_ieee_invalid_op 0
		.amdhsa_exception_fp_denorm_src 0
		.amdhsa_exception_fp_ieee_div_zero 0
		.amdhsa_exception_fp_ieee_overflow 0
		.amdhsa_exception_fp_ieee_underflow 0
		.amdhsa_exception_fp_ieee_inexact 0
		.amdhsa_exception_int_div_zero 0
	.end_amdhsa_kernel
	.section	.text._ZN2at6native12_GLOBAL__N_125multi_tensor_apply_kernelINS1_18TensorListMetadataILi1EEENS1_14UnaryOpFunctorIN3c108BFloat16ELi1ELi1ELi0EEEJNS0_4SignIfEEEEEvT_T0_DpT1_,"axG",@progbits,_ZN2at6native12_GLOBAL__N_125multi_tensor_apply_kernelINS1_18TensorListMetadataILi1EEENS1_14UnaryOpFunctorIN3c108BFloat16ELi1ELi1ELi0EEEJNS0_4SignIfEEEEEvT_T0_DpT1_,comdat
.Lfunc_end292:
	.size	_ZN2at6native12_GLOBAL__N_125multi_tensor_apply_kernelINS1_18TensorListMetadataILi1EEENS1_14UnaryOpFunctorIN3c108BFloat16ELi1ELi1ELi0EEEJNS0_4SignIfEEEEEvT_T0_DpT1_, .Lfunc_end292-_ZN2at6native12_GLOBAL__N_125multi_tensor_apply_kernelINS1_18TensorListMetadataILi1EEENS1_14UnaryOpFunctorIN3c108BFloat16ELi1ELi1ELi0EEEJNS0_4SignIfEEEEEvT_T0_DpT1_
                                        ; -- End function
	.set _ZN2at6native12_GLOBAL__N_125multi_tensor_apply_kernelINS1_18TensorListMetadataILi1EEENS1_14UnaryOpFunctorIN3c108BFloat16ELi1ELi1ELi0EEEJNS0_4SignIfEEEEEvT_T0_DpT1_.num_vgpr, 16
	.set _ZN2at6native12_GLOBAL__N_125multi_tensor_apply_kernelINS1_18TensorListMetadataILi1EEENS1_14UnaryOpFunctorIN3c108BFloat16ELi1ELi1ELi0EEEJNS0_4SignIfEEEEEvT_T0_DpT1_.num_agpr, 0
	.set _ZN2at6native12_GLOBAL__N_125multi_tensor_apply_kernelINS1_18TensorListMetadataILi1EEENS1_14UnaryOpFunctorIN3c108BFloat16ELi1ELi1ELi0EEEJNS0_4SignIfEEEEEvT_T0_DpT1_.numbered_sgpr, 28
	.set _ZN2at6native12_GLOBAL__N_125multi_tensor_apply_kernelINS1_18TensorListMetadataILi1EEENS1_14UnaryOpFunctorIN3c108BFloat16ELi1ELi1ELi0EEEJNS0_4SignIfEEEEEvT_T0_DpT1_.num_named_barrier, 0
	.set _ZN2at6native12_GLOBAL__N_125multi_tensor_apply_kernelINS1_18TensorListMetadataILi1EEENS1_14UnaryOpFunctorIN3c108BFloat16ELi1ELi1ELi0EEEJNS0_4SignIfEEEEEvT_T0_DpT1_.private_seg_size, 0
	.set _ZN2at6native12_GLOBAL__N_125multi_tensor_apply_kernelINS1_18TensorListMetadataILi1EEENS1_14UnaryOpFunctorIN3c108BFloat16ELi1ELi1ELi0EEEJNS0_4SignIfEEEEEvT_T0_DpT1_.uses_vcc, 1
	.set _ZN2at6native12_GLOBAL__N_125multi_tensor_apply_kernelINS1_18TensorListMetadataILi1EEENS1_14UnaryOpFunctorIN3c108BFloat16ELi1ELi1ELi0EEEJNS0_4SignIfEEEEEvT_T0_DpT1_.uses_flat_scratch, 0
	.set _ZN2at6native12_GLOBAL__N_125multi_tensor_apply_kernelINS1_18TensorListMetadataILi1EEENS1_14UnaryOpFunctorIN3c108BFloat16ELi1ELi1ELi0EEEJNS0_4SignIfEEEEEvT_T0_DpT1_.has_dyn_sized_stack, 0
	.set _ZN2at6native12_GLOBAL__N_125multi_tensor_apply_kernelINS1_18TensorListMetadataILi1EEENS1_14UnaryOpFunctorIN3c108BFloat16ELi1ELi1ELi0EEEJNS0_4SignIfEEEEEvT_T0_DpT1_.has_recursion, 0
	.set _ZN2at6native12_GLOBAL__N_125multi_tensor_apply_kernelINS1_18TensorListMetadataILi1EEENS1_14UnaryOpFunctorIN3c108BFloat16ELi1ELi1ELi0EEEJNS0_4SignIfEEEEEvT_T0_DpT1_.has_indirect_call, 0
	.section	.AMDGPU.csdata,"",@progbits
; Kernel info:
; codeLenInByte = 1356
; TotalNumSgprs: 32
; NumVgprs: 16
; ScratchSize: 0
; MemoryBound: 0
; FloatMode: 240
; IeeeMode: 1
; LDSByteSize: 0 bytes/workgroup (compile time only)
; SGPRBlocks: 3
; VGPRBlocks: 3
; NumSGPRsForWavesPerEU: 32
; NumVGPRsForWavesPerEU: 16
; Occupancy: 10
; WaveLimiterHint : 0
; COMPUTE_PGM_RSRC2:SCRATCH_EN: 0
; COMPUTE_PGM_RSRC2:USER_SGPR: 6
; COMPUTE_PGM_RSRC2:TRAP_HANDLER: 0
; COMPUTE_PGM_RSRC2:TGID_X_EN: 1
; COMPUTE_PGM_RSRC2:TGID_Y_EN: 0
; COMPUTE_PGM_RSRC2:TGID_Z_EN: 0
; COMPUTE_PGM_RSRC2:TIDIG_COMP_CNT: 0
	.section	.text._ZN2at6native12_GLOBAL__N_125multi_tensor_apply_kernelINS1_18TensorListMetadataILi2EEENS1_14UnaryOpFunctorIdLi2ELi1ELi1EEEJNS0_5RsqrtIdEEEEEvT_T0_DpT1_,"axG",@progbits,_ZN2at6native12_GLOBAL__N_125multi_tensor_apply_kernelINS1_18TensorListMetadataILi2EEENS1_14UnaryOpFunctorIdLi2ELi1ELi1EEEJNS0_5RsqrtIdEEEEEvT_T0_DpT1_,comdat
	.globl	_ZN2at6native12_GLOBAL__N_125multi_tensor_apply_kernelINS1_18TensorListMetadataILi2EEENS1_14UnaryOpFunctorIdLi2ELi1ELi1EEEJNS0_5RsqrtIdEEEEEvT_T0_DpT1_ ; -- Begin function _ZN2at6native12_GLOBAL__N_125multi_tensor_apply_kernelINS1_18TensorListMetadataILi2EEENS1_14UnaryOpFunctorIdLi2ELi1ELi1EEEJNS0_5RsqrtIdEEEEEvT_T0_DpT1_
	.p2align	8
	.type	_ZN2at6native12_GLOBAL__N_125multi_tensor_apply_kernelINS1_18TensorListMetadataILi2EEENS1_14UnaryOpFunctorIdLi2ELi1ELi1EEEJNS0_5RsqrtIdEEEEEvT_T0_DpT1_,@function
_ZN2at6native12_GLOBAL__N_125multi_tensor_apply_kernelINS1_18TensorListMetadataILi2EEENS1_14UnaryOpFunctorIdLi2ELi1ELi1EEEJNS0_5RsqrtIdEEEEEvT_T0_DpT1_: ; @_ZN2at6native12_GLOBAL__N_125multi_tensor_apply_kernelINS1_18TensorListMetadataILi2EEENS1_14UnaryOpFunctorIdLi2ELi1ELi1EEEJNS0_5RsqrtIdEEEEEvT_T0_DpT1_
; %bb.0:
	v_mov_b32_e32 v1, s6
	global_load_ubyte v1, v1, s[4:5] offset:1536
	s_add_u32 s0, s4, s6
	s_mul_hi_u32 s2, s6, 3
	s_mul_i32 s6, s6, 3
	s_addc_u32 s7, s5, 0
	s_add_u32 s6, s0, s6
	s_addc_u32 s7, s7, s2
	s_load_dword s6, s[6:7], 0x740
	s_mov_b32 s1, 0
	s_mov_b32 s3, s1
	s_waitcnt lgkmcnt(0)
	s_ashr_i32 s7, s6, 31
	s_lshl_b64 s[8:9], s[6:7], 19
	s_lshl_b64 s[6:7], s[6:7], 16
	s_waitcnt vmcnt(0)
	v_readfirstlane_b32 s0, v1
	s_lshl_b32 s0, s0, 3
	s_load_dwordx2 s[10:11], s[4:5], s0 offset:0x400
	s_load_dwordx2 s[16:17], s[4:5], s0 offset:0x0
	;; [unrolled: 1-line block ×3, first 2 shown]
	s_waitcnt lgkmcnt(0)
	s_add_u32 s0, s16, s8
	s_and_b32 s2, s14, 31
	s_and_b32 s0, s0, 31
	s_sub_u32 s12, s10, s6
	s_subb_u32 s13, s11, s7
	s_and_b32 s6, s10, 3
	s_mov_b32 s7, s1
	s_or_b64 s[2:3], s[2:3], s[6:7]
	s_or_b64 s[0:1], s[2:3], s[0:1]
	s_cmp_eq_u64 s[0:1], 0
	s_mov_b64 s[0:1], -1
	s_cbranch_scc0 .LBB293_5
; %bb.1:
	v_mov_b32_e32 v1, 0x10000
	v_mov_b32_e32 v2, 0
	v_cmp_lt_i64_e32 vcc, s[12:13], v[1:2]
	v_mov_b32_e32 v2, 0
	s_and_b64 s[0:1], vcc, exec
	s_cselect_b32 s11, s13, 0
	s_cselect_b32 s10, s12, 0x10000
	v_lshlrev_b32_e32 v1, 2, v0
	v_cmp_gt_i64_e32 vcc, s[10:11], v[1:2]
	s_and_saveexec_b64 s[18:19], vcc
	s_cbranch_execz .LBB293_4
; %bb.2:
	s_load_dword s0, s[4:5], 0xc5c
	v_mov_b32_e32 v1, v2
	v_lshlrev_b32_e32 v2, 5, v0
	v_mov_b32_e32 v4, s9
	v_add_co_u32_e32 v3, vcc, s8, v2
	s_waitcnt lgkmcnt(0)
	s_and_b32 s24, s0, 0xffff
	s_mov_b32 s22, 0
	v_mov_b32_e32 v2, v1
	v_addc_co_u32_e32 v4, vcc, 0, v4, vcc
	s_lshl_b32 s25, s24, 5
	s_mov_b64 s[20:21], 0
	v_mov_b32_e32 v5, s17
	s_mov_b32 s23, 0x3fd80000
	v_mov_b32_e32 v6, 0x180
	v_mov_b32_e32 v7, s15
	;; [unrolled: 1-line block ×3, first 2 shown]
.LBB293_3:                              ; =>This Inner Loop Header: Depth=1
	v_add_co_u32_e32 v16, vcc, s16, v3
	v_addc_co_u32_e32 v17, vcc, v5, v4, vcc
	global_load_dwordx4 v[8:11], v[16:17], off
	global_load_dwordx4 v[12:15], v[16:17], off offset:16
	v_add_co_u32_e32 v16, vcc, s14, v3
	v_addc_co_u32_e32 v17, vcc, v7, v4, vcc
	v_add_co_u32_e32 v1, vcc, s24, v1
	v_addc_co_u32_e32 v2, vcc, 0, v2, vcc
	v_add_co_u32_e32 v3, vcc, s25, v3
	v_lshlrev_b64 v[26:27], 2, v[1:2]
	v_addc_co_u32_e32 v4, vcc, 0, v4, vcc
	v_cmp_le_i64_e32 vcc, s[10:11], v[26:27]
	s_or_b64 s[20:21], vcc, s[20:21]
	s_waitcnt vmcnt(1)
	v_rsq_f64_e32 v[18:19], v[8:9]
	v_rsq_f64_e32 v[20:21], v[10:11]
	s_waitcnt vmcnt(0)
	v_rsq_f64_e32 v[22:23], v[12:13]
	v_rsq_f64_e32 v[24:25], v[14:15]
	v_mul_f64 v[8:9], v[18:19], -v[8:9]
	v_mul_f64 v[10:11], v[20:21], -v[10:11]
	;; [unrolled: 1-line block ×4, first 2 shown]
	v_cmp_class_f64_e32 vcc, v[18:19], v6
	v_cmp_class_f64_e64 s[0:1], v[20:21], v6
	v_cmp_class_f64_e64 s[2:3], v[22:23], v6
	;; [unrolled: 1-line block ×3, first 2 shown]
	v_fma_f64 v[8:9], v[8:9], v[18:19], 1.0
	v_fma_f64 v[10:11], v[10:11], v[20:21], 1.0
	v_fma_f64 v[12:13], v[12:13], v[22:23], 1.0
	v_fma_f64 v[14:15], v[14:15], v[24:25], 1.0
	v_mul_f64 v[26:27], v[18:19], v[8:9]
	v_fma_f64 v[8:9], v[8:9], s[22:23], 0.5
	v_mul_f64 v[28:29], v[20:21], v[10:11]
	v_fma_f64 v[10:11], v[10:11], s[22:23], 0.5
	;; [unrolled: 2-line block ×4, first 2 shown]
	v_fma_f64 v[8:9], v[26:27], v[8:9], v[18:19]
	v_fma_f64 v[10:11], v[28:29], v[10:11], v[20:21]
	;; [unrolled: 1-line block ×4, first 2 shown]
	v_cndmask_b32_e32 v9, v19, v9, vcc
	v_cndmask_b32_e32 v8, v18, v8, vcc
	v_cndmask_b32_e64 v11, v21, v11, s[0:1]
	v_cndmask_b32_e64 v10, v20, v10, s[0:1]
	;; [unrolled: 1-line block ×6, first 2 shown]
	global_store_dwordx4 v[16:17], v[8:11], off
	global_store_dwordx4 v[16:17], v[12:15], off offset:16
	s_andn2_b64 exec, exec, s[20:21]
	s_cbranch_execnz .LBB293_3
.LBB293_4:
	s_or_b64 exec, exec, s[18:19]
	s_mov_b64 s[0:1], 0
.LBB293_5:
	s_andn2_b64 vcc, exec, s[0:1]
	s_cbranch_vccnz .LBB293_25
; %bb.6:
	v_cmp_lt_i64_e64 s[0:1], s[12:13], 1
	s_and_b64 vcc, exec, s[0:1]
	s_cbranch_vccnz .LBB293_25
; %bb.7:
	v_mov_b32_e32 v1, 0x10000
	s_load_dword s2, s[4:5], 0xc5c
	v_mov_b32_e32 v2, 0
	v_cmp_lt_i64_e32 vcc, s[12:13], v[1:2]
	v_mov_b32_e32 v3, 0
	s_and_b64 s[0:1], vcc, exec
	v_cmp_lt_u64_e32 vcc, s[12:13], v[1:2]
	s_cselect_b32 s11, s13, 0
	s_cselect_b32 s10, s12, 0x10000
	s_waitcnt lgkmcnt(0)
	s_and_b32 s2, s2, 0xffff
	v_lshlrev_b32_e32 v2, 3, v0
	s_and_b64 s[0:1], vcc, exec
	v_mov_b32_e32 v1, s17
	v_add_co_u32_e32 v9, vcc, s16, v2
	v_mad_u64_u32 v[3:4], s[0:1], s2, 24, v[2:3]
	v_addc_co_u32_e32 v10, vcc, 0, v1, vcc
	v_mov_b32_e32 v1, s15
	v_add_co_u32_e32 v11, vcc, s14, v2
	v_addc_co_u32_e32 v12, vcc, 0, v1, vcc
	v_mov_b32_e32 v1, s17
	v_add_co_u32_e32 v13, vcc, s16, v3
	v_addc_co_u32_e32 v14, vcc, v1, v4, vcc
	v_mov_b32_e32 v1, s15
	v_add_co_u32_e32 v15, vcc, s14, v3
	s_cselect_b32 s13, s13, 0
	s_cselect_b32 s12, s12, 0x10000
	v_addc_co_u32_e32 v16, vcc, v1, v4, vcc
	s_lshl_b32 s0, s2, 4
	v_add_co_u32_e32 v1, vcc, s0, v2
	v_addc_co_u32_e64 v2, s[0:1], 0, 0, vcc
	v_mov_b32_e32 v3, s17
	v_add_co_u32_e32 v17, vcc, s16, v1
	v_addc_co_u32_e32 v18, vcc, v3, v2, vcc
	v_mov_b32_e32 v3, s15
	v_add_co_u32_e32 v19, vcc, s14, v1
	v_addc_co_u32_e32 v20, vcc, v3, v2, vcc
	v_add_co_u32_e32 v21, vcc, s2, v0
	v_lshlrev_b32_e32 v1, 3, v21
	v_addc_co_u32_e64 v22, s[0:1], 0, 0, vcc
	v_mov_b32_e32 v2, s17
	v_add_co_u32_e32 v23, vcc, s16, v1
	v_addc_co_u32_e32 v24, vcc, 0, v2, vcc
	v_mov_b32_e32 v2, s15
	v_add_co_u32_e32 v25, vcc, s14, v1
	s_mul_i32 s4, s2, 3
	v_addc_co_u32_e32 v26, vcc, 0, v2, vcc
	s_lshl_b32 s3, s2, 1
	v_add_co_u32_e32 v27, vcc, s4, v0
	s_mov_b32 s16, 0
	v_addc_co_u32_e64 v28, s[0:1], 0, 0, vcc
	v_add_co_u32_e32 v29, vcc, s3, v0
	s_lshl_b32 s20, s2, 2
	s_lshl_b32 s21, s2, 5
	s_mov_b64 s[14:15], 0
	s_mov_b32 s17, 0x3fd80000
	v_addc_co_u32_e64 v30, s[0:1], 0, 0, vcc
	v_mov_b32_e32 v31, 0x180
	s_branch .LBB293_9
.LBB293_8:                              ;   in Loop: Header=BB293_9 Depth=1
	s_or_b64 exec, exec, s[0:1]
	v_add_co_u32_e32 v9, vcc, s21, v9
	v_addc_co_u32_e32 v10, vcc, 0, v10, vcc
	v_add_co_u32_e32 v11, vcc, s21, v11
	v_addc_co_u32_e32 v12, vcc, 0, v12, vcc
	;; [unrolled: 2-line block ×6, first 2 shown]
	s_add_u32 s14, s14, s20
	v_add_co_u32_e32 v23, vcc, s21, v23
	s_waitcnt vmcnt(0)
	v_mov_b32_e32 v1, s10
	s_addc_u32 s15, s15, 0
	v_addc_co_u32_e32 v24, vcc, 0, v24, vcc
	v_mov_b32_e32 v2, s11
	v_cmp_ge_i64_e32 vcc, s[14:15], v[1:2]
	v_add_co_u32_e64 v25, s[0:1], s21, v25
	v_addc_co_u32_e64 v26, s[0:1], 0, v26, s[0:1]
	s_cbranch_vccnz .LBB293_25
.LBB293_9:                              ; =>This Inner Loop Header: Depth=1
	v_mov_b32_e32 v2, s15
	v_add_co_u32_e32 v1, vcc, s14, v0
	v_addc_co_u32_e32 v2, vcc, 0, v2, vcc
	v_cmp_gt_u64_e64 s[4:5], s[12:13], v[1:2]
	v_mov_b32_e32 v3, 0
	v_mov_b32_e32 v7, 0
	;; [unrolled: 1-line block ×4, first 2 shown]
	s_and_saveexec_b64 s[0:1], s[4:5]
	s_cbranch_execz .LBB293_11
; %bb.10:                               ;   in Loop: Header=BB293_9 Depth=1
	v_mov_b32_e32 v2, s9
	v_add_co_u32_e32 v1, vcc, s8, v9
	v_addc_co_u32_e32 v2, vcc, v10, v2, vcc
	global_load_dwordx2 v[7:8], v[1:2], off
.LBB293_11:                             ;   in Loop: Header=BB293_9 Depth=1
	s_or_b64 exec, exec, s[0:1]
	v_mov_b32_e32 v2, s15
	v_add_co_u32_e32 v1, vcc, s14, v21
	v_addc_co_u32_e32 v2, vcc, v22, v2, vcc
	v_cmp_gt_u64_e64 s[2:3], s[12:13], v[1:2]
	s_and_saveexec_b64 s[0:1], s[2:3]
	s_cbranch_execz .LBB293_13
; %bb.12:                               ;   in Loop: Header=BB293_9 Depth=1
	v_mov_b32_e32 v2, s9
	v_add_co_u32_e32 v1, vcc, s8, v23
	v_addc_co_u32_e32 v2, vcc, v24, v2, vcc
	global_load_dwordx2 v[3:4], v[1:2], off
.LBB293_13:                             ;   in Loop: Header=BB293_9 Depth=1
	s_or_b64 exec, exec, s[0:1]
	v_mov_b32_e32 v2, s15
	v_add_co_u32_e32 v1, vcc, s14, v29
	v_addc_co_u32_e32 v2, vcc, v30, v2, vcc
	v_cmp_gt_u64_e64 s[0:1], s[12:13], v[1:2]
	v_mov_b32_e32 v1, 0
	v_mov_b32_e32 v5, 0
	;; [unrolled: 1-line block ×4, first 2 shown]
	s_and_saveexec_b64 s[6:7], s[0:1]
	s_cbranch_execz .LBB293_15
; %bb.14:                               ;   in Loop: Header=BB293_9 Depth=1
	v_mov_b32_e32 v6, s9
	v_add_co_u32_e32 v5, vcc, s8, v17
	v_addc_co_u32_e32 v6, vcc, v18, v6, vcc
	global_load_dwordx2 v[5:6], v[5:6], off
.LBB293_15:                             ;   in Loop: Header=BB293_9 Depth=1
	s_or_b64 exec, exec, s[6:7]
	v_mov_b32_e32 v33, s15
	v_add_co_u32_e32 v32, vcc, s14, v27
	v_addc_co_u32_e32 v33, vcc, v28, v33, vcc
	v_cmp_gt_u64_e32 vcc, s[12:13], v[32:33]
	s_and_saveexec_b64 s[18:19], vcc
	s_cbranch_execnz .LBB293_20
; %bb.16:                               ;   in Loop: Header=BB293_9 Depth=1
	s_or_b64 exec, exec, s[18:19]
	s_and_saveexec_b64 s[18:19], s[4:5]
	s_cbranch_execnz .LBB293_21
.LBB293_17:                             ;   in Loop: Header=BB293_9 Depth=1
	s_or_b64 exec, exec, s[18:19]
	s_and_saveexec_b64 s[4:5], s[2:3]
	s_cbranch_execnz .LBB293_22
.LBB293_18:                             ;   in Loop: Header=BB293_9 Depth=1
	s_or_b64 exec, exec, s[4:5]
	s_and_saveexec_b64 s[2:3], s[0:1]
	s_cbranch_execnz .LBB293_23
.LBB293_19:                             ;   in Loop: Header=BB293_9 Depth=1
	s_or_b64 exec, exec, s[2:3]
	s_and_saveexec_b64 s[0:1], vcc
	s_cbranch_execz .LBB293_8
	s_branch .LBB293_24
.LBB293_20:                             ;   in Loop: Header=BB293_9 Depth=1
	v_mov_b32_e32 v2, s9
	v_add_co_u32_e64 v1, s[6:7], s8, v13
	v_addc_co_u32_e64 v2, s[6:7], v14, v2, s[6:7]
	global_load_dwordx2 v[1:2], v[1:2], off
	s_or_b64 exec, exec, s[18:19]
	s_and_saveexec_b64 s[18:19], s[4:5]
	s_cbranch_execz .LBB293_17
.LBB293_21:                             ;   in Loop: Header=BB293_9 Depth=1
	s_waitcnt vmcnt(0)
	v_rsq_f64_e32 v[32:33], v[7:8]
	v_mul_f64 v[7:8], v[32:33], -v[7:8]
	v_cmp_class_f64_e64 s[4:5], v[32:33], v31
	v_fma_f64 v[7:8], v[7:8], v[32:33], 1.0
	v_mul_f64 v[34:35], v[32:33], v[7:8]
	v_fma_f64 v[7:8], v[7:8], s[16:17], 0.5
	v_fma_f64 v[7:8], v[34:35], v[7:8], v[32:33]
	v_mov_b32_e32 v35, s9
	v_add_co_u32_e64 v34, s[6:7], s8, v11
	v_cndmask_b32_e64 v8, v33, v8, s[4:5]
	v_cndmask_b32_e64 v7, v32, v7, s[4:5]
	v_addc_co_u32_e64 v35, s[4:5], v12, v35, s[6:7]
	global_store_dwordx2 v[34:35], v[7:8], off
	s_or_b64 exec, exec, s[18:19]
	s_and_saveexec_b64 s[4:5], s[2:3]
	s_cbranch_execz .LBB293_18
.LBB293_22:                             ;   in Loop: Header=BB293_9 Depth=1
	s_waitcnt vmcnt(0)
	v_rsq_f64_e32 v[7:8], v[3:4]
	v_mul_f64 v[3:4], v[7:8], -v[3:4]
	v_cmp_class_f64_e64 s[2:3], v[7:8], v31
	v_fma_f64 v[3:4], v[3:4], v[7:8], 1.0
	v_mul_f64 v[32:33], v[7:8], v[3:4]
	v_fma_f64 v[3:4], v[3:4], s[16:17], 0.5
	v_fma_f64 v[3:4], v[32:33], v[3:4], v[7:8]
	v_mov_b32_e32 v32, s9
	v_cndmask_b32_e64 v4, v8, v4, s[2:3]
	v_cndmask_b32_e64 v3, v7, v3, s[2:3]
	v_add_co_u32_e64 v7, s[2:3], s8, v25
	v_addc_co_u32_e64 v8, s[2:3], v26, v32, s[2:3]
	global_store_dwordx2 v[7:8], v[3:4], off
	s_or_b64 exec, exec, s[4:5]
	s_and_saveexec_b64 s[2:3], s[0:1]
	s_cbranch_execz .LBB293_19
.LBB293_23:                             ;   in Loop: Header=BB293_9 Depth=1
	s_waitcnt vmcnt(0)
	v_rsq_f64_e32 v[3:4], v[5:6]
	v_mul_f64 v[5:6], v[3:4], -v[5:6]
	v_cmp_class_f64_e64 s[0:1], v[3:4], v31
	v_fma_f64 v[5:6], v[5:6], v[3:4], 1.0
	v_mul_f64 v[7:8], v[3:4], v[5:6]
	v_fma_f64 v[5:6], v[5:6], s[16:17], 0.5
	v_fma_f64 v[5:6], v[7:8], v[5:6], v[3:4]
	v_mov_b32_e32 v7, s9
	v_cndmask_b32_e64 v4, v4, v6, s[0:1]
	v_cndmask_b32_e64 v3, v3, v5, s[0:1]
	v_add_co_u32_e64 v5, s[0:1], s8, v19
	v_addc_co_u32_e64 v6, s[0:1], v20, v7, s[0:1]
	global_store_dwordx2 v[5:6], v[3:4], off
	s_or_b64 exec, exec, s[2:3]
	s_and_saveexec_b64 s[0:1], vcc
	s_cbranch_execz .LBB293_8
.LBB293_24:                             ;   in Loop: Header=BB293_9 Depth=1
	s_waitcnt vmcnt(0)
	v_rsq_f64_e32 v[3:4], v[1:2]
	v_mul_f64 v[1:2], v[3:4], -v[1:2]
	v_cmp_class_f64_e32 vcc, v[3:4], v31
	v_fma_f64 v[1:2], v[1:2], v[3:4], 1.0
	v_mul_f64 v[5:6], v[3:4], v[1:2]
	v_fma_f64 v[1:2], v[1:2], s[16:17], 0.5
	v_fma_f64 v[1:2], v[5:6], v[1:2], v[3:4]
	v_mov_b32_e32 v5, s9
	v_cndmask_b32_e32 v2, v4, v2, vcc
	v_cndmask_b32_e32 v1, v3, v1, vcc
	v_add_co_u32_e32 v3, vcc, s8, v15
	v_addc_co_u32_e32 v4, vcc, v16, v5, vcc
	global_store_dwordx2 v[3:4], v[1:2], off
	s_branch .LBB293_8
.LBB293_25:
	s_endpgm
	.section	.rodata,"a",@progbits
	.p2align	6, 0x0
	.amdhsa_kernel _ZN2at6native12_GLOBAL__N_125multi_tensor_apply_kernelINS1_18TensorListMetadataILi2EEENS1_14UnaryOpFunctorIdLi2ELi1ELi1EEEJNS0_5RsqrtIdEEEEEvT_T0_DpT1_
		.amdhsa_group_segment_fixed_size 0
		.amdhsa_private_segment_fixed_size 0
		.amdhsa_kernarg_size 3408
		.amdhsa_user_sgpr_count 6
		.amdhsa_user_sgpr_private_segment_buffer 1
		.amdhsa_user_sgpr_dispatch_ptr 0
		.amdhsa_user_sgpr_queue_ptr 0
		.amdhsa_user_sgpr_kernarg_segment_ptr 1
		.amdhsa_user_sgpr_dispatch_id 0
		.amdhsa_user_sgpr_flat_scratch_init 0
		.amdhsa_user_sgpr_private_segment_size 0
		.amdhsa_uses_dynamic_stack 0
		.amdhsa_system_sgpr_private_segment_wavefront_offset 0
		.amdhsa_system_sgpr_workgroup_id_x 1
		.amdhsa_system_sgpr_workgroup_id_y 0
		.amdhsa_system_sgpr_workgroup_id_z 0
		.amdhsa_system_sgpr_workgroup_info 0
		.amdhsa_system_vgpr_workitem_id 0
		.amdhsa_next_free_vgpr 36
		.amdhsa_next_free_sgpr 26
		.amdhsa_reserve_vcc 1
		.amdhsa_reserve_flat_scratch 0
		.amdhsa_float_round_mode_32 0
		.amdhsa_float_round_mode_16_64 0
		.amdhsa_float_denorm_mode_32 3
		.amdhsa_float_denorm_mode_16_64 3
		.amdhsa_dx10_clamp 1
		.amdhsa_ieee_mode 1
		.amdhsa_fp16_overflow 0
		.amdhsa_exception_fp_ieee_invalid_op 0
		.amdhsa_exception_fp_denorm_src 0
		.amdhsa_exception_fp_ieee_div_zero 0
		.amdhsa_exception_fp_ieee_overflow 0
		.amdhsa_exception_fp_ieee_underflow 0
		.amdhsa_exception_fp_ieee_inexact 0
		.amdhsa_exception_int_div_zero 0
	.end_amdhsa_kernel
	.section	.text._ZN2at6native12_GLOBAL__N_125multi_tensor_apply_kernelINS1_18TensorListMetadataILi2EEENS1_14UnaryOpFunctorIdLi2ELi1ELi1EEEJNS0_5RsqrtIdEEEEEvT_T0_DpT1_,"axG",@progbits,_ZN2at6native12_GLOBAL__N_125multi_tensor_apply_kernelINS1_18TensorListMetadataILi2EEENS1_14UnaryOpFunctorIdLi2ELi1ELi1EEEJNS0_5RsqrtIdEEEEEvT_T0_DpT1_,comdat
.Lfunc_end293:
	.size	_ZN2at6native12_GLOBAL__N_125multi_tensor_apply_kernelINS1_18TensorListMetadataILi2EEENS1_14UnaryOpFunctorIdLi2ELi1ELi1EEEJNS0_5RsqrtIdEEEEEvT_T0_DpT1_, .Lfunc_end293-_ZN2at6native12_GLOBAL__N_125multi_tensor_apply_kernelINS1_18TensorListMetadataILi2EEENS1_14UnaryOpFunctorIdLi2ELi1ELi1EEEJNS0_5RsqrtIdEEEEEvT_T0_DpT1_
                                        ; -- End function
	.set _ZN2at6native12_GLOBAL__N_125multi_tensor_apply_kernelINS1_18TensorListMetadataILi2EEENS1_14UnaryOpFunctorIdLi2ELi1ELi1EEEJNS0_5RsqrtIdEEEEEvT_T0_DpT1_.num_vgpr, 36
	.set _ZN2at6native12_GLOBAL__N_125multi_tensor_apply_kernelINS1_18TensorListMetadataILi2EEENS1_14UnaryOpFunctorIdLi2ELi1ELi1EEEJNS0_5RsqrtIdEEEEEvT_T0_DpT1_.num_agpr, 0
	.set _ZN2at6native12_GLOBAL__N_125multi_tensor_apply_kernelINS1_18TensorListMetadataILi2EEENS1_14UnaryOpFunctorIdLi2ELi1ELi1EEEJNS0_5RsqrtIdEEEEEvT_T0_DpT1_.numbered_sgpr, 26
	.set _ZN2at6native12_GLOBAL__N_125multi_tensor_apply_kernelINS1_18TensorListMetadataILi2EEENS1_14UnaryOpFunctorIdLi2ELi1ELi1EEEJNS0_5RsqrtIdEEEEEvT_T0_DpT1_.num_named_barrier, 0
	.set _ZN2at6native12_GLOBAL__N_125multi_tensor_apply_kernelINS1_18TensorListMetadataILi2EEENS1_14UnaryOpFunctorIdLi2ELi1ELi1EEEJNS0_5RsqrtIdEEEEEvT_T0_DpT1_.private_seg_size, 0
	.set _ZN2at6native12_GLOBAL__N_125multi_tensor_apply_kernelINS1_18TensorListMetadataILi2EEENS1_14UnaryOpFunctorIdLi2ELi1ELi1EEEJNS0_5RsqrtIdEEEEEvT_T0_DpT1_.uses_vcc, 1
	.set _ZN2at6native12_GLOBAL__N_125multi_tensor_apply_kernelINS1_18TensorListMetadataILi2EEENS1_14UnaryOpFunctorIdLi2ELi1ELi1EEEJNS0_5RsqrtIdEEEEEvT_T0_DpT1_.uses_flat_scratch, 0
	.set _ZN2at6native12_GLOBAL__N_125multi_tensor_apply_kernelINS1_18TensorListMetadataILi2EEENS1_14UnaryOpFunctorIdLi2ELi1ELi1EEEJNS0_5RsqrtIdEEEEEvT_T0_DpT1_.has_dyn_sized_stack, 0
	.set _ZN2at6native12_GLOBAL__N_125multi_tensor_apply_kernelINS1_18TensorListMetadataILi2EEENS1_14UnaryOpFunctorIdLi2ELi1ELi1EEEJNS0_5RsqrtIdEEEEEvT_T0_DpT1_.has_recursion, 0
	.set _ZN2at6native12_GLOBAL__N_125multi_tensor_apply_kernelINS1_18TensorListMetadataILi2EEENS1_14UnaryOpFunctorIdLi2ELi1ELi1EEEJNS0_5RsqrtIdEEEEEvT_T0_DpT1_.has_indirect_call, 0
	.section	.AMDGPU.csdata,"",@progbits
; Kernel info:
; codeLenInByte = 1796
; TotalNumSgprs: 30
; NumVgprs: 36
; ScratchSize: 0
; MemoryBound: 0
; FloatMode: 240
; IeeeMode: 1
; LDSByteSize: 0 bytes/workgroup (compile time only)
; SGPRBlocks: 3
; VGPRBlocks: 8
; NumSGPRsForWavesPerEU: 30
; NumVGPRsForWavesPerEU: 36
; Occupancy: 7
; WaveLimiterHint : 0
; COMPUTE_PGM_RSRC2:SCRATCH_EN: 0
; COMPUTE_PGM_RSRC2:USER_SGPR: 6
; COMPUTE_PGM_RSRC2:TRAP_HANDLER: 0
; COMPUTE_PGM_RSRC2:TGID_X_EN: 1
; COMPUTE_PGM_RSRC2:TGID_Y_EN: 0
; COMPUTE_PGM_RSRC2:TGID_Z_EN: 0
; COMPUTE_PGM_RSRC2:TIDIG_COMP_CNT: 0
	.section	.text._ZN2at6native12_GLOBAL__N_125multi_tensor_apply_kernelINS1_18TensorListMetadataILi2EEENS1_14UnaryOpFunctorIfLi2ELi1ELi1EEEJNS0_5RsqrtIfEEEEEvT_T0_DpT1_,"axG",@progbits,_ZN2at6native12_GLOBAL__N_125multi_tensor_apply_kernelINS1_18TensorListMetadataILi2EEENS1_14UnaryOpFunctorIfLi2ELi1ELi1EEEJNS0_5RsqrtIfEEEEEvT_T0_DpT1_,comdat
	.globl	_ZN2at6native12_GLOBAL__N_125multi_tensor_apply_kernelINS1_18TensorListMetadataILi2EEENS1_14UnaryOpFunctorIfLi2ELi1ELi1EEEJNS0_5RsqrtIfEEEEEvT_T0_DpT1_ ; -- Begin function _ZN2at6native12_GLOBAL__N_125multi_tensor_apply_kernelINS1_18TensorListMetadataILi2EEENS1_14UnaryOpFunctorIfLi2ELi1ELi1EEEJNS0_5RsqrtIfEEEEEvT_T0_DpT1_
	.p2align	8
	.type	_ZN2at6native12_GLOBAL__N_125multi_tensor_apply_kernelINS1_18TensorListMetadataILi2EEENS1_14UnaryOpFunctorIfLi2ELi1ELi1EEEJNS0_5RsqrtIfEEEEEvT_T0_DpT1_,@function
_ZN2at6native12_GLOBAL__N_125multi_tensor_apply_kernelINS1_18TensorListMetadataILi2EEENS1_14UnaryOpFunctorIfLi2ELi1ELi1EEEJNS0_5RsqrtIfEEEEEvT_T0_DpT1_: ; @_ZN2at6native12_GLOBAL__N_125multi_tensor_apply_kernelINS1_18TensorListMetadataILi2EEENS1_14UnaryOpFunctorIfLi2ELi1ELi1EEEJNS0_5RsqrtIfEEEEEvT_T0_DpT1_
; %bb.0:
	v_mov_b32_e32 v1, s6
	global_load_ubyte v1, v1, s[4:5] offset:1536
	s_add_u32 s0, s4, s6
	s_mul_hi_u32 s2, s6, 3
	s_mul_i32 s6, s6, 3
	s_addc_u32 s7, s5, 0
	s_add_u32 s6, s0, s6
	s_addc_u32 s7, s7, s2
	s_load_dword s6, s[6:7], 0x740
	s_mov_b32 s1, 0
	s_mov_b32 s3, s1
	s_waitcnt lgkmcnt(0)
	s_ashr_i32 s7, s6, 31
	s_lshl_b64 s[8:9], s[6:7], 18
	s_lshl_b64 s[6:7], s[6:7], 16
	s_waitcnt vmcnt(0)
	v_readfirstlane_b32 s0, v1
	s_lshl_b32 s0, s0, 3
	s_load_dwordx2 s[10:11], s[4:5], s0 offset:0x400
	s_load_dwordx2 s[16:17], s[4:5], s0 offset:0x0
	;; [unrolled: 1-line block ×3, first 2 shown]
	s_waitcnt lgkmcnt(0)
	s_add_u32 s0, s16, s8
	s_and_b32 s2, s14, 15
	s_and_b32 s0, s0, 15
	s_sub_u32 s12, s10, s6
	s_subb_u32 s13, s11, s7
	s_and_b32 s6, s10, 3
	s_mov_b32 s7, s1
	s_or_b64 s[2:3], s[2:3], s[6:7]
	s_or_b64 s[0:1], s[2:3], s[0:1]
	s_cmp_eq_u64 s[0:1], 0
	s_mov_b64 s[0:1], -1
	s_cbranch_scc0 .LBB294_5
; %bb.1:
	v_mov_b32_e32 v1, 0x10000
	v_mov_b32_e32 v2, 0
	v_cmp_lt_i64_e32 vcc, s[12:13], v[1:2]
	v_mov_b32_e32 v2, 0
	s_and_b64 s[0:1], vcc, exec
	s_cselect_b32 s11, s13, 0
	s_cselect_b32 s10, s12, 0x10000
	v_lshlrev_b32_e32 v1, 2, v0
	v_cmp_gt_i64_e32 vcc, s[10:11], v[1:2]
	s_and_saveexec_b64 s[18:19], vcc
	s_cbranch_execz .LBB294_4
; %bb.2:
	s_load_dword s0, s[4:5], 0xc5c
	v_mov_b32_e32 v1, v2
	v_lshlrev_b32_e32 v2, 4, v0
	v_mov_b32_e32 v4, s9
	v_add_co_u32_e32 v3, vcc, s8, v2
	s_waitcnt lgkmcnt(0)
	s_and_b32 s22, s0, 0xffff
	v_mov_b32_e32 v2, v1
	v_addc_co_u32_e32 v4, vcc, 0, v4, vcc
	s_lshl_b32 s23, s22, 4
	s_mov_b64 s[20:21], 0
	v_mov_b32_e32 v5, s17
	s_mov_b32 s24, 0x800000
	v_mov_b32_e32 v6, s15
	v_mov_b32_e32 v1, v0
.LBB294_3:                              ; =>This Inner Loop Header: Depth=1
	v_add_co_u32_e32 v7, vcc, s16, v3
	v_addc_co_u32_e32 v8, vcc, v5, v4, vcc
	global_load_dwordx4 v[7:10], v[7:8], off
	v_add_co_u32_e32 v11, vcc, s14, v3
	v_addc_co_u32_e32 v12, vcc, v6, v4, vcc
	v_add_co_u32_e32 v1, vcc, s22, v1
	v_addc_co_u32_e32 v2, vcc, 0, v2, vcc
	v_add_co_u32_e32 v3, vcc, s23, v3
	v_lshlrev_b64 v[13:14], 2, v[1:2]
	v_addc_co_u32_e32 v4, vcc, 0, v4, vcc
	v_cmp_le_i64_e32 vcc, s[10:11], v[13:14]
	s_or_b64 s[20:21], vcc, s[20:21]
	s_waitcnt vmcnt(0)
	v_mul_f32_e32 v13, 0x4b800000, v7
	v_mul_f32_e32 v14, 0x4b800000, v8
	v_cmp_gt_f32_e32 vcc, s24, v8
	v_mul_f32_e32 v15, 0x4b800000, v9
	v_cmp_gt_f32_e64 s[0:1], s24, v9
	v_mul_f32_e32 v16, 0x4b800000, v10
	v_cmp_gt_f32_e64 s[2:3], s24, v10
	v_cmp_gt_f32_e64 s[6:7], s24, v7
	v_cndmask_b32_e64 v7, v7, v13, s[6:7]
	v_cndmask_b32_e32 v8, v8, v14, vcc
	v_cndmask_b32_e64 v9, v9, v15, s[0:1]
	v_cndmask_b32_e64 v10, v10, v16, s[2:3]
	v_rsq_f32_e32 v7, v7
	v_rsq_f32_e32 v8, v8
	;; [unrolled: 1-line block ×4, first 2 shown]
	v_mul_f32_e32 v13, 0x45800000, v7
	v_mul_f32_e32 v14, 0x45800000, v8
	;; [unrolled: 1-line block ×4, first 2 shown]
	v_cndmask_b32_e64 v7, v7, v13, s[6:7]
	v_cndmask_b32_e32 v8, v8, v14, vcc
	v_cndmask_b32_e64 v9, v9, v15, s[0:1]
	v_cndmask_b32_e64 v10, v10, v16, s[2:3]
	global_store_dwordx4 v[11:12], v[7:10], off
	s_andn2_b64 exec, exec, s[20:21]
	s_cbranch_execnz .LBB294_3
.LBB294_4:
	s_or_b64 exec, exec, s[18:19]
	s_mov_b64 s[0:1], 0
.LBB294_5:
	s_andn2_b64 vcc, exec, s[0:1]
	s_cbranch_vccnz .LBB294_25
; %bb.6:
	v_cmp_lt_i64_e64 s[0:1], s[12:13], 1
	s_and_b64 vcc, exec, s[0:1]
	s_cbranch_vccnz .LBB294_25
; %bb.7:
	v_mov_b32_e32 v1, 0x10000
	s_load_dword s2, s[4:5], 0xc5c
	v_mov_b32_e32 v2, 0
	v_cmp_lt_i64_e32 vcc, s[12:13], v[1:2]
	v_mov_b32_e32 v10, 0
	s_and_b64 s[0:1], vcc, exec
	v_cmp_lt_u64_e32 vcc, s[12:13], v[1:2]
	s_cselect_b32 s11, s13, 0
	s_cselect_b32 s10, s12, 0x10000
	s_waitcnt lgkmcnt(0)
	s_and_b32 s2, s2, 0xffff
	v_lshlrev_b32_e32 v9, 2, v0
	s_and_b64 s[0:1], vcc, exec
	v_mov_b32_e32 v2, s17
	v_add_co_u32_e32 v1, vcc, s16, v9
	v_mad_u64_u32 v[7:8], s[0:1], s2, 12, v[9:10]
	v_addc_co_u32_e32 v2, vcc, 0, v2, vcc
	v_mov_b32_e32 v4, s15
	v_add_co_u32_e32 v3, vcc, s14, v9
	v_addc_co_u32_e32 v4, vcc, 0, v4, vcc
	v_mov_b32_e32 v6, s17
	v_add_co_u32_e32 v5, vcc, s16, v7
	;; [unrolled: 3-line block ×3, first 2 shown]
	s_cselect_b32 s13, s13, 0
	s_cselect_b32 s12, s12, 0x10000
	v_addc_co_u32_e32 v8, vcc, v10, v8, vcc
	s_lshl_b32 s0, s2, 3
	v_add_co_u32_e32 v11, vcc, s0, v9
	v_addc_co_u32_e64 v12, s[0:1], 0, 0, vcc
	v_mov_b32_e32 v10, s17
	v_add_co_u32_e32 v9, vcc, s16, v11
	v_addc_co_u32_e32 v10, vcc, v10, v12, vcc
	v_mov_b32_e32 v13, s15
	v_add_co_u32_e32 v11, vcc, s14, v11
	v_addc_co_u32_e32 v12, vcc, v13, v12, vcc
	v_add_co_u32_e32 v13, vcc, s2, v0
	v_lshlrev_b32_e32 v17, 2, v13
	v_addc_co_u32_e64 v14, s[0:1], 0, 0, vcc
	v_mov_b32_e32 v16, s17
	v_add_co_u32_e32 v15, vcc, s16, v17
	v_addc_co_u32_e32 v16, vcc, 0, v16, vcc
	v_mov_b32_e32 v18, s15
	v_add_co_u32_e32 v17, vcc, s14, v17
	s_mul_i32 s4, s2, 3
	v_addc_co_u32_e32 v18, vcc, 0, v18, vcc
	s_lshl_b32 s3, s2, 1
	v_add_co_u32_e32 v19, vcc, s4, v0
	v_addc_co_u32_e64 v20, s[0:1], 0, 0, vcc
	v_add_co_u32_e32 v21, vcc, s3, v0
	s_lshl_b32 s18, s2, 2
	s_lshl_b32 s19, s2, 4
	s_mov_b64 s[14:15], 0
	s_mov_b32 s20, 0x800000
	v_addc_co_u32_e64 v22, s[0:1], 0, 0, vcc
	s_branch .LBB294_9
.LBB294_8:                              ;   in Loop: Header=BB294_9 Depth=1
	s_or_b64 exec, exec, s[0:1]
	v_add_co_u32_e32 v1, vcc, s19, v1
	v_addc_co_u32_e32 v2, vcc, 0, v2, vcc
	v_add_co_u32_e32 v3, vcc, s19, v3
	v_addc_co_u32_e32 v4, vcc, 0, v4, vcc
	v_add_co_u32_e32 v5, vcc, s19, v5
	v_addc_co_u32_e32 v6, vcc, 0, v6, vcc
	v_add_co_u32_e32 v7, vcc, s19, v7
	v_addc_co_u32_e32 v8, vcc, 0, v8, vcc
	v_add_co_u32_e32 v9, vcc, s19, v9
	v_addc_co_u32_e32 v10, vcc, 0, v10, vcc
	v_add_co_u32_e32 v11, vcc, s19, v11
	v_addc_co_u32_e32 v12, vcc, 0, v12, vcc
	s_add_u32 s14, s14, s18
	v_add_co_u32_e32 v15, vcc, s19, v15
	s_waitcnt vmcnt(0)
	v_mov_b32_e32 v24, s11
	s_addc_u32 s15, s15, 0
	v_addc_co_u32_e32 v16, vcc, 0, v16, vcc
	v_mov_b32_e32 v23, s10
	v_cmp_ge_i64_e32 vcc, s[14:15], v[23:24]
	v_add_co_u32_e64 v17, s[0:1], s19, v17
	v_addc_co_u32_e64 v18, s[0:1], 0, v18, s[0:1]
	s_cbranch_vccnz .LBB294_25
.LBB294_9:                              ; =>This Inner Loop Header: Depth=1
	v_mov_b32_e32 v24, s15
	v_add_co_u32_e32 v23, vcc, s14, v0
	v_addc_co_u32_e32 v24, vcc, 0, v24, vcc
	v_cmp_gt_u64_e32 vcc, s[12:13], v[23:24]
	v_mov_b32_e32 v24, 0
	s_and_saveexec_b64 s[2:3], vcc
	s_cbranch_execz .LBB294_11
; %bb.10:                               ;   in Loop: Header=BB294_9 Depth=1
	v_mov_b32_e32 v24, s9
	v_add_co_u32_e64 v23, s[0:1], s8, v1
	v_addc_co_u32_e64 v24, s[0:1], v2, v24, s[0:1]
	global_load_dword v24, v[23:24], off
.LBB294_11:                             ;   in Loop: Header=BB294_9 Depth=1
	s_or_b64 exec, exec, s[2:3]
	v_mov_b32_e32 v23, s15
	v_add_co_u32_e64 v25, s[0:1], s14, v13
	v_addc_co_u32_e64 v26, s[0:1], v14, v23, s[0:1]
	v_cmp_gt_u64_e64 s[0:1], s[12:13], v[25:26]
	v_mov_b32_e32 v23, 0
	v_mov_b32_e32 v25, 0
	s_and_saveexec_b64 s[4:5], s[0:1]
	s_cbranch_execz .LBB294_13
; %bb.12:                               ;   in Loop: Header=BB294_9 Depth=1
	v_mov_b32_e32 v26, s9
	v_add_co_u32_e64 v25, s[2:3], s8, v15
	v_addc_co_u32_e64 v26, s[2:3], v16, v26, s[2:3]
	global_load_dword v25, v[25:26], off
.LBB294_13:                             ;   in Loop: Header=BB294_9 Depth=1
	s_or_b64 exec, exec, s[4:5]
	v_mov_b32_e32 v27, s15
	v_add_co_u32_e64 v26, s[2:3], s14, v21
	v_addc_co_u32_e64 v27, s[2:3], v22, v27, s[2:3]
	v_cmp_gt_u64_e64 s[2:3], s[12:13], v[26:27]
	s_and_saveexec_b64 s[6:7], s[2:3]
	s_cbranch_execz .LBB294_15
; %bb.14:                               ;   in Loop: Header=BB294_9 Depth=1
	v_mov_b32_e32 v23, s9
	v_add_co_u32_e64 v26, s[4:5], s8, v9
	v_addc_co_u32_e64 v27, s[4:5], v10, v23, s[4:5]
	global_load_dword v23, v[26:27], off
.LBB294_15:                             ;   in Loop: Header=BB294_9 Depth=1
	s_or_b64 exec, exec, s[6:7]
	v_mov_b32_e32 v27, s15
	v_add_co_u32_e64 v26, s[4:5], s14, v19
	v_addc_co_u32_e64 v27, s[4:5], v20, v27, s[4:5]
	v_cmp_gt_u64_e64 s[4:5], s[12:13], v[26:27]
	v_mov_b32_e32 v26, 0
	s_and_saveexec_b64 s[16:17], s[4:5]
	s_cbranch_execnz .LBB294_20
; %bb.16:                               ;   in Loop: Header=BB294_9 Depth=1
	s_or_b64 exec, exec, s[16:17]
	s_and_saveexec_b64 s[16:17], vcc
	s_cbranch_execnz .LBB294_21
.LBB294_17:                             ;   in Loop: Header=BB294_9 Depth=1
	s_or_b64 exec, exec, s[16:17]
	s_and_saveexec_b64 s[6:7], s[0:1]
	s_cbranch_execnz .LBB294_22
.LBB294_18:                             ;   in Loop: Header=BB294_9 Depth=1
	s_or_b64 exec, exec, s[6:7]
	s_and_saveexec_b64 s[0:1], s[2:3]
	s_cbranch_execnz .LBB294_23
.LBB294_19:                             ;   in Loop: Header=BB294_9 Depth=1
	s_or_b64 exec, exec, s[0:1]
	s_and_saveexec_b64 s[0:1], s[4:5]
	s_cbranch_execz .LBB294_8
	s_branch .LBB294_24
.LBB294_20:                             ;   in Loop: Header=BB294_9 Depth=1
	v_mov_b32_e32 v27, s9
	v_add_co_u32_e64 v26, s[6:7], s8, v5
	v_addc_co_u32_e64 v27, s[6:7], v6, v27, s[6:7]
	global_load_dword v26, v[26:27], off
	s_or_b64 exec, exec, s[16:17]
	s_and_saveexec_b64 s[16:17], vcc
	s_cbranch_execz .LBB294_17
.LBB294_21:                             ;   in Loop: Header=BB294_9 Depth=1
	s_waitcnt vmcnt(0)
	v_mul_f32_e32 v27, 0x4b800000, v24
	v_cmp_gt_f32_e32 vcc, s20, v24
	v_cndmask_b32_e32 v24, v24, v27, vcc
	v_rsq_f32_e32 v24, v24
	v_mov_b32_e32 v28, s9
	v_add_co_u32_e64 v27, s[6:7], s8, v3
	v_mul_f32_e32 v29, 0x45800000, v24
	v_addc_co_u32_e64 v28, s[6:7], v4, v28, s[6:7]
	v_cndmask_b32_e32 v24, v24, v29, vcc
	global_store_dword v[27:28], v24, off
	s_or_b64 exec, exec, s[16:17]
	s_and_saveexec_b64 s[6:7], s[0:1]
	s_cbranch_execz .LBB294_18
.LBB294_22:                             ;   in Loop: Header=BB294_9 Depth=1
	s_waitcnt vmcnt(0)
	v_mul_f32_e32 v24, 0x4b800000, v25
	v_cmp_gt_f32_e32 vcc, s20, v25
	v_cndmask_b32_e32 v24, v25, v24, vcc
	v_rsq_f32_e32 v24, v24
	v_mov_b32_e32 v25, s9
	v_mul_f32_e32 v27, 0x45800000, v24
	v_cndmask_b32_e32 v27, v24, v27, vcc
	v_add_co_u32_e32 v24, vcc, s8, v17
	v_addc_co_u32_e32 v25, vcc, v18, v25, vcc
	global_store_dword v[24:25], v27, off
	s_or_b64 exec, exec, s[6:7]
	s_and_saveexec_b64 s[0:1], s[2:3]
	s_cbranch_execz .LBB294_19
.LBB294_23:                             ;   in Loop: Header=BB294_9 Depth=1
	s_waitcnt vmcnt(0)
	v_mul_f32_e32 v24, 0x4b800000, v23
	v_cmp_gt_f32_e32 vcc, s20, v23
	v_cndmask_b32_e32 v23, v23, v24, vcc
	v_rsq_f32_e32 v23, v23
	v_mov_b32_e32 v24, s9
	v_mul_f32_e32 v25, 0x45800000, v23
	v_cndmask_b32_e32 v25, v23, v25, vcc
	v_add_co_u32_e32 v23, vcc, s8, v11
	v_addc_co_u32_e32 v24, vcc, v12, v24, vcc
	global_store_dword v[23:24], v25, off
	s_or_b64 exec, exec, s[0:1]
	s_and_saveexec_b64 s[0:1], s[4:5]
	s_cbranch_execz .LBB294_8
.LBB294_24:                             ;   in Loop: Header=BB294_9 Depth=1
	s_waitcnt vmcnt(0)
	v_mul_f32_e32 v23, 0x4b800000, v26
	v_cmp_gt_f32_e32 vcc, s20, v26
	v_cndmask_b32_e32 v23, v26, v23, vcc
	v_rsq_f32_e32 v23, v23
	v_mov_b32_e32 v24, s9
	v_mul_f32_e32 v25, 0x45800000, v23
	v_cndmask_b32_e32 v25, v23, v25, vcc
	v_add_co_u32_e32 v23, vcc, s8, v7
	v_addc_co_u32_e32 v24, vcc, v8, v24, vcc
	global_store_dword v[23:24], v25, off
	s_branch .LBB294_8
.LBB294_25:
	s_endpgm
	.section	.rodata,"a",@progbits
	.p2align	6, 0x0
	.amdhsa_kernel _ZN2at6native12_GLOBAL__N_125multi_tensor_apply_kernelINS1_18TensorListMetadataILi2EEENS1_14UnaryOpFunctorIfLi2ELi1ELi1EEEJNS0_5RsqrtIfEEEEEvT_T0_DpT1_
		.amdhsa_group_segment_fixed_size 0
		.amdhsa_private_segment_fixed_size 0
		.amdhsa_kernarg_size 3408
		.amdhsa_user_sgpr_count 6
		.amdhsa_user_sgpr_private_segment_buffer 1
		.amdhsa_user_sgpr_dispatch_ptr 0
		.amdhsa_user_sgpr_queue_ptr 0
		.amdhsa_user_sgpr_kernarg_segment_ptr 1
		.amdhsa_user_sgpr_dispatch_id 0
		.amdhsa_user_sgpr_flat_scratch_init 0
		.amdhsa_user_sgpr_private_segment_size 0
		.amdhsa_uses_dynamic_stack 0
		.amdhsa_system_sgpr_private_segment_wavefront_offset 0
		.amdhsa_system_sgpr_workgroup_id_x 1
		.amdhsa_system_sgpr_workgroup_id_y 0
		.amdhsa_system_sgpr_workgroup_id_z 0
		.amdhsa_system_sgpr_workgroup_info 0
		.amdhsa_system_vgpr_workitem_id 0
		.amdhsa_next_free_vgpr 30
		.amdhsa_next_free_sgpr 25
		.amdhsa_reserve_vcc 1
		.amdhsa_reserve_flat_scratch 0
		.amdhsa_float_round_mode_32 0
		.amdhsa_float_round_mode_16_64 0
		.amdhsa_float_denorm_mode_32 3
		.amdhsa_float_denorm_mode_16_64 3
		.amdhsa_dx10_clamp 1
		.amdhsa_ieee_mode 1
		.amdhsa_fp16_overflow 0
		.amdhsa_exception_fp_ieee_invalid_op 0
		.amdhsa_exception_fp_denorm_src 0
		.amdhsa_exception_fp_ieee_div_zero 0
		.amdhsa_exception_fp_ieee_overflow 0
		.amdhsa_exception_fp_ieee_underflow 0
		.amdhsa_exception_fp_ieee_inexact 0
		.amdhsa_exception_int_div_zero 0
	.end_amdhsa_kernel
	.section	.text._ZN2at6native12_GLOBAL__N_125multi_tensor_apply_kernelINS1_18TensorListMetadataILi2EEENS1_14UnaryOpFunctorIfLi2ELi1ELi1EEEJNS0_5RsqrtIfEEEEEvT_T0_DpT1_,"axG",@progbits,_ZN2at6native12_GLOBAL__N_125multi_tensor_apply_kernelINS1_18TensorListMetadataILi2EEENS1_14UnaryOpFunctorIfLi2ELi1ELi1EEEJNS0_5RsqrtIfEEEEEvT_T0_DpT1_,comdat
.Lfunc_end294:
	.size	_ZN2at6native12_GLOBAL__N_125multi_tensor_apply_kernelINS1_18TensorListMetadataILi2EEENS1_14UnaryOpFunctorIfLi2ELi1ELi1EEEJNS0_5RsqrtIfEEEEEvT_T0_DpT1_, .Lfunc_end294-_ZN2at6native12_GLOBAL__N_125multi_tensor_apply_kernelINS1_18TensorListMetadataILi2EEENS1_14UnaryOpFunctorIfLi2ELi1ELi1EEEJNS0_5RsqrtIfEEEEEvT_T0_DpT1_
                                        ; -- End function
	.set _ZN2at6native12_GLOBAL__N_125multi_tensor_apply_kernelINS1_18TensorListMetadataILi2EEENS1_14UnaryOpFunctorIfLi2ELi1ELi1EEEJNS0_5RsqrtIfEEEEEvT_T0_DpT1_.num_vgpr, 30
	.set _ZN2at6native12_GLOBAL__N_125multi_tensor_apply_kernelINS1_18TensorListMetadataILi2EEENS1_14UnaryOpFunctorIfLi2ELi1ELi1EEEJNS0_5RsqrtIfEEEEEvT_T0_DpT1_.num_agpr, 0
	.set _ZN2at6native12_GLOBAL__N_125multi_tensor_apply_kernelINS1_18TensorListMetadataILi2EEENS1_14UnaryOpFunctorIfLi2ELi1ELi1EEEJNS0_5RsqrtIfEEEEEvT_T0_DpT1_.numbered_sgpr, 25
	.set _ZN2at6native12_GLOBAL__N_125multi_tensor_apply_kernelINS1_18TensorListMetadataILi2EEENS1_14UnaryOpFunctorIfLi2ELi1ELi1EEEJNS0_5RsqrtIfEEEEEvT_T0_DpT1_.num_named_barrier, 0
	.set _ZN2at6native12_GLOBAL__N_125multi_tensor_apply_kernelINS1_18TensorListMetadataILi2EEENS1_14UnaryOpFunctorIfLi2ELi1ELi1EEEJNS0_5RsqrtIfEEEEEvT_T0_DpT1_.private_seg_size, 0
	.set _ZN2at6native12_GLOBAL__N_125multi_tensor_apply_kernelINS1_18TensorListMetadataILi2EEENS1_14UnaryOpFunctorIfLi2ELi1ELi1EEEJNS0_5RsqrtIfEEEEEvT_T0_DpT1_.uses_vcc, 1
	.set _ZN2at6native12_GLOBAL__N_125multi_tensor_apply_kernelINS1_18TensorListMetadataILi2EEENS1_14UnaryOpFunctorIfLi2ELi1ELi1EEEJNS0_5RsqrtIfEEEEEvT_T0_DpT1_.uses_flat_scratch, 0
	.set _ZN2at6native12_GLOBAL__N_125multi_tensor_apply_kernelINS1_18TensorListMetadataILi2EEENS1_14UnaryOpFunctorIfLi2ELi1ELi1EEEJNS0_5RsqrtIfEEEEEvT_T0_DpT1_.has_dyn_sized_stack, 0
	.set _ZN2at6native12_GLOBAL__N_125multi_tensor_apply_kernelINS1_18TensorListMetadataILi2EEENS1_14UnaryOpFunctorIfLi2ELi1ELi1EEEJNS0_5RsqrtIfEEEEEvT_T0_DpT1_.has_recursion, 0
	.set _ZN2at6native12_GLOBAL__N_125multi_tensor_apply_kernelINS1_18TensorListMetadataILi2EEENS1_14UnaryOpFunctorIfLi2ELi1ELi1EEEJNS0_5RsqrtIfEEEEEvT_T0_DpT1_.has_indirect_call, 0
	.section	.AMDGPU.csdata,"",@progbits
; Kernel info:
; codeLenInByte = 1540
; TotalNumSgprs: 29
; NumVgprs: 30
; ScratchSize: 0
; MemoryBound: 0
; FloatMode: 240
; IeeeMode: 1
; LDSByteSize: 0 bytes/workgroup (compile time only)
; SGPRBlocks: 3
; VGPRBlocks: 7
; NumSGPRsForWavesPerEU: 29
; NumVGPRsForWavesPerEU: 30
; Occupancy: 8
; WaveLimiterHint : 0
; COMPUTE_PGM_RSRC2:SCRATCH_EN: 0
; COMPUTE_PGM_RSRC2:USER_SGPR: 6
; COMPUTE_PGM_RSRC2:TRAP_HANDLER: 0
; COMPUTE_PGM_RSRC2:TGID_X_EN: 1
; COMPUTE_PGM_RSRC2:TGID_Y_EN: 0
; COMPUTE_PGM_RSRC2:TGID_Z_EN: 0
; COMPUTE_PGM_RSRC2:TIDIG_COMP_CNT: 0
	.section	.text._ZN2at6native12_GLOBAL__N_125multi_tensor_apply_kernelINS1_18TensorListMetadataILi2EEENS1_14UnaryOpFunctorIN3c107complexIdEELi2ELi1ELi1EEEJNS0_5RsqrtIS8_EEEEEvT_T0_DpT1_,"axG",@progbits,_ZN2at6native12_GLOBAL__N_125multi_tensor_apply_kernelINS1_18TensorListMetadataILi2EEENS1_14UnaryOpFunctorIN3c107complexIdEELi2ELi1ELi1EEEJNS0_5RsqrtIS8_EEEEEvT_T0_DpT1_,comdat
	.globl	_ZN2at6native12_GLOBAL__N_125multi_tensor_apply_kernelINS1_18TensorListMetadataILi2EEENS1_14UnaryOpFunctorIN3c107complexIdEELi2ELi1ELi1EEEJNS0_5RsqrtIS8_EEEEEvT_T0_DpT1_ ; -- Begin function _ZN2at6native12_GLOBAL__N_125multi_tensor_apply_kernelINS1_18TensorListMetadataILi2EEENS1_14UnaryOpFunctorIN3c107complexIdEELi2ELi1ELi1EEEJNS0_5RsqrtIS8_EEEEEvT_T0_DpT1_
	.p2align	8
	.type	_ZN2at6native12_GLOBAL__N_125multi_tensor_apply_kernelINS1_18TensorListMetadataILi2EEENS1_14UnaryOpFunctorIN3c107complexIdEELi2ELi1ELi1EEEJNS0_5RsqrtIS8_EEEEEvT_T0_DpT1_,@function
_ZN2at6native12_GLOBAL__N_125multi_tensor_apply_kernelINS1_18TensorListMetadataILi2EEENS1_14UnaryOpFunctorIN3c107complexIdEELi2ELi1ELi1EEEJNS0_5RsqrtIS8_EEEEEvT_T0_DpT1_: ; @_ZN2at6native12_GLOBAL__N_125multi_tensor_apply_kernelINS1_18TensorListMetadataILi2EEENS1_14UnaryOpFunctorIN3c107complexIdEELi2ELi1ELi1EEEJNS0_5RsqrtIS8_EEEEEvT_T0_DpT1_
; %bb.0:
	v_mov_b32_e32 v1, s6
	global_load_ubyte v1, v1, s[4:5] offset:1536
	s_add_u32 s0, s4, s6
	s_mul_hi_u32 s2, s6, 3
	s_mul_i32 s6, s6, 3
	s_addc_u32 s7, s5, 0
	s_add_u32 s6, s0, s6
	s_addc_u32 s7, s7, s2
	s_load_dword s6, s[6:7], 0x740
	s_mov_b32 s1, 0
	s_mov_b32 s3, s1
	s_waitcnt lgkmcnt(0)
	s_ashr_i32 s7, s6, 31
	s_lshl_b64 s[16:17], s[6:7], 20
	s_waitcnt vmcnt(0)
	v_readfirstlane_b32 s0, v1
	s_lshl_b32 s0, s0, 3
	s_load_dwordx2 s[8:9], s[4:5], s0 offset:0x0
	s_load_dwordx2 s[10:11], s[4:5], s0 offset:0x400
	;; [unrolled: 1-line block ×3, first 2 shown]
	s_waitcnt lgkmcnt(0)
	s_add_u32 s12, s8, s16
	s_addc_u32 s13, s9, s17
	s_and_b32 s0, s12, 63
	s_add_u32 s14, s14, s16
	s_addc_u32 s15, s15, s17
	s_lshl_b64 s[6:7], s[6:7], 16
	s_and_b32 s2, s14, 63
	s_sub_u32 s6, s10, s6
	s_subb_u32 s7, s11, s7
	s_and_b32 s8, s10, 3
	s_mov_b32 s9, s1
	s_or_b64 s[2:3], s[2:3], s[8:9]
	s_or_b64 s[0:1], s[2:3], s[0:1]
	s_cmp_eq_u64 s[0:1], 0
	s_mov_b64 s[0:1], -1
	s_cbranch_scc0 .LBB295_157
; %bb.1:
	v_mov_b32_e32 v1, 0x10000
	v_mov_b32_e32 v2, 0
	v_cmp_lt_i64_e32 vcc, s[6:7], v[1:2]
	v_mov_b32_e32 v2, 0
	s_and_b64 s[0:1], vcc, exec
	s_cselect_b32 s9, s7, 0
	s_cselect_b32 s8, s6, 0x10000
	v_lshlrev_b32_e32 v1, 2, v0
	v_cmp_gt_i64_e32 vcc, s[8:9], v[1:2]
	s_and_saveexec_b64 s[10:11], vcc
	s_cbranch_execz .LBB295_156
; %bb.2:
	s_load_dword s0, s[4:5], 0xc5c
	v_mov_b32_e32 v1, v2
	s_mov_b32 s18, 0
	s_mov_b32 s20, 0x99fcef32
	s_mov_b32 s22, 0
	s_waitcnt lgkmcnt(0)
	s_and_b32 s33, s0, 0xffff
	s_mov_b32 s24, 0
	v_mov_b32_e32 v24, v1
	v_lshlrev_b32_e32 v27, 6, v0
	s_mov_b64 s[16:17], 0
	s_lshl_b32 s44, s33, 6
	s_mov_b32 s19, 0x7ff00000
	s_mov_b32 s21, 0x7fda8279
	;; [unrolled: 1-line block ×3, first 2 shown]
	s_movk_i32 s45, 0x204
	s_brev_b32 s25, 8
	v_mov_b32_e32 v28, 0x260
	s_brev_b32 s46, -2
	v_mov_b32_e32 v29, 0x7ff80000
	v_mov_b32_e32 v30, 0x7ff00000
	v_mov_b32_e32 v31, 0x100
	v_mov_b32_e32 v32, 0xffffff80
	s_mov_b64 s[26:27], s[12:13]
	s_mov_b64 s[28:29], s[14:15]
	v_mov_b32_e32 v23, v0
	s_branch .LBB295_4
.LBB295_3:                              ;   in Loop: Header=BB295_4 Depth=1
	s_or_b64 exec, exec, s[0:1]
	v_mov_b32_e32 v2, s29
	v_add_co_u32_e32 v1, vcc, s28, v27
	v_addc_co_u32_e32 v2, vcc, 0, v2, vcc
	v_add_co_u32_e32 v23, vcc, s33, v23
	v_addc_co_u32_e32 v24, vcc, 0, v24, vcc
	v_lshlrev_b64 v[3:4], 2, v[23:24]
	s_add_u32 s28, s28, s44
	s_addc_u32 s29, s29, 0
	s_add_u32 s26, s26, s44
	v_cmp_le_i64_e32 vcc, s[8:9], v[3:4]
	s_addc_u32 s27, s27, 0
	s_or_b64 s[16:17], vcc, s[16:17]
	global_store_dwordx4 v[1:2], v[5:8], off
	global_store_dwordx4 v[1:2], v[13:16], off offset:16
	global_store_dwordx4 v[1:2], v[17:20], off offset:32
	;; [unrolled: 1-line block ×3, first 2 shown]
	s_andn2_b64 exec, exec, s[16:17]
	s_cbranch_execz .LBB295_156
.LBB295_4:                              ; =>This Inner Loop Header: Depth=1
	v_mov_b32_e32 v1, s27
	v_add_co_u32_e32 v5, vcc, s26, v27
	v_addc_co_u32_e32 v6, vcc, 0, v1, vcc
	global_load_dwordx4 v[19:22], v[5:6], off
	global_load_dwordx4 v[15:18], v[5:6], off offset:16
	global_load_dwordx4 v[1:4], v[5:6], off offset:48
	;; [unrolled: 1-line block ×3, first 2 shown]
	v_mov_b32_e32 v13, 0
	v_mov_b32_e32 v14, 0
	s_waitcnt vmcnt(3)
	v_cmp_neq_f64_e32 vcc, 0, v[19:20]
	v_cmp_neq_f64_e64 s[0:1], 0, v[21:22]
	s_or_b64 s[0:1], vcc, s[0:1]
	s_and_saveexec_b64 s[30:31], s[0:1]
	s_cbranch_execz .LBB295_33
; %bb.5:                                ;   in Loop: Header=BB295_4 Depth=1
	v_mov_b32_e32 v13, 0
	v_mov_b32_e32 v14, 0x7ff00000
	v_cmp_neq_f64_e64 s[0:1], |v[21:22]|, v[13:14]
	s_and_saveexec_b64 s[34:35], s[0:1]
	s_cbranch_execz .LBB295_32
; %bb.6:                                ;   in Loop: Header=BB295_4 Depth=1
	v_cmp_o_f64_e32 vcc, v[19:20], v[19:20]
                                        ; implicit-def: $vgpr13_vgpr14
	s_and_saveexec_b64 s[0:1], vcc
	s_xor_b64 s[36:37], exec, s[0:1]
	s_cbranch_execz .LBB295_29
; %bb.7:                                ;   in Loop: Header=BB295_4 Depth=1
	v_cmp_neq_f64_e64 s[0:1], |v[19:20]|, s[18:19]
                                        ; implicit-def: $vgpr13_vgpr14
	s_and_saveexec_b64 s[2:3], s[0:1]
	s_xor_b64 s[38:39], exec, s[2:3]
	s_cbranch_execz .LBB295_23
; %bb.8:                                ;   in Loop: Header=BB295_4 Depth=1
	v_max_f64 v[5:6], |v[21:22]|, |v[21:22]|
	v_max_f64 v[7:8], |v[19:20]|, |v[19:20]|
                                        ; implicit-def: $sgpr40_sgpr41
	v_max_f64 v[5:6], v[7:8], v[5:6]
	v_cmp_nle_f64_e64 s[0:1], s[20:21], v[5:6]
	s_and_saveexec_b64 s[2:3], s[0:1]
	s_xor_b64 s[2:3], exec, s[2:3]
	s_cbranch_execz .LBB295_12
; %bb.9:                                ;   in Loop: Header=BB295_4 Depth=1
	v_cmp_le_f64_e64 s[40:41], |v[19:20]|, s[22:23]
	v_cmp_le_f64_e64 s[42:43], |v[21:22]|, s[22:23]
	s_and_b64 s[48:49], s[40:41], s[42:43]
	s_mov_b64 s[40:41], 0
	s_and_saveexec_b64 s[42:43], s[48:49]
	s_cbranch_execz .LBB295_11
; %bb.10:                               ;   in Loop: Header=BB295_4 Depth=1
	v_mul_f64 v[19:20], v[19:20], 4.0
	v_mul_f64 v[21:22], v[21:22], 4.0
	s_mov_b64 s[40:41], exec
.LBB295_11:                             ;   in Loop: Header=BB295_4 Depth=1
	s_or_b64 exec, exec, s[42:43]
.LBB295_12:                             ;   in Loop: Header=BB295_4 Depth=1
	s_andn2_saveexec_b64 s[2:3], s[2:3]
	s_cbranch_execz .LBB295_14
; %bb.13:                               ;   in Loop: Header=BB295_4 Depth=1
	v_ldexp_f64 v[19:20], v[19:20], -2
	v_ldexp_f64 v[21:22], v[21:22], -2
	s_andn2_b64 s[40:41], s[40:41], exec
.LBB295_14:                             ;   in Loop: Header=BB295_4 Depth=1
	s_or_b64 exec, exec, s[2:3]
	v_max_f64 v[5:6], |v[21:22]|, |v[21:22]|
	v_max_f64 v[7:8], |v[19:20]|, |v[19:20]|
	v_cmp_class_f64_e64 s[42:43], v[19:20], s45
	v_cmp_class_f64_e64 s[48:49], v[21:22], s45
	v_cmp_le_f64_e64 s[2:3], 0, v[19:20]
	v_max_f64 v[5:6], v[7:8], v[5:6]
	v_frexp_exp_i32_f64_e32 v33, v[5:6]
	v_sub_u32_e32 v7, 0, v33
	v_ldexp_f64 v[5:6], |v[21:22]|, v7
	v_ldexp_f64 v[7:8], |v[19:20]|, v7
	v_mul_f64 v[5:6], v[5:6], v[5:6]
	v_fma_f64 v[5:6], v[7:8], v[7:8], v[5:6]
	v_rsq_f64_e32 v[7:8], v[5:6]
	v_cmp_eq_f64_e32 vcc, 0, v[5:6]
	v_mul_f64 v[13:14], v[5:6], v[7:8]
	v_mul_f64 v[7:8], v[7:8], 0.5
	v_fma_f64 v[25:26], -v[7:8], v[13:14], 0.5
	v_fma_f64 v[13:14], v[13:14], v[25:26], v[13:14]
	v_fma_f64 v[7:8], v[7:8], v[25:26], v[7:8]
	v_fma_f64 v[25:26], -v[13:14], v[13:14], v[5:6]
	v_fma_f64 v[7:8], v[25:26], v[7:8], v[13:14]
	v_cndmask_b32_e32 v6, v8, v6, vcc
	v_cndmask_b32_e32 v5, v7, v5, vcc
	v_ldexp_f64 v[5:6], v[5:6], v33
	v_cmp_o_f64_e32 vcc, v[21:22], v[21:22]
                                        ; implicit-def: $vgpr7_vgpr8
	v_cndmask_b32_e32 v5, 0, v5, vcc
	v_cndmask_b32_e32 v6, v29, v6, vcc
	s_or_b64 vcc, s[48:49], s[42:43]
	v_cndmask_b32_e32 v14, v6, v30, vcc
	v_cndmask_b32_e64 v13, v5, 0, vcc
                                        ; implicit-def: $vgpr5_vgpr6
	s_and_saveexec_b64 s[42:43], s[2:3]
	s_xor_b64 s[2:3], exec, s[42:43]
	s_cbranch_execz .LBB295_16
; %bb.15:                               ;   in Loop: Header=BB295_4 Depth=1
	v_add_f64 v[5:6], v[19:20], v[13:14]
	v_mul_f64 v[5:6], v[5:6], 0.5
	v_cmp_gt_f64_e32 vcc, s[24:25], v[5:6]
	v_cndmask_b32_e32 v7, 0, v31, vcc
	v_ldexp_f64 v[5:6], v[5:6], v7
	v_rsq_f64_e32 v[7:8], v[5:6]
	v_mul_f64 v[13:14], v[5:6], v[7:8]
	v_mul_f64 v[7:8], v[7:8], 0.5
	v_fma_f64 v[19:20], -v[7:8], v[13:14], 0.5
	v_fma_f64 v[13:14], v[13:14], v[19:20], v[13:14]
	v_fma_f64 v[7:8], v[7:8], v[19:20], v[7:8]
	v_fma_f64 v[19:20], -v[13:14], v[13:14], v[5:6]
	v_fma_f64 v[13:14], v[19:20], v[7:8], v[13:14]
	v_fma_f64 v[19:20], -v[13:14], v[13:14], v[5:6]
	v_fma_f64 v[7:8], v[19:20], v[7:8], v[13:14]
	v_cndmask_b32_e32 v13, 0, v32, vcc
	v_cmp_class_f64_e32 vcc, v[5:6], v28
	v_ldexp_f64 v[7:8], v[7:8], v13
	v_cndmask_b32_e32 v8, v8, v6, vcc
	v_cndmask_b32_e32 v7, v7, v5, vcc
	v_add_f64 v[5:6], v[7:8], v[7:8]
	v_div_scale_f64 v[13:14], s[42:43], v[5:6], v[5:6], v[21:22]
	v_div_scale_f64 v[33:34], vcc, v[21:22], v[5:6], v[21:22]
	v_rcp_f64_e32 v[19:20], v[13:14]
	v_fma_f64 v[25:26], -v[13:14], v[19:20], 1.0
	v_fma_f64 v[19:20], v[19:20], v[25:26], v[19:20]
	v_fma_f64 v[25:26], -v[13:14], v[19:20], 1.0
	v_fma_f64 v[19:20], v[19:20], v[25:26], v[19:20]
	v_mul_f64 v[25:26], v[33:34], v[19:20]
	v_fma_f64 v[13:14], -v[13:14], v[25:26], v[33:34]
	v_div_fmas_f64 v[13:14], v[13:14], v[19:20], v[25:26]
	v_div_fixup_f64 v[5:6], v[13:14], v[5:6], v[21:22]
                                        ; implicit-def: $vgpr13_vgpr14
                                        ; implicit-def: $vgpr19_vgpr20
	s_andn2_saveexec_b64 s[2:3], s[2:3]
	s_cbranch_execz .LBB295_18
	s_branch .LBB295_17
.LBB295_16:                             ;   in Loop: Header=BB295_4 Depth=1
	s_andn2_saveexec_b64 s[2:3], s[2:3]
	s_cbranch_execz .LBB295_18
.LBB295_17:                             ;   in Loop: Header=BB295_4 Depth=1
	v_add_f64 v[5:6], v[13:14], -v[19:20]
	v_mul_f64 v[5:6], v[5:6], 0.5
	v_cmp_gt_f64_e32 vcc, s[24:25], v[5:6]
	v_cndmask_b32_e32 v7, 0, v31, vcc
	v_ldexp_f64 v[5:6], v[5:6], v7
	v_rsq_f64_e32 v[7:8], v[5:6]
	v_mul_f64 v[13:14], v[5:6], v[7:8]
	v_mul_f64 v[7:8], v[7:8], 0.5
	v_fma_f64 v[19:20], -v[7:8], v[13:14], 0.5
	v_fma_f64 v[13:14], v[13:14], v[19:20], v[13:14]
	v_fma_f64 v[7:8], v[7:8], v[19:20], v[7:8]
	v_fma_f64 v[19:20], -v[13:14], v[13:14], v[5:6]
	v_fma_f64 v[13:14], v[19:20], v[7:8], v[13:14]
	v_fma_f64 v[19:20], -v[13:14], v[13:14], v[5:6]
	v_fma_f64 v[7:8], v[19:20], v[7:8], v[13:14]
	v_cndmask_b32_e32 v13, 0, v32, vcc
	v_cmp_class_f64_e32 vcc, v[5:6], v28
	v_and_b32_e32 v14, 0x7fffffff, v22
	v_ldexp_f64 v[7:8], v[7:8], v13
	v_mov_b32_e32 v13, v21
	v_cndmask_b32_e32 v6, v8, v6, vcc
	v_cndmask_b32_e32 v5, v7, v5, vcc
	v_add_f64 v[7:8], v[5:6], v[5:6]
	v_bfi_b32 v6, s46, v6, v22
	v_div_scale_f64 v[19:20], s[42:43], v[7:8], v[7:8], v[13:14]
	v_div_scale_f64 v[13:14], vcc, v[13:14], v[7:8], v[13:14]
	v_rcp_f64_e32 v[25:26], v[19:20]
	v_fma_f64 v[33:34], -v[19:20], v[25:26], 1.0
	v_fma_f64 v[25:26], v[25:26], v[33:34], v[25:26]
	v_fma_f64 v[33:34], -v[19:20], v[25:26], 1.0
	v_fma_f64 v[25:26], v[25:26], v[33:34], v[25:26]
	v_mul_f64 v[33:34], v[13:14], v[25:26]
	v_fma_f64 v[13:14], -v[19:20], v[33:34], v[13:14]
	v_div_fmas_f64 v[13:14], v[13:14], v[25:26], v[33:34]
	v_div_fixup_f64 v[7:8], v[13:14], v[7:8], |v[21:22]|
.LBB295_18:                             ;   in Loop: Header=BB295_4 Depth=1
	s_or_b64 exec, exec, s[2:3]
                                        ; implicit-def: $vgpr21_vgpr22
                                        ; implicit-def: $vgpr13_vgpr14
	s_and_saveexec_b64 s[2:3], s[0:1]
	s_xor_b64 s[0:1], exec, s[2:3]
	s_cbranch_execz .LBB295_20
; %bb.19:                               ;   in Loop: Header=BB295_4 Depth=1
	v_mul_f64 v[13:14], v[7:8], 0.5
	v_mul_f64 v[19:20], v[5:6], 0.5
	v_cndmask_b32_e64 v14, v8, v14, s[40:41]
	v_cndmask_b32_e64 v13, v7, v13, s[40:41]
	;; [unrolled: 1-line block ×4, first 2 shown]
                                        ; implicit-def: $vgpr7_vgpr8
                                        ; implicit-def: $vgpr5_vgpr6
	s_andn2_saveexec_b64 s[0:1], s[0:1]
	s_cbranch_execnz .LBB295_21
	s_branch .LBB295_22
.LBB295_20:                             ;   in Loop: Header=BB295_4 Depth=1
	s_andn2_saveexec_b64 s[0:1], s[0:1]
	s_cbranch_execz .LBB295_22
.LBB295_21:                             ;   in Loop: Header=BB295_4 Depth=1
	v_add_f64 v[13:14], v[7:8], v[7:8]
	v_add_f64 v[21:22], v[5:6], v[5:6]
.LBB295_22:                             ;   in Loop: Header=BB295_4 Depth=1
	s_or_b64 exec, exec, s[0:1]
.LBB295_23:                             ;   in Loop: Header=BB295_4 Depth=1
	s_andn2_saveexec_b64 s[0:1], s[38:39]
	s_cbranch_execz .LBB295_53
; %bb.24:                               ;   in Loop: Header=BB295_4 Depth=1
	v_add_f64 v[5:6], v[21:22], -v[21:22]
	v_cmp_lt_i64_e32 vcc, -1, v[19:20]
	v_and_b32_e32 v14, 0x7fffffff, v6
	v_mov_b32_e32 v13, v5
	s_and_saveexec_b64 s[2:3], vcc
	s_xor_b64 s[2:3], exec, s[2:3]
; %bb.25:                               ;   in Loop: Header=BB295_4 Depth=1
	v_bfi_b32 v6, s46, v6, v22
	v_mov_b32_e32 v22, v6
	v_mov_b32_e32 v13, v19
	;; [unrolled: 1-line block ×4, first 2 shown]
; %bb.26:                               ;   in Loop: Header=BB295_4 Depth=1
	s_andn2_saveexec_b64 s[2:3], s[2:3]
; %bb.27:                               ;   in Loop: Header=BB295_4 Depth=1
	v_bfi_b32 v20, s46, v20, v22
	v_mov_b32_e32 v22, v20
	v_mov_b32_e32 v21, v19
; %bb.28:                               ;   in Loop: Header=BB295_4 Depth=1
	s_or_b64 exec, exec, s[2:3]
	s_or_b64 exec, exec, s[0:1]
.LBB295_29:                             ;   in Loop: Header=BB295_4 Depth=1
	s_andn2_saveexec_b64 s[0:1], s[36:37]
	s_cbranch_execz .LBB295_31
.LBB295_30:                             ;   in Loop: Header=BB295_4 Depth=1
	v_add_f64 v[5:6], v[21:22], -v[21:22]
	v_div_scale_f64 v[7:8], vcc, v[5:6], v[5:6], v[5:6]
	v_rcp_f64_e32 v[13:14], v[7:8]
	v_fma_f64 v[21:22], -v[7:8], v[13:14], 1.0
	v_fma_f64 v[13:14], v[13:14], v[21:22], v[13:14]
	v_fma_f64 v[21:22], -v[7:8], v[13:14], 1.0
	v_fma_f64 v[13:14], v[13:14], v[21:22], v[13:14]
	v_mul_f64 v[21:22], v[7:8], v[13:14]
	v_fma_f64 v[7:8], -v[7:8], v[21:22], v[7:8]
	v_div_fmas_f64 v[7:8], v[7:8], v[13:14], v[21:22]
	v_mov_b32_e32 v13, v19
	v_mov_b32_e32 v14, v20
	v_div_fixup_f64 v[21:22], v[7:8], v[5:6], v[5:6]
.LBB295_31:                             ;   in Loop: Header=BB295_4 Depth=1
	s_or_b64 exec, exec, s[0:1]
.LBB295_32:                             ;   in Loop: Header=BB295_4 Depth=1
	s_or_b64 exec, exec, s[34:35]
.LBB295_33:                             ;   in Loop: Header=BB295_4 Depth=1
	s_or_b64 exec, exec, s[30:31]
	v_cmp_gt_f64_e32 vcc, 0, v[13:14]
	v_xor_b32_e32 v5, 0x80000000, v14
	v_mov_b32_e32 v19, v13
	v_mov_b32_e32 v25, v21
	v_cndmask_b32_e32 v20, v14, v5, vcc
	v_cmp_gt_f64_e32 vcc, 0, v[21:22]
	v_xor_b32_e32 v5, 0x80000000, v22
	v_cndmask_b32_e32 v26, v22, v5, vcc
	v_cmp_ge_f64_e32 vcc, v[19:20], v[25:26]
                                        ; implicit-def: $vgpr7_vgpr8
	s_and_saveexec_b64 s[0:1], vcc
	s_xor_b64 s[2:3], exec, s[0:1]
	s_cbranch_execz .LBB295_39
; %bb.34:                               ;   in Loop: Header=BB295_4 Depth=1
	v_cmp_neq_f64_e32 vcc, 0, v[13:14]
	v_cmp_neq_f64_e64 s[0:1], 0, v[21:22]
                                        ; implicit-def: $vgpr7_vgpr8
	s_or_b64 s[0:1], vcc, s[0:1]
	s_and_saveexec_b64 s[30:31], s[0:1]
	s_xor_b64 s[0:1], exec, s[30:31]
	s_cbranch_execz .LBB295_36
; %bb.35:                               ;   in Loop: Header=BB295_4 Depth=1
	v_div_scale_f64 v[5:6], s[30:31], v[13:14], v[13:14], v[21:22]
	v_rcp_f64_e32 v[7:8], v[5:6]
	v_fma_f64 v[19:20], -v[5:6], v[7:8], 1.0
	v_fma_f64 v[7:8], v[7:8], v[19:20], v[7:8]
	v_div_scale_f64 v[19:20], vcc, v[21:22], v[13:14], v[21:22]
	v_fma_f64 v[25:26], -v[5:6], v[7:8], 1.0
	v_fma_f64 v[7:8], v[7:8], v[25:26], v[7:8]
	v_mul_f64 v[25:26], v[19:20], v[7:8]
	v_fma_f64 v[5:6], -v[5:6], v[25:26], v[19:20]
	v_div_fmas_f64 v[5:6], v[5:6], v[7:8], v[25:26]
	v_div_fixup_f64 v[5:6], v[5:6], v[13:14], v[21:22]
	v_fma_f64 v[7:8], v[21:22], v[5:6], v[13:14]
	v_div_scale_f64 v[13:14], s[30:31], v[7:8], v[7:8], 1.0
	v_rcp_f64_e32 v[19:20], v[13:14]
	v_fma_f64 v[21:22], -v[13:14], v[19:20], 1.0
	v_fma_f64 v[19:20], v[19:20], v[21:22], v[19:20]
	v_div_scale_f64 v[21:22], vcc, 1.0, v[7:8], 1.0
	v_fma_f64 v[25:26], -v[13:14], v[19:20], 1.0
	v_fma_f64 v[19:20], v[19:20], v[25:26], v[19:20]
	v_mul_f64 v[25:26], v[21:22], v[19:20]
	v_fma_f64 v[13:14], -v[13:14], v[25:26], v[21:22]
	v_div_fmas_f64 v[13:14], v[13:14], v[19:20], v[25:26]
	v_fma_f64 v[19:20], v[5:6], 0, 1.0
                                        ; implicit-def: $vgpr25_vgpr26
	v_div_fixup_f64 v[7:8], v[13:14], v[7:8], 1.0
	v_add_f64 v[13:14], -v[5:6], 0
	v_mul_f64 v[5:6], v[19:20], v[7:8]
	v_mul_f64 v[7:8], v[13:14], v[7:8]
                                        ; implicit-def: $vgpr19_vgpr20
.LBB295_36:                             ;   in Loop: Header=BB295_4 Depth=1
	s_andn2_saveexec_b64 s[30:31], s[0:1]
	s_cbranch_execz .LBB295_38
; %bb.37:                               ;   in Loop: Header=BB295_4 Depth=1
	v_div_scale_f64 v[5:6], s[0:1], v[19:20], v[19:20], 1.0
	v_div_scale_f64 v[7:8], s[0:1], v[25:26], v[25:26], 0
	v_div_scale_f64 v[37:38], s[0:1], 0, v[25:26], 0
	v_rcp_f64_e32 v[13:14], v[5:6]
	v_rcp_f64_e32 v[21:22], v[7:8]
	v_fma_f64 v[33:34], -v[5:6], v[13:14], 1.0
	v_fma_f64 v[35:36], -v[7:8], v[21:22], 1.0
	v_fma_f64 v[13:14], v[13:14], v[33:34], v[13:14]
	v_div_scale_f64 v[33:34], vcc, 1.0, v[19:20], 1.0
	v_fma_f64 v[21:22], v[21:22], v[35:36], v[21:22]
	v_fma_f64 v[35:36], -v[5:6], v[13:14], 1.0
	v_fma_f64 v[39:40], -v[7:8], v[21:22], 1.0
	v_fma_f64 v[13:14], v[13:14], v[35:36], v[13:14]
	v_fma_f64 v[21:22], v[21:22], v[39:40], v[21:22]
	v_mul_f64 v[35:36], v[33:34], v[13:14]
	v_mul_f64 v[39:40], v[37:38], v[21:22]
	v_fma_f64 v[5:6], -v[5:6], v[35:36], v[33:34]
	v_fma_f64 v[7:8], -v[7:8], v[39:40], v[37:38]
	v_div_fmas_f64 v[5:6], v[5:6], v[13:14], v[35:36]
	s_mov_b64 vcc, s[0:1]
	v_div_fmas_f64 v[7:8], v[7:8], v[21:22], v[39:40]
	v_div_fixup_f64 v[5:6], v[5:6], v[19:20], 1.0
	v_div_fixup_f64 v[7:8], v[7:8], v[25:26], 0
.LBB295_38:                             ;   in Loop: Header=BB295_4 Depth=1
	s_or_b64 exec, exec, s[30:31]
                                        ; implicit-def: $vgpr21_vgpr22
                                        ; implicit-def: $vgpr13_vgpr14
.LBB295_39:                             ;   in Loop: Header=BB295_4 Depth=1
	s_andn2_saveexec_b64 s[0:1], s[2:3]
	s_cbranch_execz .LBB295_41
; %bb.40:                               ;   in Loop: Header=BB295_4 Depth=1
	v_div_scale_f64 v[5:6], s[2:3], v[21:22], v[21:22], v[13:14]
	v_rcp_f64_e32 v[7:8], v[5:6]
	v_fma_f64 v[19:20], -v[5:6], v[7:8], 1.0
	v_fma_f64 v[7:8], v[7:8], v[19:20], v[7:8]
	v_div_scale_f64 v[19:20], vcc, v[13:14], v[21:22], v[13:14]
	v_fma_f64 v[25:26], -v[5:6], v[7:8], 1.0
	v_fma_f64 v[7:8], v[7:8], v[25:26], v[7:8]
	v_mul_f64 v[25:26], v[19:20], v[7:8]
	v_fma_f64 v[5:6], -v[5:6], v[25:26], v[19:20]
	v_div_fmas_f64 v[5:6], v[5:6], v[7:8], v[25:26]
	v_div_fixup_f64 v[5:6], v[5:6], v[21:22], v[13:14]
	v_fma_f64 v[7:8], v[13:14], v[5:6], v[21:22]
	v_div_scale_f64 v[13:14], s[2:3], v[7:8], v[7:8], 1.0
	v_rcp_f64_e32 v[19:20], v[13:14]
	v_fma_f64 v[21:22], -v[13:14], v[19:20], 1.0
	v_fma_f64 v[19:20], v[19:20], v[21:22], v[19:20]
	v_div_scale_f64 v[21:22], vcc, 1.0, v[7:8], 1.0
	v_fma_f64 v[25:26], -v[13:14], v[19:20], 1.0
	v_fma_f64 v[19:20], v[19:20], v[25:26], v[19:20]
	v_mul_f64 v[25:26], v[21:22], v[19:20]
	v_fma_f64 v[13:14], -v[13:14], v[25:26], v[21:22]
	v_div_fmas_f64 v[13:14], v[13:14], v[19:20], v[25:26]
	v_add_f64 v[19:20], v[5:6], 0
	v_div_fixup_f64 v[7:8], v[13:14], v[7:8], 1.0
	v_fma_f64 v[13:14], v[5:6], 0, -1.0
	v_mul_f64 v[5:6], v[19:20], v[7:8]
	v_mul_f64 v[7:8], v[13:14], v[7:8]
.LBB295_41:                             ;   in Loop: Header=BB295_4 Depth=1
	s_or_b64 exec, exec, s[0:1]
	s_waitcnt vmcnt(2)
	v_cmp_neq_f64_e32 vcc, 0, v[15:16]
	v_cmp_neq_f64_e64 s[0:1], 0, v[17:18]
	v_mov_b32_e32 v19, 0
	v_mov_b32_e32 v20, 0
	s_or_b64 s[0:1], vcc, s[0:1]
	s_and_saveexec_b64 s[30:31], s[0:1]
	s_cbranch_execz .LBB295_72
; %bb.42:                               ;   in Loop: Header=BB295_4 Depth=1
	v_mov_b32_e32 v19, 0
	v_mov_b32_e32 v20, 0x7ff00000
	v_cmp_neq_f64_e64 s[0:1], |v[17:18]|, v[19:20]
	s_and_saveexec_b64 s[34:35], s[0:1]
	s_cbranch_execz .LBB295_71
; %bb.43:                               ;   in Loop: Header=BB295_4 Depth=1
	v_cmp_o_f64_e32 vcc, v[15:16], v[15:16]
                                        ; implicit-def: $vgpr19_vgpr20
	s_and_saveexec_b64 s[0:1], vcc
	s_xor_b64 s[36:37], exec, s[0:1]
	s_cbranch_execz .LBB295_68
; %bb.44:                               ;   in Loop: Header=BB295_4 Depth=1
	v_cmp_neq_f64_e64 s[0:1], |v[15:16]|, s[18:19]
                                        ; implicit-def: $vgpr19_vgpr20
	s_and_saveexec_b64 s[2:3], s[0:1]
	s_xor_b64 s[38:39], exec, s[2:3]
	s_cbranch_execz .LBB295_61
; %bb.45:                               ;   in Loop: Header=BB295_4 Depth=1
	v_max_f64 v[13:14], |v[17:18]|, |v[17:18]|
	v_max_f64 v[19:20], |v[15:16]|, |v[15:16]|
                                        ; implicit-def: $sgpr40_sgpr41
	v_max_f64 v[13:14], v[19:20], v[13:14]
	v_cmp_nle_f64_e64 s[0:1], s[20:21], v[13:14]
	s_and_saveexec_b64 s[2:3], s[0:1]
	s_xor_b64 s[2:3], exec, s[2:3]
	s_cbranch_execz .LBB295_49
; %bb.46:                               ;   in Loop: Header=BB295_4 Depth=1
	v_cmp_le_f64_e64 s[40:41], |v[15:16]|, s[22:23]
	v_cmp_le_f64_e64 s[42:43], |v[17:18]|, s[22:23]
	s_and_b64 s[48:49], s[40:41], s[42:43]
	s_mov_b64 s[40:41], 0
	s_and_saveexec_b64 s[42:43], s[48:49]
	s_cbranch_execz .LBB295_48
; %bb.47:                               ;   in Loop: Header=BB295_4 Depth=1
	v_mul_f64 v[15:16], v[15:16], 4.0
	v_mul_f64 v[17:18], v[17:18], 4.0
	s_mov_b64 s[40:41], exec
.LBB295_48:                             ;   in Loop: Header=BB295_4 Depth=1
	s_or_b64 exec, exec, s[42:43]
.LBB295_49:                             ;   in Loop: Header=BB295_4 Depth=1
	s_andn2_saveexec_b64 s[2:3], s[2:3]
	s_cbranch_execz .LBB295_51
; %bb.50:                               ;   in Loop: Header=BB295_4 Depth=1
	v_ldexp_f64 v[15:16], v[15:16], -2
	v_ldexp_f64 v[17:18], v[17:18], -2
	s_andn2_b64 s[40:41], s[40:41], exec
.LBB295_51:                             ;   in Loop: Header=BB295_4 Depth=1
	s_or_b64 exec, exec, s[2:3]
	v_max_f64 v[13:14], |v[17:18]|, |v[17:18]|
	v_max_f64 v[19:20], |v[15:16]|, |v[15:16]|
	v_cmp_class_f64_e64 s[42:43], v[15:16], s45
	v_cmp_class_f64_e64 s[48:49], v[17:18], s45
	v_cmp_le_f64_e64 s[2:3], 0, v[15:16]
	v_max_f64 v[13:14], v[19:20], v[13:14]
	v_frexp_exp_i32_f64_e32 v33, v[13:14]
	v_sub_u32_e32 v19, 0, v33
	v_ldexp_f64 v[13:14], |v[17:18]|, v19
	v_ldexp_f64 v[19:20], |v[15:16]|, v19
	v_mul_f64 v[13:14], v[13:14], v[13:14]
	v_fma_f64 v[13:14], v[19:20], v[19:20], v[13:14]
	v_rsq_f64_e32 v[19:20], v[13:14]
	v_cmp_eq_f64_e32 vcc, 0, v[13:14]
	v_mul_f64 v[21:22], v[13:14], v[19:20]
	v_mul_f64 v[19:20], v[19:20], 0.5
	v_fma_f64 v[25:26], -v[19:20], v[21:22], 0.5
	v_fma_f64 v[21:22], v[21:22], v[25:26], v[21:22]
	v_fma_f64 v[19:20], v[19:20], v[25:26], v[19:20]
	v_fma_f64 v[25:26], -v[21:22], v[21:22], v[13:14]
	v_fma_f64 v[19:20], v[25:26], v[19:20], v[21:22]
                                        ; implicit-def: $vgpr21_vgpr22
	v_cndmask_b32_e32 v14, v20, v14, vcc
	v_cndmask_b32_e32 v13, v19, v13, vcc
	v_ldexp_f64 v[13:14], v[13:14], v33
	v_cmp_o_f64_e32 vcc, v[17:18], v[17:18]
	v_cndmask_b32_e32 v13, 0, v13, vcc
	v_cndmask_b32_e32 v14, v29, v14, vcc
	s_or_b64 vcc, s[48:49], s[42:43]
	v_cndmask_b32_e32 v20, v14, v30, vcc
	v_cndmask_b32_e64 v19, v13, 0, vcc
                                        ; implicit-def: $vgpr13_vgpr14
	s_and_saveexec_b64 s[42:43], s[2:3]
	s_xor_b64 s[2:3], exec, s[42:43]
	s_cbranch_execz .LBB295_54
; %bb.52:                               ;   in Loop: Header=BB295_4 Depth=1
	v_add_f64 v[13:14], v[15:16], v[19:20]
	v_mul_f64 v[13:14], v[13:14], 0.5
	v_cmp_gt_f64_e32 vcc, s[24:25], v[13:14]
	v_cndmask_b32_e32 v15, 0, v31, vcc
	v_ldexp_f64 v[13:14], v[13:14], v15
	v_rsq_f64_e32 v[15:16], v[13:14]
	v_mul_f64 v[19:20], v[13:14], v[15:16]
	v_mul_f64 v[15:16], v[15:16], 0.5
	v_fma_f64 v[21:22], -v[15:16], v[19:20], 0.5
	v_fma_f64 v[19:20], v[19:20], v[21:22], v[19:20]
	v_fma_f64 v[15:16], v[15:16], v[21:22], v[15:16]
	v_fma_f64 v[21:22], -v[19:20], v[19:20], v[13:14]
	v_fma_f64 v[19:20], v[21:22], v[15:16], v[19:20]
	v_fma_f64 v[21:22], -v[19:20], v[19:20], v[13:14]
	v_fma_f64 v[15:16], v[21:22], v[15:16], v[19:20]
	v_cndmask_b32_e32 v19, 0, v32, vcc
	v_cmp_class_f64_e32 vcc, v[13:14], v28
	v_ldexp_f64 v[15:16], v[15:16], v19
	v_cndmask_b32_e32 v22, v16, v14, vcc
	v_cndmask_b32_e32 v21, v15, v13, vcc
	v_add_f64 v[13:14], v[21:22], v[21:22]
	v_div_scale_f64 v[15:16], s[42:43], v[13:14], v[13:14], v[17:18]
	v_div_scale_f64 v[33:34], vcc, v[17:18], v[13:14], v[17:18]
	v_rcp_f64_e32 v[19:20], v[15:16]
	v_fma_f64 v[25:26], -v[15:16], v[19:20], 1.0
	v_fma_f64 v[19:20], v[19:20], v[25:26], v[19:20]
	v_fma_f64 v[25:26], -v[15:16], v[19:20], 1.0
	v_fma_f64 v[19:20], v[19:20], v[25:26], v[19:20]
	v_mul_f64 v[25:26], v[33:34], v[19:20]
	v_fma_f64 v[15:16], -v[15:16], v[25:26], v[33:34]
	v_div_fmas_f64 v[15:16], v[15:16], v[19:20], v[25:26]
                                        ; implicit-def: $vgpr19_vgpr20
	v_div_fixup_f64 v[13:14], v[15:16], v[13:14], v[17:18]
                                        ; implicit-def: $vgpr15_vgpr16
	s_andn2_saveexec_b64 s[2:3], s[2:3]
	s_cbranch_execz .LBB295_56
	s_branch .LBB295_55
.LBB295_53:                             ;   in Loop: Header=BB295_4 Depth=1
	s_or_b64 exec, exec, s[0:1]
	s_andn2_saveexec_b64 s[0:1], s[36:37]
	s_cbranch_execnz .LBB295_30
	s_branch .LBB295_31
.LBB295_54:                             ;   in Loop: Header=BB295_4 Depth=1
	s_andn2_saveexec_b64 s[2:3], s[2:3]
	s_cbranch_execz .LBB295_56
.LBB295_55:                             ;   in Loop: Header=BB295_4 Depth=1
	v_add_f64 v[13:14], v[19:20], -v[15:16]
	v_mul_f64 v[13:14], v[13:14], 0.5
	v_cmp_gt_f64_e32 vcc, s[24:25], v[13:14]
	v_cndmask_b32_e32 v15, 0, v31, vcc
	v_ldexp_f64 v[13:14], v[13:14], v15
	v_rsq_f64_e32 v[15:16], v[13:14]
	v_mul_f64 v[19:20], v[13:14], v[15:16]
	v_mul_f64 v[15:16], v[15:16], 0.5
	v_fma_f64 v[21:22], -v[15:16], v[19:20], 0.5
	v_fma_f64 v[19:20], v[19:20], v[21:22], v[19:20]
	v_fma_f64 v[15:16], v[15:16], v[21:22], v[15:16]
	v_fma_f64 v[21:22], -v[19:20], v[19:20], v[13:14]
	v_fma_f64 v[19:20], v[21:22], v[15:16], v[19:20]
	v_fma_f64 v[21:22], -v[19:20], v[19:20], v[13:14]
	v_fma_f64 v[15:16], v[21:22], v[15:16], v[19:20]
	v_cndmask_b32_e32 v19, 0, v32, vcc
	v_cmp_class_f64_e32 vcc, v[13:14], v28
	v_and_b32_e32 v20, 0x7fffffff, v18
	v_ldexp_f64 v[15:16], v[15:16], v19
	v_mov_b32_e32 v19, v17
	v_cndmask_b32_e32 v14, v16, v14, vcc
	v_cndmask_b32_e32 v13, v15, v13, vcc
	v_add_f64 v[15:16], v[13:14], v[13:14]
	v_bfi_b32 v14, s46, v14, v18
	v_div_scale_f64 v[21:22], s[42:43], v[15:16], v[15:16], v[19:20]
	v_div_scale_f64 v[19:20], vcc, v[19:20], v[15:16], v[19:20]
	v_rcp_f64_e32 v[25:26], v[21:22]
	v_fma_f64 v[33:34], -v[21:22], v[25:26], 1.0
	v_fma_f64 v[25:26], v[25:26], v[33:34], v[25:26]
	v_fma_f64 v[33:34], -v[21:22], v[25:26], 1.0
	v_fma_f64 v[25:26], v[25:26], v[33:34], v[25:26]
	v_mul_f64 v[33:34], v[19:20], v[25:26]
	v_fma_f64 v[19:20], -v[21:22], v[33:34], v[19:20]
	v_div_fmas_f64 v[19:20], v[19:20], v[25:26], v[33:34]
	v_div_fixup_f64 v[21:22], v[19:20], v[15:16], |v[17:18]|
.LBB295_56:                             ;   in Loop: Header=BB295_4 Depth=1
	s_or_b64 exec, exec, s[2:3]
                                        ; implicit-def: $vgpr17_vgpr18
                                        ; implicit-def: $vgpr19_vgpr20
	s_and_saveexec_b64 s[2:3], s[0:1]
	s_xor_b64 s[0:1], exec, s[2:3]
	s_cbranch_execz .LBB295_58
; %bb.57:                               ;   in Loop: Header=BB295_4 Depth=1
	v_mul_f64 v[15:16], v[21:22], 0.5
	v_mul_f64 v[17:18], v[13:14], 0.5
	v_cndmask_b32_e64 v20, v22, v16, s[40:41]
	v_cndmask_b32_e64 v19, v21, v15, s[40:41]
	;; [unrolled: 1-line block ×4, first 2 shown]
                                        ; implicit-def: $vgpr21_vgpr22
                                        ; implicit-def: $vgpr13_vgpr14
	s_andn2_saveexec_b64 s[0:1], s[0:1]
	s_cbranch_execnz .LBB295_59
	s_branch .LBB295_60
.LBB295_58:                             ;   in Loop: Header=BB295_4 Depth=1
	s_andn2_saveexec_b64 s[0:1], s[0:1]
	s_cbranch_execz .LBB295_60
.LBB295_59:                             ;   in Loop: Header=BB295_4 Depth=1
	v_add_f64 v[19:20], v[21:22], v[21:22]
	v_add_f64 v[17:18], v[13:14], v[13:14]
.LBB295_60:                             ;   in Loop: Header=BB295_4 Depth=1
	s_or_b64 exec, exec, s[0:1]
.LBB295_61:                             ;   in Loop: Header=BB295_4 Depth=1
	s_andn2_saveexec_b64 s[0:1], s[38:39]
	s_cbranch_execz .LBB295_67
; %bb.62:                               ;   in Loop: Header=BB295_4 Depth=1
	v_add_f64 v[13:14], v[17:18], -v[17:18]
	v_cmp_lt_i64_e32 vcc, -1, v[15:16]
	v_and_b32_e32 v20, 0x7fffffff, v14
	v_mov_b32_e32 v19, v13
	s_and_saveexec_b64 s[2:3], vcc
	s_xor_b64 s[2:3], exec, s[2:3]
; %bb.63:                               ;   in Loop: Header=BB295_4 Depth=1
	v_bfi_b32 v14, s46, v14, v18
	v_mov_b32_e32 v18, v14
	v_mov_b32_e32 v20, v16
	;; [unrolled: 1-line block ×4, first 2 shown]
; %bb.64:                               ;   in Loop: Header=BB295_4 Depth=1
	s_andn2_saveexec_b64 s[2:3], s[2:3]
; %bb.65:                               ;   in Loop: Header=BB295_4 Depth=1
	v_bfi_b32 v16, s46, v16, v18
	v_mov_b32_e32 v18, v16
	v_mov_b32_e32 v17, v15
; %bb.66:                               ;   in Loop: Header=BB295_4 Depth=1
	s_or_b64 exec, exec, s[2:3]
.LBB295_67:                             ;   in Loop: Header=BB295_4 Depth=1
	s_or_b64 exec, exec, s[0:1]
.LBB295_68:                             ;   in Loop: Header=BB295_4 Depth=1
	s_andn2_saveexec_b64 s[0:1], s[36:37]
	s_cbranch_execz .LBB295_70
; %bb.69:                               ;   in Loop: Header=BB295_4 Depth=1
	v_add_f64 v[13:14], v[17:18], -v[17:18]
	v_div_scale_f64 v[17:18], vcc, v[13:14], v[13:14], v[13:14]
	v_rcp_f64_e32 v[19:20], v[17:18]
	v_fma_f64 v[21:22], -v[17:18], v[19:20], 1.0
	v_fma_f64 v[19:20], v[19:20], v[21:22], v[19:20]
	v_fma_f64 v[21:22], -v[17:18], v[19:20], 1.0
	v_fma_f64 v[19:20], v[19:20], v[21:22], v[19:20]
	v_mul_f64 v[21:22], v[17:18], v[19:20]
	v_fma_f64 v[17:18], -v[17:18], v[21:22], v[17:18]
	v_div_fmas_f64 v[17:18], v[17:18], v[19:20], v[21:22]
	v_mov_b32_e32 v20, v16
	v_mov_b32_e32 v19, v15
	v_div_fixup_f64 v[17:18], v[17:18], v[13:14], v[13:14]
.LBB295_70:                             ;   in Loop: Header=BB295_4 Depth=1
	s_or_b64 exec, exec, s[0:1]
.LBB295_71:                             ;   in Loop: Header=BB295_4 Depth=1
	s_or_b64 exec, exec, s[34:35]
.LBB295_72:                             ;   in Loop: Header=BB295_4 Depth=1
	s_or_b64 exec, exec, s[30:31]
	v_cmp_gt_f64_e32 vcc, 0, v[19:20]
	v_xor_b32_e32 v13, 0x80000000, v20
	v_mov_b32_e32 v21, v19
	v_mov_b32_e32 v25, v17
	v_cndmask_b32_e32 v22, v20, v13, vcc
	v_cmp_gt_f64_e32 vcc, 0, v[17:18]
	v_xor_b32_e32 v13, 0x80000000, v18
	v_cndmask_b32_e32 v26, v18, v13, vcc
	v_cmp_ge_f64_e32 vcc, v[21:22], v[25:26]
                                        ; implicit-def: $vgpr15_vgpr16
	s_and_saveexec_b64 s[0:1], vcc
	s_xor_b64 s[2:3], exec, s[0:1]
	s_cbranch_execz .LBB295_78
; %bb.73:                               ;   in Loop: Header=BB295_4 Depth=1
	v_cmp_neq_f64_e32 vcc, 0, v[19:20]
	v_cmp_neq_f64_e64 s[0:1], 0, v[17:18]
                                        ; implicit-def: $vgpr15_vgpr16
	s_or_b64 s[0:1], vcc, s[0:1]
	s_and_saveexec_b64 s[30:31], s[0:1]
	s_xor_b64 s[0:1], exec, s[30:31]
	s_cbranch_execz .LBB295_75
; %bb.74:                               ;   in Loop: Header=BB295_4 Depth=1
	v_div_scale_f64 v[13:14], s[30:31], v[19:20], v[19:20], v[17:18]
	v_rcp_f64_e32 v[15:16], v[13:14]
	v_fma_f64 v[21:22], -v[13:14], v[15:16], 1.0
	v_fma_f64 v[15:16], v[15:16], v[21:22], v[15:16]
	v_div_scale_f64 v[21:22], vcc, v[17:18], v[19:20], v[17:18]
	v_fma_f64 v[25:26], -v[13:14], v[15:16], 1.0
	v_fma_f64 v[15:16], v[15:16], v[25:26], v[15:16]
	v_mul_f64 v[25:26], v[21:22], v[15:16]
	v_fma_f64 v[13:14], -v[13:14], v[25:26], v[21:22]
	v_div_fmas_f64 v[13:14], v[13:14], v[15:16], v[25:26]
	v_div_fixup_f64 v[13:14], v[13:14], v[19:20], v[17:18]
	v_fma_f64 v[15:16], v[17:18], v[13:14], v[19:20]
	v_div_scale_f64 v[17:18], s[30:31], v[15:16], v[15:16], 1.0
	v_rcp_f64_e32 v[19:20], v[17:18]
	v_fma_f64 v[21:22], -v[17:18], v[19:20], 1.0
	v_fma_f64 v[19:20], v[19:20], v[21:22], v[19:20]
	v_div_scale_f64 v[21:22], vcc, 1.0, v[15:16], 1.0
	v_fma_f64 v[25:26], -v[17:18], v[19:20], 1.0
	v_fma_f64 v[19:20], v[19:20], v[25:26], v[19:20]
	v_mul_f64 v[25:26], v[21:22], v[19:20]
	v_fma_f64 v[17:18], -v[17:18], v[25:26], v[21:22]
                                        ; implicit-def: $vgpr21_vgpr22
	v_div_fmas_f64 v[17:18], v[17:18], v[19:20], v[25:26]
	v_fma_f64 v[19:20], v[13:14], 0, 1.0
                                        ; implicit-def: $vgpr25_vgpr26
	v_div_fixup_f64 v[15:16], v[17:18], v[15:16], 1.0
	v_add_f64 v[17:18], -v[13:14], 0
	v_mul_f64 v[13:14], v[19:20], v[15:16]
	v_mul_f64 v[15:16], v[17:18], v[15:16]
.LBB295_75:                             ;   in Loop: Header=BB295_4 Depth=1
	s_andn2_saveexec_b64 s[30:31], s[0:1]
	s_cbranch_execz .LBB295_77
; %bb.76:                               ;   in Loop: Header=BB295_4 Depth=1
	v_div_scale_f64 v[13:14], s[0:1], v[21:22], v[21:22], 1.0
	v_div_scale_f64 v[15:16], s[0:1], v[25:26], v[25:26], 0
	v_div_scale_f64 v[37:38], s[0:1], 0, v[25:26], 0
	v_rcp_f64_e32 v[17:18], v[13:14]
	v_rcp_f64_e32 v[19:20], v[15:16]
	v_fma_f64 v[33:34], -v[13:14], v[17:18], 1.0
	v_fma_f64 v[35:36], -v[15:16], v[19:20], 1.0
	v_fma_f64 v[17:18], v[17:18], v[33:34], v[17:18]
	v_div_scale_f64 v[33:34], vcc, 1.0, v[21:22], 1.0
	v_fma_f64 v[19:20], v[19:20], v[35:36], v[19:20]
	v_fma_f64 v[35:36], -v[13:14], v[17:18], 1.0
	v_fma_f64 v[39:40], -v[15:16], v[19:20], 1.0
	v_fma_f64 v[17:18], v[17:18], v[35:36], v[17:18]
	v_fma_f64 v[19:20], v[19:20], v[39:40], v[19:20]
	v_mul_f64 v[35:36], v[33:34], v[17:18]
	v_mul_f64 v[39:40], v[37:38], v[19:20]
	v_fma_f64 v[13:14], -v[13:14], v[35:36], v[33:34]
	v_fma_f64 v[15:16], -v[15:16], v[39:40], v[37:38]
	v_div_fmas_f64 v[13:14], v[13:14], v[17:18], v[35:36]
	s_mov_b64 vcc, s[0:1]
	v_div_fmas_f64 v[15:16], v[15:16], v[19:20], v[39:40]
	v_div_fixup_f64 v[13:14], v[13:14], v[21:22], 1.0
	v_div_fixup_f64 v[15:16], v[15:16], v[25:26], 0
.LBB295_77:                             ;   in Loop: Header=BB295_4 Depth=1
	s_or_b64 exec, exec, s[30:31]
                                        ; implicit-def: $vgpr17_vgpr18
                                        ; implicit-def: $vgpr19_vgpr20
.LBB295_78:                             ;   in Loop: Header=BB295_4 Depth=1
	s_andn2_saveexec_b64 s[0:1], s[2:3]
	s_cbranch_execz .LBB295_80
; %bb.79:                               ;   in Loop: Header=BB295_4 Depth=1
	v_div_scale_f64 v[13:14], s[2:3], v[17:18], v[17:18], v[19:20]
	v_rcp_f64_e32 v[15:16], v[13:14]
	v_fma_f64 v[21:22], -v[13:14], v[15:16], 1.0
	v_fma_f64 v[15:16], v[15:16], v[21:22], v[15:16]
	v_div_scale_f64 v[21:22], vcc, v[19:20], v[17:18], v[19:20]
	v_fma_f64 v[25:26], -v[13:14], v[15:16], 1.0
	v_fma_f64 v[15:16], v[15:16], v[25:26], v[15:16]
	v_mul_f64 v[25:26], v[21:22], v[15:16]
	v_fma_f64 v[13:14], -v[13:14], v[25:26], v[21:22]
	v_div_fmas_f64 v[13:14], v[13:14], v[15:16], v[25:26]
	v_div_fixup_f64 v[13:14], v[13:14], v[17:18], v[19:20]
	v_fma_f64 v[15:16], v[19:20], v[13:14], v[17:18]
	v_div_scale_f64 v[17:18], s[2:3], v[15:16], v[15:16], 1.0
	v_rcp_f64_e32 v[19:20], v[17:18]
	v_fma_f64 v[21:22], -v[17:18], v[19:20], 1.0
	v_fma_f64 v[19:20], v[19:20], v[21:22], v[19:20]
	v_div_scale_f64 v[21:22], vcc, 1.0, v[15:16], 1.0
	v_fma_f64 v[25:26], -v[17:18], v[19:20], 1.0
	v_fma_f64 v[19:20], v[19:20], v[25:26], v[19:20]
	v_mul_f64 v[25:26], v[21:22], v[19:20]
	v_fma_f64 v[17:18], -v[17:18], v[25:26], v[21:22]
	v_div_fmas_f64 v[17:18], v[17:18], v[19:20], v[25:26]
	v_add_f64 v[19:20], v[13:14], 0
	v_div_fixup_f64 v[15:16], v[17:18], v[15:16], 1.0
	v_fma_f64 v[17:18], v[13:14], 0, -1.0
	v_mul_f64 v[13:14], v[19:20], v[15:16]
	v_mul_f64 v[15:16], v[17:18], v[15:16]
.LBB295_80:                             ;   in Loop: Header=BB295_4 Depth=1
	s_or_b64 exec, exec, s[0:1]
	s_waitcnt vmcnt(0)
	v_cmp_neq_f64_e32 vcc, 0, v[9:10]
	v_cmp_neq_f64_e64 s[0:1], 0, v[11:12]
	v_mov_b32_e32 v21, 0
	v_mov_b32_e32 v22, 0
	s_or_b64 s[0:1], vcc, s[0:1]
	s_and_saveexec_b64 s[30:31], s[0:1]
	s_cbranch_execz .LBB295_110
; %bb.81:                               ;   in Loop: Header=BB295_4 Depth=1
	v_mov_b32_e32 v21, 0
	v_mov_b32_e32 v22, 0x7ff00000
	v_cmp_neq_f64_e64 s[0:1], |v[11:12]|, v[21:22]
	s_and_saveexec_b64 s[34:35], s[0:1]
	s_cbranch_execz .LBB295_109
; %bb.82:                               ;   in Loop: Header=BB295_4 Depth=1
	v_cmp_o_f64_e32 vcc, v[9:10], v[9:10]
                                        ; implicit-def: $vgpr21_vgpr22
	s_and_saveexec_b64 s[0:1], vcc
	s_xor_b64 s[36:37], exec, s[0:1]
	s_cbranch_execz .LBB295_106
; %bb.83:                               ;   in Loop: Header=BB295_4 Depth=1
	v_cmp_neq_f64_e64 s[0:1], |v[9:10]|, s[18:19]
                                        ; implicit-def: $vgpr21_vgpr22
	s_and_saveexec_b64 s[2:3], s[0:1]
	s_xor_b64 s[38:39], exec, s[2:3]
	s_cbranch_execz .LBB295_99
; %bb.84:                               ;   in Loop: Header=BB295_4 Depth=1
	v_max_f64 v[17:18], |v[11:12]|, |v[11:12]|
	v_max_f64 v[19:20], |v[9:10]|, |v[9:10]|
                                        ; implicit-def: $sgpr40_sgpr41
	v_max_f64 v[17:18], v[19:20], v[17:18]
	v_cmp_nle_f64_e64 s[0:1], s[20:21], v[17:18]
	s_and_saveexec_b64 s[2:3], s[0:1]
	s_xor_b64 s[2:3], exec, s[2:3]
	s_cbranch_execz .LBB295_88
; %bb.85:                               ;   in Loop: Header=BB295_4 Depth=1
	v_cmp_le_f64_e64 s[40:41], |v[9:10]|, s[22:23]
	v_cmp_le_f64_e64 s[42:43], |v[11:12]|, s[22:23]
	s_and_b64 s[48:49], s[40:41], s[42:43]
	s_mov_b64 s[40:41], 0
	s_and_saveexec_b64 s[42:43], s[48:49]
	s_cbranch_execz .LBB295_87
; %bb.86:                               ;   in Loop: Header=BB295_4 Depth=1
	v_mul_f64 v[9:10], v[9:10], 4.0
	v_mul_f64 v[11:12], v[11:12], 4.0
	s_mov_b64 s[40:41], exec
.LBB295_87:                             ;   in Loop: Header=BB295_4 Depth=1
	s_or_b64 exec, exec, s[42:43]
.LBB295_88:                             ;   in Loop: Header=BB295_4 Depth=1
	s_andn2_saveexec_b64 s[2:3], s[2:3]
	s_cbranch_execz .LBB295_90
; %bb.89:                               ;   in Loop: Header=BB295_4 Depth=1
	v_ldexp_f64 v[9:10], v[9:10], -2
	v_ldexp_f64 v[11:12], v[11:12], -2
	s_andn2_b64 s[40:41], s[40:41], exec
.LBB295_90:                             ;   in Loop: Header=BB295_4 Depth=1
	s_or_b64 exec, exec, s[2:3]
	v_max_f64 v[17:18], |v[11:12]|, |v[11:12]|
	v_max_f64 v[19:20], |v[9:10]|, |v[9:10]|
	v_cmp_class_f64_e64 s[42:43], v[9:10], s45
	v_cmp_class_f64_e64 s[48:49], v[11:12], s45
	v_cmp_le_f64_e64 s[2:3], 0, v[9:10]
	v_max_f64 v[17:18], v[19:20], v[17:18]
	v_frexp_exp_i32_f64_e32 v33, v[17:18]
	v_sub_u32_e32 v19, 0, v33
	v_ldexp_f64 v[17:18], |v[11:12]|, v19
	v_ldexp_f64 v[19:20], |v[9:10]|, v19
	v_mul_f64 v[17:18], v[17:18], v[17:18]
	v_fma_f64 v[17:18], v[19:20], v[19:20], v[17:18]
	v_rsq_f64_e32 v[19:20], v[17:18]
	v_cmp_eq_f64_e32 vcc, 0, v[17:18]
	v_mul_f64 v[21:22], v[17:18], v[19:20]
	v_mul_f64 v[19:20], v[19:20], 0.5
	v_fma_f64 v[25:26], -v[19:20], v[21:22], 0.5
	v_fma_f64 v[21:22], v[21:22], v[25:26], v[21:22]
	v_fma_f64 v[19:20], v[19:20], v[25:26], v[19:20]
	v_fma_f64 v[25:26], -v[21:22], v[21:22], v[17:18]
	v_fma_f64 v[19:20], v[25:26], v[19:20], v[21:22]
	v_cndmask_b32_e32 v18, v20, v18, vcc
	v_cndmask_b32_e32 v17, v19, v17, vcc
	v_ldexp_f64 v[17:18], v[17:18], v33
	v_cmp_o_f64_e32 vcc, v[11:12], v[11:12]
                                        ; implicit-def: $vgpr19_vgpr20
	v_cndmask_b32_e32 v17, 0, v17, vcc
	v_cndmask_b32_e32 v18, v29, v18, vcc
	s_or_b64 vcc, s[48:49], s[42:43]
	v_cndmask_b32_e32 v22, v18, v30, vcc
	v_cndmask_b32_e64 v21, v17, 0, vcc
                                        ; implicit-def: $vgpr17_vgpr18
	s_and_saveexec_b64 s[42:43], s[2:3]
	s_xor_b64 s[2:3], exec, s[42:43]
	s_cbranch_execz .LBB295_92
; %bb.91:                               ;   in Loop: Header=BB295_4 Depth=1
	v_add_f64 v[9:10], v[9:10], v[21:22]
	v_mul_f64 v[9:10], v[9:10], 0.5
	v_cmp_gt_f64_e32 vcc, s[24:25], v[9:10]
	v_cndmask_b32_e32 v17, 0, v31, vcc
	v_ldexp_f64 v[9:10], v[9:10], v17
	v_rsq_f64_e32 v[17:18], v[9:10]
	v_mul_f64 v[19:20], v[9:10], v[17:18]
	v_mul_f64 v[17:18], v[17:18], 0.5
	v_fma_f64 v[21:22], -v[17:18], v[19:20], 0.5
	v_fma_f64 v[19:20], v[19:20], v[21:22], v[19:20]
	v_fma_f64 v[17:18], v[17:18], v[21:22], v[17:18]
	v_fma_f64 v[21:22], -v[19:20], v[19:20], v[9:10]
	v_fma_f64 v[19:20], v[21:22], v[17:18], v[19:20]
	v_fma_f64 v[21:22], -v[19:20], v[19:20], v[9:10]
	v_fma_f64 v[17:18], v[21:22], v[17:18], v[19:20]
	v_cndmask_b32_e32 v19, 0, v32, vcc
	v_cmp_class_f64_e32 vcc, v[9:10], v28
	v_ldexp_f64 v[17:18], v[17:18], v19
	v_cndmask_b32_e32 v20, v18, v10, vcc
	v_cndmask_b32_e32 v19, v17, v9, vcc
	v_add_f64 v[9:10], v[19:20], v[19:20]
	v_div_scale_f64 v[17:18], s[42:43], v[9:10], v[9:10], v[11:12]
	v_div_scale_f64 v[33:34], vcc, v[11:12], v[9:10], v[11:12]
	v_rcp_f64_e32 v[21:22], v[17:18]
	v_fma_f64 v[25:26], -v[17:18], v[21:22], 1.0
	v_fma_f64 v[21:22], v[21:22], v[25:26], v[21:22]
	v_fma_f64 v[25:26], -v[17:18], v[21:22], 1.0
	v_fma_f64 v[21:22], v[21:22], v[25:26], v[21:22]
	v_mul_f64 v[25:26], v[33:34], v[21:22]
	v_fma_f64 v[17:18], -v[17:18], v[25:26], v[33:34]
	v_div_fmas_f64 v[17:18], v[17:18], v[21:22], v[25:26]
                                        ; implicit-def: $vgpr21_vgpr22
	v_div_fixup_f64 v[17:18], v[17:18], v[9:10], v[11:12]
                                        ; implicit-def: $vgpr9_vgpr10
	s_andn2_saveexec_b64 s[2:3], s[2:3]
	s_cbranch_execz .LBB295_94
	s_branch .LBB295_93
.LBB295_92:                             ;   in Loop: Header=BB295_4 Depth=1
	s_andn2_saveexec_b64 s[2:3], s[2:3]
	s_cbranch_execz .LBB295_94
.LBB295_93:                             ;   in Loop: Header=BB295_4 Depth=1
	v_add_f64 v[9:10], v[21:22], -v[9:10]
	v_mul_f64 v[9:10], v[9:10], 0.5
	v_cmp_gt_f64_e32 vcc, s[24:25], v[9:10]
	v_cndmask_b32_e32 v17, 0, v31, vcc
	v_ldexp_f64 v[9:10], v[9:10], v17
	v_rsq_f64_e32 v[17:18], v[9:10]
	v_mul_f64 v[19:20], v[9:10], v[17:18]
	v_mul_f64 v[17:18], v[17:18], 0.5
	v_fma_f64 v[21:22], -v[17:18], v[19:20], 0.5
	v_fma_f64 v[19:20], v[19:20], v[21:22], v[19:20]
	v_fma_f64 v[17:18], v[17:18], v[21:22], v[17:18]
	v_fma_f64 v[21:22], -v[19:20], v[19:20], v[9:10]
	v_fma_f64 v[19:20], v[21:22], v[17:18], v[19:20]
	v_fma_f64 v[21:22], -v[19:20], v[19:20], v[9:10]
	v_fma_f64 v[17:18], v[21:22], v[17:18], v[19:20]
	v_cndmask_b32_e32 v19, 0, v32, vcc
	v_cmp_class_f64_e32 vcc, v[9:10], v28
	v_and_b32_e32 v20, 0x7fffffff, v12
	v_ldexp_f64 v[17:18], v[17:18], v19
	v_mov_b32_e32 v19, v11
	v_cndmask_b32_e32 v18, v18, v10, vcc
	v_cndmask_b32_e32 v17, v17, v9, vcc
	v_add_f64 v[9:10], v[17:18], v[17:18]
	v_bfi_b32 v18, s46, v18, v12
	v_div_scale_f64 v[21:22], s[42:43], v[9:10], v[9:10], v[19:20]
	v_div_scale_f64 v[19:20], vcc, v[19:20], v[9:10], v[19:20]
	v_rcp_f64_e32 v[25:26], v[21:22]
	v_fma_f64 v[33:34], -v[21:22], v[25:26], 1.0
	v_fma_f64 v[25:26], v[25:26], v[33:34], v[25:26]
	v_fma_f64 v[33:34], -v[21:22], v[25:26], 1.0
	v_fma_f64 v[25:26], v[25:26], v[33:34], v[25:26]
	v_mul_f64 v[33:34], v[19:20], v[25:26]
	v_fma_f64 v[19:20], -v[21:22], v[33:34], v[19:20]
	v_div_fmas_f64 v[19:20], v[19:20], v[25:26], v[33:34]
	v_div_fixup_f64 v[19:20], v[19:20], v[9:10], |v[11:12]|
.LBB295_94:                             ;   in Loop: Header=BB295_4 Depth=1
	s_or_b64 exec, exec, s[2:3]
                                        ; implicit-def: $vgpr11_vgpr12
                                        ; implicit-def: $vgpr21_vgpr22
	s_and_saveexec_b64 s[2:3], s[0:1]
	s_xor_b64 s[0:1], exec, s[2:3]
	s_cbranch_execz .LBB295_96
; %bb.95:                               ;   in Loop: Header=BB295_4 Depth=1
	v_mul_f64 v[9:10], v[19:20], 0.5
	v_mul_f64 v[11:12], v[17:18], 0.5
	v_cndmask_b32_e64 v22, v20, v10, s[40:41]
	v_cndmask_b32_e64 v21, v19, v9, s[40:41]
	;; [unrolled: 1-line block ×4, first 2 shown]
                                        ; implicit-def: $vgpr19_vgpr20
                                        ; implicit-def: $vgpr17_vgpr18
	s_andn2_saveexec_b64 s[0:1], s[0:1]
	s_cbranch_execnz .LBB295_97
	s_branch .LBB295_98
.LBB295_96:                             ;   in Loop: Header=BB295_4 Depth=1
	s_andn2_saveexec_b64 s[0:1], s[0:1]
	s_cbranch_execz .LBB295_98
.LBB295_97:                             ;   in Loop: Header=BB295_4 Depth=1
	v_add_f64 v[21:22], v[19:20], v[19:20]
	v_add_f64 v[11:12], v[17:18], v[17:18]
.LBB295_98:                             ;   in Loop: Header=BB295_4 Depth=1
	s_or_b64 exec, exec, s[0:1]
.LBB295_99:                             ;   in Loop: Header=BB295_4 Depth=1
	s_andn2_saveexec_b64 s[0:1], s[38:39]
	s_cbranch_execz .LBB295_105
; %bb.100:                              ;   in Loop: Header=BB295_4 Depth=1
	v_add_f64 v[17:18], v[11:12], -v[11:12]
	v_cmp_lt_i64_e32 vcc, -1, v[9:10]
	v_and_b32_e32 v22, 0x7fffffff, v18
	v_mov_b32_e32 v21, v17
	s_and_saveexec_b64 s[2:3], vcc
	s_xor_b64 s[2:3], exec, s[2:3]
; %bb.101:                              ;   in Loop: Header=BB295_4 Depth=1
	v_bfi_b32 v18, s46, v18, v12
	v_mov_b32_e32 v11, v17
	v_mov_b32_e32 v22, v10
	;; [unrolled: 1-line block ×4, first 2 shown]
; %bb.102:                              ;   in Loop: Header=BB295_4 Depth=1
	s_andn2_saveexec_b64 s[2:3], s[2:3]
; %bb.103:                              ;   in Loop: Header=BB295_4 Depth=1
	v_bfi_b32 v10, s46, v10, v12
	v_mov_b32_e32 v12, v10
	v_mov_b32_e32 v11, v9
; %bb.104:                              ;   in Loop: Header=BB295_4 Depth=1
	s_or_b64 exec, exec, s[2:3]
.LBB295_105:                            ;   in Loop: Header=BB295_4 Depth=1
	s_or_b64 exec, exec, s[0:1]
.LBB295_106:                            ;   in Loop: Header=BB295_4 Depth=1
	s_andn2_saveexec_b64 s[0:1], s[36:37]
	s_cbranch_execz .LBB295_108
; %bb.107:                              ;   in Loop: Header=BB295_4 Depth=1
	v_add_f64 v[11:12], v[11:12], -v[11:12]
	v_div_scale_f64 v[17:18], vcc, v[11:12], v[11:12], v[11:12]
	v_rcp_f64_e32 v[19:20], v[17:18]
	v_fma_f64 v[21:22], -v[17:18], v[19:20], 1.0
	v_fma_f64 v[19:20], v[19:20], v[21:22], v[19:20]
	v_fma_f64 v[21:22], -v[17:18], v[19:20], 1.0
	v_fma_f64 v[19:20], v[19:20], v[21:22], v[19:20]
	v_mul_f64 v[21:22], v[17:18], v[19:20]
	v_fma_f64 v[17:18], -v[17:18], v[21:22], v[17:18]
	v_div_fmas_f64 v[17:18], v[17:18], v[19:20], v[21:22]
	v_mov_b32_e32 v22, v10
	v_mov_b32_e32 v21, v9
	v_div_fixup_f64 v[11:12], v[17:18], v[11:12], v[11:12]
.LBB295_108:                            ;   in Loop: Header=BB295_4 Depth=1
	s_or_b64 exec, exec, s[0:1]
.LBB295_109:                            ;   in Loop: Header=BB295_4 Depth=1
	s_or_b64 exec, exec, s[34:35]
.LBB295_110:                            ;   in Loop: Header=BB295_4 Depth=1
	s_or_b64 exec, exec, s[30:31]
	v_cmp_gt_f64_e32 vcc, 0, v[21:22]
	v_xor_b32_e32 v9, 0x80000000, v22
	v_xor_b32_e32 v17, 0x80000000, v12
	v_mov_b32_e32 v25, v11
	v_cndmask_b32_e32 v10, v22, v9, vcc
	v_cmp_gt_f64_e32 vcc, 0, v[11:12]
	v_mov_b32_e32 v9, v21
	v_cndmask_b32_e32 v26, v12, v17, vcc
	v_cmp_ge_f64_e32 vcc, v[9:10], v[25:26]
                                        ; implicit-def: $vgpr19_vgpr20
	s_and_saveexec_b64 s[0:1], vcc
	s_xor_b64 s[2:3], exec, s[0:1]
	s_cbranch_execz .LBB295_116
; %bb.111:                              ;   in Loop: Header=BB295_4 Depth=1
	v_cmp_neq_f64_e32 vcc, 0, v[21:22]
	v_cmp_neq_f64_e64 s[0:1], 0, v[11:12]
                                        ; implicit-def: $vgpr19_vgpr20
	s_or_b64 s[0:1], vcc, s[0:1]
	s_and_saveexec_b64 s[30:31], s[0:1]
	s_xor_b64 s[0:1], exec, s[30:31]
	s_cbranch_execz .LBB295_113
; %bb.112:                              ;   in Loop: Header=BB295_4 Depth=1
	v_div_scale_f64 v[9:10], s[30:31], v[21:22], v[21:22], v[11:12]
	v_rcp_f64_e32 v[17:18], v[9:10]
	v_fma_f64 v[19:20], -v[9:10], v[17:18], 1.0
	v_fma_f64 v[17:18], v[17:18], v[19:20], v[17:18]
	v_div_scale_f64 v[19:20], vcc, v[11:12], v[21:22], v[11:12]
	v_fma_f64 v[25:26], -v[9:10], v[17:18], 1.0
	v_fma_f64 v[17:18], v[17:18], v[25:26], v[17:18]
	v_mul_f64 v[25:26], v[19:20], v[17:18]
	v_fma_f64 v[9:10], -v[9:10], v[25:26], v[19:20]
	v_div_fmas_f64 v[9:10], v[9:10], v[17:18], v[25:26]
	v_div_fixup_f64 v[9:10], v[9:10], v[21:22], v[11:12]
	v_fma_f64 v[11:12], v[11:12], v[9:10], v[21:22]
	v_div_scale_f64 v[17:18], s[30:31], v[11:12], v[11:12], 1.0
	v_rcp_f64_e32 v[19:20], v[17:18]
	v_fma_f64 v[21:22], -v[17:18], v[19:20], 1.0
	v_fma_f64 v[19:20], v[19:20], v[21:22], v[19:20]
	v_div_scale_f64 v[21:22], vcc, 1.0, v[11:12], 1.0
	v_fma_f64 v[25:26], -v[17:18], v[19:20], 1.0
	v_fma_f64 v[19:20], v[19:20], v[25:26], v[19:20]
	v_mul_f64 v[25:26], v[21:22], v[19:20]
	v_fma_f64 v[17:18], -v[17:18], v[25:26], v[21:22]
	v_div_fmas_f64 v[17:18], v[17:18], v[19:20], v[25:26]
	v_fma_f64 v[19:20], v[9:10], 0, 1.0
	v_add_f64 v[9:10], -v[9:10], 0
                                        ; implicit-def: $vgpr25_vgpr26
	v_div_fixup_f64 v[11:12], v[17:18], v[11:12], 1.0
	v_mul_f64 v[17:18], v[19:20], v[11:12]
	v_mul_f64 v[19:20], v[9:10], v[11:12]
                                        ; implicit-def: $vgpr9_vgpr10
.LBB295_113:                            ;   in Loop: Header=BB295_4 Depth=1
	s_andn2_saveexec_b64 s[30:31], s[0:1]
	s_cbranch_execz .LBB295_115
; %bb.114:                              ;   in Loop: Header=BB295_4 Depth=1
	v_div_scale_f64 v[11:12], s[0:1], v[9:10], v[9:10], 1.0
	v_div_scale_f64 v[17:18], s[0:1], v[25:26], v[25:26], 0
	v_div_scale_f64 v[37:38], s[0:1], 0, v[25:26], 0
	v_rcp_f64_e32 v[19:20], v[11:12]
	v_rcp_f64_e32 v[21:22], v[17:18]
	v_fma_f64 v[33:34], -v[11:12], v[19:20], 1.0
	v_fma_f64 v[35:36], -v[17:18], v[21:22], 1.0
	v_fma_f64 v[19:20], v[19:20], v[33:34], v[19:20]
	v_div_scale_f64 v[33:34], vcc, 1.0, v[9:10], 1.0
	v_fma_f64 v[21:22], v[21:22], v[35:36], v[21:22]
	v_fma_f64 v[35:36], -v[11:12], v[19:20], 1.0
	v_fma_f64 v[39:40], -v[17:18], v[21:22], 1.0
	v_fma_f64 v[19:20], v[19:20], v[35:36], v[19:20]
	v_fma_f64 v[21:22], v[21:22], v[39:40], v[21:22]
	v_mul_f64 v[35:36], v[33:34], v[19:20]
	v_mul_f64 v[39:40], v[37:38], v[21:22]
	v_fma_f64 v[11:12], -v[11:12], v[35:36], v[33:34]
	v_fma_f64 v[17:18], -v[17:18], v[39:40], v[37:38]
	v_div_fmas_f64 v[11:12], v[11:12], v[19:20], v[35:36]
	s_mov_b64 vcc, s[0:1]
	v_div_fmas_f64 v[19:20], v[17:18], v[21:22], v[39:40]
	v_div_fixup_f64 v[17:18], v[11:12], v[9:10], 1.0
	v_div_fixup_f64 v[19:20], v[19:20], v[25:26], 0
.LBB295_115:                            ;   in Loop: Header=BB295_4 Depth=1
	s_or_b64 exec, exec, s[30:31]
                                        ; implicit-def: $vgpr11_vgpr12
                                        ; implicit-def: $vgpr21_vgpr22
.LBB295_116:                            ;   in Loop: Header=BB295_4 Depth=1
	s_andn2_saveexec_b64 s[0:1], s[2:3]
	s_cbranch_execz .LBB295_118
; %bb.117:                              ;   in Loop: Header=BB295_4 Depth=1
	v_div_scale_f64 v[9:10], s[2:3], v[11:12], v[11:12], v[21:22]
	v_rcp_f64_e32 v[17:18], v[9:10]
	v_fma_f64 v[19:20], -v[9:10], v[17:18], 1.0
	v_fma_f64 v[17:18], v[17:18], v[19:20], v[17:18]
	v_div_scale_f64 v[19:20], vcc, v[21:22], v[11:12], v[21:22]
	v_fma_f64 v[25:26], -v[9:10], v[17:18], 1.0
	v_fma_f64 v[17:18], v[17:18], v[25:26], v[17:18]
	v_mul_f64 v[25:26], v[19:20], v[17:18]
	v_fma_f64 v[9:10], -v[9:10], v[25:26], v[19:20]
	v_div_fmas_f64 v[9:10], v[9:10], v[17:18], v[25:26]
	v_div_fixup_f64 v[9:10], v[9:10], v[11:12], v[21:22]
	v_fma_f64 v[11:12], v[21:22], v[9:10], v[11:12]
	v_div_scale_f64 v[17:18], s[2:3], v[11:12], v[11:12], 1.0
	v_rcp_f64_e32 v[19:20], v[17:18]
	v_fma_f64 v[21:22], -v[17:18], v[19:20], 1.0
	v_fma_f64 v[19:20], v[19:20], v[21:22], v[19:20]
	v_div_scale_f64 v[21:22], vcc, 1.0, v[11:12], 1.0
	v_fma_f64 v[25:26], -v[17:18], v[19:20], 1.0
	v_fma_f64 v[19:20], v[19:20], v[25:26], v[19:20]
	v_mul_f64 v[25:26], v[21:22], v[19:20]
	v_fma_f64 v[17:18], -v[17:18], v[25:26], v[21:22]
	v_div_fmas_f64 v[17:18], v[17:18], v[19:20], v[25:26]
	v_add_f64 v[19:20], v[9:10], 0
	v_fma_f64 v[9:10], v[9:10], 0, -1.0
	v_div_fixup_f64 v[11:12], v[17:18], v[11:12], 1.0
	v_mul_f64 v[17:18], v[19:20], v[11:12]
	v_mul_f64 v[19:20], v[9:10], v[11:12]
.LBB295_118:                            ;   in Loop: Header=BB295_4 Depth=1
	s_or_b64 exec, exec, s[0:1]
	v_cmp_neq_f64_e32 vcc, 0, v[1:2]
	v_cmp_neq_f64_e64 s[0:1], 0, v[3:4]
	v_mov_b32_e32 v21, 0
	v_mov_b32_e32 v22, 0
	s_or_b64 s[0:1], vcc, s[0:1]
	s_and_saveexec_b64 s[30:31], s[0:1]
	s_cbranch_execz .LBB295_148
; %bb.119:                              ;   in Loop: Header=BB295_4 Depth=1
	v_mov_b32_e32 v21, 0
	v_mov_b32_e32 v22, 0x7ff00000
	v_cmp_neq_f64_e64 s[0:1], |v[3:4]|, v[21:22]
	s_and_saveexec_b64 s[34:35], s[0:1]
	s_cbranch_execz .LBB295_147
; %bb.120:                              ;   in Loop: Header=BB295_4 Depth=1
	v_cmp_o_f64_e32 vcc, v[1:2], v[1:2]
                                        ; implicit-def: $vgpr21_vgpr22
	s_and_saveexec_b64 s[0:1], vcc
	s_xor_b64 s[36:37], exec, s[0:1]
	s_cbranch_execz .LBB295_144
; %bb.121:                              ;   in Loop: Header=BB295_4 Depth=1
	v_cmp_neq_f64_e64 s[0:1], |v[1:2]|, s[18:19]
                                        ; implicit-def: $vgpr21_vgpr22
	s_and_saveexec_b64 s[2:3], s[0:1]
	s_xor_b64 s[38:39], exec, s[2:3]
	s_cbranch_execz .LBB295_137
; %bb.122:                              ;   in Loop: Header=BB295_4 Depth=1
	v_max_f64 v[9:10], |v[3:4]|, |v[3:4]|
	v_max_f64 v[11:12], |v[1:2]|, |v[1:2]|
                                        ; implicit-def: $sgpr40_sgpr41
	v_max_f64 v[9:10], v[11:12], v[9:10]
	v_cmp_nle_f64_e64 s[0:1], s[20:21], v[9:10]
	s_and_saveexec_b64 s[2:3], s[0:1]
	s_xor_b64 s[2:3], exec, s[2:3]
	s_cbranch_execz .LBB295_126
; %bb.123:                              ;   in Loop: Header=BB295_4 Depth=1
	v_cmp_le_f64_e64 s[40:41], |v[1:2]|, s[22:23]
	v_cmp_le_f64_e64 s[42:43], |v[3:4]|, s[22:23]
	s_and_b64 s[48:49], s[40:41], s[42:43]
	s_mov_b64 s[40:41], 0
	s_and_saveexec_b64 s[42:43], s[48:49]
	s_cbranch_execz .LBB295_125
; %bb.124:                              ;   in Loop: Header=BB295_4 Depth=1
	v_mul_f64 v[1:2], v[1:2], 4.0
	v_mul_f64 v[3:4], v[3:4], 4.0
	s_mov_b64 s[40:41], exec
.LBB295_125:                            ;   in Loop: Header=BB295_4 Depth=1
	s_or_b64 exec, exec, s[42:43]
.LBB295_126:                            ;   in Loop: Header=BB295_4 Depth=1
	s_andn2_saveexec_b64 s[2:3], s[2:3]
	s_cbranch_execz .LBB295_128
; %bb.127:                              ;   in Loop: Header=BB295_4 Depth=1
	v_ldexp_f64 v[1:2], v[1:2], -2
	v_ldexp_f64 v[3:4], v[3:4], -2
	s_andn2_b64 s[40:41], s[40:41], exec
.LBB295_128:                            ;   in Loop: Header=BB295_4 Depth=1
	s_or_b64 exec, exec, s[2:3]
	v_max_f64 v[9:10], |v[3:4]|, |v[3:4]|
	v_max_f64 v[11:12], |v[1:2]|, |v[1:2]|
	v_cmp_class_f64_e64 s[42:43], v[1:2], s45
	v_cmp_class_f64_e64 s[48:49], v[3:4], s45
	v_cmp_le_f64_e64 s[2:3], 0, v[1:2]
	v_max_f64 v[9:10], v[11:12], v[9:10]
	v_frexp_exp_i32_f64_e32 v33, v[9:10]
	v_sub_u32_e32 v11, 0, v33
	v_ldexp_f64 v[9:10], |v[3:4]|, v11
	v_ldexp_f64 v[11:12], |v[1:2]|, v11
	v_mul_f64 v[9:10], v[9:10], v[9:10]
	v_fma_f64 v[9:10], v[11:12], v[11:12], v[9:10]
	v_rsq_f64_e32 v[11:12], v[9:10]
	v_cmp_eq_f64_e32 vcc, 0, v[9:10]
	v_mul_f64 v[21:22], v[9:10], v[11:12]
	v_mul_f64 v[11:12], v[11:12], 0.5
	v_fma_f64 v[25:26], -v[11:12], v[21:22], 0.5
	v_fma_f64 v[21:22], v[21:22], v[25:26], v[21:22]
	v_fma_f64 v[11:12], v[11:12], v[25:26], v[11:12]
	v_fma_f64 v[25:26], -v[21:22], v[21:22], v[9:10]
	v_fma_f64 v[11:12], v[25:26], v[11:12], v[21:22]
	v_cndmask_b32_e32 v10, v12, v10, vcc
	v_cndmask_b32_e32 v9, v11, v9, vcc
	v_ldexp_f64 v[9:10], v[9:10], v33
	v_cmp_o_f64_e32 vcc, v[3:4], v[3:4]
                                        ; implicit-def: $vgpr11_vgpr12
	v_cndmask_b32_e32 v9, 0, v9, vcc
	v_cndmask_b32_e32 v10, v29, v10, vcc
	s_or_b64 vcc, s[48:49], s[42:43]
	v_cndmask_b32_e32 v22, v10, v30, vcc
	v_cndmask_b32_e64 v21, v9, 0, vcc
                                        ; implicit-def: $vgpr9_vgpr10
	s_and_saveexec_b64 s[42:43], s[2:3]
	s_xor_b64 s[2:3], exec, s[42:43]
	s_cbranch_execz .LBB295_130
; %bb.129:                              ;   in Loop: Header=BB295_4 Depth=1
	v_add_f64 v[1:2], v[1:2], v[21:22]
	v_mul_f64 v[1:2], v[1:2], 0.5
	v_cmp_gt_f64_e32 vcc, s[24:25], v[1:2]
	v_cndmask_b32_e32 v9, 0, v31, vcc
	v_ldexp_f64 v[1:2], v[1:2], v9
	v_rsq_f64_e32 v[9:10], v[1:2]
	v_mul_f64 v[11:12], v[1:2], v[9:10]
	v_mul_f64 v[9:10], v[9:10], 0.5
	v_fma_f64 v[21:22], -v[9:10], v[11:12], 0.5
	v_fma_f64 v[11:12], v[11:12], v[21:22], v[11:12]
	v_fma_f64 v[9:10], v[9:10], v[21:22], v[9:10]
	v_fma_f64 v[21:22], -v[11:12], v[11:12], v[1:2]
	v_fma_f64 v[11:12], v[21:22], v[9:10], v[11:12]
	v_fma_f64 v[21:22], -v[11:12], v[11:12], v[1:2]
	v_fma_f64 v[9:10], v[21:22], v[9:10], v[11:12]
	v_cndmask_b32_e32 v11, 0, v32, vcc
	v_cmp_class_f64_e32 vcc, v[1:2], v28
	v_ldexp_f64 v[9:10], v[9:10], v11
	v_cndmask_b32_e32 v12, v10, v2, vcc
	v_cndmask_b32_e32 v11, v9, v1, vcc
	v_add_f64 v[1:2], v[11:12], v[11:12]
	v_div_scale_f64 v[9:10], s[42:43], v[1:2], v[1:2], v[3:4]
	v_div_scale_f64 v[33:34], vcc, v[3:4], v[1:2], v[3:4]
	v_rcp_f64_e32 v[21:22], v[9:10]
	v_fma_f64 v[25:26], -v[9:10], v[21:22], 1.0
	v_fma_f64 v[21:22], v[21:22], v[25:26], v[21:22]
	v_fma_f64 v[25:26], -v[9:10], v[21:22], 1.0
	v_fma_f64 v[21:22], v[21:22], v[25:26], v[21:22]
	v_mul_f64 v[25:26], v[33:34], v[21:22]
	v_fma_f64 v[9:10], -v[9:10], v[25:26], v[33:34]
	v_div_fmas_f64 v[9:10], v[9:10], v[21:22], v[25:26]
                                        ; implicit-def: $vgpr21_vgpr22
	v_div_fixup_f64 v[9:10], v[9:10], v[1:2], v[3:4]
                                        ; implicit-def: $vgpr1_vgpr2
	s_andn2_saveexec_b64 s[2:3], s[2:3]
	s_cbranch_execz .LBB295_132
	s_branch .LBB295_131
.LBB295_130:                            ;   in Loop: Header=BB295_4 Depth=1
	s_andn2_saveexec_b64 s[2:3], s[2:3]
	s_cbranch_execz .LBB295_132
.LBB295_131:                            ;   in Loop: Header=BB295_4 Depth=1
	v_add_f64 v[1:2], v[21:22], -v[1:2]
	v_mul_f64 v[1:2], v[1:2], 0.5
	v_cmp_gt_f64_e32 vcc, s[24:25], v[1:2]
	v_cndmask_b32_e32 v9, 0, v31, vcc
	v_ldexp_f64 v[1:2], v[1:2], v9
	v_rsq_f64_e32 v[9:10], v[1:2]
	v_mul_f64 v[11:12], v[1:2], v[9:10]
	v_mul_f64 v[9:10], v[9:10], 0.5
	v_fma_f64 v[21:22], -v[9:10], v[11:12], 0.5
	v_fma_f64 v[11:12], v[11:12], v[21:22], v[11:12]
	v_fma_f64 v[9:10], v[9:10], v[21:22], v[9:10]
	v_fma_f64 v[21:22], -v[11:12], v[11:12], v[1:2]
	v_fma_f64 v[11:12], v[21:22], v[9:10], v[11:12]
	v_fma_f64 v[21:22], -v[11:12], v[11:12], v[1:2]
	v_fma_f64 v[9:10], v[21:22], v[9:10], v[11:12]
	v_cndmask_b32_e32 v11, 0, v32, vcc
	v_cmp_class_f64_e32 vcc, v[1:2], v28
	v_and_b32_e32 v12, 0x7fffffff, v4
	v_ldexp_f64 v[9:10], v[9:10], v11
	v_mov_b32_e32 v11, v3
	v_cndmask_b32_e32 v10, v10, v2, vcc
	v_cndmask_b32_e32 v9, v9, v1, vcc
	v_add_f64 v[1:2], v[9:10], v[9:10]
	v_bfi_b32 v10, s46, v10, v4
	v_div_scale_f64 v[21:22], s[42:43], v[1:2], v[1:2], v[11:12]
	v_div_scale_f64 v[11:12], vcc, v[11:12], v[1:2], v[11:12]
	v_rcp_f64_e32 v[25:26], v[21:22]
	v_fma_f64 v[33:34], -v[21:22], v[25:26], 1.0
	v_fma_f64 v[25:26], v[25:26], v[33:34], v[25:26]
	v_fma_f64 v[33:34], -v[21:22], v[25:26], 1.0
	v_fma_f64 v[25:26], v[25:26], v[33:34], v[25:26]
	v_mul_f64 v[33:34], v[11:12], v[25:26]
	v_fma_f64 v[11:12], -v[21:22], v[33:34], v[11:12]
	v_div_fmas_f64 v[11:12], v[11:12], v[25:26], v[33:34]
	v_div_fixup_f64 v[11:12], v[11:12], v[1:2], |v[3:4]|
.LBB295_132:                            ;   in Loop: Header=BB295_4 Depth=1
	s_or_b64 exec, exec, s[2:3]
                                        ; implicit-def: $vgpr3_vgpr4
                                        ; implicit-def: $vgpr21_vgpr22
	s_and_saveexec_b64 s[2:3], s[0:1]
	s_xor_b64 s[0:1], exec, s[2:3]
	s_cbranch_execz .LBB295_134
; %bb.133:                              ;   in Loop: Header=BB295_4 Depth=1
	v_mul_f64 v[1:2], v[11:12], 0.5
	v_mul_f64 v[3:4], v[9:10], 0.5
	v_cndmask_b32_e64 v22, v12, v2, s[40:41]
	v_cndmask_b32_e64 v21, v11, v1, s[40:41]
	;; [unrolled: 1-line block ×4, first 2 shown]
                                        ; implicit-def: $vgpr11_vgpr12
                                        ; implicit-def: $vgpr9_vgpr10
	s_andn2_saveexec_b64 s[0:1], s[0:1]
	s_cbranch_execnz .LBB295_135
	s_branch .LBB295_136
.LBB295_134:                            ;   in Loop: Header=BB295_4 Depth=1
	s_andn2_saveexec_b64 s[0:1], s[0:1]
	s_cbranch_execz .LBB295_136
.LBB295_135:                            ;   in Loop: Header=BB295_4 Depth=1
	v_add_f64 v[21:22], v[11:12], v[11:12]
	v_add_f64 v[3:4], v[9:10], v[9:10]
.LBB295_136:                            ;   in Loop: Header=BB295_4 Depth=1
	s_or_b64 exec, exec, s[0:1]
.LBB295_137:                            ;   in Loop: Header=BB295_4 Depth=1
	s_andn2_saveexec_b64 s[0:1], s[38:39]
	s_cbranch_execz .LBB295_143
; %bb.138:                              ;   in Loop: Header=BB295_4 Depth=1
	v_add_f64 v[9:10], v[3:4], -v[3:4]
	v_cmp_lt_i64_e32 vcc, -1, v[1:2]
	v_and_b32_e32 v22, 0x7fffffff, v10
	v_mov_b32_e32 v21, v9
	s_and_saveexec_b64 s[2:3], vcc
	s_xor_b64 s[2:3], exec, s[2:3]
; %bb.139:                              ;   in Loop: Header=BB295_4 Depth=1
	v_bfi_b32 v10, s46, v10, v4
	v_mov_b32_e32 v3, v9
	v_mov_b32_e32 v22, v2
	;; [unrolled: 1-line block ×4, first 2 shown]
; %bb.140:                              ;   in Loop: Header=BB295_4 Depth=1
	s_andn2_saveexec_b64 s[2:3], s[2:3]
; %bb.141:                              ;   in Loop: Header=BB295_4 Depth=1
	v_bfi_b32 v2, s46, v2, v4
	v_mov_b32_e32 v4, v2
	v_mov_b32_e32 v3, v1
; %bb.142:                              ;   in Loop: Header=BB295_4 Depth=1
	s_or_b64 exec, exec, s[2:3]
.LBB295_143:                            ;   in Loop: Header=BB295_4 Depth=1
	s_or_b64 exec, exec, s[0:1]
.LBB295_144:                            ;   in Loop: Header=BB295_4 Depth=1
	s_andn2_saveexec_b64 s[0:1], s[36:37]
	s_cbranch_execz .LBB295_146
; %bb.145:                              ;   in Loop: Header=BB295_4 Depth=1
	v_add_f64 v[3:4], v[3:4], -v[3:4]
	v_div_scale_f64 v[9:10], vcc, v[3:4], v[3:4], v[3:4]
	v_rcp_f64_e32 v[11:12], v[9:10]
	v_fma_f64 v[21:22], -v[9:10], v[11:12], 1.0
	v_fma_f64 v[11:12], v[11:12], v[21:22], v[11:12]
	v_fma_f64 v[21:22], -v[9:10], v[11:12], 1.0
	v_fma_f64 v[11:12], v[11:12], v[21:22], v[11:12]
	v_mul_f64 v[21:22], v[9:10], v[11:12]
	v_fma_f64 v[9:10], -v[9:10], v[21:22], v[9:10]
	v_div_fmas_f64 v[9:10], v[9:10], v[11:12], v[21:22]
	v_mov_b32_e32 v22, v2
	v_mov_b32_e32 v21, v1
	v_div_fixup_f64 v[3:4], v[9:10], v[3:4], v[3:4]
.LBB295_146:                            ;   in Loop: Header=BB295_4 Depth=1
	s_or_b64 exec, exec, s[0:1]
.LBB295_147:                            ;   in Loop: Header=BB295_4 Depth=1
	s_or_b64 exec, exec, s[34:35]
.LBB295_148:                            ;   in Loop: Header=BB295_4 Depth=1
	s_or_b64 exec, exec, s[30:31]
	v_cmp_gt_f64_e32 vcc, 0, v[21:22]
	v_xor_b32_e32 v1, 0x80000000, v22
	v_xor_b32_e32 v9, 0x80000000, v4
	v_mov_b32_e32 v25, v3
	v_cndmask_b32_e32 v2, v22, v1, vcc
	v_cmp_gt_f64_e32 vcc, 0, v[3:4]
	v_mov_b32_e32 v1, v21
	v_cndmask_b32_e32 v26, v4, v9, vcc
	v_cmp_ge_f64_e32 vcc, v[1:2], v[25:26]
                                        ; implicit-def: $vgpr11_vgpr12
	s_and_saveexec_b64 s[0:1], vcc
	s_xor_b64 s[2:3], exec, s[0:1]
	s_cbranch_execz .LBB295_154
; %bb.149:                              ;   in Loop: Header=BB295_4 Depth=1
	v_cmp_neq_f64_e32 vcc, 0, v[21:22]
	v_cmp_neq_f64_e64 s[0:1], 0, v[3:4]
                                        ; implicit-def: $vgpr11_vgpr12
	s_or_b64 s[0:1], vcc, s[0:1]
	s_and_saveexec_b64 s[30:31], s[0:1]
	s_xor_b64 s[0:1], exec, s[30:31]
	s_cbranch_execz .LBB295_151
; %bb.150:                              ;   in Loop: Header=BB295_4 Depth=1
	v_div_scale_f64 v[1:2], s[30:31], v[21:22], v[21:22], v[3:4]
	v_rcp_f64_e32 v[9:10], v[1:2]
	v_fma_f64 v[11:12], -v[1:2], v[9:10], 1.0
	v_fma_f64 v[9:10], v[9:10], v[11:12], v[9:10]
	v_div_scale_f64 v[11:12], vcc, v[3:4], v[21:22], v[3:4]
	v_fma_f64 v[25:26], -v[1:2], v[9:10], 1.0
	v_fma_f64 v[9:10], v[9:10], v[25:26], v[9:10]
	v_mul_f64 v[25:26], v[11:12], v[9:10]
	v_fma_f64 v[1:2], -v[1:2], v[25:26], v[11:12]
	v_div_fmas_f64 v[1:2], v[1:2], v[9:10], v[25:26]
	v_div_fixup_f64 v[1:2], v[1:2], v[21:22], v[3:4]
	v_fma_f64 v[3:4], v[3:4], v[1:2], v[21:22]
	v_div_scale_f64 v[9:10], s[30:31], v[3:4], v[3:4], 1.0
	v_rcp_f64_e32 v[11:12], v[9:10]
	v_fma_f64 v[21:22], -v[9:10], v[11:12], 1.0
	v_fma_f64 v[11:12], v[11:12], v[21:22], v[11:12]
	v_div_scale_f64 v[21:22], vcc, 1.0, v[3:4], 1.0
	v_fma_f64 v[25:26], -v[9:10], v[11:12], 1.0
	v_fma_f64 v[11:12], v[11:12], v[25:26], v[11:12]
	v_mul_f64 v[25:26], v[21:22], v[11:12]
	v_fma_f64 v[9:10], -v[9:10], v[25:26], v[21:22]
	v_div_fmas_f64 v[9:10], v[9:10], v[11:12], v[25:26]
	v_fma_f64 v[11:12], v[1:2], 0, 1.0
	v_add_f64 v[1:2], -v[1:2], 0
                                        ; implicit-def: $vgpr25_vgpr26
	v_div_fixup_f64 v[3:4], v[9:10], v[3:4], 1.0
	v_mul_f64 v[9:10], v[11:12], v[3:4]
	v_mul_f64 v[11:12], v[1:2], v[3:4]
                                        ; implicit-def: $vgpr1_vgpr2
.LBB295_151:                            ;   in Loop: Header=BB295_4 Depth=1
	s_andn2_saveexec_b64 s[30:31], s[0:1]
	s_cbranch_execz .LBB295_153
; %bb.152:                              ;   in Loop: Header=BB295_4 Depth=1
	v_div_scale_f64 v[3:4], s[0:1], v[1:2], v[1:2], 1.0
	v_div_scale_f64 v[9:10], s[0:1], v[25:26], v[25:26], 0
	v_div_scale_f64 v[37:38], s[0:1], 0, v[25:26], 0
	v_rcp_f64_e32 v[11:12], v[3:4]
	v_rcp_f64_e32 v[21:22], v[9:10]
	v_fma_f64 v[33:34], -v[3:4], v[11:12], 1.0
	v_fma_f64 v[35:36], -v[9:10], v[21:22], 1.0
	v_fma_f64 v[11:12], v[11:12], v[33:34], v[11:12]
	v_div_scale_f64 v[33:34], vcc, 1.0, v[1:2], 1.0
	v_fma_f64 v[21:22], v[21:22], v[35:36], v[21:22]
	v_fma_f64 v[35:36], -v[3:4], v[11:12], 1.0
	v_fma_f64 v[39:40], -v[9:10], v[21:22], 1.0
	v_fma_f64 v[11:12], v[11:12], v[35:36], v[11:12]
	v_fma_f64 v[21:22], v[21:22], v[39:40], v[21:22]
	v_mul_f64 v[35:36], v[33:34], v[11:12]
	v_mul_f64 v[39:40], v[37:38], v[21:22]
	v_fma_f64 v[3:4], -v[3:4], v[35:36], v[33:34]
	v_fma_f64 v[9:10], -v[9:10], v[39:40], v[37:38]
	v_div_fmas_f64 v[3:4], v[3:4], v[11:12], v[35:36]
	s_mov_b64 vcc, s[0:1]
	v_div_fmas_f64 v[11:12], v[9:10], v[21:22], v[39:40]
	v_div_fixup_f64 v[9:10], v[3:4], v[1:2], 1.0
	v_div_fixup_f64 v[11:12], v[11:12], v[25:26], 0
.LBB295_153:                            ;   in Loop: Header=BB295_4 Depth=1
	s_or_b64 exec, exec, s[30:31]
                                        ; implicit-def: $vgpr3_vgpr4
                                        ; implicit-def: $vgpr21_vgpr22
.LBB295_154:                            ;   in Loop: Header=BB295_4 Depth=1
	s_andn2_saveexec_b64 s[0:1], s[2:3]
	s_cbranch_execz .LBB295_3
; %bb.155:                              ;   in Loop: Header=BB295_4 Depth=1
	v_div_scale_f64 v[1:2], s[2:3], v[3:4], v[3:4], v[21:22]
	v_rcp_f64_e32 v[9:10], v[1:2]
	v_fma_f64 v[11:12], -v[1:2], v[9:10], 1.0
	v_fma_f64 v[9:10], v[9:10], v[11:12], v[9:10]
	v_div_scale_f64 v[11:12], vcc, v[21:22], v[3:4], v[21:22]
	v_fma_f64 v[25:26], -v[1:2], v[9:10], 1.0
	v_fma_f64 v[9:10], v[9:10], v[25:26], v[9:10]
	v_mul_f64 v[25:26], v[11:12], v[9:10]
	v_fma_f64 v[1:2], -v[1:2], v[25:26], v[11:12]
	v_div_fmas_f64 v[1:2], v[1:2], v[9:10], v[25:26]
	v_div_fixup_f64 v[1:2], v[1:2], v[3:4], v[21:22]
	v_fma_f64 v[3:4], v[21:22], v[1:2], v[3:4]
	v_div_scale_f64 v[9:10], s[2:3], v[3:4], v[3:4], 1.0
	v_rcp_f64_e32 v[11:12], v[9:10]
	v_fma_f64 v[21:22], -v[9:10], v[11:12], 1.0
	v_fma_f64 v[11:12], v[11:12], v[21:22], v[11:12]
	v_div_scale_f64 v[21:22], vcc, 1.0, v[3:4], 1.0
	v_fma_f64 v[25:26], -v[9:10], v[11:12], 1.0
	v_fma_f64 v[11:12], v[11:12], v[25:26], v[11:12]
	v_mul_f64 v[25:26], v[21:22], v[11:12]
	v_fma_f64 v[9:10], -v[9:10], v[25:26], v[21:22]
	v_div_fmas_f64 v[9:10], v[9:10], v[11:12], v[25:26]
	v_add_f64 v[11:12], v[1:2], 0
	v_fma_f64 v[1:2], v[1:2], 0, -1.0
	v_div_fixup_f64 v[3:4], v[9:10], v[3:4], 1.0
	v_mul_f64 v[9:10], v[11:12], v[3:4]
	v_mul_f64 v[11:12], v[1:2], v[3:4]
	s_branch .LBB295_3
.LBB295_156:
	s_or_b64 exec, exec, s[10:11]
	s_mov_b64 s[0:1], 0
.LBB295_157:
	s_andn2_b64 vcc, exec, s[0:1]
	s_cbranch_vccnz .LBB295_329
; %bb.158:
	v_cmp_lt_i64_e64 s[0:1], s[6:7], 1
	s_and_b64 vcc, exec, s[0:1]
	s_cbranch_vccnz .LBB295_329
; %bb.159:
	v_mov_b32_e32 v1, 0x10000
	s_load_dword s2, s[4:5], 0xc5c
	v_mov_b32_e32 v2, 0
	v_cmp_lt_i64_e32 vcc, s[6:7], v[1:2]
	s_mov_b32 s22, 0
	s_and_b64 s[0:1], vcc, exec
	v_cmp_lt_u64_e32 vcc, s[6:7], v[1:2]
	s_cselect_b32 s17, s7, 0
	s_cselect_b32 s16, s6, 0x10000
	s_waitcnt lgkmcnt(0)
	s_and_b32 s33, s2, 0xffff
	s_and_b64 s[0:1], vcc, exec
	s_mov_b32 s24, 0x99fcef32
	s_mov_b32 s26, 0
	;; [unrolled: 1-line block ×3, first 2 shown]
	s_cselect_b32 s19, s7, 0
	s_cselect_b32 s18, s6, 0x10000
	s_lshl_b32 s44, s33, 1
	s_mul_i32 s45, s33, 3
	s_lshl_b32 s46, s33, 2
	s_mov_b64 s[20:21], 0
	s_mov_b32 s23, 0x7ff00000
	s_mov_b32 s25, 0x7fda8279
	;; [unrolled: 1-line block ×3, first 2 shown]
	s_movk_i32 s47, 0x204
	s_brev_b32 s29, 8
	v_mov_b32_e32 v33, 0x260
	s_brev_b32 s48, -2
	v_mov_b32_e32 v34, 0x7ff80000
	v_mov_b32_e32 v35, 0x7ff00000
	;; [unrolled: 1-line block ×4, first 2 shown]
	s_branch .LBB295_161
.LBB295_160:                            ;   in Loop: Header=BB295_161 Depth=1
	s_or_b64 exec, exec, s[0:1]
	s_add_u32 s20, s20, s46
	v_mov_b32_e32 v1, s16
	s_addc_u32 s21, s21, 0
	v_mov_b32_e32 v2, s17
	v_cmp_ge_i64_e32 vcc, s[20:21], v[1:2]
	s_cbranch_vccnz .LBB295_329
.LBB295_161:                            ; =>This Inner Loop Header: Depth=1
	v_mov_b32_e32 v1, s21
	v_add_co_u32_e32 v23, vcc, s20, v0
	v_addc_co_u32_e32 v24, vcc, 0, v1, vcc
	v_cmp_gt_u64_e64 s[0:1], s[18:19], v[23:24]
	v_mov_b32_e32 v17, 0
	v_mov_b32_e32 v21, 0
	;; [unrolled: 1-line block ×6, first 2 shown]
	s_and_saveexec_b64 s[2:3], s[0:1]
	s_cbranch_execz .LBB295_163
; %bb.162:                              ;   in Loop: Header=BB295_161 Depth=1
	v_lshlrev_b64 v[1:2], 4, v[23:24]
	v_mov_b32_e32 v3, s13
	v_add_co_u32_e32 v1, vcc, s12, v1
	v_addc_co_u32_e32 v2, vcc, v3, v2, vcc
	global_load_dwordx4 v[19:22], v[1:2], off
.LBB295_163:                            ;   in Loop: Header=BB295_161 Depth=1
	s_or_b64 exec, exec, s[2:3]
	v_add_co_u32_e32 v25, vcc, s33, v23
	v_addc_co_u32_e32 v26, vcc, 0, v24, vcc
	v_cmp_gt_u64_e64 s[2:3], s[18:19], v[25:26]
	v_mov_b32_e32 v15, 0
	v_mov_b32_e32 v16, 0
	s_and_saveexec_b64 s[4:5], s[2:3]
	s_cbranch_execz .LBB295_165
; %bb.164:                              ;   in Loop: Header=BB295_161 Depth=1
	v_lshlrev_b64 v[1:2], 4, v[25:26]
	v_mov_b32_e32 v3, s13
	v_add_co_u32_e32 v1, vcc, s12, v1
	v_addc_co_u32_e32 v2, vcc, v3, v2, vcc
	global_load_dwordx4 v[15:18], v[1:2], off
.LBB295_165:                            ;   in Loop: Header=BB295_161 Depth=1
	s_or_b64 exec, exec, s[4:5]
	v_add_co_u32_e32 v27, vcc, s44, v23
	v_addc_co_u32_e32 v28, vcc, 0, v24, vcc
	v_cmp_gt_u64_e64 s[4:5], s[18:19], v[27:28]
	v_mov_b32_e32 v3, 0
	v_mov_b32_e32 v11, 0
	;; [unrolled: 1-line block ×6, first 2 shown]
	s_and_saveexec_b64 s[6:7], s[4:5]
	s_cbranch_execz .LBB295_167
; %bb.166:                              ;   in Loop: Header=BB295_161 Depth=1
	v_lshlrev_b64 v[1:2], 4, v[27:28]
	v_mov_b32_e32 v5, s13
	v_add_co_u32_e32 v1, vcc, s12, v1
	v_addc_co_u32_e32 v2, vcc, v5, v2, vcc
	global_load_dwordx4 v[9:12], v[1:2], off
.LBB295_167:                            ;   in Loop: Header=BB295_161 Depth=1
	s_or_b64 exec, exec, s[6:7]
	v_add_co_u32_e32 v29, vcc, s45, v23
	v_addc_co_u32_e32 v30, vcc, 0, v24, vcc
	v_cmp_gt_u64_e64 s[6:7], s[18:19], v[29:30]
	v_mov_b32_e32 v1, 0
	v_mov_b32_e32 v2, 0
	s_and_saveexec_b64 s[8:9], s[6:7]
	s_cbranch_execz .LBB295_169
; %bb.168:                              ;   in Loop: Header=BB295_161 Depth=1
	v_lshlrev_b64 v[1:2], 4, v[29:30]
	v_mov_b32_e32 v3, s13
	v_add_co_u32_e32 v1, vcc, s12, v1
	v_addc_co_u32_e32 v2, vcc, v3, v2, vcc
	global_load_dwordx4 v[1:4], v[1:2], off
.LBB295_169:                            ;   in Loop: Header=BB295_161 Depth=1
	s_or_b64 exec, exec, s[8:9]
	s_waitcnt vmcnt(0)
	v_cmp_neq_f64_e32 vcc, 0, v[19:20]
	v_cmp_neq_f64_e64 s[8:9], 0, v[21:22]
	v_mov_b32_e32 v13, 0
	v_mov_b32_e32 v14, 0
	s_or_b64 s[8:9], vcc, s[8:9]
	s_and_saveexec_b64 s[30:31], s[8:9]
	s_cbranch_execz .LBB295_198
; %bb.170:                              ;   in Loop: Header=BB295_161 Depth=1
	v_mov_b32_e32 v13, 0
	v_mov_b32_e32 v14, 0x7ff00000
	v_cmp_neq_f64_e64 s[8:9], |v[21:22]|, v[13:14]
	s_and_saveexec_b64 s[34:35], s[8:9]
	s_cbranch_execz .LBB295_197
; %bb.171:                              ;   in Loop: Header=BB295_161 Depth=1
	v_cmp_o_f64_e32 vcc, v[19:20], v[19:20]
                                        ; implicit-def: $vgpr13_vgpr14
	s_and_saveexec_b64 s[8:9], vcc
	s_xor_b64 s[36:37], exec, s[8:9]
	s_cbranch_execz .LBB295_194
; %bb.172:                              ;   in Loop: Header=BB295_161 Depth=1
	v_cmp_neq_f64_e64 s[8:9], |v[19:20]|, s[22:23]
                                        ; implicit-def: $vgpr13_vgpr14
	s_and_saveexec_b64 s[10:11], s[8:9]
	s_xor_b64 s[38:39], exec, s[10:11]
	s_cbranch_execz .LBB295_188
; %bb.173:                              ;   in Loop: Header=BB295_161 Depth=1
	v_max_f64 v[5:6], |v[19:20]|, |v[19:20]|
	v_max_f64 v[7:8], |v[21:22]|, |v[21:22]|
                                        ; implicit-def: $sgpr40_sgpr41
	v_max_f64 v[5:6], v[7:8], v[5:6]
	v_cmp_nle_f64_e64 s[8:9], s[24:25], v[5:6]
	s_and_saveexec_b64 s[10:11], s[8:9]
	s_xor_b64 s[10:11], exec, s[10:11]
	s_cbranch_execz .LBB295_177
; %bb.174:                              ;   in Loop: Header=BB295_161 Depth=1
	v_cmp_le_f64_e64 s[40:41], |v[19:20]|, s[26:27]
	v_cmp_le_f64_e64 s[42:43], |v[21:22]|, s[26:27]
	s_and_b64 s[50:51], s[42:43], s[40:41]
	s_mov_b64 s[40:41], 0
	s_and_saveexec_b64 s[42:43], s[50:51]
	s_cbranch_execz .LBB295_176
; %bb.175:                              ;   in Loop: Header=BB295_161 Depth=1
	v_mul_f64 v[19:20], v[19:20], 4.0
	v_mul_f64 v[21:22], v[21:22], 4.0
	s_mov_b64 s[40:41], exec
.LBB295_176:                            ;   in Loop: Header=BB295_161 Depth=1
	s_or_b64 exec, exec, s[42:43]
.LBB295_177:                            ;   in Loop: Header=BB295_161 Depth=1
	s_andn2_saveexec_b64 s[10:11], s[10:11]
	s_cbranch_execz .LBB295_179
; %bb.178:                              ;   in Loop: Header=BB295_161 Depth=1
	v_ldexp_f64 v[19:20], v[19:20], -2
	v_ldexp_f64 v[21:22], v[21:22], -2
	s_andn2_b64 s[40:41], s[40:41], exec
.LBB295_179:                            ;   in Loop: Header=BB295_161 Depth=1
	s_or_b64 exec, exec, s[10:11]
	v_max_f64 v[5:6], |v[21:22]|, |v[21:22]|
	v_max_f64 v[7:8], |v[19:20]|, |v[19:20]|
	v_cmp_class_f64_e64 s[42:43], v[19:20], s47
	v_cmp_class_f64_e64 s[50:51], v[21:22], s47
	v_cmp_le_f64_e64 s[10:11], 0, v[19:20]
	v_max_f64 v[5:6], v[7:8], v[5:6]
	v_frexp_exp_i32_f64_e32 v38, v[5:6]
	v_sub_u32_e32 v7, 0, v38
	v_ldexp_f64 v[5:6], |v[21:22]|, v7
	v_ldexp_f64 v[7:8], |v[19:20]|, v7
	v_mul_f64 v[5:6], v[5:6], v[5:6]
	v_fma_f64 v[5:6], v[7:8], v[7:8], v[5:6]
	v_rsq_f64_e32 v[7:8], v[5:6]
	v_cmp_eq_f64_e32 vcc, 0, v[5:6]
	v_mul_f64 v[13:14], v[5:6], v[7:8]
	v_mul_f64 v[7:8], v[7:8], 0.5
	v_fma_f64 v[31:32], -v[7:8], v[13:14], 0.5
	v_fma_f64 v[13:14], v[13:14], v[31:32], v[13:14]
	v_fma_f64 v[7:8], v[7:8], v[31:32], v[7:8]
	v_fma_f64 v[31:32], -v[13:14], v[13:14], v[5:6]
	v_fma_f64 v[7:8], v[31:32], v[7:8], v[13:14]
	v_cndmask_b32_e32 v6, v8, v6, vcc
	v_cndmask_b32_e32 v5, v7, v5, vcc
	v_ldexp_f64 v[5:6], v[5:6], v38
	v_cmp_o_f64_e32 vcc, v[21:22], v[21:22]
                                        ; implicit-def: $vgpr7_vgpr8
	v_cndmask_b32_e32 v5, 0, v5, vcc
	v_cndmask_b32_e32 v6, v34, v6, vcc
	s_or_b64 vcc, s[50:51], s[42:43]
	v_cndmask_b32_e32 v14, v6, v35, vcc
	v_cndmask_b32_e64 v13, v5, 0, vcc
                                        ; implicit-def: $vgpr5_vgpr6
	s_and_saveexec_b64 s[42:43], s[10:11]
	s_xor_b64 s[10:11], exec, s[42:43]
	s_cbranch_execz .LBB295_181
; %bb.180:                              ;   in Loop: Header=BB295_161 Depth=1
	v_add_f64 v[5:6], v[19:20], v[13:14]
	v_mul_f64 v[5:6], v[5:6], 0.5
	v_cmp_gt_f64_e32 vcc, s[28:29], v[5:6]
	v_cndmask_b32_e32 v7, 0, v36, vcc
	v_ldexp_f64 v[5:6], v[5:6], v7
	v_rsq_f64_e32 v[7:8], v[5:6]
	v_mul_f64 v[13:14], v[5:6], v[7:8]
	v_mul_f64 v[7:8], v[7:8], 0.5
	v_fma_f64 v[19:20], -v[7:8], v[13:14], 0.5
	v_fma_f64 v[13:14], v[13:14], v[19:20], v[13:14]
	v_fma_f64 v[7:8], v[7:8], v[19:20], v[7:8]
	v_fma_f64 v[19:20], -v[13:14], v[13:14], v[5:6]
	v_fma_f64 v[13:14], v[19:20], v[7:8], v[13:14]
	v_fma_f64 v[19:20], -v[13:14], v[13:14], v[5:6]
	v_fma_f64 v[7:8], v[19:20], v[7:8], v[13:14]
	v_cndmask_b32_e32 v13, 0, v37, vcc
	v_cmp_class_f64_e32 vcc, v[5:6], v33
	v_ldexp_f64 v[7:8], v[7:8], v13
	v_cndmask_b32_e32 v8, v8, v6, vcc
	v_cndmask_b32_e32 v7, v7, v5, vcc
	v_add_f64 v[5:6], v[7:8], v[7:8]
	v_div_scale_f64 v[13:14], s[42:43], v[5:6], v[5:6], v[21:22]
	v_div_scale_f64 v[38:39], vcc, v[21:22], v[5:6], v[21:22]
	v_rcp_f64_e32 v[19:20], v[13:14]
	v_fma_f64 v[31:32], -v[13:14], v[19:20], 1.0
	v_fma_f64 v[19:20], v[19:20], v[31:32], v[19:20]
	v_fma_f64 v[31:32], -v[13:14], v[19:20], 1.0
	v_fma_f64 v[19:20], v[19:20], v[31:32], v[19:20]
	v_mul_f64 v[31:32], v[38:39], v[19:20]
	v_fma_f64 v[13:14], -v[13:14], v[31:32], v[38:39]
	v_div_fmas_f64 v[13:14], v[13:14], v[19:20], v[31:32]
	v_div_fixup_f64 v[5:6], v[13:14], v[5:6], v[21:22]
                                        ; implicit-def: $vgpr13_vgpr14
                                        ; implicit-def: $vgpr19_vgpr20
	s_andn2_saveexec_b64 s[10:11], s[10:11]
	s_cbranch_execz .LBB295_183
	s_branch .LBB295_182
.LBB295_181:                            ;   in Loop: Header=BB295_161 Depth=1
	s_andn2_saveexec_b64 s[10:11], s[10:11]
	s_cbranch_execz .LBB295_183
.LBB295_182:                            ;   in Loop: Header=BB295_161 Depth=1
	v_add_f64 v[5:6], v[13:14], -v[19:20]
	v_mul_f64 v[5:6], v[5:6], 0.5
	v_cmp_gt_f64_e32 vcc, s[28:29], v[5:6]
	v_cndmask_b32_e32 v7, 0, v36, vcc
	v_ldexp_f64 v[5:6], v[5:6], v7
	v_rsq_f64_e32 v[7:8], v[5:6]
	v_mul_f64 v[13:14], v[5:6], v[7:8]
	v_mul_f64 v[7:8], v[7:8], 0.5
	v_fma_f64 v[19:20], -v[7:8], v[13:14], 0.5
	v_fma_f64 v[13:14], v[13:14], v[19:20], v[13:14]
	v_fma_f64 v[7:8], v[7:8], v[19:20], v[7:8]
	v_fma_f64 v[19:20], -v[13:14], v[13:14], v[5:6]
	v_fma_f64 v[13:14], v[19:20], v[7:8], v[13:14]
	v_fma_f64 v[19:20], -v[13:14], v[13:14], v[5:6]
	v_fma_f64 v[7:8], v[19:20], v[7:8], v[13:14]
	v_cndmask_b32_e32 v13, 0, v37, vcc
	v_cmp_class_f64_e32 vcc, v[5:6], v33
	v_and_b32_e32 v14, 0x7fffffff, v22
	v_ldexp_f64 v[7:8], v[7:8], v13
	v_mov_b32_e32 v13, v21
	v_cndmask_b32_e32 v6, v8, v6, vcc
	v_cndmask_b32_e32 v5, v7, v5, vcc
	v_add_f64 v[7:8], v[5:6], v[5:6]
	v_bfi_b32 v6, s48, v6, v22
	v_div_scale_f64 v[19:20], s[42:43], v[7:8], v[7:8], v[13:14]
	v_div_scale_f64 v[13:14], vcc, v[13:14], v[7:8], v[13:14]
	v_rcp_f64_e32 v[31:32], v[19:20]
	v_fma_f64 v[38:39], -v[19:20], v[31:32], 1.0
	v_fma_f64 v[31:32], v[31:32], v[38:39], v[31:32]
	v_fma_f64 v[38:39], -v[19:20], v[31:32], 1.0
	v_fma_f64 v[31:32], v[31:32], v[38:39], v[31:32]
	v_mul_f64 v[38:39], v[13:14], v[31:32]
	v_fma_f64 v[13:14], -v[19:20], v[38:39], v[13:14]
	v_div_fmas_f64 v[13:14], v[13:14], v[31:32], v[38:39]
	v_div_fixup_f64 v[7:8], v[13:14], v[7:8], |v[21:22]|
.LBB295_183:                            ;   in Loop: Header=BB295_161 Depth=1
	s_or_b64 exec, exec, s[10:11]
                                        ; implicit-def: $vgpr21_vgpr22
                                        ; implicit-def: $vgpr13_vgpr14
	s_and_saveexec_b64 s[10:11], s[8:9]
	s_xor_b64 s[8:9], exec, s[10:11]
	s_cbranch_execz .LBB295_185
; %bb.184:                              ;   in Loop: Header=BB295_161 Depth=1
	v_mul_f64 v[13:14], v[7:8], 0.5
	v_mul_f64 v[19:20], v[5:6], 0.5
	v_cndmask_b32_e64 v14, v8, v14, s[40:41]
	v_cndmask_b32_e64 v13, v7, v13, s[40:41]
	;; [unrolled: 1-line block ×4, first 2 shown]
                                        ; implicit-def: $vgpr7_vgpr8
                                        ; implicit-def: $vgpr5_vgpr6
	s_andn2_saveexec_b64 s[8:9], s[8:9]
	s_cbranch_execnz .LBB295_186
	s_branch .LBB295_187
.LBB295_185:                            ;   in Loop: Header=BB295_161 Depth=1
	s_andn2_saveexec_b64 s[8:9], s[8:9]
	s_cbranch_execz .LBB295_187
.LBB295_186:                            ;   in Loop: Header=BB295_161 Depth=1
	v_add_f64 v[13:14], v[7:8], v[7:8]
	v_add_f64 v[21:22], v[5:6], v[5:6]
.LBB295_187:                            ;   in Loop: Header=BB295_161 Depth=1
	s_or_b64 exec, exec, s[8:9]
.LBB295_188:                            ;   in Loop: Header=BB295_161 Depth=1
	s_andn2_saveexec_b64 s[8:9], s[38:39]
	s_cbranch_execz .LBB295_218
; %bb.189:                              ;   in Loop: Header=BB295_161 Depth=1
	v_add_f64 v[5:6], v[21:22], -v[21:22]
	v_cmp_lt_i64_e32 vcc, -1, v[19:20]
	v_and_b32_e32 v14, 0x7fffffff, v6
	v_mov_b32_e32 v13, v5
	s_and_saveexec_b64 s[10:11], vcc
	s_xor_b64 s[10:11], exec, s[10:11]
; %bb.190:                              ;   in Loop: Header=BB295_161 Depth=1
	v_bfi_b32 v6, s48, v6, v22
	v_mov_b32_e32 v22, v6
	v_mov_b32_e32 v13, v19
	;; [unrolled: 1-line block ×4, first 2 shown]
; %bb.191:                              ;   in Loop: Header=BB295_161 Depth=1
	s_andn2_saveexec_b64 s[10:11], s[10:11]
; %bb.192:                              ;   in Loop: Header=BB295_161 Depth=1
	v_bfi_b32 v20, s48, v20, v22
	v_mov_b32_e32 v22, v20
	v_mov_b32_e32 v21, v19
; %bb.193:                              ;   in Loop: Header=BB295_161 Depth=1
	s_or_b64 exec, exec, s[10:11]
	s_or_b64 exec, exec, s[8:9]
.LBB295_194:                            ;   in Loop: Header=BB295_161 Depth=1
	s_andn2_saveexec_b64 s[8:9], s[36:37]
	s_cbranch_execz .LBB295_196
.LBB295_195:                            ;   in Loop: Header=BB295_161 Depth=1
	v_add_f64 v[5:6], v[21:22], -v[21:22]
	v_div_scale_f64 v[7:8], vcc, v[5:6], v[5:6], v[5:6]
	v_rcp_f64_e32 v[13:14], v[7:8]
	v_fma_f64 v[21:22], -v[7:8], v[13:14], 1.0
	v_fma_f64 v[13:14], v[13:14], v[21:22], v[13:14]
	v_fma_f64 v[21:22], -v[7:8], v[13:14], 1.0
	v_fma_f64 v[13:14], v[13:14], v[21:22], v[13:14]
	v_mul_f64 v[21:22], v[7:8], v[13:14]
	v_fma_f64 v[7:8], -v[7:8], v[21:22], v[7:8]
	v_div_fmas_f64 v[7:8], v[7:8], v[13:14], v[21:22]
	v_mov_b32_e32 v13, v19
	v_mov_b32_e32 v14, v20
	v_div_fixup_f64 v[21:22], v[7:8], v[5:6], v[5:6]
.LBB295_196:                            ;   in Loop: Header=BB295_161 Depth=1
	s_or_b64 exec, exec, s[8:9]
.LBB295_197:                            ;   in Loop: Header=BB295_161 Depth=1
	s_or_b64 exec, exec, s[34:35]
.LBB295_198:                            ;   in Loop: Header=BB295_161 Depth=1
	s_or_b64 exec, exec, s[30:31]
	v_cmp_gt_f64_e32 vcc, 0, v[13:14]
	v_xor_b32_e32 v5, 0x80000000, v14
	v_mov_b32_e32 v19, v13
	v_mov_b32_e32 v31, v21
	v_cndmask_b32_e32 v20, v14, v5, vcc
	v_cmp_gt_f64_e32 vcc, 0, v[21:22]
	v_xor_b32_e32 v5, 0x80000000, v22
	v_cndmask_b32_e32 v32, v22, v5, vcc
	v_cmp_ge_f64_e32 vcc, v[19:20], v[31:32]
                                        ; implicit-def: $vgpr7_vgpr8
	s_and_saveexec_b64 s[8:9], vcc
	s_xor_b64 s[10:11], exec, s[8:9]
	s_cbranch_execz .LBB295_204
; %bb.199:                              ;   in Loop: Header=BB295_161 Depth=1
	v_cmp_neq_f64_e32 vcc, 0, v[13:14]
	v_cmp_neq_f64_e64 s[8:9], 0, v[21:22]
                                        ; implicit-def: $vgpr7_vgpr8
	s_or_b64 s[8:9], vcc, s[8:9]
	s_and_saveexec_b64 s[30:31], s[8:9]
	s_xor_b64 s[8:9], exec, s[30:31]
	s_cbranch_execz .LBB295_201
; %bb.200:                              ;   in Loop: Header=BB295_161 Depth=1
	v_div_scale_f64 v[5:6], s[30:31], v[13:14], v[13:14], v[21:22]
	v_rcp_f64_e32 v[7:8], v[5:6]
	v_fma_f64 v[19:20], -v[5:6], v[7:8], 1.0
	v_fma_f64 v[7:8], v[7:8], v[19:20], v[7:8]
	v_div_scale_f64 v[19:20], vcc, v[21:22], v[13:14], v[21:22]
	v_fma_f64 v[31:32], -v[5:6], v[7:8], 1.0
	v_fma_f64 v[7:8], v[7:8], v[31:32], v[7:8]
	v_mul_f64 v[31:32], v[19:20], v[7:8]
	v_fma_f64 v[5:6], -v[5:6], v[31:32], v[19:20]
	v_div_fmas_f64 v[5:6], v[5:6], v[7:8], v[31:32]
	v_div_fixup_f64 v[5:6], v[5:6], v[13:14], v[21:22]
	v_fma_f64 v[7:8], v[21:22], v[5:6], v[13:14]
	v_div_scale_f64 v[13:14], s[30:31], v[7:8], v[7:8], 1.0
	v_rcp_f64_e32 v[19:20], v[13:14]
	v_fma_f64 v[21:22], -v[13:14], v[19:20], 1.0
	v_fma_f64 v[19:20], v[19:20], v[21:22], v[19:20]
	v_div_scale_f64 v[21:22], vcc, 1.0, v[7:8], 1.0
	v_fma_f64 v[31:32], -v[13:14], v[19:20], 1.0
	v_fma_f64 v[19:20], v[19:20], v[31:32], v[19:20]
	v_mul_f64 v[31:32], v[21:22], v[19:20]
	v_fma_f64 v[13:14], -v[13:14], v[31:32], v[21:22]
	v_div_fmas_f64 v[13:14], v[13:14], v[19:20], v[31:32]
	v_fma_f64 v[19:20], v[5:6], 0, 1.0
                                        ; implicit-def: $vgpr31_vgpr32
	v_div_fixup_f64 v[7:8], v[13:14], v[7:8], 1.0
	v_add_f64 v[13:14], -v[5:6], 0
	v_mul_f64 v[5:6], v[19:20], v[7:8]
	v_mul_f64 v[7:8], v[13:14], v[7:8]
                                        ; implicit-def: $vgpr19_vgpr20
.LBB295_201:                            ;   in Loop: Header=BB295_161 Depth=1
	s_andn2_saveexec_b64 s[30:31], s[8:9]
	s_cbranch_execz .LBB295_203
; %bb.202:                              ;   in Loop: Header=BB295_161 Depth=1
	v_div_scale_f64 v[5:6], s[8:9], v[19:20], v[19:20], 1.0
	v_div_scale_f64 v[7:8], s[8:9], v[31:32], v[31:32], 0
	v_div_scale_f64 v[42:43], s[8:9], 0, v[31:32], 0
	v_rcp_f64_e32 v[13:14], v[5:6]
	v_rcp_f64_e32 v[21:22], v[7:8]
	v_fma_f64 v[38:39], -v[5:6], v[13:14], 1.0
	v_fma_f64 v[40:41], -v[7:8], v[21:22], 1.0
	v_fma_f64 v[13:14], v[13:14], v[38:39], v[13:14]
	v_div_scale_f64 v[38:39], vcc, 1.0, v[19:20], 1.0
	v_fma_f64 v[21:22], v[21:22], v[40:41], v[21:22]
	v_fma_f64 v[40:41], -v[5:6], v[13:14], 1.0
	v_fma_f64 v[44:45], -v[7:8], v[21:22], 1.0
	v_fma_f64 v[13:14], v[13:14], v[40:41], v[13:14]
	v_fma_f64 v[21:22], v[21:22], v[44:45], v[21:22]
	v_mul_f64 v[40:41], v[38:39], v[13:14]
	v_mul_f64 v[44:45], v[42:43], v[21:22]
	v_fma_f64 v[5:6], -v[5:6], v[40:41], v[38:39]
	v_fma_f64 v[7:8], -v[7:8], v[44:45], v[42:43]
	v_div_fmas_f64 v[5:6], v[5:6], v[13:14], v[40:41]
	s_mov_b64 vcc, s[8:9]
	v_div_fmas_f64 v[7:8], v[7:8], v[21:22], v[44:45]
	v_div_fixup_f64 v[5:6], v[5:6], v[19:20], 1.0
	v_div_fixup_f64 v[7:8], v[7:8], v[31:32], 0
.LBB295_203:                            ;   in Loop: Header=BB295_161 Depth=1
	s_or_b64 exec, exec, s[30:31]
                                        ; implicit-def: $vgpr21_vgpr22
                                        ; implicit-def: $vgpr13_vgpr14
.LBB295_204:                            ;   in Loop: Header=BB295_161 Depth=1
	s_andn2_saveexec_b64 s[8:9], s[10:11]
	s_cbranch_execz .LBB295_206
; %bb.205:                              ;   in Loop: Header=BB295_161 Depth=1
	v_div_scale_f64 v[5:6], s[10:11], v[21:22], v[21:22], v[13:14]
	v_rcp_f64_e32 v[7:8], v[5:6]
	v_fma_f64 v[19:20], -v[5:6], v[7:8], 1.0
	v_fma_f64 v[7:8], v[7:8], v[19:20], v[7:8]
	v_div_scale_f64 v[19:20], vcc, v[13:14], v[21:22], v[13:14]
	v_fma_f64 v[31:32], -v[5:6], v[7:8], 1.0
	v_fma_f64 v[7:8], v[7:8], v[31:32], v[7:8]
	v_mul_f64 v[31:32], v[19:20], v[7:8]
	v_fma_f64 v[5:6], -v[5:6], v[31:32], v[19:20]
	v_div_fmas_f64 v[5:6], v[5:6], v[7:8], v[31:32]
	v_div_fixup_f64 v[5:6], v[5:6], v[21:22], v[13:14]
	v_fma_f64 v[7:8], v[13:14], v[5:6], v[21:22]
	v_div_scale_f64 v[13:14], s[10:11], v[7:8], v[7:8], 1.0
	v_rcp_f64_e32 v[19:20], v[13:14]
	v_fma_f64 v[21:22], -v[13:14], v[19:20], 1.0
	v_fma_f64 v[19:20], v[19:20], v[21:22], v[19:20]
	v_div_scale_f64 v[21:22], vcc, 1.0, v[7:8], 1.0
	v_fma_f64 v[31:32], -v[13:14], v[19:20], 1.0
	v_fma_f64 v[19:20], v[19:20], v[31:32], v[19:20]
	v_mul_f64 v[31:32], v[21:22], v[19:20]
	v_fma_f64 v[13:14], -v[13:14], v[31:32], v[21:22]
	v_div_fmas_f64 v[13:14], v[13:14], v[19:20], v[31:32]
	v_add_f64 v[19:20], v[5:6], 0
	v_div_fixup_f64 v[7:8], v[13:14], v[7:8], 1.0
	v_fma_f64 v[13:14], v[5:6], 0, -1.0
	v_mul_f64 v[5:6], v[19:20], v[7:8]
	v_mul_f64 v[7:8], v[13:14], v[7:8]
.LBB295_206:                            ;   in Loop: Header=BB295_161 Depth=1
	s_or_b64 exec, exec, s[8:9]
	v_cmp_neq_f64_e32 vcc, 0, v[15:16]
	v_cmp_neq_f64_e64 s[8:9], 0, v[17:18]
	v_mov_b32_e32 v19, 0
	v_mov_b32_e32 v20, 0
	s_or_b64 s[8:9], vcc, s[8:9]
	s_and_saveexec_b64 s[30:31], s[8:9]
	s_cbranch_execz .LBB295_237
; %bb.207:                              ;   in Loop: Header=BB295_161 Depth=1
	v_mov_b32_e32 v19, 0
	v_mov_b32_e32 v20, 0x7ff00000
	v_cmp_neq_f64_e64 s[8:9], |v[17:18]|, v[19:20]
	s_and_saveexec_b64 s[34:35], s[8:9]
	s_cbranch_execz .LBB295_236
; %bb.208:                              ;   in Loop: Header=BB295_161 Depth=1
	v_cmp_o_f64_e32 vcc, v[15:16], v[15:16]
                                        ; implicit-def: $vgpr19_vgpr20
	s_and_saveexec_b64 s[8:9], vcc
	s_xor_b64 s[36:37], exec, s[8:9]
	s_cbranch_execz .LBB295_233
; %bb.209:                              ;   in Loop: Header=BB295_161 Depth=1
	v_cmp_neq_f64_e64 s[8:9], |v[15:16]|, s[22:23]
                                        ; implicit-def: $vgpr19_vgpr20
	s_and_saveexec_b64 s[10:11], s[8:9]
	s_xor_b64 s[38:39], exec, s[10:11]
	s_cbranch_execz .LBB295_226
; %bb.210:                              ;   in Loop: Header=BB295_161 Depth=1
	v_max_f64 v[13:14], |v[15:16]|, |v[15:16]|
	v_max_f64 v[19:20], |v[17:18]|, |v[17:18]|
                                        ; implicit-def: $sgpr40_sgpr41
	v_max_f64 v[13:14], v[19:20], v[13:14]
	v_cmp_nle_f64_e64 s[8:9], s[24:25], v[13:14]
	s_and_saveexec_b64 s[10:11], s[8:9]
	s_xor_b64 s[10:11], exec, s[10:11]
	s_cbranch_execz .LBB295_214
; %bb.211:                              ;   in Loop: Header=BB295_161 Depth=1
	v_cmp_le_f64_e64 s[40:41], |v[15:16]|, s[26:27]
	v_cmp_le_f64_e64 s[42:43], |v[17:18]|, s[26:27]
	s_and_b64 s[50:51], s[42:43], s[40:41]
	s_mov_b64 s[40:41], 0
	s_and_saveexec_b64 s[42:43], s[50:51]
	s_cbranch_execz .LBB295_213
; %bb.212:                              ;   in Loop: Header=BB295_161 Depth=1
	v_mul_f64 v[15:16], v[15:16], 4.0
	v_mul_f64 v[17:18], v[17:18], 4.0
	s_mov_b64 s[40:41], exec
.LBB295_213:                            ;   in Loop: Header=BB295_161 Depth=1
	s_or_b64 exec, exec, s[42:43]
.LBB295_214:                            ;   in Loop: Header=BB295_161 Depth=1
	s_andn2_saveexec_b64 s[10:11], s[10:11]
	s_cbranch_execz .LBB295_216
; %bb.215:                              ;   in Loop: Header=BB295_161 Depth=1
	v_ldexp_f64 v[15:16], v[15:16], -2
	v_ldexp_f64 v[17:18], v[17:18], -2
	s_andn2_b64 s[40:41], s[40:41], exec
.LBB295_216:                            ;   in Loop: Header=BB295_161 Depth=1
	s_or_b64 exec, exec, s[10:11]
	v_max_f64 v[13:14], |v[17:18]|, |v[17:18]|
	v_max_f64 v[19:20], |v[15:16]|, |v[15:16]|
	v_cmp_class_f64_e64 s[42:43], v[15:16], s47
	v_cmp_class_f64_e64 s[50:51], v[17:18], s47
	v_cmp_le_f64_e64 s[10:11], 0, v[15:16]
	v_max_f64 v[13:14], v[19:20], v[13:14]
	v_frexp_exp_i32_f64_e32 v38, v[13:14]
	v_sub_u32_e32 v19, 0, v38
	v_ldexp_f64 v[13:14], |v[17:18]|, v19
	v_ldexp_f64 v[19:20], |v[15:16]|, v19
	v_mul_f64 v[13:14], v[13:14], v[13:14]
	v_fma_f64 v[13:14], v[19:20], v[19:20], v[13:14]
	v_rsq_f64_e32 v[19:20], v[13:14]
	v_cmp_eq_f64_e32 vcc, 0, v[13:14]
	v_mul_f64 v[21:22], v[13:14], v[19:20]
	v_mul_f64 v[19:20], v[19:20], 0.5
	v_fma_f64 v[31:32], -v[19:20], v[21:22], 0.5
	v_fma_f64 v[21:22], v[21:22], v[31:32], v[21:22]
	v_fma_f64 v[19:20], v[19:20], v[31:32], v[19:20]
	v_fma_f64 v[31:32], -v[21:22], v[21:22], v[13:14]
	v_fma_f64 v[19:20], v[31:32], v[19:20], v[21:22]
                                        ; implicit-def: $vgpr21_vgpr22
	v_cndmask_b32_e32 v14, v20, v14, vcc
	v_cndmask_b32_e32 v13, v19, v13, vcc
	v_ldexp_f64 v[13:14], v[13:14], v38
	v_cmp_o_f64_e32 vcc, v[17:18], v[17:18]
	v_cndmask_b32_e32 v13, 0, v13, vcc
	v_cndmask_b32_e32 v14, v34, v14, vcc
	s_or_b64 vcc, s[50:51], s[42:43]
	v_cndmask_b32_e32 v20, v14, v35, vcc
	v_cndmask_b32_e64 v19, v13, 0, vcc
                                        ; implicit-def: $vgpr13_vgpr14
	s_and_saveexec_b64 s[42:43], s[10:11]
	s_xor_b64 s[10:11], exec, s[42:43]
	s_cbranch_execz .LBB295_219
; %bb.217:                              ;   in Loop: Header=BB295_161 Depth=1
	v_add_f64 v[13:14], v[15:16], v[19:20]
	v_mul_f64 v[13:14], v[13:14], 0.5
	v_cmp_gt_f64_e32 vcc, s[28:29], v[13:14]
	v_cndmask_b32_e32 v15, 0, v36, vcc
	v_ldexp_f64 v[13:14], v[13:14], v15
	v_rsq_f64_e32 v[15:16], v[13:14]
	v_mul_f64 v[19:20], v[13:14], v[15:16]
	v_mul_f64 v[15:16], v[15:16], 0.5
	v_fma_f64 v[21:22], -v[15:16], v[19:20], 0.5
	v_fma_f64 v[19:20], v[19:20], v[21:22], v[19:20]
	v_fma_f64 v[15:16], v[15:16], v[21:22], v[15:16]
	v_fma_f64 v[21:22], -v[19:20], v[19:20], v[13:14]
	v_fma_f64 v[19:20], v[21:22], v[15:16], v[19:20]
	v_fma_f64 v[21:22], -v[19:20], v[19:20], v[13:14]
	v_fma_f64 v[15:16], v[21:22], v[15:16], v[19:20]
	v_cndmask_b32_e32 v19, 0, v37, vcc
	v_cmp_class_f64_e32 vcc, v[13:14], v33
	v_ldexp_f64 v[15:16], v[15:16], v19
	v_cndmask_b32_e32 v22, v16, v14, vcc
	v_cndmask_b32_e32 v21, v15, v13, vcc
	v_add_f64 v[13:14], v[21:22], v[21:22]
	v_div_scale_f64 v[15:16], s[42:43], v[13:14], v[13:14], v[17:18]
	v_div_scale_f64 v[38:39], vcc, v[17:18], v[13:14], v[17:18]
	v_rcp_f64_e32 v[19:20], v[15:16]
	v_fma_f64 v[31:32], -v[15:16], v[19:20], 1.0
	v_fma_f64 v[19:20], v[19:20], v[31:32], v[19:20]
	v_fma_f64 v[31:32], -v[15:16], v[19:20], 1.0
	v_fma_f64 v[19:20], v[19:20], v[31:32], v[19:20]
	v_mul_f64 v[31:32], v[38:39], v[19:20]
	v_fma_f64 v[15:16], -v[15:16], v[31:32], v[38:39]
	v_div_fmas_f64 v[15:16], v[15:16], v[19:20], v[31:32]
                                        ; implicit-def: $vgpr19_vgpr20
	v_div_fixup_f64 v[13:14], v[15:16], v[13:14], v[17:18]
                                        ; implicit-def: $vgpr15_vgpr16
	s_andn2_saveexec_b64 s[10:11], s[10:11]
	s_cbranch_execz .LBB295_221
	s_branch .LBB295_220
.LBB295_218:                            ;   in Loop: Header=BB295_161 Depth=1
	s_or_b64 exec, exec, s[8:9]
	s_andn2_saveexec_b64 s[8:9], s[36:37]
	s_cbranch_execnz .LBB295_195
	s_branch .LBB295_196
.LBB295_219:                            ;   in Loop: Header=BB295_161 Depth=1
	s_andn2_saveexec_b64 s[10:11], s[10:11]
	s_cbranch_execz .LBB295_221
.LBB295_220:                            ;   in Loop: Header=BB295_161 Depth=1
	v_add_f64 v[13:14], v[19:20], -v[15:16]
	v_mul_f64 v[13:14], v[13:14], 0.5
	v_cmp_gt_f64_e32 vcc, s[28:29], v[13:14]
	v_cndmask_b32_e32 v15, 0, v36, vcc
	v_ldexp_f64 v[13:14], v[13:14], v15
	v_rsq_f64_e32 v[15:16], v[13:14]
	v_mul_f64 v[19:20], v[13:14], v[15:16]
	v_mul_f64 v[15:16], v[15:16], 0.5
	v_fma_f64 v[21:22], -v[15:16], v[19:20], 0.5
	v_fma_f64 v[19:20], v[19:20], v[21:22], v[19:20]
	v_fma_f64 v[15:16], v[15:16], v[21:22], v[15:16]
	v_fma_f64 v[21:22], -v[19:20], v[19:20], v[13:14]
	v_fma_f64 v[19:20], v[21:22], v[15:16], v[19:20]
	v_fma_f64 v[21:22], -v[19:20], v[19:20], v[13:14]
	v_fma_f64 v[15:16], v[21:22], v[15:16], v[19:20]
	v_cndmask_b32_e32 v19, 0, v37, vcc
	v_cmp_class_f64_e32 vcc, v[13:14], v33
	v_and_b32_e32 v20, 0x7fffffff, v18
	v_ldexp_f64 v[15:16], v[15:16], v19
	v_mov_b32_e32 v19, v17
	v_cndmask_b32_e32 v14, v16, v14, vcc
	v_cndmask_b32_e32 v13, v15, v13, vcc
	v_add_f64 v[15:16], v[13:14], v[13:14]
	v_bfi_b32 v14, s48, v14, v18
	v_div_scale_f64 v[21:22], s[42:43], v[15:16], v[15:16], v[19:20]
	v_div_scale_f64 v[19:20], vcc, v[19:20], v[15:16], v[19:20]
	v_rcp_f64_e32 v[31:32], v[21:22]
	v_fma_f64 v[38:39], -v[21:22], v[31:32], 1.0
	v_fma_f64 v[31:32], v[31:32], v[38:39], v[31:32]
	v_fma_f64 v[38:39], -v[21:22], v[31:32], 1.0
	v_fma_f64 v[31:32], v[31:32], v[38:39], v[31:32]
	v_mul_f64 v[38:39], v[19:20], v[31:32]
	v_fma_f64 v[19:20], -v[21:22], v[38:39], v[19:20]
	v_div_fmas_f64 v[19:20], v[19:20], v[31:32], v[38:39]
	v_div_fixup_f64 v[21:22], v[19:20], v[15:16], |v[17:18]|
.LBB295_221:                            ;   in Loop: Header=BB295_161 Depth=1
	s_or_b64 exec, exec, s[10:11]
                                        ; implicit-def: $vgpr17_vgpr18
                                        ; implicit-def: $vgpr19_vgpr20
	s_and_saveexec_b64 s[10:11], s[8:9]
	s_xor_b64 s[8:9], exec, s[10:11]
	s_cbranch_execz .LBB295_223
; %bb.222:                              ;   in Loop: Header=BB295_161 Depth=1
	v_mul_f64 v[15:16], v[21:22], 0.5
	v_mul_f64 v[17:18], v[13:14], 0.5
	v_cndmask_b32_e64 v20, v22, v16, s[40:41]
	v_cndmask_b32_e64 v19, v21, v15, s[40:41]
	;; [unrolled: 1-line block ×4, first 2 shown]
                                        ; implicit-def: $vgpr21_vgpr22
                                        ; implicit-def: $vgpr13_vgpr14
	s_andn2_saveexec_b64 s[8:9], s[8:9]
	s_cbranch_execnz .LBB295_224
	s_branch .LBB295_225
.LBB295_223:                            ;   in Loop: Header=BB295_161 Depth=1
	s_andn2_saveexec_b64 s[8:9], s[8:9]
	s_cbranch_execz .LBB295_225
.LBB295_224:                            ;   in Loop: Header=BB295_161 Depth=1
	v_add_f64 v[19:20], v[21:22], v[21:22]
	v_add_f64 v[17:18], v[13:14], v[13:14]
.LBB295_225:                            ;   in Loop: Header=BB295_161 Depth=1
	s_or_b64 exec, exec, s[8:9]
.LBB295_226:                            ;   in Loop: Header=BB295_161 Depth=1
	s_andn2_saveexec_b64 s[8:9], s[38:39]
	s_cbranch_execz .LBB295_232
; %bb.227:                              ;   in Loop: Header=BB295_161 Depth=1
	v_add_f64 v[13:14], v[17:18], -v[17:18]
	v_cmp_lt_i64_e32 vcc, -1, v[15:16]
	v_and_b32_e32 v20, 0x7fffffff, v14
	v_mov_b32_e32 v19, v13
	s_and_saveexec_b64 s[10:11], vcc
	s_xor_b64 s[10:11], exec, s[10:11]
; %bb.228:                              ;   in Loop: Header=BB295_161 Depth=1
	v_bfi_b32 v14, s48, v14, v18
	v_mov_b32_e32 v18, v14
	v_mov_b32_e32 v20, v16
	;; [unrolled: 1-line block ×4, first 2 shown]
; %bb.229:                              ;   in Loop: Header=BB295_161 Depth=1
	s_andn2_saveexec_b64 s[10:11], s[10:11]
; %bb.230:                              ;   in Loop: Header=BB295_161 Depth=1
	v_bfi_b32 v16, s48, v16, v18
	v_mov_b32_e32 v18, v16
	v_mov_b32_e32 v17, v15
; %bb.231:                              ;   in Loop: Header=BB295_161 Depth=1
	s_or_b64 exec, exec, s[10:11]
.LBB295_232:                            ;   in Loop: Header=BB295_161 Depth=1
	s_or_b64 exec, exec, s[8:9]
.LBB295_233:                            ;   in Loop: Header=BB295_161 Depth=1
	s_andn2_saveexec_b64 s[8:9], s[36:37]
	s_cbranch_execz .LBB295_235
; %bb.234:                              ;   in Loop: Header=BB295_161 Depth=1
	v_add_f64 v[13:14], v[17:18], -v[17:18]
	v_div_scale_f64 v[17:18], vcc, v[13:14], v[13:14], v[13:14]
	v_rcp_f64_e32 v[19:20], v[17:18]
	v_fma_f64 v[21:22], -v[17:18], v[19:20], 1.0
	v_fma_f64 v[19:20], v[19:20], v[21:22], v[19:20]
	v_fma_f64 v[21:22], -v[17:18], v[19:20], 1.0
	v_fma_f64 v[19:20], v[19:20], v[21:22], v[19:20]
	v_mul_f64 v[21:22], v[17:18], v[19:20]
	v_fma_f64 v[17:18], -v[17:18], v[21:22], v[17:18]
	v_div_fmas_f64 v[17:18], v[17:18], v[19:20], v[21:22]
	v_mov_b32_e32 v20, v16
	v_mov_b32_e32 v19, v15
	v_div_fixup_f64 v[17:18], v[17:18], v[13:14], v[13:14]
.LBB295_235:                            ;   in Loop: Header=BB295_161 Depth=1
	s_or_b64 exec, exec, s[8:9]
.LBB295_236:                            ;   in Loop: Header=BB295_161 Depth=1
	s_or_b64 exec, exec, s[34:35]
.LBB295_237:                            ;   in Loop: Header=BB295_161 Depth=1
	s_or_b64 exec, exec, s[30:31]
	v_cmp_gt_f64_e32 vcc, 0, v[19:20]
	v_xor_b32_e32 v13, 0x80000000, v20
	v_mov_b32_e32 v21, v19
	v_mov_b32_e32 v31, v17
	v_cndmask_b32_e32 v22, v20, v13, vcc
	v_cmp_gt_f64_e32 vcc, 0, v[17:18]
	v_xor_b32_e32 v13, 0x80000000, v18
	v_cndmask_b32_e32 v32, v18, v13, vcc
	v_cmp_ge_f64_e32 vcc, v[21:22], v[31:32]
                                        ; implicit-def: $vgpr15_vgpr16
	s_and_saveexec_b64 s[8:9], vcc
	s_xor_b64 s[10:11], exec, s[8:9]
	s_cbranch_execz .LBB295_243
; %bb.238:                              ;   in Loop: Header=BB295_161 Depth=1
	v_cmp_neq_f64_e32 vcc, 0, v[19:20]
	v_cmp_neq_f64_e64 s[8:9], 0, v[17:18]
                                        ; implicit-def: $vgpr15_vgpr16
	s_or_b64 s[8:9], vcc, s[8:9]
	s_and_saveexec_b64 s[30:31], s[8:9]
	s_xor_b64 s[8:9], exec, s[30:31]
	s_cbranch_execz .LBB295_240
; %bb.239:                              ;   in Loop: Header=BB295_161 Depth=1
	v_div_scale_f64 v[13:14], s[30:31], v[19:20], v[19:20], v[17:18]
	v_rcp_f64_e32 v[15:16], v[13:14]
	v_fma_f64 v[21:22], -v[13:14], v[15:16], 1.0
	v_fma_f64 v[15:16], v[15:16], v[21:22], v[15:16]
	v_div_scale_f64 v[21:22], vcc, v[17:18], v[19:20], v[17:18]
	v_fma_f64 v[31:32], -v[13:14], v[15:16], 1.0
	v_fma_f64 v[15:16], v[15:16], v[31:32], v[15:16]
	v_mul_f64 v[31:32], v[21:22], v[15:16]
	v_fma_f64 v[13:14], -v[13:14], v[31:32], v[21:22]
	v_div_fmas_f64 v[13:14], v[13:14], v[15:16], v[31:32]
	v_div_fixup_f64 v[13:14], v[13:14], v[19:20], v[17:18]
	v_fma_f64 v[15:16], v[17:18], v[13:14], v[19:20]
	v_div_scale_f64 v[17:18], s[30:31], v[15:16], v[15:16], 1.0
	v_rcp_f64_e32 v[19:20], v[17:18]
	v_fma_f64 v[21:22], -v[17:18], v[19:20], 1.0
	v_fma_f64 v[19:20], v[19:20], v[21:22], v[19:20]
	v_div_scale_f64 v[21:22], vcc, 1.0, v[15:16], 1.0
	v_fma_f64 v[31:32], -v[17:18], v[19:20], 1.0
	v_fma_f64 v[19:20], v[19:20], v[31:32], v[19:20]
	v_mul_f64 v[31:32], v[21:22], v[19:20]
	v_fma_f64 v[17:18], -v[17:18], v[31:32], v[21:22]
                                        ; implicit-def: $vgpr21_vgpr22
	v_div_fmas_f64 v[17:18], v[17:18], v[19:20], v[31:32]
	v_fma_f64 v[19:20], v[13:14], 0, 1.0
                                        ; implicit-def: $vgpr31_vgpr32
	v_div_fixup_f64 v[15:16], v[17:18], v[15:16], 1.0
	v_add_f64 v[17:18], -v[13:14], 0
	v_mul_f64 v[13:14], v[19:20], v[15:16]
	v_mul_f64 v[15:16], v[17:18], v[15:16]
.LBB295_240:                            ;   in Loop: Header=BB295_161 Depth=1
	s_andn2_saveexec_b64 s[30:31], s[8:9]
	s_cbranch_execz .LBB295_242
; %bb.241:                              ;   in Loop: Header=BB295_161 Depth=1
	v_div_scale_f64 v[13:14], s[8:9], v[21:22], v[21:22], 1.0
	v_div_scale_f64 v[15:16], s[8:9], v[31:32], v[31:32], 0
	v_div_scale_f64 v[42:43], s[8:9], 0, v[31:32], 0
	v_rcp_f64_e32 v[17:18], v[13:14]
	v_rcp_f64_e32 v[19:20], v[15:16]
	v_fma_f64 v[38:39], -v[13:14], v[17:18], 1.0
	v_fma_f64 v[40:41], -v[15:16], v[19:20], 1.0
	v_fma_f64 v[17:18], v[17:18], v[38:39], v[17:18]
	v_div_scale_f64 v[38:39], vcc, 1.0, v[21:22], 1.0
	v_fma_f64 v[19:20], v[19:20], v[40:41], v[19:20]
	v_fma_f64 v[40:41], -v[13:14], v[17:18], 1.0
	v_fma_f64 v[44:45], -v[15:16], v[19:20], 1.0
	v_fma_f64 v[17:18], v[17:18], v[40:41], v[17:18]
	v_fma_f64 v[19:20], v[19:20], v[44:45], v[19:20]
	v_mul_f64 v[40:41], v[38:39], v[17:18]
	v_mul_f64 v[44:45], v[42:43], v[19:20]
	v_fma_f64 v[13:14], -v[13:14], v[40:41], v[38:39]
	v_fma_f64 v[15:16], -v[15:16], v[44:45], v[42:43]
	v_div_fmas_f64 v[13:14], v[13:14], v[17:18], v[40:41]
	s_mov_b64 vcc, s[8:9]
	v_div_fmas_f64 v[15:16], v[15:16], v[19:20], v[44:45]
	v_div_fixup_f64 v[13:14], v[13:14], v[21:22], 1.0
	v_div_fixup_f64 v[15:16], v[15:16], v[31:32], 0
.LBB295_242:                            ;   in Loop: Header=BB295_161 Depth=1
	s_or_b64 exec, exec, s[30:31]
                                        ; implicit-def: $vgpr17_vgpr18
                                        ; implicit-def: $vgpr19_vgpr20
.LBB295_243:                            ;   in Loop: Header=BB295_161 Depth=1
	s_andn2_saveexec_b64 s[8:9], s[10:11]
	s_cbranch_execz .LBB295_245
; %bb.244:                              ;   in Loop: Header=BB295_161 Depth=1
	v_div_scale_f64 v[13:14], s[10:11], v[17:18], v[17:18], v[19:20]
	v_rcp_f64_e32 v[15:16], v[13:14]
	v_fma_f64 v[21:22], -v[13:14], v[15:16], 1.0
	v_fma_f64 v[15:16], v[15:16], v[21:22], v[15:16]
	v_div_scale_f64 v[21:22], vcc, v[19:20], v[17:18], v[19:20]
	v_fma_f64 v[31:32], -v[13:14], v[15:16], 1.0
	v_fma_f64 v[15:16], v[15:16], v[31:32], v[15:16]
	v_mul_f64 v[31:32], v[21:22], v[15:16]
	v_fma_f64 v[13:14], -v[13:14], v[31:32], v[21:22]
	v_div_fmas_f64 v[13:14], v[13:14], v[15:16], v[31:32]
	v_div_fixup_f64 v[13:14], v[13:14], v[17:18], v[19:20]
	v_fma_f64 v[15:16], v[19:20], v[13:14], v[17:18]
	v_div_scale_f64 v[17:18], s[10:11], v[15:16], v[15:16], 1.0
	v_rcp_f64_e32 v[19:20], v[17:18]
	v_fma_f64 v[21:22], -v[17:18], v[19:20], 1.0
	v_fma_f64 v[19:20], v[19:20], v[21:22], v[19:20]
	v_div_scale_f64 v[21:22], vcc, 1.0, v[15:16], 1.0
	v_fma_f64 v[31:32], -v[17:18], v[19:20], 1.0
	v_fma_f64 v[19:20], v[19:20], v[31:32], v[19:20]
	v_mul_f64 v[31:32], v[21:22], v[19:20]
	v_fma_f64 v[17:18], -v[17:18], v[31:32], v[21:22]
	v_div_fmas_f64 v[17:18], v[17:18], v[19:20], v[31:32]
	v_add_f64 v[19:20], v[13:14], 0
	v_div_fixup_f64 v[15:16], v[17:18], v[15:16], 1.0
	v_fma_f64 v[17:18], v[13:14], 0, -1.0
	v_mul_f64 v[13:14], v[19:20], v[15:16]
	v_mul_f64 v[15:16], v[17:18], v[15:16]
.LBB295_245:                            ;   in Loop: Header=BB295_161 Depth=1
	s_or_b64 exec, exec, s[8:9]
	v_cmp_neq_f64_e32 vcc, 0, v[9:10]
	v_cmp_neq_f64_e64 s[8:9], 0, v[11:12]
	v_mov_b32_e32 v21, 0
	v_mov_b32_e32 v22, 0
	s_or_b64 s[8:9], vcc, s[8:9]
	s_and_saveexec_b64 s[30:31], s[8:9]
	s_cbranch_execz .LBB295_275
; %bb.246:                              ;   in Loop: Header=BB295_161 Depth=1
	v_mov_b32_e32 v21, 0
	v_mov_b32_e32 v22, 0x7ff00000
	v_cmp_neq_f64_e64 s[8:9], |v[11:12]|, v[21:22]
	s_and_saveexec_b64 s[34:35], s[8:9]
	s_cbranch_execz .LBB295_274
; %bb.247:                              ;   in Loop: Header=BB295_161 Depth=1
	v_cmp_o_f64_e32 vcc, v[9:10], v[9:10]
                                        ; implicit-def: $vgpr21_vgpr22
	s_and_saveexec_b64 s[8:9], vcc
	s_xor_b64 s[36:37], exec, s[8:9]
	s_cbranch_execz .LBB295_271
; %bb.248:                              ;   in Loop: Header=BB295_161 Depth=1
	v_cmp_neq_f64_e64 s[8:9], |v[9:10]|, s[22:23]
                                        ; implicit-def: $vgpr21_vgpr22
	s_and_saveexec_b64 s[10:11], s[8:9]
	s_xor_b64 s[38:39], exec, s[10:11]
	s_cbranch_execz .LBB295_264
; %bb.249:                              ;   in Loop: Header=BB295_161 Depth=1
	v_max_f64 v[17:18], |v[9:10]|, |v[9:10]|
	v_max_f64 v[19:20], |v[11:12]|, |v[11:12]|
                                        ; implicit-def: $sgpr40_sgpr41
	v_max_f64 v[17:18], v[19:20], v[17:18]
	v_cmp_nle_f64_e64 s[8:9], s[24:25], v[17:18]
	s_and_saveexec_b64 s[10:11], s[8:9]
	s_xor_b64 s[10:11], exec, s[10:11]
	s_cbranch_execz .LBB295_253
; %bb.250:                              ;   in Loop: Header=BB295_161 Depth=1
	v_cmp_le_f64_e64 s[40:41], |v[9:10]|, s[26:27]
	v_cmp_le_f64_e64 s[42:43], |v[11:12]|, s[26:27]
	s_and_b64 s[50:51], s[42:43], s[40:41]
	s_mov_b64 s[40:41], 0
	s_and_saveexec_b64 s[42:43], s[50:51]
	s_cbranch_execz .LBB295_252
; %bb.251:                              ;   in Loop: Header=BB295_161 Depth=1
	v_mul_f64 v[9:10], v[9:10], 4.0
	v_mul_f64 v[11:12], v[11:12], 4.0
	s_mov_b64 s[40:41], exec
.LBB295_252:                            ;   in Loop: Header=BB295_161 Depth=1
	s_or_b64 exec, exec, s[42:43]
.LBB295_253:                            ;   in Loop: Header=BB295_161 Depth=1
	s_andn2_saveexec_b64 s[10:11], s[10:11]
	s_cbranch_execz .LBB295_255
; %bb.254:                              ;   in Loop: Header=BB295_161 Depth=1
	v_ldexp_f64 v[9:10], v[9:10], -2
	v_ldexp_f64 v[11:12], v[11:12], -2
	s_andn2_b64 s[40:41], s[40:41], exec
.LBB295_255:                            ;   in Loop: Header=BB295_161 Depth=1
	s_or_b64 exec, exec, s[10:11]
	v_max_f64 v[17:18], |v[11:12]|, |v[11:12]|
	v_max_f64 v[19:20], |v[9:10]|, |v[9:10]|
	v_cmp_class_f64_e64 s[42:43], v[9:10], s47
	v_cmp_class_f64_e64 s[50:51], v[11:12], s47
	v_cmp_le_f64_e64 s[10:11], 0, v[9:10]
	v_max_f64 v[17:18], v[19:20], v[17:18]
	v_frexp_exp_i32_f64_e32 v38, v[17:18]
	v_sub_u32_e32 v19, 0, v38
	v_ldexp_f64 v[17:18], |v[11:12]|, v19
	v_ldexp_f64 v[19:20], |v[9:10]|, v19
	v_mul_f64 v[17:18], v[17:18], v[17:18]
	v_fma_f64 v[17:18], v[19:20], v[19:20], v[17:18]
	v_rsq_f64_e32 v[19:20], v[17:18]
	v_cmp_eq_f64_e32 vcc, 0, v[17:18]
	v_mul_f64 v[21:22], v[17:18], v[19:20]
	v_mul_f64 v[19:20], v[19:20], 0.5
	v_fma_f64 v[31:32], -v[19:20], v[21:22], 0.5
	v_fma_f64 v[21:22], v[21:22], v[31:32], v[21:22]
	v_fma_f64 v[19:20], v[19:20], v[31:32], v[19:20]
	v_fma_f64 v[31:32], -v[21:22], v[21:22], v[17:18]
	v_fma_f64 v[19:20], v[31:32], v[19:20], v[21:22]
	v_cndmask_b32_e32 v18, v20, v18, vcc
	v_cndmask_b32_e32 v17, v19, v17, vcc
	v_ldexp_f64 v[17:18], v[17:18], v38
	v_cmp_o_f64_e32 vcc, v[11:12], v[11:12]
                                        ; implicit-def: $vgpr19_vgpr20
	v_cndmask_b32_e32 v17, 0, v17, vcc
	v_cndmask_b32_e32 v18, v34, v18, vcc
	s_or_b64 vcc, s[50:51], s[42:43]
	v_cndmask_b32_e32 v22, v18, v35, vcc
	v_cndmask_b32_e64 v21, v17, 0, vcc
                                        ; implicit-def: $vgpr17_vgpr18
	s_and_saveexec_b64 s[42:43], s[10:11]
	s_xor_b64 s[10:11], exec, s[42:43]
	s_cbranch_execz .LBB295_257
; %bb.256:                              ;   in Loop: Header=BB295_161 Depth=1
	v_add_f64 v[9:10], v[9:10], v[21:22]
	v_mul_f64 v[9:10], v[9:10], 0.5
	v_cmp_gt_f64_e32 vcc, s[28:29], v[9:10]
	v_cndmask_b32_e32 v17, 0, v36, vcc
	v_ldexp_f64 v[9:10], v[9:10], v17
	v_rsq_f64_e32 v[17:18], v[9:10]
	v_mul_f64 v[19:20], v[9:10], v[17:18]
	v_mul_f64 v[17:18], v[17:18], 0.5
	v_fma_f64 v[21:22], -v[17:18], v[19:20], 0.5
	v_fma_f64 v[19:20], v[19:20], v[21:22], v[19:20]
	v_fma_f64 v[17:18], v[17:18], v[21:22], v[17:18]
	v_fma_f64 v[21:22], -v[19:20], v[19:20], v[9:10]
	v_fma_f64 v[19:20], v[21:22], v[17:18], v[19:20]
	v_fma_f64 v[21:22], -v[19:20], v[19:20], v[9:10]
	v_fma_f64 v[17:18], v[21:22], v[17:18], v[19:20]
	v_cndmask_b32_e32 v19, 0, v37, vcc
	v_cmp_class_f64_e32 vcc, v[9:10], v33
	v_ldexp_f64 v[17:18], v[17:18], v19
	v_cndmask_b32_e32 v20, v18, v10, vcc
	v_cndmask_b32_e32 v19, v17, v9, vcc
	v_add_f64 v[9:10], v[19:20], v[19:20]
	v_div_scale_f64 v[17:18], s[42:43], v[9:10], v[9:10], v[11:12]
	v_div_scale_f64 v[38:39], vcc, v[11:12], v[9:10], v[11:12]
	v_rcp_f64_e32 v[21:22], v[17:18]
	v_fma_f64 v[31:32], -v[17:18], v[21:22], 1.0
	v_fma_f64 v[21:22], v[21:22], v[31:32], v[21:22]
	v_fma_f64 v[31:32], -v[17:18], v[21:22], 1.0
	v_fma_f64 v[21:22], v[21:22], v[31:32], v[21:22]
	v_mul_f64 v[31:32], v[38:39], v[21:22]
	v_fma_f64 v[17:18], -v[17:18], v[31:32], v[38:39]
	v_div_fmas_f64 v[17:18], v[17:18], v[21:22], v[31:32]
                                        ; implicit-def: $vgpr21_vgpr22
	v_div_fixup_f64 v[17:18], v[17:18], v[9:10], v[11:12]
                                        ; implicit-def: $vgpr9_vgpr10
	s_andn2_saveexec_b64 s[10:11], s[10:11]
	s_cbranch_execz .LBB295_259
	s_branch .LBB295_258
.LBB295_257:                            ;   in Loop: Header=BB295_161 Depth=1
	s_andn2_saveexec_b64 s[10:11], s[10:11]
	s_cbranch_execz .LBB295_259
.LBB295_258:                            ;   in Loop: Header=BB295_161 Depth=1
	v_add_f64 v[9:10], v[21:22], -v[9:10]
	v_mul_f64 v[9:10], v[9:10], 0.5
	v_cmp_gt_f64_e32 vcc, s[28:29], v[9:10]
	v_cndmask_b32_e32 v17, 0, v36, vcc
	v_ldexp_f64 v[9:10], v[9:10], v17
	v_rsq_f64_e32 v[17:18], v[9:10]
	v_mul_f64 v[19:20], v[9:10], v[17:18]
	v_mul_f64 v[17:18], v[17:18], 0.5
	v_fma_f64 v[21:22], -v[17:18], v[19:20], 0.5
	v_fma_f64 v[19:20], v[19:20], v[21:22], v[19:20]
	v_fma_f64 v[17:18], v[17:18], v[21:22], v[17:18]
	v_fma_f64 v[21:22], -v[19:20], v[19:20], v[9:10]
	v_fma_f64 v[19:20], v[21:22], v[17:18], v[19:20]
	v_fma_f64 v[21:22], -v[19:20], v[19:20], v[9:10]
	v_fma_f64 v[17:18], v[21:22], v[17:18], v[19:20]
	v_cndmask_b32_e32 v19, 0, v37, vcc
	v_cmp_class_f64_e32 vcc, v[9:10], v33
	v_and_b32_e32 v20, 0x7fffffff, v12
	v_ldexp_f64 v[17:18], v[17:18], v19
	v_mov_b32_e32 v19, v11
	v_cndmask_b32_e32 v18, v18, v10, vcc
	v_cndmask_b32_e32 v17, v17, v9, vcc
	v_add_f64 v[9:10], v[17:18], v[17:18]
	v_bfi_b32 v18, s48, v18, v12
	v_div_scale_f64 v[21:22], s[42:43], v[9:10], v[9:10], v[19:20]
	v_div_scale_f64 v[19:20], vcc, v[19:20], v[9:10], v[19:20]
	v_rcp_f64_e32 v[31:32], v[21:22]
	v_fma_f64 v[38:39], -v[21:22], v[31:32], 1.0
	v_fma_f64 v[31:32], v[31:32], v[38:39], v[31:32]
	v_fma_f64 v[38:39], -v[21:22], v[31:32], 1.0
	v_fma_f64 v[31:32], v[31:32], v[38:39], v[31:32]
	v_mul_f64 v[38:39], v[19:20], v[31:32]
	v_fma_f64 v[19:20], -v[21:22], v[38:39], v[19:20]
	v_div_fmas_f64 v[19:20], v[19:20], v[31:32], v[38:39]
	v_div_fixup_f64 v[19:20], v[19:20], v[9:10], |v[11:12]|
.LBB295_259:                            ;   in Loop: Header=BB295_161 Depth=1
	s_or_b64 exec, exec, s[10:11]
                                        ; implicit-def: $vgpr11_vgpr12
                                        ; implicit-def: $vgpr21_vgpr22
	s_and_saveexec_b64 s[10:11], s[8:9]
	s_xor_b64 s[8:9], exec, s[10:11]
	s_cbranch_execz .LBB295_261
; %bb.260:                              ;   in Loop: Header=BB295_161 Depth=1
	v_mul_f64 v[9:10], v[19:20], 0.5
	v_mul_f64 v[11:12], v[17:18], 0.5
	v_cndmask_b32_e64 v22, v20, v10, s[40:41]
	v_cndmask_b32_e64 v21, v19, v9, s[40:41]
	;; [unrolled: 1-line block ×4, first 2 shown]
                                        ; implicit-def: $vgpr19_vgpr20
                                        ; implicit-def: $vgpr17_vgpr18
	s_andn2_saveexec_b64 s[8:9], s[8:9]
	s_cbranch_execnz .LBB295_262
	s_branch .LBB295_263
.LBB295_261:                            ;   in Loop: Header=BB295_161 Depth=1
	s_andn2_saveexec_b64 s[8:9], s[8:9]
	s_cbranch_execz .LBB295_263
.LBB295_262:                            ;   in Loop: Header=BB295_161 Depth=1
	v_add_f64 v[21:22], v[19:20], v[19:20]
	v_add_f64 v[11:12], v[17:18], v[17:18]
.LBB295_263:                            ;   in Loop: Header=BB295_161 Depth=1
	s_or_b64 exec, exec, s[8:9]
.LBB295_264:                            ;   in Loop: Header=BB295_161 Depth=1
	s_andn2_saveexec_b64 s[8:9], s[38:39]
	s_cbranch_execz .LBB295_270
; %bb.265:                              ;   in Loop: Header=BB295_161 Depth=1
	v_add_f64 v[17:18], v[11:12], -v[11:12]
	v_cmp_lt_i64_e32 vcc, -1, v[9:10]
	v_and_b32_e32 v22, 0x7fffffff, v18
	v_mov_b32_e32 v21, v17
	s_and_saveexec_b64 s[10:11], vcc
	s_xor_b64 s[10:11], exec, s[10:11]
; %bb.266:                              ;   in Loop: Header=BB295_161 Depth=1
	v_bfi_b32 v18, s48, v18, v12
	v_mov_b32_e32 v11, v17
	v_mov_b32_e32 v22, v10
	;; [unrolled: 1-line block ×4, first 2 shown]
; %bb.267:                              ;   in Loop: Header=BB295_161 Depth=1
	s_andn2_saveexec_b64 s[10:11], s[10:11]
; %bb.268:                              ;   in Loop: Header=BB295_161 Depth=1
	v_bfi_b32 v10, s48, v10, v12
	v_mov_b32_e32 v12, v10
	v_mov_b32_e32 v11, v9
; %bb.269:                              ;   in Loop: Header=BB295_161 Depth=1
	s_or_b64 exec, exec, s[10:11]
.LBB295_270:                            ;   in Loop: Header=BB295_161 Depth=1
	s_or_b64 exec, exec, s[8:9]
.LBB295_271:                            ;   in Loop: Header=BB295_161 Depth=1
	s_andn2_saveexec_b64 s[8:9], s[36:37]
	s_cbranch_execz .LBB295_273
; %bb.272:                              ;   in Loop: Header=BB295_161 Depth=1
	v_add_f64 v[11:12], v[11:12], -v[11:12]
	v_div_scale_f64 v[17:18], vcc, v[11:12], v[11:12], v[11:12]
	v_rcp_f64_e32 v[19:20], v[17:18]
	v_fma_f64 v[21:22], -v[17:18], v[19:20], 1.0
	v_fma_f64 v[19:20], v[19:20], v[21:22], v[19:20]
	v_fma_f64 v[21:22], -v[17:18], v[19:20], 1.0
	v_fma_f64 v[19:20], v[19:20], v[21:22], v[19:20]
	v_mul_f64 v[21:22], v[17:18], v[19:20]
	v_fma_f64 v[17:18], -v[17:18], v[21:22], v[17:18]
	v_div_fmas_f64 v[17:18], v[17:18], v[19:20], v[21:22]
	v_mov_b32_e32 v22, v10
	v_mov_b32_e32 v21, v9
	v_div_fixup_f64 v[11:12], v[17:18], v[11:12], v[11:12]
.LBB295_273:                            ;   in Loop: Header=BB295_161 Depth=1
	s_or_b64 exec, exec, s[8:9]
.LBB295_274:                            ;   in Loop: Header=BB295_161 Depth=1
	s_or_b64 exec, exec, s[34:35]
.LBB295_275:                            ;   in Loop: Header=BB295_161 Depth=1
	s_or_b64 exec, exec, s[30:31]
	v_cmp_gt_f64_e32 vcc, 0, v[21:22]
	v_xor_b32_e32 v9, 0x80000000, v22
	v_xor_b32_e32 v17, 0x80000000, v12
	v_mov_b32_e32 v31, v11
	v_cndmask_b32_e32 v10, v22, v9, vcc
	v_cmp_gt_f64_e32 vcc, 0, v[11:12]
	v_mov_b32_e32 v9, v21
	v_cndmask_b32_e32 v32, v12, v17, vcc
	v_cmp_ge_f64_e32 vcc, v[9:10], v[31:32]
                                        ; implicit-def: $vgpr19_vgpr20
	s_and_saveexec_b64 s[8:9], vcc
	s_xor_b64 s[10:11], exec, s[8:9]
	s_cbranch_execz .LBB295_281
; %bb.276:                              ;   in Loop: Header=BB295_161 Depth=1
	v_cmp_neq_f64_e32 vcc, 0, v[21:22]
	v_cmp_neq_f64_e64 s[8:9], 0, v[11:12]
                                        ; implicit-def: $vgpr19_vgpr20
	s_or_b64 s[8:9], vcc, s[8:9]
	s_and_saveexec_b64 s[30:31], s[8:9]
	s_xor_b64 s[8:9], exec, s[30:31]
	s_cbranch_execz .LBB295_278
; %bb.277:                              ;   in Loop: Header=BB295_161 Depth=1
	v_div_scale_f64 v[9:10], s[30:31], v[21:22], v[21:22], v[11:12]
	v_rcp_f64_e32 v[17:18], v[9:10]
	v_fma_f64 v[19:20], -v[9:10], v[17:18], 1.0
	v_fma_f64 v[17:18], v[17:18], v[19:20], v[17:18]
	v_div_scale_f64 v[19:20], vcc, v[11:12], v[21:22], v[11:12]
	v_fma_f64 v[31:32], -v[9:10], v[17:18], 1.0
	v_fma_f64 v[17:18], v[17:18], v[31:32], v[17:18]
	v_mul_f64 v[31:32], v[19:20], v[17:18]
	v_fma_f64 v[9:10], -v[9:10], v[31:32], v[19:20]
	v_div_fmas_f64 v[9:10], v[9:10], v[17:18], v[31:32]
	v_div_fixup_f64 v[9:10], v[9:10], v[21:22], v[11:12]
	v_fma_f64 v[11:12], v[11:12], v[9:10], v[21:22]
	v_div_scale_f64 v[17:18], s[30:31], v[11:12], v[11:12], 1.0
	v_rcp_f64_e32 v[19:20], v[17:18]
	v_fma_f64 v[21:22], -v[17:18], v[19:20], 1.0
	v_fma_f64 v[19:20], v[19:20], v[21:22], v[19:20]
	v_div_scale_f64 v[21:22], vcc, 1.0, v[11:12], 1.0
	v_fma_f64 v[31:32], -v[17:18], v[19:20], 1.0
	v_fma_f64 v[19:20], v[19:20], v[31:32], v[19:20]
	v_mul_f64 v[31:32], v[21:22], v[19:20]
	v_fma_f64 v[17:18], -v[17:18], v[31:32], v[21:22]
	v_div_fmas_f64 v[17:18], v[17:18], v[19:20], v[31:32]
	v_fma_f64 v[19:20], v[9:10], 0, 1.0
	v_add_f64 v[9:10], -v[9:10], 0
                                        ; implicit-def: $vgpr31_vgpr32
	v_div_fixup_f64 v[11:12], v[17:18], v[11:12], 1.0
	v_mul_f64 v[17:18], v[19:20], v[11:12]
	v_mul_f64 v[19:20], v[9:10], v[11:12]
                                        ; implicit-def: $vgpr9_vgpr10
.LBB295_278:                            ;   in Loop: Header=BB295_161 Depth=1
	s_andn2_saveexec_b64 s[30:31], s[8:9]
	s_cbranch_execz .LBB295_280
; %bb.279:                              ;   in Loop: Header=BB295_161 Depth=1
	v_div_scale_f64 v[11:12], s[8:9], v[9:10], v[9:10], 1.0
	v_div_scale_f64 v[17:18], s[8:9], v[31:32], v[31:32], 0
	v_div_scale_f64 v[42:43], s[8:9], 0, v[31:32], 0
	v_rcp_f64_e32 v[19:20], v[11:12]
	v_rcp_f64_e32 v[21:22], v[17:18]
	v_fma_f64 v[38:39], -v[11:12], v[19:20], 1.0
	v_fma_f64 v[40:41], -v[17:18], v[21:22], 1.0
	v_fma_f64 v[19:20], v[19:20], v[38:39], v[19:20]
	v_div_scale_f64 v[38:39], vcc, 1.0, v[9:10], 1.0
	v_fma_f64 v[21:22], v[21:22], v[40:41], v[21:22]
	v_fma_f64 v[40:41], -v[11:12], v[19:20], 1.0
	v_fma_f64 v[44:45], -v[17:18], v[21:22], 1.0
	v_fma_f64 v[19:20], v[19:20], v[40:41], v[19:20]
	v_fma_f64 v[21:22], v[21:22], v[44:45], v[21:22]
	v_mul_f64 v[40:41], v[38:39], v[19:20]
	v_mul_f64 v[44:45], v[42:43], v[21:22]
	v_fma_f64 v[11:12], -v[11:12], v[40:41], v[38:39]
	v_fma_f64 v[17:18], -v[17:18], v[44:45], v[42:43]
	v_div_fmas_f64 v[11:12], v[11:12], v[19:20], v[40:41]
	s_mov_b64 vcc, s[8:9]
	v_div_fmas_f64 v[19:20], v[17:18], v[21:22], v[44:45]
	v_div_fixup_f64 v[17:18], v[11:12], v[9:10], 1.0
	v_div_fixup_f64 v[19:20], v[19:20], v[31:32], 0
.LBB295_280:                            ;   in Loop: Header=BB295_161 Depth=1
	s_or_b64 exec, exec, s[30:31]
                                        ; implicit-def: $vgpr11_vgpr12
                                        ; implicit-def: $vgpr21_vgpr22
.LBB295_281:                            ;   in Loop: Header=BB295_161 Depth=1
	s_andn2_saveexec_b64 s[8:9], s[10:11]
	s_cbranch_execz .LBB295_283
; %bb.282:                              ;   in Loop: Header=BB295_161 Depth=1
	v_div_scale_f64 v[9:10], s[10:11], v[11:12], v[11:12], v[21:22]
	v_rcp_f64_e32 v[17:18], v[9:10]
	v_fma_f64 v[19:20], -v[9:10], v[17:18], 1.0
	v_fma_f64 v[17:18], v[17:18], v[19:20], v[17:18]
	v_div_scale_f64 v[19:20], vcc, v[21:22], v[11:12], v[21:22]
	v_fma_f64 v[31:32], -v[9:10], v[17:18], 1.0
	v_fma_f64 v[17:18], v[17:18], v[31:32], v[17:18]
	v_mul_f64 v[31:32], v[19:20], v[17:18]
	v_fma_f64 v[9:10], -v[9:10], v[31:32], v[19:20]
	v_div_fmas_f64 v[9:10], v[9:10], v[17:18], v[31:32]
	v_div_fixup_f64 v[9:10], v[9:10], v[11:12], v[21:22]
	v_fma_f64 v[11:12], v[21:22], v[9:10], v[11:12]
	v_div_scale_f64 v[17:18], s[10:11], v[11:12], v[11:12], 1.0
	v_rcp_f64_e32 v[19:20], v[17:18]
	v_fma_f64 v[21:22], -v[17:18], v[19:20], 1.0
	v_fma_f64 v[19:20], v[19:20], v[21:22], v[19:20]
	v_div_scale_f64 v[21:22], vcc, 1.0, v[11:12], 1.0
	v_fma_f64 v[31:32], -v[17:18], v[19:20], 1.0
	v_fma_f64 v[19:20], v[19:20], v[31:32], v[19:20]
	v_mul_f64 v[31:32], v[21:22], v[19:20]
	v_fma_f64 v[17:18], -v[17:18], v[31:32], v[21:22]
	v_div_fmas_f64 v[17:18], v[17:18], v[19:20], v[31:32]
	v_add_f64 v[19:20], v[9:10], 0
	v_fma_f64 v[9:10], v[9:10], 0, -1.0
	v_div_fixup_f64 v[11:12], v[17:18], v[11:12], 1.0
	v_mul_f64 v[17:18], v[19:20], v[11:12]
	v_mul_f64 v[19:20], v[9:10], v[11:12]
.LBB295_283:                            ;   in Loop: Header=BB295_161 Depth=1
	s_or_b64 exec, exec, s[8:9]
	v_cmp_neq_f64_e32 vcc, 0, v[1:2]
	v_cmp_neq_f64_e64 s[8:9], 0, v[3:4]
	v_mov_b32_e32 v21, 0
	v_mov_b32_e32 v22, 0
	s_or_b64 s[8:9], vcc, s[8:9]
	s_and_saveexec_b64 s[30:31], s[8:9]
	s_cbranch_execz .LBB295_313
; %bb.284:                              ;   in Loop: Header=BB295_161 Depth=1
	v_mov_b32_e32 v21, 0
	v_mov_b32_e32 v22, 0x7ff00000
	v_cmp_neq_f64_e64 s[8:9], |v[3:4]|, v[21:22]
	s_and_saveexec_b64 s[34:35], s[8:9]
	s_cbranch_execz .LBB295_312
; %bb.285:                              ;   in Loop: Header=BB295_161 Depth=1
	v_cmp_o_f64_e32 vcc, v[1:2], v[1:2]
                                        ; implicit-def: $vgpr21_vgpr22
	s_and_saveexec_b64 s[8:9], vcc
	s_xor_b64 s[36:37], exec, s[8:9]
	s_cbranch_execz .LBB295_309
; %bb.286:                              ;   in Loop: Header=BB295_161 Depth=1
	v_cmp_neq_f64_e64 s[8:9], |v[1:2]|, s[22:23]
                                        ; implicit-def: $vgpr21_vgpr22
	s_and_saveexec_b64 s[10:11], s[8:9]
	s_xor_b64 s[38:39], exec, s[10:11]
	s_cbranch_execz .LBB295_302
; %bb.287:                              ;   in Loop: Header=BB295_161 Depth=1
	v_max_f64 v[9:10], |v[1:2]|, |v[1:2]|
	v_max_f64 v[11:12], |v[3:4]|, |v[3:4]|
                                        ; implicit-def: $sgpr40_sgpr41
	v_max_f64 v[9:10], v[11:12], v[9:10]
	v_cmp_nle_f64_e64 s[8:9], s[24:25], v[9:10]
	s_and_saveexec_b64 s[10:11], s[8:9]
	s_xor_b64 s[10:11], exec, s[10:11]
	s_cbranch_execz .LBB295_291
; %bb.288:                              ;   in Loop: Header=BB295_161 Depth=1
	v_cmp_le_f64_e64 s[40:41], |v[1:2]|, s[26:27]
	v_cmp_le_f64_e64 s[42:43], |v[3:4]|, s[26:27]
	s_and_b64 s[50:51], s[42:43], s[40:41]
	s_mov_b64 s[40:41], 0
	s_and_saveexec_b64 s[42:43], s[50:51]
	s_cbranch_execz .LBB295_290
; %bb.289:                              ;   in Loop: Header=BB295_161 Depth=1
	v_mul_f64 v[1:2], v[1:2], 4.0
	v_mul_f64 v[3:4], v[3:4], 4.0
	s_mov_b64 s[40:41], exec
.LBB295_290:                            ;   in Loop: Header=BB295_161 Depth=1
	s_or_b64 exec, exec, s[42:43]
.LBB295_291:                            ;   in Loop: Header=BB295_161 Depth=1
	s_andn2_saveexec_b64 s[10:11], s[10:11]
	s_cbranch_execz .LBB295_293
; %bb.292:                              ;   in Loop: Header=BB295_161 Depth=1
	v_ldexp_f64 v[1:2], v[1:2], -2
	v_ldexp_f64 v[3:4], v[3:4], -2
	s_andn2_b64 s[40:41], s[40:41], exec
.LBB295_293:                            ;   in Loop: Header=BB295_161 Depth=1
	s_or_b64 exec, exec, s[10:11]
	v_max_f64 v[9:10], |v[3:4]|, |v[3:4]|
	v_max_f64 v[11:12], |v[1:2]|, |v[1:2]|
	v_cmp_class_f64_e64 s[42:43], v[1:2], s47
	v_cmp_class_f64_e64 s[50:51], v[3:4], s47
	v_cmp_le_f64_e64 s[10:11], 0, v[1:2]
	v_max_f64 v[9:10], v[11:12], v[9:10]
	v_frexp_exp_i32_f64_e32 v38, v[9:10]
	v_sub_u32_e32 v11, 0, v38
	v_ldexp_f64 v[9:10], |v[3:4]|, v11
	v_ldexp_f64 v[11:12], |v[1:2]|, v11
	v_mul_f64 v[9:10], v[9:10], v[9:10]
	v_fma_f64 v[9:10], v[11:12], v[11:12], v[9:10]
	v_rsq_f64_e32 v[11:12], v[9:10]
	v_cmp_eq_f64_e32 vcc, 0, v[9:10]
	v_mul_f64 v[21:22], v[9:10], v[11:12]
	v_mul_f64 v[11:12], v[11:12], 0.5
	v_fma_f64 v[31:32], -v[11:12], v[21:22], 0.5
	v_fma_f64 v[21:22], v[21:22], v[31:32], v[21:22]
	v_fma_f64 v[11:12], v[11:12], v[31:32], v[11:12]
	v_fma_f64 v[31:32], -v[21:22], v[21:22], v[9:10]
	v_fma_f64 v[11:12], v[31:32], v[11:12], v[21:22]
	v_cndmask_b32_e32 v10, v12, v10, vcc
	v_cndmask_b32_e32 v9, v11, v9, vcc
	v_ldexp_f64 v[9:10], v[9:10], v38
	v_cmp_o_f64_e32 vcc, v[3:4], v[3:4]
                                        ; implicit-def: $vgpr11_vgpr12
	v_cndmask_b32_e32 v9, 0, v9, vcc
	v_cndmask_b32_e32 v10, v34, v10, vcc
	s_or_b64 vcc, s[50:51], s[42:43]
	v_cndmask_b32_e32 v22, v10, v35, vcc
	v_cndmask_b32_e64 v21, v9, 0, vcc
                                        ; implicit-def: $vgpr9_vgpr10
	s_and_saveexec_b64 s[42:43], s[10:11]
	s_xor_b64 s[10:11], exec, s[42:43]
	s_cbranch_execz .LBB295_295
; %bb.294:                              ;   in Loop: Header=BB295_161 Depth=1
	v_add_f64 v[1:2], v[1:2], v[21:22]
	v_mul_f64 v[1:2], v[1:2], 0.5
	v_cmp_gt_f64_e32 vcc, s[28:29], v[1:2]
	v_cndmask_b32_e32 v9, 0, v36, vcc
	v_ldexp_f64 v[1:2], v[1:2], v9
	v_rsq_f64_e32 v[9:10], v[1:2]
	v_mul_f64 v[11:12], v[1:2], v[9:10]
	v_mul_f64 v[9:10], v[9:10], 0.5
	v_fma_f64 v[21:22], -v[9:10], v[11:12], 0.5
	v_fma_f64 v[11:12], v[11:12], v[21:22], v[11:12]
	v_fma_f64 v[9:10], v[9:10], v[21:22], v[9:10]
	v_fma_f64 v[21:22], -v[11:12], v[11:12], v[1:2]
	v_fma_f64 v[11:12], v[21:22], v[9:10], v[11:12]
	v_fma_f64 v[21:22], -v[11:12], v[11:12], v[1:2]
	v_fma_f64 v[9:10], v[21:22], v[9:10], v[11:12]
	v_cndmask_b32_e32 v11, 0, v37, vcc
	v_cmp_class_f64_e32 vcc, v[1:2], v33
	v_ldexp_f64 v[9:10], v[9:10], v11
	v_cndmask_b32_e32 v12, v10, v2, vcc
	v_cndmask_b32_e32 v11, v9, v1, vcc
	v_add_f64 v[1:2], v[11:12], v[11:12]
	v_div_scale_f64 v[9:10], s[42:43], v[1:2], v[1:2], v[3:4]
	v_div_scale_f64 v[38:39], vcc, v[3:4], v[1:2], v[3:4]
	v_rcp_f64_e32 v[21:22], v[9:10]
	v_fma_f64 v[31:32], -v[9:10], v[21:22], 1.0
	v_fma_f64 v[21:22], v[21:22], v[31:32], v[21:22]
	v_fma_f64 v[31:32], -v[9:10], v[21:22], 1.0
	v_fma_f64 v[21:22], v[21:22], v[31:32], v[21:22]
	v_mul_f64 v[31:32], v[38:39], v[21:22]
	v_fma_f64 v[9:10], -v[9:10], v[31:32], v[38:39]
	v_div_fmas_f64 v[9:10], v[9:10], v[21:22], v[31:32]
                                        ; implicit-def: $vgpr21_vgpr22
	v_div_fixup_f64 v[9:10], v[9:10], v[1:2], v[3:4]
                                        ; implicit-def: $vgpr1_vgpr2
	s_andn2_saveexec_b64 s[10:11], s[10:11]
	s_cbranch_execz .LBB295_297
	s_branch .LBB295_296
.LBB295_295:                            ;   in Loop: Header=BB295_161 Depth=1
	s_andn2_saveexec_b64 s[10:11], s[10:11]
	s_cbranch_execz .LBB295_297
.LBB295_296:                            ;   in Loop: Header=BB295_161 Depth=1
	v_add_f64 v[1:2], v[21:22], -v[1:2]
	v_mul_f64 v[1:2], v[1:2], 0.5
	v_cmp_gt_f64_e32 vcc, s[28:29], v[1:2]
	v_cndmask_b32_e32 v9, 0, v36, vcc
	v_ldexp_f64 v[1:2], v[1:2], v9
	v_rsq_f64_e32 v[9:10], v[1:2]
	v_mul_f64 v[11:12], v[1:2], v[9:10]
	v_mul_f64 v[9:10], v[9:10], 0.5
	v_fma_f64 v[21:22], -v[9:10], v[11:12], 0.5
	v_fma_f64 v[11:12], v[11:12], v[21:22], v[11:12]
	v_fma_f64 v[9:10], v[9:10], v[21:22], v[9:10]
	v_fma_f64 v[21:22], -v[11:12], v[11:12], v[1:2]
	v_fma_f64 v[11:12], v[21:22], v[9:10], v[11:12]
	v_fma_f64 v[21:22], -v[11:12], v[11:12], v[1:2]
	v_fma_f64 v[9:10], v[21:22], v[9:10], v[11:12]
	v_cndmask_b32_e32 v11, 0, v37, vcc
	v_cmp_class_f64_e32 vcc, v[1:2], v33
	v_and_b32_e32 v12, 0x7fffffff, v4
	v_ldexp_f64 v[9:10], v[9:10], v11
	v_mov_b32_e32 v11, v3
	v_cndmask_b32_e32 v10, v10, v2, vcc
	v_cndmask_b32_e32 v9, v9, v1, vcc
	v_add_f64 v[1:2], v[9:10], v[9:10]
	v_bfi_b32 v10, s48, v10, v4
	v_div_scale_f64 v[21:22], s[42:43], v[1:2], v[1:2], v[11:12]
	v_div_scale_f64 v[11:12], vcc, v[11:12], v[1:2], v[11:12]
	v_rcp_f64_e32 v[31:32], v[21:22]
	v_fma_f64 v[38:39], -v[21:22], v[31:32], 1.0
	v_fma_f64 v[31:32], v[31:32], v[38:39], v[31:32]
	v_fma_f64 v[38:39], -v[21:22], v[31:32], 1.0
	v_fma_f64 v[31:32], v[31:32], v[38:39], v[31:32]
	v_mul_f64 v[38:39], v[11:12], v[31:32]
	v_fma_f64 v[11:12], -v[21:22], v[38:39], v[11:12]
	v_div_fmas_f64 v[11:12], v[11:12], v[31:32], v[38:39]
	v_div_fixup_f64 v[11:12], v[11:12], v[1:2], |v[3:4]|
.LBB295_297:                            ;   in Loop: Header=BB295_161 Depth=1
	s_or_b64 exec, exec, s[10:11]
                                        ; implicit-def: $vgpr3_vgpr4
                                        ; implicit-def: $vgpr21_vgpr22
	s_and_saveexec_b64 s[10:11], s[8:9]
	s_xor_b64 s[8:9], exec, s[10:11]
	s_cbranch_execz .LBB295_299
; %bb.298:                              ;   in Loop: Header=BB295_161 Depth=1
	v_mul_f64 v[1:2], v[11:12], 0.5
	v_mul_f64 v[3:4], v[9:10], 0.5
	v_cndmask_b32_e64 v22, v12, v2, s[40:41]
	v_cndmask_b32_e64 v21, v11, v1, s[40:41]
	;; [unrolled: 1-line block ×4, first 2 shown]
                                        ; implicit-def: $vgpr11_vgpr12
                                        ; implicit-def: $vgpr9_vgpr10
	s_andn2_saveexec_b64 s[8:9], s[8:9]
	s_cbranch_execnz .LBB295_300
	s_branch .LBB295_301
.LBB295_299:                            ;   in Loop: Header=BB295_161 Depth=1
	s_andn2_saveexec_b64 s[8:9], s[8:9]
	s_cbranch_execz .LBB295_301
.LBB295_300:                            ;   in Loop: Header=BB295_161 Depth=1
	v_add_f64 v[21:22], v[11:12], v[11:12]
	v_add_f64 v[3:4], v[9:10], v[9:10]
.LBB295_301:                            ;   in Loop: Header=BB295_161 Depth=1
	s_or_b64 exec, exec, s[8:9]
.LBB295_302:                            ;   in Loop: Header=BB295_161 Depth=1
	s_andn2_saveexec_b64 s[8:9], s[38:39]
	s_cbranch_execz .LBB295_308
; %bb.303:                              ;   in Loop: Header=BB295_161 Depth=1
	v_add_f64 v[9:10], v[3:4], -v[3:4]
	v_cmp_lt_i64_e32 vcc, -1, v[1:2]
	v_and_b32_e32 v22, 0x7fffffff, v10
	v_mov_b32_e32 v21, v9
	s_and_saveexec_b64 s[10:11], vcc
	s_xor_b64 s[10:11], exec, s[10:11]
; %bb.304:                              ;   in Loop: Header=BB295_161 Depth=1
	v_bfi_b32 v10, s48, v10, v4
	v_mov_b32_e32 v3, v9
	v_mov_b32_e32 v22, v2
	;; [unrolled: 1-line block ×4, first 2 shown]
; %bb.305:                              ;   in Loop: Header=BB295_161 Depth=1
	s_andn2_saveexec_b64 s[10:11], s[10:11]
; %bb.306:                              ;   in Loop: Header=BB295_161 Depth=1
	v_bfi_b32 v2, s48, v2, v4
	v_mov_b32_e32 v4, v2
	v_mov_b32_e32 v3, v1
; %bb.307:                              ;   in Loop: Header=BB295_161 Depth=1
	s_or_b64 exec, exec, s[10:11]
.LBB295_308:                            ;   in Loop: Header=BB295_161 Depth=1
	s_or_b64 exec, exec, s[8:9]
.LBB295_309:                            ;   in Loop: Header=BB295_161 Depth=1
	s_andn2_saveexec_b64 s[8:9], s[36:37]
	s_cbranch_execz .LBB295_311
; %bb.310:                              ;   in Loop: Header=BB295_161 Depth=1
	v_add_f64 v[3:4], v[3:4], -v[3:4]
	v_div_scale_f64 v[9:10], vcc, v[3:4], v[3:4], v[3:4]
	v_rcp_f64_e32 v[11:12], v[9:10]
	v_fma_f64 v[21:22], -v[9:10], v[11:12], 1.0
	v_fma_f64 v[11:12], v[11:12], v[21:22], v[11:12]
	v_fma_f64 v[21:22], -v[9:10], v[11:12], 1.0
	v_fma_f64 v[11:12], v[11:12], v[21:22], v[11:12]
	v_mul_f64 v[21:22], v[9:10], v[11:12]
	v_fma_f64 v[9:10], -v[9:10], v[21:22], v[9:10]
	v_div_fmas_f64 v[9:10], v[9:10], v[11:12], v[21:22]
	v_mov_b32_e32 v22, v2
	v_mov_b32_e32 v21, v1
	v_div_fixup_f64 v[3:4], v[9:10], v[3:4], v[3:4]
.LBB295_311:                            ;   in Loop: Header=BB295_161 Depth=1
	s_or_b64 exec, exec, s[8:9]
.LBB295_312:                            ;   in Loop: Header=BB295_161 Depth=1
	s_or_b64 exec, exec, s[34:35]
.LBB295_313:                            ;   in Loop: Header=BB295_161 Depth=1
	s_or_b64 exec, exec, s[30:31]
	v_cmp_gt_f64_e32 vcc, 0, v[21:22]
	v_xor_b32_e32 v1, 0x80000000, v22
	v_xor_b32_e32 v9, 0x80000000, v4
	v_mov_b32_e32 v31, v3
	v_cndmask_b32_e32 v2, v22, v1, vcc
	v_cmp_gt_f64_e32 vcc, 0, v[3:4]
	v_mov_b32_e32 v1, v21
	v_cndmask_b32_e32 v32, v4, v9, vcc
	v_cmp_ge_f64_e32 vcc, v[1:2], v[31:32]
                                        ; implicit-def: $vgpr11_vgpr12
	s_and_saveexec_b64 s[8:9], vcc
	s_xor_b64 s[10:11], exec, s[8:9]
	s_cbranch_execz .LBB295_323
; %bb.314:                              ;   in Loop: Header=BB295_161 Depth=1
	v_cmp_neq_f64_e32 vcc, 0, v[21:22]
	v_cmp_neq_f64_e64 s[8:9], 0, v[3:4]
                                        ; implicit-def: $vgpr11_vgpr12
	s_or_b64 s[8:9], vcc, s[8:9]
	s_and_saveexec_b64 s[30:31], s[8:9]
	s_xor_b64 s[8:9], exec, s[30:31]
	s_cbranch_execz .LBB295_316
; %bb.315:                              ;   in Loop: Header=BB295_161 Depth=1
	v_div_scale_f64 v[1:2], s[30:31], v[21:22], v[21:22], v[3:4]
	v_rcp_f64_e32 v[9:10], v[1:2]
	v_fma_f64 v[11:12], -v[1:2], v[9:10], 1.0
	v_fma_f64 v[9:10], v[9:10], v[11:12], v[9:10]
	v_div_scale_f64 v[11:12], vcc, v[3:4], v[21:22], v[3:4]
	v_fma_f64 v[31:32], -v[1:2], v[9:10], 1.0
	v_fma_f64 v[9:10], v[9:10], v[31:32], v[9:10]
	v_mul_f64 v[31:32], v[11:12], v[9:10]
	v_fma_f64 v[1:2], -v[1:2], v[31:32], v[11:12]
	v_div_fmas_f64 v[1:2], v[1:2], v[9:10], v[31:32]
	v_div_fixup_f64 v[1:2], v[1:2], v[21:22], v[3:4]
	v_fma_f64 v[3:4], v[3:4], v[1:2], v[21:22]
	v_div_scale_f64 v[9:10], s[30:31], v[3:4], v[3:4], 1.0
	v_rcp_f64_e32 v[11:12], v[9:10]
	v_fma_f64 v[21:22], -v[9:10], v[11:12], 1.0
	v_fma_f64 v[11:12], v[11:12], v[21:22], v[11:12]
	v_div_scale_f64 v[21:22], vcc, 1.0, v[3:4], 1.0
	v_fma_f64 v[31:32], -v[9:10], v[11:12], 1.0
	v_fma_f64 v[11:12], v[11:12], v[31:32], v[11:12]
	v_mul_f64 v[31:32], v[21:22], v[11:12]
	v_fma_f64 v[9:10], -v[9:10], v[31:32], v[21:22]
	v_div_fmas_f64 v[9:10], v[9:10], v[11:12], v[31:32]
	v_fma_f64 v[11:12], v[1:2], 0, 1.0
	v_add_f64 v[1:2], -v[1:2], 0
                                        ; implicit-def: $vgpr31_vgpr32
	v_div_fixup_f64 v[3:4], v[9:10], v[3:4], 1.0
	v_mul_f64 v[9:10], v[11:12], v[3:4]
	v_mul_f64 v[11:12], v[1:2], v[3:4]
                                        ; implicit-def: $vgpr1_vgpr2
.LBB295_316:                            ;   in Loop: Header=BB295_161 Depth=1
	s_andn2_saveexec_b64 s[30:31], s[8:9]
	s_cbranch_execz .LBB295_318
; %bb.317:                              ;   in Loop: Header=BB295_161 Depth=1
	v_div_scale_f64 v[3:4], s[8:9], v[1:2], v[1:2], 1.0
	v_div_scale_f64 v[9:10], s[8:9], v[31:32], v[31:32], 0
	v_div_scale_f64 v[42:43], s[8:9], 0, v[31:32], 0
	v_rcp_f64_e32 v[11:12], v[3:4]
	v_rcp_f64_e32 v[21:22], v[9:10]
	v_fma_f64 v[38:39], -v[3:4], v[11:12], 1.0
	v_fma_f64 v[40:41], -v[9:10], v[21:22], 1.0
	v_fma_f64 v[11:12], v[11:12], v[38:39], v[11:12]
	v_div_scale_f64 v[38:39], vcc, 1.0, v[1:2], 1.0
	v_fma_f64 v[21:22], v[21:22], v[40:41], v[21:22]
	v_fma_f64 v[40:41], -v[3:4], v[11:12], 1.0
	v_fma_f64 v[44:45], -v[9:10], v[21:22], 1.0
	v_fma_f64 v[11:12], v[11:12], v[40:41], v[11:12]
	v_fma_f64 v[21:22], v[21:22], v[44:45], v[21:22]
	v_mul_f64 v[40:41], v[38:39], v[11:12]
	v_mul_f64 v[44:45], v[42:43], v[21:22]
	v_fma_f64 v[3:4], -v[3:4], v[40:41], v[38:39]
	v_fma_f64 v[9:10], -v[9:10], v[44:45], v[42:43]
	v_div_fmas_f64 v[3:4], v[3:4], v[11:12], v[40:41]
	s_mov_b64 vcc, s[8:9]
	v_div_fmas_f64 v[11:12], v[9:10], v[21:22], v[44:45]
	v_div_fixup_f64 v[9:10], v[3:4], v[1:2], 1.0
	v_div_fixup_f64 v[11:12], v[11:12], v[31:32], 0
.LBB295_318:                            ;   in Loop: Header=BB295_161 Depth=1
	s_or_b64 exec, exec, s[30:31]
                                        ; implicit-def: $vgpr3_vgpr4
                                        ; implicit-def: $vgpr21_vgpr22
	s_andn2_saveexec_b64 s[8:9], s[10:11]
	s_cbranch_execnz .LBB295_324
.LBB295_319:                            ;   in Loop: Header=BB295_161 Depth=1
	s_or_b64 exec, exec, s[8:9]
	s_and_saveexec_b64 s[8:9], s[0:1]
	s_xor_b64 s[0:1], exec, s[8:9]
	s_cbranch_execz .LBB295_325
.LBB295_320:                            ;   in Loop: Header=BB295_161 Depth=1
	v_lshlrev_b64 v[1:2], 4, v[23:24]
	v_mov_b32_e32 v3, s15
	v_add_co_u32_e32 v1, vcc, s14, v1
	v_addc_co_u32_e32 v2, vcc, v3, v2, vcc
	global_store_dwordx4 v[1:2], v[5:8], off
	s_or_b64 exec, exec, s[0:1]
	s_and_saveexec_b64 s[0:1], s[2:3]
	s_cbranch_execnz .LBB295_326
.LBB295_321:                            ;   in Loop: Header=BB295_161 Depth=1
	s_or_b64 exec, exec, s[0:1]
	s_and_saveexec_b64 s[0:1], s[4:5]
	s_cbranch_execz .LBB295_327
.LBB295_322:                            ;   in Loop: Header=BB295_161 Depth=1
	v_lshlrev_b64 v[1:2], 4, v[27:28]
	v_mov_b32_e32 v3, s15
	v_add_co_u32_e32 v1, vcc, s14, v1
	v_addc_co_u32_e32 v2, vcc, v3, v2, vcc
	global_store_dwordx4 v[1:2], v[17:20], off
	s_or_b64 exec, exec, s[0:1]
	s_and_saveexec_b64 s[0:1], s[6:7]
	s_cbranch_execz .LBB295_160
	s_branch .LBB295_328
.LBB295_323:                            ;   in Loop: Header=BB295_161 Depth=1
	s_andn2_saveexec_b64 s[8:9], s[10:11]
	s_cbranch_execz .LBB295_319
.LBB295_324:                            ;   in Loop: Header=BB295_161 Depth=1
	v_div_scale_f64 v[1:2], s[10:11], v[3:4], v[3:4], v[21:22]
	v_rcp_f64_e32 v[9:10], v[1:2]
	v_fma_f64 v[11:12], -v[1:2], v[9:10], 1.0
	v_fma_f64 v[9:10], v[9:10], v[11:12], v[9:10]
	v_div_scale_f64 v[11:12], vcc, v[21:22], v[3:4], v[21:22]
	v_fma_f64 v[31:32], -v[1:2], v[9:10], 1.0
	v_fma_f64 v[9:10], v[9:10], v[31:32], v[9:10]
	v_mul_f64 v[31:32], v[11:12], v[9:10]
	v_fma_f64 v[1:2], -v[1:2], v[31:32], v[11:12]
	v_div_fmas_f64 v[1:2], v[1:2], v[9:10], v[31:32]
	v_div_fixup_f64 v[1:2], v[1:2], v[3:4], v[21:22]
	v_fma_f64 v[3:4], v[21:22], v[1:2], v[3:4]
	v_div_scale_f64 v[9:10], s[10:11], v[3:4], v[3:4], 1.0
	v_rcp_f64_e32 v[11:12], v[9:10]
	v_fma_f64 v[21:22], -v[9:10], v[11:12], 1.0
	v_fma_f64 v[11:12], v[11:12], v[21:22], v[11:12]
	v_div_scale_f64 v[21:22], vcc, 1.0, v[3:4], 1.0
	v_fma_f64 v[31:32], -v[9:10], v[11:12], 1.0
	v_fma_f64 v[11:12], v[11:12], v[31:32], v[11:12]
	v_mul_f64 v[31:32], v[21:22], v[11:12]
	v_fma_f64 v[9:10], -v[9:10], v[31:32], v[21:22]
	v_div_fmas_f64 v[9:10], v[9:10], v[11:12], v[31:32]
	v_add_f64 v[11:12], v[1:2], 0
	v_fma_f64 v[1:2], v[1:2], 0, -1.0
	v_div_fixup_f64 v[3:4], v[9:10], v[3:4], 1.0
	v_mul_f64 v[9:10], v[11:12], v[3:4]
	v_mul_f64 v[11:12], v[1:2], v[3:4]
	s_or_b64 exec, exec, s[8:9]
	s_and_saveexec_b64 s[8:9], s[0:1]
	s_xor_b64 s[0:1], exec, s[8:9]
	s_cbranch_execnz .LBB295_320
.LBB295_325:                            ;   in Loop: Header=BB295_161 Depth=1
	s_or_b64 exec, exec, s[0:1]
	s_and_saveexec_b64 s[0:1], s[2:3]
	s_cbranch_execz .LBB295_321
.LBB295_326:                            ;   in Loop: Header=BB295_161 Depth=1
	v_lshlrev_b64 v[1:2], 4, v[25:26]
	v_mov_b32_e32 v3, s15
	v_add_co_u32_e32 v1, vcc, s14, v1
	v_addc_co_u32_e32 v2, vcc, v3, v2, vcc
	global_store_dwordx4 v[1:2], v[13:16], off
	s_or_b64 exec, exec, s[0:1]
	s_and_saveexec_b64 s[0:1], s[4:5]
	s_cbranch_execnz .LBB295_322
.LBB295_327:                            ;   in Loop: Header=BB295_161 Depth=1
	s_or_b64 exec, exec, s[0:1]
	s_and_saveexec_b64 s[0:1], s[6:7]
	s_cbranch_execz .LBB295_160
.LBB295_328:                            ;   in Loop: Header=BB295_161 Depth=1
	v_lshlrev_b64 v[1:2], 4, v[29:30]
	v_mov_b32_e32 v3, s15
	v_add_co_u32_e32 v1, vcc, s14, v1
	v_addc_co_u32_e32 v2, vcc, v3, v2, vcc
	global_store_dwordx4 v[1:2], v[9:12], off
	s_branch .LBB295_160
.LBB295_329:
	s_endpgm
	.section	.rodata,"a",@progbits
	.p2align	6, 0x0
	.amdhsa_kernel _ZN2at6native12_GLOBAL__N_125multi_tensor_apply_kernelINS1_18TensorListMetadataILi2EEENS1_14UnaryOpFunctorIN3c107complexIdEELi2ELi1ELi1EEEJNS0_5RsqrtIS8_EEEEEvT_T0_DpT1_
		.amdhsa_group_segment_fixed_size 0
		.amdhsa_private_segment_fixed_size 0
		.amdhsa_kernarg_size 3408
		.amdhsa_user_sgpr_count 6
		.amdhsa_user_sgpr_private_segment_buffer 1
		.amdhsa_user_sgpr_dispatch_ptr 0
		.amdhsa_user_sgpr_queue_ptr 0
		.amdhsa_user_sgpr_kernarg_segment_ptr 1
		.amdhsa_user_sgpr_dispatch_id 0
		.amdhsa_user_sgpr_flat_scratch_init 0
		.amdhsa_user_sgpr_private_segment_size 0
		.amdhsa_uses_dynamic_stack 0
		.amdhsa_system_sgpr_private_segment_wavefront_offset 0
		.amdhsa_system_sgpr_workgroup_id_x 1
		.amdhsa_system_sgpr_workgroup_id_y 0
		.amdhsa_system_sgpr_workgroup_id_z 0
		.amdhsa_system_sgpr_workgroup_info 0
		.amdhsa_system_vgpr_workitem_id 0
		.amdhsa_next_free_vgpr 46
		.amdhsa_next_free_sgpr 52
		.amdhsa_reserve_vcc 1
		.amdhsa_reserve_flat_scratch 0
		.amdhsa_float_round_mode_32 0
		.amdhsa_float_round_mode_16_64 0
		.amdhsa_float_denorm_mode_32 3
		.amdhsa_float_denorm_mode_16_64 3
		.amdhsa_dx10_clamp 1
		.amdhsa_ieee_mode 1
		.amdhsa_fp16_overflow 0
		.amdhsa_exception_fp_ieee_invalid_op 0
		.amdhsa_exception_fp_denorm_src 0
		.amdhsa_exception_fp_ieee_div_zero 0
		.amdhsa_exception_fp_ieee_overflow 0
		.amdhsa_exception_fp_ieee_underflow 0
		.amdhsa_exception_fp_ieee_inexact 0
		.amdhsa_exception_int_div_zero 0
	.end_amdhsa_kernel
	.section	.text._ZN2at6native12_GLOBAL__N_125multi_tensor_apply_kernelINS1_18TensorListMetadataILi2EEENS1_14UnaryOpFunctorIN3c107complexIdEELi2ELi1ELi1EEEJNS0_5RsqrtIS8_EEEEEvT_T0_DpT1_,"axG",@progbits,_ZN2at6native12_GLOBAL__N_125multi_tensor_apply_kernelINS1_18TensorListMetadataILi2EEENS1_14UnaryOpFunctorIN3c107complexIdEELi2ELi1ELi1EEEJNS0_5RsqrtIS8_EEEEEvT_T0_DpT1_,comdat
.Lfunc_end295:
	.size	_ZN2at6native12_GLOBAL__N_125multi_tensor_apply_kernelINS1_18TensorListMetadataILi2EEENS1_14UnaryOpFunctorIN3c107complexIdEELi2ELi1ELi1EEEJNS0_5RsqrtIS8_EEEEEvT_T0_DpT1_, .Lfunc_end295-_ZN2at6native12_GLOBAL__N_125multi_tensor_apply_kernelINS1_18TensorListMetadataILi2EEENS1_14UnaryOpFunctorIN3c107complexIdEELi2ELi1ELi1EEEJNS0_5RsqrtIS8_EEEEEvT_T0_DpT1_
                                        ; -- End function
	.set _ZN2at6native12_GLOBAL__N_125multi_tensor_apply_kernelINS1_18TensorListMetadataILi2EEENS1_14UnaryOpFunctorIN3c107complexIdEELi2ELi1ELi1EEEJNS0_5RsqrtIS8_EEEEEvT_T0_DpT1_.num_vgpr, 46
	.set _ZN2at6native12_GLOBAL__N_125multi_tensor_apply_kernelINS1_18TensorListMetadataILi2EEENS1_14UnaryOpFunctorIN3c107complexIdEELi2ELi1ELi1EEEJNS0_5RsqrtIS8_EEEEEvT_T0_DpT1_.num_agpr, 0
	.set _ZN2at6native12_GLOBAL__N_125multi_tensor_apply_kernelINS1_18TensorListMetadataILi2EEENS1_14UnaryOpFunctorIN3c107complexIdEELi2ELi1ELi1EEEJNS0_5RsqrtIS8_EEEEEvT_T0_DpT1_.numbered_sgpr, 52
	.set _ZN2at6native12_GLOBAL__N_125multi_tensor_apply_kernelINS1_18TensorListMetadataILi2EEENS1_14UnaryOpFunctorIN3c107complexIdEELi2ELi1ELi1EEEJNS0_5RsqrtIS8_EEEEEvT_T0_DpT1_.num_named_barrier, 0
	.set _ZN2at6native12_GLOBAL__N_125multi_tensor_apply_kernelINS1_18TensorListMetadataILi2EEENS1_14UnaryOpFunctorIN3c107complexIdEELi2ELi1ELi1EEEJNS0_5RsqrtIS8_EEEEEvT_T0_DpT1_.private_seg_size, 0
	.set _ZN2at6native12_GLOBAL__N_125multi_tensor_apply_kernelINS1_18TensorListMetadataILi2EEENS1_14UnaryOpFunctorIN3c107complexIdEELi2ELi1ELi1EEEJNS0_5RsqrtIS8_EEEEEvT_T0_DpT1_.uses_vcc, 1
	.set _ZN2at6native12_GLOBAL__N_125multi_tensor_apply_kernelINS1_18TensorListMetadataILi2EEENS1_14UnaryOpFunctorIN3c107complexIdEELi2ELi1ELi1EEEJNS0_5RsqrtIS8_EEEEEvT_T0_DpT1_.uses_flat_scratch, 0
	.set _ZN2at6native12_GLOBAL__N_125multi_tensor_apply_kernelINS1_18TensorListMetadataILi2EEENS1_14UnaryOpFunctorIN3c107complexIdEELi2ELi1ELi1EEEJNS0_5RsqrtIS8_EEEEEvT_T0_DpT1_.has_dyn_sized_stack, 0
	.set _ZN2at6native12_GLOBAL__N_125multi_tensor_apply_kernelINS1_18TensorListMetadataILi2EEENS1_14UnaryOpFunctorIN3c107complexIdEELi2ELi1ELi1EEEJNS0_5RsqrtIS8_EEEEEvT_T0_DpT1_.has_recursion, 0
	.set _ZN2at6native12_GLOBAL__N_125multi_tensor_apply_kernelINS1_18TensorListMetadataILi2EEENS1_14UnaryOpFunctorIN3c107complexIdEELi2ELi1ELi1EEEJNS0_5RsqrtIS8_EEEEEvT_T0_DpT1_.has_indirect_call, 0
	.section	.AMDGPU.csdata,"",@progbits
; Kernel info:
; codeLenInByte = 16756
; TotalNumSgprs: 56
; NumVgprs: 46
; ScratchSize: 0
; MemoryBound: 1
; FloatMode: 240
; IeeeMode: 1
; LDSByteSize: 0 bytes/workgroup (compile time only)
; SGPRBlocks: 6
; VGPRBlocks: 11
; NumSGPRsForWavesPerEU: 56
; NumVGPRsForWavesPerEU: 46
; Occupancy: 5
; WaveLimiterHint : 0
; COMPUTE_PGM_RSRC2:SCRATCH_EN: 0
; COMPUTE_PGM_RSRC2:USER_SGPR: 6
; COMPUTE_PGM_RSRC2:TRAP_HANDLER: 0
; COMPUTE_PGM_RSRC2:TGID_X_EN: 1
; COMPUTE_PGM_RSRC2:TGID_Y_EN: 0
; COMPUTE_PGM_RSRC2:TGID_Z_EN: 0
; COMPUTE_PGM_RSRC2:TIDIG_COMP_CNT: 0
	.section	.text._ZN2at6native12_GLOBAL__N_125multi_tensor_apply_kernelINS1_18TensorListMetadataILi2EEENS1_14UnaryOpFunctorIN3c107complexIfEELi2ELi1ELi1EEEJNS0_5RsqrtIS8_EEEEEvT_T0_DpT1_,"axG",@progbits,_ZN2at6native12_GLOBAL__N_125multi_tensor_apply_kernelINS1_18TensorListMetadataILi2EEENS1_14UnaryOpFunctorIN3c107complexIfEELi2ELi1ELi1EEEJNS0_5RsqrtIS8_EEEEEvT_T0_DpT1_,comdat
	.globl	_ZN2at6native12_GLOBAL__N_125multi_tensor_apply_kernelINS1_18TensorListMetadataILi2EEENS1_14UnaryOpFunctorIN3c107complexIfEELi2ELi1ELi1EEEJNS0_5RsqrtIS8_EEEEEvT_T0_DpT1_ ; -- Begin function _ZN2at6native12_GLOBAL__N_125multi_tensor_apply_kernelINS1_18TensorListMetadataILi2EEENS1_14UnaryOpFunctorIN3c107complexIfEELi2ELi1ELi1EEEJNS0_5RsqrtIS8_EEEEEvT_T0_DpT1_
	.p2align	8
	.type	_ZN2at6native12_GLOBAL__N_125multi_tensor_apply_kernelINS1_18TensorListMetadataILi2EEENS1_14UnaryOpFunctorIN3c107complexIfEELi2ELi1ELi1EEEJNS0_5RsqrtIS8_EEEEEvT_T0_DpT1_,@function
_ZN2at6native12_GLOBAL__N_125multi_tensor_apply_kernelINS1_18TensorListMetadataILi2EEENS1_14UnaryOpFunctorIN3c107complexIfEELi2ELi1ELi1EEEJNS0_5RsqrtIS8_EEEEEvT_T0_DpT1_: ; @_ZN2at6native12_GLOBAL__N_125multi_tensor_apply_kernelINS1_18TensorListMetadataILi2EEENS1_14UnaryOpFunctorIN3c107complexIfEELi2ELi1ELi1EEEJNS0_5RsqrtIS8_EEEEEvT_T0_DpT1_
; %bb.0:
	v_mov_b32_e32 v1, s6
	global_load_ubyte v1, v1, s[4:5] offset:1536
	s_add_u32 s0, s4, s6
	s_mul_hi_u32 s2, s6, 3
	s_mul_i32 s6, s6, 3
	s_addc_u32 s7, s5, 0
	s_add_u32 s6, s0, s6
	s_addc_u32 s7, s7, s2
	s_load_dword s6, s[6:7], 0x740
	s_mov_b32 s1, 0
	s_mov_b32 s3, s1
	s_waitcnt lgkmcnt(0)
	s_ashr_i32 s7, s6, 31
	s_lshl_b64 s[16:17], s[6:7], 19
	s_waitcnt vmcnt(0)
	v_readfirstlane_b32 s0, v1
	s_lshl_b32 s0, s0, 3
	s_load_dwordx2 s[8:9], s[4:5], s0 offset:0x0
	s_load_dwordx2 s[10:11], s[4:5], s0 offset:0x400
	;; [unrolled: 1-line block ×3, first 2 shown]
	s_waitcnt lgkmcnt(0)
	s_add_u32 s12, s8, s16
	s_addc_u32 s13, s9, s17
	s_and_b32 s0, s12, 31
	s_add_u32 s14, s14, s16
	s_addc_u32 s15, s15, s17
	s_lshl_b64 s[6:7], s[6:7], 16
	s_and_b32 s2, s14, 31
	s_sub_u32 s6, s10, s6
	s_subb_u32 s7, s11, s7
	s_and_b32 s8, s10, 3
	s_mov_b32 s9, s1
	s_or_b64 s[2:3], s[2:3], s[8:9]
	s_or_b64 s[0:1], s[2:3], s[0:1]
	s_cmp_eq_u64 s[0:1], 0
	s_mov_b64 s[0:1], -1
	s_cbranch_scc0 .LBB296_157
; %bb.1:
	v_mov_b32_e32 v1, 0x10000
	v_mov_b32_e32 v2, 0
	v_cmp_lt_i64_e32 vcc, s[6:7], v[1:2]
	v_mov_b32_e32 v2, 0
	s_and_b64 s[0:1], vcc, exec
	s_cselect_b32 s9, s7, 0
	s_cselect_b32 s8, s6, 0x10000
	v_lshlrev_b32_e32 v1, 2, v0
	v_cmp_gt_i64_e32 vcc, s[8:9], v[1:2]
	s_and_saveexec_b64 s[10:11], vcc
	s_cbranch_execz .LBB296_156
; %bb.2:
	s_load_dword s0, s[4:5], 0xc5c
	v_mov_b32_e32 v1, v2
	v_mov_b32_e32 v14, v1
	v_lshlrev_b32_e32 v15, 5, v0
	s_mov_b64 s[16:17], 0
	s_waitcnt lgkmcnt(0)
	s_and_b32 s36, s0, 0xffff
	s_mov_b32 s33, 0x7f800000
	s_lshl_b32 s37, s36, 5
	s_mov_b32 s38, 0x7ed413cb
	s_mov_b32 s39, 0x1000000
	;; [unrolled: 1-line block ×3, first 2 shown]
	v_mov_b32_e32 v16, 0x260
	s_brev_b32 s41, -2
	v_mov_b32_e32 v17, 0x7f800000
	s_mov_b64 s[18:19], s[12:13]
	s_mov_b64 s[20:21], s[14:15]
	v_mov_b32_e32 v13, v0
	s_branch .LBB296_4
.LBB296_3:                              ;   in Loop: Header=BB296_4 Depth=1
	s_or_b64 exec, exec, s[0:1]
	v_mov_b32_e32 v2, s21
	v_add_co_u32_e32 v1, vcc, s20, v15
	v_addc_co_u32_e32 v2, vcc, 0, v2, vcc
	v_add_co_u32_e32 v13, vcc, s36, v13
	v_addc_co_u32_e32 v14, vcc, 0, v14, vcc
	v_lshlrev_b64 v[3:4], 2, v[13:14]
	s_add_u32 s20, s20, s37
	s_addc_u32 s21, s21, 0
	s_add_u32 s18, s18, s37
	v_cmp_le_i64_e32 vcc, s[8:9], v[3:4]
	s_addc_u32 s19, s19, 0
	s_or_b64 s[16:17], vcc, s[16:17]
	global_store_dwordx4 v[1:2], v[5:8], off
	global_store_dwordx4 v[1:2], v[9:12], off offset:16
	s_andn2_b64 exec, exec, s[16:17]
	s_cbranch_execz .LBB296_156
.LBB296_4:                              ; =>This Inner Loop Header: Depth=1
	v_mov_b32_e32 v1, s19
	v_add_co_u32_e32 v10, vcc, s18, v15
	v_addc_co_u32_e32 v11, vcc, 0, v1, vcc
	global_load_dwordx4 v[6:9], v[10:11], off
	global_load_dwordx4 v[1:4], v[10:11], off offset:16
	v_mov_b32_e32 v10, 0
	s_waitcnt vmcnt(1)
	v_cmp_neq_f32_e32 vcc, 0, v6
	v_cmp_neq_f32_e64 s[0:1], 0, v7
	s_or_b64 s[0:1], vcc, s[0:1]
	v_mov_b32_e32 v11, v7
	s_and_saveexec_b64 s[22:23], s[0:1]
	s_cbranch_execz .LBB296_33
; %bb.5:                                ;   in Loop: Header=BB296_4 Depth=1
	v_mov_b32_e32 v10, 0x7f800000
	v_cmp_neq_f32_e64 s[0:1], |v7|, v10
	v_mov_b32_e32 v11, v7
	s_and_saveexec_b64 s[24:25], s[0:1]
	s_cbranch_execz .LBB296_32
; %bb.6:                                ;   in Loop: Header=BB296_4 Depth=1
	v_cmp_o_f32_e32 vcc, v6, v6
                                        ; implicit-def: $vgpr11
                                        ; implicit-def: $vgpr10
	s_and_saveexec_b64 s[0:1], vcc
	s_xor_b64 s[26:27], exec, s[0:1]
	s_cbranch_execz .LBB296_29
; %bb.7:                                ;   in Loop: Header=BB296_4 Depth=1
	v_cmp_neq_f32_e64 s[0:1], |v6|, s33
                                        ; implicit-def: $vgpr11
                                        ; implicit-def: $vgpr10
	s_and_saveexec_b64 s[2:3], s[0:1]
	s_xor_b64 s[28:29], exec, s[2:3]
	s_cbranch_execz .LBB296_23
; %bb.8:                                ;   in Loop: Header=BB296_4 Depth=1
	v_max_f32_e64 v5, |v7|, |v7|
	v_max_f32_e64 v10, |v6|, |v6|
	v_max_f32_e32 v5, v10, v5
	v_cmp_nle_f32_e64 s[0:1], s38, v5
                                        ; implicit-def: $sgpr30_sgpr31
                                        ; implicit-def: $vgpr10
                                        ; implicit-def: $vgpr5
	s_and_saveexec_b64 s[2:3], s[0:1]
	s_xor_b64 s[2:3], exec, s[2:3]
	s_cbranch_execz .LBB296_12
; %bb.9:                                ;   in Loop: Header=BB296_4 Depth=1
	v_cmp_le_f32_e64 s[30:31], |v6|, s39
	v_cmp_le_f32_e64 s[34:35], |v7|, s39
	s_and_b64 s[42:43], s[30:31], s[34:35]
	s_mov_b64 s[30:31], 0
	v_mov_b32_e32 v10, v6
	v_mov_b32_e32 v5, v7
	s_and_saveexec_b64 s[34:35], s[42:43]
; %bb.10:                               ;   in Loop: Header=BB296_4 Depth=1
	s_mov_b64 s[30:31], exec
	v_mul_f32_e32 v10, 4.0, v6
	v_mul_f32_e32 v5, 4.0, v7
; %bb.11:                               ;   in Loop: Header=BB296_4 Depth=1
	s_or_b64 exec, exec, s[34:35]
.LBB296_12:                             ;   in Loop: Header=BB296_4 Depth=1
	s_andn2_saveexec_b64 s[2:3], s[2:3]
; %bb.13:                               ;   in Loop: Header=BB296_4 Depth=1
	v_mul_f32_e32 v10, 0x3e800000, v6
	v_mul_f32_e32 v5, 0x3e800000, v7
	s_andn2_b64 s[30:31], s[30:31], exec
; %bb.14:                               ;   in Loop: Header=BB296_4 Depth=1
	s_or_b64 exec, exec, s[2:3]
	v_max_f32_e64 v11, |v5|, |v5|
	v_max_f32_e64 v12, |v10|, |v10|
	v_max_f32_e32 v18, v12, v11
	v_cvt_f64_f32_e32 v[11:12], v18
	v_cmp_neq_f32_e64 s[2:3], s33, v18
	v_cmp_le_f32_e32 vcc, 0, v10
                                        ; implicit-def: $vgpr18
	v_frexp_exp_i32_f64_e32 v11, v[11:12]
	v_sub_u32_e32 v12, 0, v11
	v_ldexp_f32 v19, |v10|, v12
	v_ldexp_f32 v12, |v5|, v12
	v_mul_f32_e32 v12, v12, v12
	v_fmac_f32_e32 v12, v19, v19
	v_sqrt_f32_e32 v12, v12
	v_ldexp_f32 v11, v12, v11
	v_cndmask_b32_e64 v11, v17, v11, s[2:3]
                                        ; implicit-def: $vgpr12
	s_and_saveexec_b64 s[2:3], vcc
	s_xor_b64 s[34:35], exec, s[2:3]
	s_cbranch_execz .LBB296_16
; %bb.15:                               ;   in Loop: Header=BB296_4 Depth=1
	v_add_f32_e32 v10, v10, v11
	v_mul_f32_e32 v10, 0.5, v10
	v_mul_f32_e32 v11, 0x4f800000, v10
	v_cmp_gt_f32_e32 vcc, s40, v10
	v_cndmask_b32_e32 v10, v10, v11, vcc
	v_sqrt_f32_e32 v11, v10
	v_add_u32_e32 v12, -1, v11
	v_fma_f32 v19, -v12, v11, v10
	v_add_u32_e32 v18, 1, v11
	v_cmp_ge_f32_e64 s[2:3], 0, v19
	v_cndmask_b32_e64 v12, v11, v12, s[2:3]
	v_fma_f32 v11, -v18, v11, v10
	v_cmp_lt_f32_e64 s[2:3], 0, v11
	v_cndmask_b32_e64 v11, v12, v18, s[2:3]
	v_mul_f32_e32 v12, 0x37800000, v11
	v_cndmask_b32_e32 v11, v11, v12, vcc
	v_cmp_class_f32_e32 vcc, v10, v16
	v_cndmask_b32_e32 v12, v11, v10, vcc
	v_add_f32_e32 v10, v12, v12
	v_div_scale_f32 v11, s[2:3], v10, v10, v5
	v_div_scale_f32 v18, vcc, v5, v10, v5
	v_rcp_f32_e32 v19, v11
	v_fma_f32 v20, -v11, v19, 1.0
	v_fmac_f32_e32 v19, v20, v19
	v_mul_f32_e32 v20, v18, v19
	v_fma_f32 v21, -v11, v20, v18
	v_fmac_f32_e32 v20, v21, v19
	v_fma_f32 v11, -v11, v20, v18
	v_div_fmas_f32 v11, v11, v19, v20
	v_div_fixup_f32 v18, v11, v10, v5
                                        ; implicit-def: $vgpr11
                                        ; implicit-def: $vgpr10
                                        ; implicit-def: $vgpr5
	s_andn2_saveexec_b64 s[34:35], s[34:35]
	s_cbranch_execz .LBB296_18
	s_branch .LBB296_17
.LBB296_16:                             ;   in Loop: Header=BB296_4 Depth=1
	s_andn2_saveexec_b64 s[34:35], s[34:35]
	s_cbranch_execz .LBB296_18
.LBB296_17:                             ;   in Loop: Header=BB296_4 Depth=1
	v_sub_f32_e32 v10, v11, v10
	v_mul_f32_e32 v10, 0.5, v10
	v_mul_f32_e32 v11, 0x4f800000, v10
	v_cmp_gt_f32_e32 vcc, s40, v10
	v_cndmask_b32_e32 v10, v10, v11, vcc
	v_sqrt_f32_e32 v11, v10
	v_add_u32_e32 v12, -1, v11
	v_fma_f32 v19, -v12, v11, v10
	v_add_u32_e32 v18, 1, v11
	v_cmp_ge_f32_e64 s[2:3], 0, v19
	v_cndmask_b32_e64 v12, v11, v12, s[2:3]
	v_fma_f32 v11, -v18, v11, v10
	v_cmp_lt_f32_e64 s[2:3], 0, v11
	v_cndmask_b32_e64 v11, v12, v18, s[2:3]
	v_mul_f32_e32 v12, 0x37800000, v11
	v_cndmask_b32_e32 v11, v11, v12, vcc
	v_cmp_class_f32_e32 vcc, v10, v16
	v_cndmask_b32_e32 v10, v11, v10, vcc
	v_add_f32_e32 v11, v10, v10
	v_and_b32_e32 v12, 0x7fffffff, v5
	v_div_scale_f32 v18, s[2:3], v11, v11, v12
	v_div_scale_f32 v12, vcc, v12, v11, v12
	v_rcp_f32_e32 v19, v18
	v_fma_f32 v20, -v18, v19, 1.0
	v_fmac_f32_e32 v19, v20, v19
	v_mul_f32_e32 v20, v12, v19
	v_fma_f32 v21, -v18, v20, v12
	v_fmac_f32_e32 v20, v21, v19
	v_fma_f32 v12, -v18, v20, v12
	v_div_fmas_f32 v12, v12, v19, v20
	v_bfi_b32 v18, s41, v10, v5
	v_div_fixup_f32 v12, v12, v11, |v5|
.LBB296_18:                             ;   in Loop: Header=BB296_4 Depth=1
	s_or_b64 exec, exec, s[34:35]
                                        ; implicit-def: $vgpr11
                                        ; implicit-def: $vgpr10
	s_and_saveexec_b64 s[2:3], s[0:1]
	s_xor_b64 s[0:1], exec, s[2:3]
	s_cbranch_execz .LBB296_20
; %bb.19:                               ;   in Loop: Header=BB296_4 Depth=1
	v_mul_f32_e32 v5, 0.5, v12
	v_mul_f32_e32 v11, 0.5, v18
	v_cndmask_b32_e64 v10, v12, v5, s[30:31]
	v_cndmask_b32_e64 v11, v18, v11, s[30:31]
                                        ; implicit-def: $vgpr12
                                        ; implicit-def: $vgpr18
	s_andn2_saveexec_b64 s[0:1], s[0:1]
	s_cbranch_execnz .LBB296_21
	s_branch .LBB296_22
.LBB296_20:                             ;   in Loop: Header=BB296_4 Depth=1
	s_andn2_saveexec_b64 s[0:1], s[0:1]
.LBB296_21:                             ;   in Loop: Header=BB296_4 Depth=1
	v_add_f32_e32 v10, v12, v12
	v_add_f32_e32 v11, v18, v18
.LBB296_22:                             ;   in Loop: Header=BB296_4 Depth=1
	s_or_b64 exec, exec, s[0:1]
.LBB296_23:                             ;   in Loop: Header=BB296_4 Depth=1
	s_andn2_saveexec_b64 s[0:1], s[28:29]
	s_cbranch_execz .LBB296_53
; %bb.24:                               ;   in Loop: Header=BB296_4 Depth=1
	v_sub_f32_e32 v5, v7, v7
	v_cmp_lt_i32_e32 vcc, -1, v6
	v_and_b32_e32 v10, 0x7fffffff, v5
                                        ; implicit-def: $vgpr11
	s_and_saveexec_b64 s[2:3], vcc
	s_xor_b64 s[2:3], exec, s[2:3]
; %bb.25:                               ;   in Loop: Header=BB296_4 Depth=1
	v_bfi_b32 v11, s41, v5, v7
	v_mov_b32_e32 v10, v6
; %bb.26:                               ;   in Loop: Header=BB296_4 Depth=1
	s_andn2_saveexec_b64 s[2:3], s[2:3]
; %bb.27:                               ;   in Loop: Header=BB296_4 Depth=1
	v_bfi_b32 v11, s41, v6, v7
; %bb.28:                               ;   in Loop: Header=BB296_4 Depth=1
	s_or_b64 exec, exec, s[2:3]
	s_or_b64 exec, exec, s[0:1]
.LBB296_29:                             ;   in Loop: Header=BB296_4 Depth=1
	s_andn2_saveexec_b64 s[0:1], s[26:27]
	s_cbranch_execz .LBB296_31
.LBB296_30:                             ;   in Loop: Header=BB296_4 Depth=1
	v_sub_f32_e32 v5, v7, v7
	v_div_scale_f32 v7, vcc, v5, v5, v5
	v_rcp_f32_e32 v10, v7
	v_fma_f32 v11, -v7, v10, 1.0
	v_fmac_f32_e32 v10, v11, v10
	v_mul_f32_e32 v11, v7, v10
	v_fma_f32 v12, -v7, v11, v7
	v_fmac_f32_e32 v11, v12, v10
	v_fma_f32 v7, -v7, v11, v7
	v_div_fmas_f32 v7, v7, v10, v11
	v_mov_b32_e32 v10, v6
	v_div_fixup_f32 v11, v7, v5, v5
.LBB296_31:                             ;   in Loop: Header=BB296_4 Depth=1
	s_or_b64 exec, exec, s[0:1]
.LBB296_32:                             ;   in Loop: Header=BB296_4 Depth=1
	s_or_b64 exec, exec, s[24:25]
.LBB296_33:                             ;   in Loop: Header=BB296_4 Depth=1
	s_or_b64 exec, exec, s[22:23]
	v_cmp_gt_f32_e32 vcc, 0, v10
	v_cndmask_b32_e64 v7, v10, -v10, vcc
	v_cmp_gt_f32_e32 vcc, 0, v11
	v_cndmask_b32_e64 v12, v11, -v11, vcc
	v_cmp_ge_f32_e32 vcc, v7, v12
                                        ; implicit-def: $vgpr6
	s_and_saveexec_b64 s[0:1], vcc
	s_xor_b64 s[2:3], exec, s[0:1]
	s_cbranch_execz .LBB296_39
; %bb.34:                               ;   in Loop: Header=BB296_4 Depth=1
	v_cmp_neq_f32_e32 vcc, 0, v10
	v_cmp_neq_f32_e64 s[0:1], 0, v11
	s_or_b64 s[0:1], vcc, s[0:1]
                                        ; implicit-def: $vgpr6
	s_and_saveexec_b64 s[22:23], s[0:1]
	s_xor_b64 s[0:1], exec, s[22:23]
	s_cbranch_execz .LBB296_36
; %bb.35:                               ;   in Loop: Header=BB296_4 Depth=1
	v_div_scale_f32 v5, s[22:23], v10, v10, v11
	v_div_scale_f32 v6, vcc, v11, v10, v11
	v_rcp_f32_e32 v7, v5
	v_fma_f32 v12, -v5, v7, 1.0
	v_fmac_f32_e32 v7, v12, v7
	v_mul_f32_e32 v12, v6, v7
	v_fma_f32 v18, -v5, v12, v6
	v_fmac_f32_e32 v12, v18, v7
	v_fma_f32 v5, -v5, v12, v6
	v_div_fmas_f32 v5, v5, v7, v12
	v_div_fixup_f32 v6, v5, v10, v11
	v_fmac_f32_e32 v10, v11, v6
	v_div_scale_f32 v5, s[22:23], v10, v10, 1.0
	v_div_scale_f32 v7, vcc, 1.0, v10, 1.0
	v_rcp_f32_e32 v11, v5
	v_fma_f32 v12, -v5, v11, 1.0
	v_fmac_f32_e32 v11, v12, v11
	v_mul_f32_e32 v12, v7, v11
	v_fma_f32 v18, -v5, v12, v7
	v_fmac_f32_e32 v12, v18, v11
	v_fma_f32 v5, -v5, v12, v7
	v_div_fmas_f32 v5, v5, v11, v12
	v_fma_f32 v7, v6, 0, 1.0
                                        ; implicit-def: $vgpr12
	v_div_fixup_f32 v10, v5, v10, 1.0
	v_mul_f32_e32 v5, v7, v10
	v_mul_f32_e64 v6, -v6, v10
                                        ; implicit-def: $vgpr7
.LBB296_36:                             ;   in Loop: Header=BB296_4 Depth=1
	s_andn2_saveexec_b64 s[22:23], s[0:1]
	s_cbranch_execz .LBB296_38
; %bb.37:                               ;   in Loop: Header=BB296_4 Depth=1
	v_div_scale_f32 v5, s[0:1], v7, v7, 1.0
	v_div_scale_f32 v6, s[0:1], v12, v12, 0
	v_div_scale_f32 v10, vcc, 1.0, v7, 1.0
	v_div_scale_f32 v11, s[0:1], 0, v12, 0
	v_rcp_f32_e32 v18, v5
	v_rcp_f32_e32 v19, v6
	v_fma_f32 v20, -v5, v18, 1.0
	v_fmac_f32_e32 v18, v20, v18
	v_fma_f32 v21, -v6, v19, 1.0
	v_fmac_f32_e32 v19, v21, v19
	v_mul_f32_e32 v20, v10, v18
	v_mul_f32_e32 v21, v11, v19
	v_fma_f32 v22, -v5, v20, v10
	v_fma_f32 v23, -v6, v21, v11
	v_fmac_f32_e32 v20, v22, v18
	v_fmac_f32_e32 v21, v23, v19
	v_fma_f32 v5, -v5, v20, v10
	v_fma_f32 v6, -v6, v21, v11
	v_div_fmas_f32 v5, v5, v18, v20
	s_mov_b64 vcc, s[0:1]
	v_div_fmas_f32 v6, v6, v19, v21
	v_div_fixup_f32 v5, v5, v7, 1.0
	v_div_fixup_f32 v6, v6, v12, 0
.LBB296_38:                             ;   in Loop: Header=BB296_4 Depth=1
	s_or_b64 exec, exec, s[22:23]
                                        ; implicit-def: $vgpr11
                                        ; implicit-def: $vgpr10
.LBB296_39:                             ;   in Loop: Header=BB296_4 Depth=1
	s_andn2_saveexec_b64 s[0:1], s[2:3]
	s_cbranch_execz .LBB296_41
; %bb.40:                               ;   in Loop: Header=BB296_4 Depth=1
	v_div_scale_f32 v5, s[2:3], v11, v11, v10
	v_div_scale_f32 v6, vcc, v10, v11, v10
	v_rcp_f32_e32 v7, v5
	v_fma_f32 v12, -v5, v7, 1.0
	v_fmac_f32_e32 v7, v12, v7
	v_mul_f32_e32 v12, v6, v7
	v_fma_f32 v18, -v5, v12, v6
	v_fmac_f32_e32 v12, v18, v7
	v_fma_f32 v5, -v5, v12, v6
	v_div_fmas_f32 v5, v5, v7, v12
	v_div_fixup_f32 v5, v5, v11, v10
	v_fmac_f32_e32 v11, v10, v5
	v_div_scale_f32 v6, s[2:3], v11, v11, 1.0
	v_div_scale_f32 v7, vcc, 1.0, v11, 1.0
	v_rcp_f32_e32 v10, v6
	v_fma_f32 v12, -v6, v10, 1.0
	v_fmac_f32_e32 v10, v12, v10
	v_mul_f32_e32 v12, v7, v10
	v_fma_f32 v18, -v6, v12, v7
	v_fmac_f32_e32 v12, v18, v10
	v_fma_f32 v6, -v6, v12, v7
	v_div_fmas_f32 v6, v6, v10, v12
	v_add_f32_e32 v7, 0, v5
	v_fma_f32 v10, v5, 0, -1.0
	v_div_fixup_f32 v6, v6, v11, 1.0
	v_mul_f32_e32 v5, v7, v6
	v_mul_f32_e32 v6, v10, v6
.LBB296_41:                             ;   in Loop: Header=BB296_4 Depth=1
	s_or_b64 exec, exec, s[0:1]
	v_cmp_neq_f32_e32 vcc, 0, v8
	v_cmp_neq_f32_e64 s[0:1], 0, v9
	v_mov_b32_e32 v10, 0
	s_or_b64 s[0:1], vcc, s[0:1]
	s_and_saveexec_b64 s[22:23], s[0:1]
	s_cbranch_execz .LBB296_72
; %bb.42:                               ;   in Loop: Header=BB296_4 Depth=1
	v_mov_b32_e32 v10, 0x7f800000
	v_cmp_neq_f32_e64 s[0:1], |v9|, v10
	s_and_saveexec_b64 s[24:25], s[0:1]
	s_cbranch_execz .LBB296_71
; %bb.43:                               ;   in Loop: Header=BB296_4 Depth=1
	v_cmp_o_f32_e32 vcc, v8, v8
                                        ; implicit-def: $vgpr10
	s_and_saveexec_b64 s[0:1], vcc
	s_xor_b64 s[26:27], exec, s[0:1]
	s_cbranch_execz .LBB296_68
; %bb.44:                               ;   in Loop: Header=BB296_4 Depth=1
	v_cmp_neq_f32_e64 s[0:1], |v8|, s33
                                        ; implicit-def: $vgpr10
	s_and_saveexec_b64 s[2:3], s[0:1]
	s_xor_b64 s[28:29], exec, s[2:3]
	s_cbranch_execz .LBB296_61
; %bb.45:                               ;   in Loop: Header=BB296_4 Depth=1
	v_max_f32_e64 v7, |v9|, |v9|
	v_max_f32_e64 v10, |v8|, |v8|
	v_max_f32_e32 v7, v10, v7
	v_cmp_nle_f32_e64 s[0:1], s38, v7
                                        ; implicit-def: $sgpr30_sgpr31
	s_and_saveexec_b64 s[2:3], s[0:1]
	s_xor_b64 s[2:3], exec, s[2:3]
	s_cbranch_execz .LBB296_49
; %bb.46:                               ;   in Loop: Header=BB296_4 Depth=1
	v_cmp_le_f32_e64 s[30:31], |v8|, s39
	v_cmp_le_f32_e64 s[34:35], |v9|, s39
	s_and_b64 s[42:43], s[30:31], s[34:35]
	s_mov_b64 s[30:31], 0
	s_and_saveexec_b64 s[34:35], s[42:43]
; %bb.47:                               ;   in Loop: Header=BB296_4 Depth=1
	s_mov_b64 s[30:31], exec
	v_mul_f32_e32 v8, 4.0, v8
	v_mul_f32_e32 v9, 4.0, v9
; %bb.48:                               ;   in Loop: Header=BB296_4 Depth=1
	s_or_b64 exec, exec, s[34:35]
.LBB296_49:                             ;   in Loop: Header=BB296_4 Depth=1
	s_andn2_saveexec_b64 s[2:3], s[2:3]
; %bb.50:                               ;   in Loop: Header=BB296_4 Depth=1
	v_mul_f32_e32 v8, 0x3e800000, v8
	v_mul_f32_e32 v9, 0x3e800000, v9
	s_andn2_b64 s[30:31], s[30:31], exec
; %bb.51:                               ;   in Loop: Header=BB296_4 Depth=1
	s_or_b64 exec, exec, s[2:3]
	v_max_f32_e64 v7, |v9|, |v9|
	v_max_f32_e64 v10, |v8|, |v8|
	v_max_f32_e32 v7, v10, v7
	v_cvt_f64_f32_e32 v[10:11], v7
	v_cmp_neq_f32_e64 s[2:3], s33, v7
	v_cmp_le_f32_e32 vcc, 0, v8
                                        ; implicit-def: $vgpr7
	v_frexp_exp_i32_f64_e32 v10, v[10:11]
	v_sub_u32_e32 v11, 0, v10
	v_ldexp_f32 v12, |v8|, v11
	v_ldexp_f32 v11, |v9|, v11
	v_mul_f32_e32 v11, v11, v11
	v_fmac_f32_e32 v11, v12, v12
	v_sqrt_f32_e32 v11, v11
	v_ldexp_f32 v10, v11, v10
	v_cndmask_b32_e64 v10, v17, v10, s[2:3]
                                        ; implicit-def: $vgpr11
	s_and_saveexec_b64 s[2:3], vcc
	s_xor_b64 s[34:35], exec, s[2:3]
	s_cbranch_execz .LBB296_54
; %bb.52:                               ;   in Loop: Header=BB296_4 Depth=1
	v_add_f32_e32 v7, v8, v10
	v_mul_f32_e32 v7, 0.5, v7
	v_mul_f32_e32 v8, 0x4f800000, v7
	v_cmp_gt_f32_e32 vcc, s40, v7
	v_cndmask_b32_e32 v7, v7, v8, vcc
	v_sqrt_f32_e32 v8, v7
	v_add_u32_e32 v10, -1, v8
	v_fma_f32 v12, -v10, v8, v7
	v_add_u32_e32 v11, 1, v8
	v_cmp_ge_f32_e64 s[2:3], 0, v12
	v_cndmask_b32_e64 v10, v8, v10, s[2:3]
	v_fma_f32 v8, -v11, v8, v7
	v_cmp_lt_f32_e64 s[2:3], 0, v8
	v_cndmask_b32_e64 v8, v10, v11, s[2:3]
	v_mul_f32_e32 v10, 0x37800000, v8
	v_cndmask_b32_e32 v8, v8, v10, vcc
	v_cmp_class_f32_e32 vcc, v7, v16
	v_cndmask_b32_e32 v7, v8, v7, vcc
	v_add_f32_e32 v8, v7, v7
	v_div_scale_f32 v10, s[2:3], v8, v8, v9
	v_div_scale_f32 v11, vcc, v9, v8, v9
	v_rcp_f32_e32 v12, v10
	v_fma_f32 v18, -v10, v12, 1.0
	v_fmac_f32_e32 v12, v18, v12
	v_mul_f32_e32 v18, v11, v12
	v_fma_f32 v19, -v10, v18, v11
	v_fmac_f32_e32 v18, v19, v12
	v_fma_f32 v10, -v10, v18, v11
	v_div_fmas_f32 v10, v10, v12, v18
	v_div_fixup_f32 v11, v10, v8, v9
                                        ; implicit-def: $vgpr10
                                        ; implicit-def: $vgpr8
	s_andn2_saveexec_b64 s[34:35], s[34:35]
	s_cbranch_execz .LBB296_56
	s_branch .LBB296_55
.LBB296_53:                             ;   in Loop: Header=BB296_4 Depth=1
	s_or_b64 exec, exec, s[0:1]
	s_andn2_saveexec_b64 s[0:1], s[26:27]
	s_cbranch_execnz .LBB296_30
	s_branch .LBB296_31
.LBB296_54:                             ;   in Loop: Header=BB296_4 Depth=1
	s_andn2_saveexec_b64 s[34:35], s[34:35]
	s_cbranch_execz .LBB296_56
.LBB296_55:                             ;   in Loop: Header=BB296_4 Depth=1
	v_sub_f32_e32 v7, v10, v8
	v_mul_f32_e32 v7, 0.5, v7
	v_mul_f32_e32 v8, 0x4f800000, v7
	v_cmp_gt_f32_e32 vcc, s40, v7
	v_cndmask_b32_e32 v7, v7, v8, vcc
	v_sqrt_f32_e32 v8, v7
	v_add_u32_e32 v10, -1, v8
	v_fma_f32 v12, -v10, v8, v7
	v_add_u32_e32 v11, 1, v8
	v_cmp_ge_f32_e64 s[2:3], 0, v12
	v_cndmask_b32_e64 v10, v8, v10, s[2:3]
	v_fma_f32 v8, -v11, v8, v7
	v_cmp_lt_f32_e64 s[2:3], 0, v8
	v_cndmask_b32_e64 v8, v10, v11, s[2:3]
	v_mul_f32_e32 v10, 0x37800000, v8
	v_cndmask_b32_e32 v8, v8, v10, vcc
	v_cmp_class_f32_e32 vcc, v7, v16
	v_cndmask_b32_e32 v8, v8, v7, vcc
	v_add_f32_e32 v7, v8, v8
	v_and_b32_e32 v10, 0x7fffffff, v9
	v_div_scale_f32 v11, s[2:3], v7, v7, v10
	v_div_scale_f32 v10, vcc, v10, v7, v10
	v_rcp_f32_e32 v12, v11
	v_fma_f32 v18, -v11, v12, 1.0
	v_fmac_f32_e32 v12, v18, v12
	v_mul_f32_e32 v18, v10, v12
	v_fma_f32 v19, -v11, v18, v10
	v_fmac_f32_e32 v18, v19, v12
	v_fma_f32 v10, -v11, v18, v10
	v_div_fmas_f32 v10, v10, v12, v18
	v_bfi_b32 v11, s41, v8, v9
	v_div_fixup_f32 v7, v10, v7, |v9|
.LBB296_56:                             ;   in Loop: Header=BB296_4 Depth=1
	s_or_b64 exec, exec, s[34:35]
                                        ; implicit-def: $vgpr9
                                        ; implicit-def: $vgpr10
	s_and_saveexec_b64 s[2:3], s[0:1]
	s_xor_b64 s[0:1], exec, s[2:3]
	s_cbranch_execz .LBB296_58
; %bb.57:                               ;   in Loop: Header=BB296_4 Depth=1
	v_mul_f32_e32 v8, 0.5, v7
	v_mul_f32_e32 v9, 0.5, v11
	v_cndmask_b32_e64 v10, v7, v8, s[30:31]
	v_cndmask_b32_e64 v9, v11, v9, s[30:31]
                                        ; implicit-def: $vgpr7
                                        ; implicit-def: $vgpr11
	s_andn2_saveexec_b64 s[0:1], s[0:1]
	s_cbranch_execnz .LBB296_59
	s_branch .LBB296_60
.LBB296_58:                             ;   in Loop: Header=BB296_4 Depth=1
	s_andn2_saveexec_b64 s[0:1], s[0:1]
.LBB296_59:                             ;   in Loop: Header=BB296_4 Depth=1
	v_add_f32_e32 v10, v7, v7
	v_add_f32_e32 v9, v11, v11
.LBB296_60:                             ;   in Loop: Header=BB296_4 Depth=1
	s_or_b64 exec, exec, s[0:1]
.LBB296_61:                             ;   in Loop: Header=BB296_4 Depth=1
	s_andn2_saveexec_b64 s[0:1], s[28:29]
	s_cbranch_execz .LBB296_67
; %bb.62:                               ;   in Loop: Header=BB296_4 Depth=1
	v_sub_f32_e32 v7, v9, v9
	v_cmp_lt_i32_e32 vcc, -1, v8
	v_and_b32_e32 v10, 0x7fffffff, v7
	s_and_saveexec_b64 s[2:3], vcc
	s_xor_b64 s[2:3], exec, s[2:3]
; %bb.63:                               ;   in Loop: Header=BB296_4 Depth=1
	v_bfi_b32 v9, s41, v7, v9
	v_mov_b32_e32 v10, v8
; %bb.64:                               ;   in Loop: Header=BB296_4 Depth=1
	s_andn2_saveexec_b64 s[2:3], s[2:3]
; %bb.65:                               ;   in Loop: Header=BB296_4 Depth=1
	v_bfi_b32 v9, s41, v8, v9
; %bb.66:                               ;   in Loop: Header=BB296_4 Depth=1
	s_or_b64 exec, exec, s[2:3]
.LBB296_67:                             ;   in Loop: Header=BB296_4 Depth=1
	s_or_b64 exec, exec, s[0:1]
.LBB296_68:                             ;   in Loop: Header=BB296_4 Depth=1
	s_andn2_saveexec_b64 s[0:1], s[26:27]
	s_cbranch_execz .LBB296_70
; %bb.69:                               ;   in Loop: Header=BB296_4 Depth=1
	v_sub_f32_e32 v7, v9, v9
	v_div_scale_f32 v9, vcc, v7, v7, v7
	v_rcp_f32_e32 v10, v9
	v_fma_f32 v11, -v9, v10, 1.0
	v_fmac_f32_e32 v10, v11, v10
	v_mul_f32_e32 v11, v9, v10
	v_fma_f32 v12, -v9, v11, v9
	v_fmac_f32_e32 v11, v12, v10
	v_fma_f32 v9, -v9, v11, v9
	v_div_fmas_f32 v9, v9, v10, v11
	v_mov_b32_e32 v10, v8
	v_div_fixup_f32 v9, v9, v7, v7
.LBB296_70:                             ;   in Loop: Header=BB296_4 Depth=1
	s_or_b64 exec, exec, s[0:1]
.LBB296_71:                             ;   in Loop: Header=BB296_4 Depth=1
	s_or_b64 exec, exec, s[24:25]
.LBB296_72:                             ;   in Loop: Header=BB296_4 Depth=1
	s_or_b64 exec, exec, s[22:23]
	v_cmp_gt_f32_e32 vcc, 0, v10
	v_cndmask_b32_e64 v11, v10, -v10, vcc
	v_cmp_gt_f32_e32 vcc, 0, v9
	v_cndmask_b32_e64 v12, v9, -v9, vcc
	v_cmp_ge_f32_e32 vcc, v11, v12
	s_and_saveexec_b64 s[0:1], vcc
	s_xor_b64 s[2:3], exec, s[0:1]
	s_cbranch_execz .LBB296_78
; %bb.73:                               ;   in Loop: Header=BB296_4 Depth=1
	v_cmp_neq_f32_e32 vcc, 0, v10
	v_cmp_neq_f32_e64 s[0:1], 0, v9
	s_or_b64 s[0:1], vcc, s[0:1]
	s_and_saveexec_b64 s[22:23], s[0:1]
	s_xor_b64 s[0:1], exec, s[22:23]
	s_cbranch_execz .LBB296_75
; %bb.74:                               ;   in Loop: Header=BB296_4 Depth=1
	v_div_scale_f32 v7, s[22:23], v10, v10, v9
	v_div_scale_f32 v8, vcc, v9, v10, v9
	v_rcp_f32_e32 v11, v7
	v_fma_f32 v12, -v7, v11, 1.0
	v_fmac_f32_e32 v11, v12, v11
	v_mul_f32_e32 v12, v8, v11
	v_fma_f32 v18, -v7, v12, v8
	v_fmac_f32_e32 v12, v18, v11
	v_fma_f32 v7, -v7, v12, v8
	v_div_fmas_f32 v7, v7, v11, v12
	v_div_fixup_f32 v8, v7, v10, v9
	v_fmac_f32_e32 v10, v9, v8
	v_div_scale_f32 v7, s[22:23], v10, v10, 1.0
	v_div_scale_f32 v9, vcc, 1.0, v10, 1.0
	v_rcp_f32_e32 v11, v7
	v_fma_f32 v12, -v7, v11, 1.0
	v_fmac_f32_e32 v11, v12, v11
	v_mul_f32_e32 v12, v9, v11
	v_fma_f32 v18, -v7, v12, v9
	v_fmac_f32_e32 v12, v18, v11
	v_fma_f32 v7, -v7, v12, v9
	v_div_fmas_f32 v7, v7, v11, v12
	v_fma_f32 v9, v8, 0, 1.0
                                        ; implicit-def: $vgpr11
                                        ; implicit-def: $vgpr12
	v_div_fixup_f32 v10, v7, v10, 1.0
	v_mul_f32_e32 v7, v9, v10
	v_mul_f32_e64 v8, -v8, v10
.LBB296_75:                             ;   in Loop: Header=BB296_4 Depth=1
	s_andn2_saveexec_b64 s[22:23], s[0:1]
	s_cbranch_execz .LBB296_77
; %bb.76:                               ;   in Loop: Header=BB296_4 Depth=1
	v_div_scale_f32 v7, s[0:1], v11, v11, 1.0
	v_div_scale_f32 v8, s[0:1], v12, v12, 0
	v_div_scale_f32 v9, vcc, 1.0, v11, 1.0
	v_div_scale_f32 v10, s[0:1], 0, v12, 0
	v_rcp_f32_e32 v18, v7
	v_rcp_f32_e32 v19, v8
	v_fma_f32 v20, -v7, v18, 1.0
	v_fmac_f32_e32 v18, v20, v18
	v_fma_f32 v21, -v8, v19, 1.0
	v_fmac_f32_e32 v19, v21, v19
	v_mul_f32_e32 v20, v9, v18
	v_mul_f32_e32 v21, v10, v19
	v_fma_f32 v22, -v7, v20, v9
	v_fma_f32 v23, -v8, v21, v10
	v_fmac_f32_e32 v20, v22, v18
	v_fmac_f32_e32 v21, v23, v19
	v_fma_f32 v7, -v7, v20, v9
	v_fma_f32 v8, -v8, v21, v10
	v_div_fmas_f32 v7, v7, v18, v20
	s_mov_b64 vcc, s[0:1]
	v_div_fmas_f32 v8, v8, v19, v21
	v_div_fixup_f32 v7, v7, v11, 1.0
	v_div_fixup_f32 v8, v8, v12, 0
.LBB296_77:                             ;   in Loop: Header=BB296_4 Depth=1
	s_or_b64 exec, exec, s[22:23]
                                        ; implicit-def: $vgpr9
                                        ; implicit-def: $vgpr10
.LBB296_78:                             ;   in Loop: Header=BB296_4 Depth=1
	s_andn2_saveexec_b64 s[0:1], s[2:3]
	s_cbranch_execz .LBB296_80
; %bb.79:                               ;   in Loop: Header=BB296_4 Depth=1
	v_div_scale_f32 v7, s[2:3], v9, v9, v10
	v_div_scale_f32 v8, vcc, v10, v9, v10
	v_rcp_f32_e32 v11, v7
	v_fma_f32 v12, -v7, v11, 1.0
	v_fmac_f32_e32 v11, v12, v11
	v_mul_f32_e32 v12, v8, v11
	v_fma_f32 v18, -v7, v12, v8
	v_fmac_f32_e32 v12, v18, v11
	v_fma_f32 v7, -v7, v12, v8
	v_div_fmas_f32 v7, v7, v11, v12
	v_div_fixup_f32 v7, v7, v9, v10
	v_fmac_f32_e32 v9, v10, v7
	v_div_scale_f32 v8, s[2:3], v9, v9, 1.0
	v_div_scale_f32 v10, vcc, 1.0, v9, 1.0
	v_rcp_f32_e32 v11, v8
	v_fma_f32 v12, -v8, v11, 1.0
	v_fmac_f32_e32 v11, v12, v11
	v_mul_f32_e32 v12, v10, v11
	v_fma_f32 v18, -v8, v12, v10
	v_fmac_f32_e32 v12, v18, v11
	v_fma_f32 v8, -v8, v12, v10
	v_div_fmas_f32 v8, v8, v11, v12
	v_add_f32_e32 v10, 0, v7
	v_fma_f32 v11, v7, 0, -1.0
	v_div_fixup_f32 v8, v8, v9, 1.0
	v_mul_f32_e32 v7, v10, v8
	v_mul_f32_e32 v8, v11, v8
.LBB296_80:                             ;   in Loop: Header=BB296_4 Depth=1
	s_or_b64 exec, exec, s[0:1]
	s_waitcnt vmcnt(0)
	v_cmp_neq_f32_e32 vcc, 0, v1
	v_cmp_neq_f32_e64 s[0:1], 0, v2
	v_mov_b32_e32 v11, 0
	s_or_b64 s[0:1], vcc, s[0:1]
	v_mov_b32_e32 v12, v2
	s_and_saveexec_b64 s[22:23], s[0:1]
	s_cbranch_execz .LBB296_110
; %bb.81:                               ;   in Loop: Header=BB296_4 Depth=1
	v_mov_b32_e32 v11, 0x7f800000
	v_cmp_neq_f32_e64 s[0:1], |v2|, v11
	v_mov_b32_e32 v12, v2
	s_and_saveexec_b64 s[24:25], s[0:1]
	s_cbranch_execz .LBB296_109
; %bb.82:                               ;   in Loop: Header=BB296_4 Depth=1
	v_cmp_o_f32_e32 vcc, v1, v1
                                        ; implicit-def: $vgpr12
                                        ; implicit-def: $vgpr11
	s_and_saveexec_b64 s[0:1], vcc
	s_xor_b64 s[26:27], exec, s[0:1]
	s_cbranch_execz .LBB296_106
; %bb.83:                               ;   in Loop: Header=BB296_4 Depth=1
	v_cmp_neq_f32_e64 s[0:1], |v1|, s33
                                        ; implicit-def: $vgpr12
                                        ; implicit-def: $vgpr11
	s_and_saveexec_b64 s[2:3], s[0:1]
	s_xor_b64 s[28:29], exec, s[2:3]
	s_cbranch_execz .LBB296_99
; %bb.84:                               ;   in Loop: Header=BB296_4 Depth=1
	v_max_f32_e64 v9, |v2|, |v2|
	v_max_f32_e64 v10, |v1|, |v1|
	v_max_f32_e32 v9, v10, v9
	v_cmp_nle_f32_e64 s[0:1], s38, v9
                                        ; implicit-def: $sgpr30_sgpr31
                                        ; implicit-def: $vgpr10
                                        ; implicit-def: $vgpr9
	s_and_saveexec_b64 s[2:3], s[0:1]
	s_xor_b64 s[2:3], exec, s[2:3]
	s_cbranch_execz .LBB296_88
; %bb.85:                               ;   in Loop: Header=BB296_4 Depth=1
	v_cmp_le_f32_e64 s[30:31], |v1|, s39
	v_cmp_le_f32_e64 s[34:35], |v2|, s39
	s_and_b64 s[42:43], s[30:31], s[34:35]
	s_mov_b64 s[30:31], 0
	v_mov_b32_e32 v10, v1
	v_mov_b32_e32 v9, v2
	s_and_saveexec_b64 s[34:35], s[42:43]
; %bb.86:                               ;   in Loop: Header=BB296_4 Depth=1
	s_mov_b64 s[30:31], exec
	v_mul_f32_e32 v10, 4.0, v1
	v_mul_f32_e32 v9, 4.0, v2
; %bb.87:                               ;   in Loop: Header=BB296_4 Depth=1
	s_or_b64 exec, exec, s[34:35]
.LBB296_88:                             ;   in Loop: Header=BB296_4 Depth=1
	s_andn2_saveexec_b64 s[2:3], s[2:3]
; %bb.89:                               ;   in Loop: Header=BB296_4 Depth=1
	v_mul_f32_e32 v10, 0x3e800000, v1
	v_mul_f32_e32 v9, 0x3e800000, v2
	s_andn2_b64 s[30:31], s[30:31], exec
; %bb.90:                               ;   in Loop: Header=BB296_4 Depth=1
	s_or_b64 exec, exec, s[2:3]
	v_max_f32_e64 v11, |v9|, |v9|
	v_max_f32_e64 v12, |v10|, |v10|
	v_max_f32_e32 v18, v12, v11
	v_cvt_f64_f32_e32 v[11:12], v18
	v_cmp_neq_f32_e64 s[2:3], s33, v18
	v_cmp_le_f32_e32 vcc, 0, v10
                                        ; implicit-def: $vgpr18
	v_frexp_exp_i32_f64_e32 v11, v[11:12]
	v_sub_u32_e32 v12, 0, v11
	v_ldexp_f32 v19, |v10|, v12
	v_ldexp_f32 v12, |v9|, v12
	v_mul_f32_e32 v12, v12, v12
	v_fmac_f32_e32 v12, v19, v19
	v_sqrt_f32_e32 v12, v12
                                        ; implicit-def: $vgpr19
	v_ldexp_f32 v11, v12, v11
	v_cndmask_b32_e64 v11, v17, v11, s[2:3]
	s_and_saveexec_b64 s[2:3], vcc
	s_xor_b64 s[34:35], exec, s[2:3]
	s_cbranch_execz .LBB296_92
; %bb.91:                               ;   in Loop: Header=BB296_4 Depth=1
	v_add_f32_e32 v10, v10, v11
	v_mul_f32_e32 v10, 0.5, v10
	v_mul_f32_e32 v11, 0x4f800000, v10
	v_cmp_gt_f32_e32 vcc, s40, v10
	v_cndmask_b32_e32 v10, v10, v11, vcc
	v_sqrt_f32_e32 v11, v10
	v_add_u32_e32 v12, -1, v11
	v_fma_f32 v19, -v12, v11, v10
	v_add_u32_e32 v18, 1, v11
	v_cmp_ge_f32_e64 s[2:3], 0, v19
	v_cndmask_b32_e64 v12, v11, v12, s[2:3]
	v_fma_f32 v11, -v18, v11, v10
	v_cmp_lt_f32_e64 s[2:3], 0, v11
	v_cndmask_b32_e64 v11, v12, v18, s[2:3]
	v_mul_f32_e32 v12, 0x37800000, v11
	v_cndmask_b32_e32 v11, v11, v12, vcc
	v_cmp_class_f32_e32 vcc, v10, v16
	v_cndmask_b32_e32 v18, v11, v10, vcc
	v_add_f32_e32 v10, v18, v18
	v_div_scale_f32 v11, s[2:3], v10, v10, v9
	v_div_scale_f32 v12, vcc, v9, v10, v9
	v_rcp_f32_e32 v19, v11
	v_fma_f32 v20, -v11, v19, 1.0
	v_fmac_f32_e32 v19, v20, v19
	v_mul_f32_e32 v20, v12, v19
	v_fma_f32 v21, -v11, v20, v12
	v_fmac_f32_e32 v20, v21, v19
	v_fma_f32 v11, -v11, v20, v12
	v_div_fmas_f32 v11, v11, v19, v20
	v_div_fixup_f32 v19, v11, v10, v9
                                        ; implicit-def: $vgpr11
                                        ; implicit-def: $vgpr10
                                        ; implicit-def: $vgpr9
	s_andn2_saveexec_b64 s[34:35], s[34:35]
	s_cbranch_execz .LBB296_94
	s_branch .LBB296_93
.LBB296_92:                             ;   in Loop: Header=BB296_4 Depth=1
	s_andn2_saveexec_b64 s[34:35], s[34:35]
	s_cbranch_execz .LBB296_94
.LBB296_93:                             ;   in Loop: Header=BB296_4 Depth=1
	v_sub_f32_e32 v10, v11, v10
	v_mul_f32_e32 v10, 0.5, v10
	v_mul_f32_e32 v11, 0x4f800000, v10
	v_cmp_gt_f32_e32 vcc, s40, v10
	v_cndmask_b32_e32 v10, v10, v11, vcc
	v_sqrt_f32_e32 v11, v10
	v_add_u32_e32 v12, -1, v11
	v_fma_f32 v19, -v12, v11, v10
	v_add_u32_e32 v18, 1, v11
	v_cmp_ge_f32_e64 s[2:3], 0, v19
	v_cndmask_b32_e64 v12, v11, v12, s[2:3]
	v_fma_f32 v11, -v18, v11, v10
	v_cmp_lt_f32_e64 s[2:3], 0, v11
	v_cndmask_b32_e64 v11, v12, v18, s[2:3]
	v_mul_f32_e32 v12, 0x37800000, v11
	v_cndmask_b32_e32 v11, v11, v12, vcc
	v_cmp_class_f32_e32 vcc, v10, v16
	v_cndmask_b32_e32 v10, v11, v10, vcc
	v_add_f32_e32 v11, v10, v10
	v_and_b32_e32 v12, 0x7fffffff, v9
	v_div_scale_f32 v18, s[2:3], v11, v11, v12
	v_div_scale_f32 v12, vcc, v12, v11, v12
	v_rcp_f32_e32 v19, v18
	v_fma_f32 v20, -v18, v19, 1.0
	v_fmac_f32_e32 v19, v20, v19
	v_mul_f32_e32 v20, v12, v19
	v_fma_f32 v21, -v18, v20, v12
	v_fmac_f32_e32 v20, v21, v19
	v_fma_f32 v12, -v18, v20, v12
	v_div_fmas_f32 v12, v12, v19, v20
	v_bfi_b32 v19, s41, v10, v9
	v_div_fixup_f32 v18, v12, v11, |v9|
.LBB296_94:                             ;   in Loop: Header=BB296_4 Depth=1
	s_or_b64 exec, exec, s[34:35]
                                        ; implicit-def: $vgpr12
                                        ; implicit-def: $vgpr11
	s_and_saveexec_b64 s[2:3], s[0:1]
	s_xor_b64 s[0:1], exec, s[2:3]
	s_cbranch_execz .LBB296_96
; %bb.95:                               ;   in Loop: Header=BB296_4 Depth=1
	v_mul_f32_e32 v9, 0.5, v18
	v_mul_f32_e32 v10, 0.5, v19
	v_cndmask_b32_e64 v11, v18, v9, s[30:31]
	v_cndmask_b32_e64 v12, v19, v10, s[30:31]
                                        ; implicit-def: $vgpr18
                                        ; implicit-def: $vgpr19
	s_andn2_saveexec_b64 s[0:1], s[0:1]
	s_cbranch_execnz .LBB296_97
	s_branch .LBB296_98
.LBB296_96:                             ;   in Loop: Header=BB296_4 Depth=1
	s_andn2_saveexec_b64 s[0:1], s[0:1]
.LBB296_97:                             ;   in Loop: Header=BB296_4 Depth=1
	v_add_f32_e32 v11, v18, v18
	v_add_f32_e32 v12, v19, v19
.LBB296_98:                             ;   in Loop: Header=BB296_4 Depth=1
	s_or_b64 exec, exec, s[0:1]
.LBB296_99:                             ;   in Loop: Header=BB296_4 Depth=1
	s_andn2_saveexec_b64 s[0:1], s[28:29]
	s_cbranch_execz .LBB296_105
; %bb.100:                              ;   in Loop: Header=BB296_4 Depth=1
	v_sub_f32_e32 v9, v2, v2
	v_cmp_lt_i32_e32 vcc, -1, v1
	v_and_b32_e32 v11, 0x7fffffff, v9
                                        ; implicit-def: $vgpr12
	s_and_saveexec_b64 s[2:3], vcc
	s_xor_b64 s[2:3], exec, s[2:3]
; %bb.101:                              ;   in Loop: Header=BB296_4 Depth=1
	v_bfi_b32 v12, s41, v9, v2
	v_mov_b32_e32 v11, v1
; %bb.102:                              ;   in Loop: Header=BB296_4 Depth=1
	s_andn2_saveexec_b64 s[2:3], s[2:3]
; %bb.103:                              ;   in Loop: Header=BB296_4 Depth=1
	v_bfi_b32 v12, s41, v1, v2
; %bb.104:                              ;   in Loop: Header=BB296_4 Depth=1
	s_or_b64 exec, exec, s[2:3]
.LBB296_105:                            ;   in Loop: Header=BB296_4 Depth=1
	s_or_b64 exec, exec, s[0:1]
.LBB296_106:                            ;   in Loop: Header=BB296_4 Depth=1
	s_andn2_saveexec_b64 s[0:1], s[26:27]
	s_cbranch_execz .LBB296_108
; %bb.107:                              ;   in Loop: Header=BB296_4 Depth=1
	v_sub_f32_e32 v2, v2, v2
	v_div_scale_f32 v9, vcc, v2, v2, v2
	v_rcp_f32_e32 v10, v9
	v_fma_f32 v11, -v9, v10, 1.0
	v_fmac_f32_e32 v10, v11, v10
	v_mul_f32_e32 v11, v9, v10
	v_fma_f32 v12, -v9, v11, v9
	v_fmac_f32_e32 v11, v12, v10
	v_fma_f32 v9, -v9, v11, v9
	v_div_fmas_f32 v9, v9, v10, v11
	v_mov_b32_e32 v11, v1
	v_div_fixup_f32 v12, v9, v2, v2
.LBB296_108:                            ;   in Loop: Header=BB296_4 Depth=1
	s_or_b64 exec, exec, s[0:1]
.LBB296_109:                            ;   in Loop: Header=BB296_4 Depth=1
	s_or_b64 exec, exec, s[24:25]
.LBB296_110:                            ;   in Loop: Header=BB296_4 Depth=1
	s_or_b64 exec, exec, s[22:23]
	v_cmp_gt_f32_e32 vcc, 0, v11
	v_cndmask_b32_e64 v1, v11, -v11, vcc
	v_cmp_gt_f32_e32 vcc, 0, v12
	v_cndmask_b32_e64 v2, v12, -v12, vcc
	v_cmp_ge_f32_e32 vcc, v1, v2
                                        ; implicit-def: $vgpr10
	s_and_saveexec_b64 s[0:1], vcc
	s_xor_b64 s[2:3], exec, s[0:1]
	s_cbranch_execz .LBB296_116
; %bb.111:                              ;   in Loop: Header=BB296_4 Depth=1
	v_cmp_neq_f32_e32 vcc, 0, v11
	v_cmp_neq_f32_e64 s[0:1], 0, v12
	s_or_b64 s[0:1], vcc, s[0:1]
                                        ; implicit-def: $vgpr10
	s_and_saveexec_b64 s[22:23], s[0:1]
	s_xor_b64 s[0:1], exec, s[22:23]
	s_cbranch_execz .LBB296_113
; %bb.112:                              ;   in Loop: Header=BB296_4 Depth=1
	v_div_scale_f32 v1, s[22:23], v11, v11, v12
	v_div_scale_f32 v2, vcc, v12, v11, v12
	v_rcp_f32_e32 v9, v1
	v_fma_f32 v10, -v1, v9, 1.0
	v_fmac_f32_e32 v9, v10, v9
	v_mul_f32_e32 v10, v2, v9
	v_fma_f32 v18, -v1, v10, v2
	v_fmac_f32_e32 v10, v18, v9
	v_fma_f32 v1, -v1, v10, v2
	v_div_fmas_f32 v1, v1, v9, v10
	v_div_fixup_f32 v1, v1, v11, v12
	v_fmac_f32_e32 v11, v12, v1
	v_div_scale_f32 v2, s[22:23], v11, v11, 1.0
	v_div_scale_f32 v9, vcc, 1.0, v11, 1.0
	v_rcp_f32_e32 v10, v2
	v_fma_f32 v12, -v2, v10, 1.0
	v_fmac_f32_e32 v10, v12, v10
	v_mul_f32_e32 v12, v9, v10
	v_fma_f32 v18, -v2, v12, v9
	v_fmac_f32_e32 v12, v18, v10
	v_fma_f32 v2, -v2, v12, v9
	v_div_fmas_f32 v2, v2, v10, v12
	v_fma_f32 v9, v1, 0, 1.0
	v_div_fixup_f32 v2, v2, v11, 1.0
	v_mul_f32_e32 v9, v9, v2
	v_mul_f32_e64 v10, -v1, v2
                                        ; implicit-def: $vgpr1
                                        ; implicit-def: $vgpr2
.LBB296_113:                            ;   in Loop: Header=BB296_4 Depth=1
	s_andn2_saveexec_b64 s[22:23], s[0:1]
	s_cbranch_execz .LBB296_115
; %bb.114:                              ;   in Loop: Header=BB296_4 Depth=1
	v_div_scale_f32 v9, s[0:1], v1, v1, 1.0
	v_div_scale_f32 v10, s[0:1], v2, v2, 0
	v_div_scale_f32 v11, vcc, 1.0, v1, 1.0
	v_div_scale_f32 v12, s[0:1], 0, v2, 0
	v_rcp_f32_e32 v18, v9
	v_rcp_f32_e32 v19, v10
	v_fma_f32 v20, -v9, v18, 1.0
	v_fmac_f32_e32 v18, v20, v18
	v_fma_f32 v21, -v10, v19, 1.0
	v_fmac_f32_e32 v19, v21, v19
	v_mul_f32_e32 v20, v11, v18
	v_mul_f32_e32 v21, v12, v19
	v_fma_f32 v22, -v9, v20, v11
	v_fma_f32 v23, -v10, v21, v12
	v_fmac_f32_e32 v20, v22, v18
	v_fmac_f32_e32 v21, v23, v19
	v_fma_f32 v9, -v9, v20, v11
	v_fma_f32 v10, -v10, v21, v12
	v_div_fmas_f32 v9, v9, v18, v20
	s_mov_b64 vcc, s[0:1]
	v_div_fmas_f32 v10, v10, v19, v21
	v_div_fixup_f32 v9, v9, v1, 1.0
	v_div_fixup_f32 v10, v10, v2, 0
.LBB296_115:                            ;   in Loop: Header=BB296_4 Depth=1
	s_or_b64 exec, exec, s[22:23]
                                        ; implicit-def: $vgpr12
                                        ; implicit-def: $vgpr11
.LBB296_116:                            ;   in Loop: Header=BB296_4 Depth=1
	s_andn2_saveexec_b64 s[0:1], s[2:3]
	s_cbranch_execz .LBB296_118
; %bb.117:                              ;   in Loop: Header=BB296_4 Depth=1
	v_div_scale_f32 v1, s[2:3], v12, v12, v11
	v_div_scale_f32 v2, vcc, v11, v12, v11
	v_rcp_f32_e32 v9, v1
	v_fma_f32 v10, -v1, v9, 1.0
	v_fmac_f32_e32 v9, v10, v9
	v_mul_f32_e32 v10, v2, v9
	v_fma_f32 v18, -v1, v10, v2
	v_fmac_f32_e32 v10, v18, v9
	v_fma_f32 v1, -v1, v10, v2
	v_div_fmas_f32 v1, v1, v9, v10
	v_div_fixup_f32 v1, v1, v12, v11
	v_fmac_f32_e32 v12, v11, v1
	v_div_scale_f32 v2, s[2:3], v12, v12, 1.0
	v_div_scale_f32 v9, vcc, 1.0, v12, 1.0
	v_rcp_f32_e32 v10, v2
	v_fma_f32 v11, -v2, v10, 1.0
	v_fmac_f32_e32 v10, v11, v10
	v_mul_f32_e32 v11, v9, v10
	v_fma_f32 v18, -v2, v11, v9
	v_fmac_f32_e32 v11, v18, v10
	v_fma_f32 v2, -v2, v11, v9
	v_div_fmas_f32 v2, v2, v10, v11
	v_add_f32_e32 v9, 0, v1
	v_fma_f32 v1, v1, 0, -1.0
	v_div_fixup_f32 v2, v2, v12, 1.0
	v_mul_f32_e32 v9, v9, v2
	v_mul_f32_e32 v10, v1, v2
.LBB296_118:                            ;   in Loop: Header=BB296_4 Depth=1
	s_or_b64 exec, exec, s[0:1]
	v_cmp_neq_f32_e32 vcc, 0, v3
	v_cmp_neq_f32_e64 s[0:1], 0, v4
	v_mov_b32_e32 v1, 0
	s_or_b64 s[0:1], vcc, s[0:1]
	s_and_saveexec_b64 s[22:23], s[0:1]
	s_cbranch_execz .LBB296_148
; %bb.119:                              ;   in Loop: Header=BB296_4 Depth=1
	v_mov_b32_e32 v1, 0x7f800000
	v_cmp_neq_f32_e64 s[0:1], |v4|, v1
	s_and_saveexec_b64 s[24:25], s[0:1]
	s_cbranch_execz .LBB296_147
; %bb.120:                              ;   in Loop: Header=BB296_4 Depth=1
	v_cmp_o_f32_e32 vcc, v3, v3
                                        ; implicit-def: $vgpr1
	s_and_saveexec_b64 s[0:1], vcc
	s_xor_b64 s[26:27], exec, s[0:1]
	s_cbranch_execz .LBB296_144
; %bb.121:                              ;   in Loop: Header=BB296_4 Depth=1
	v_cmp_neq_f32_e64 s[0:1], |v3|, s33
                                        ; implicit-def: $vgpr1
	s_and_saveexec_b64 s[2:3], s[0:1]
	s_xor_b64 s[28:29], exec, s[2:3]
	s_cbranch_execz .LBB296_137
; %bb.122:                              ;   in Loop: Header=BB296_4 Depth=1
	v_max_f32_e64 v1, |v4|, |v4|
	v_max_f32_e64 v2, |v3|, |v3|
	v_max_f32_e32 v1, v2, v1
	v_cmp_nle_f32_e64 s[0:1], s38, v1
                                        ; implicit-def: $sgpr30_sgpr31
	s_and_saveexec_b64 s[2:3], s[0:1]
	s_xor_b64 s[2:3], exec, s[2:3]
	s_cbranch_execz .LBB296_126
; %bb.123:                              ;   in Loop: Header=BB296_4 Depth=1
	v_cmp_le_f32_e64 s[30:31], |v3|, s39
	v_cmp_le_f32_e64 s[34:35], |v4|, s39
	s_and_b64 s[42:43], s[30:31], s[34:35]
	s_mov_b64 s[30:31], 0
	s_and_saveexec_b64 s[34:35], s[42:43]
; %bb.124:                              ;   in Loop: Header=BB296_4 Depth=1
	s_mov_b64 s[30:31], exec
	v_mul_f32_e32 v3, 4.0, v3
	v_mul_f32_e32 v4, 4.0, v4
; %bb.125:                              ;   in Loop: Header=BB296_4 Depth=1
	s_or_b64 exec, exec, s[34:35]
.LBB296_126:                            ;   in Loop: Header=BB296_4 Depth=1
	s_andn2_saveexec_b64 s[2:3], s[2:3]
; %bb.127:                              ;   in Loop: Header=BB296_4 Depth=1
	v_mul_f32_e32 v3, 0x3e800000, v3
	v_mul_f32_e32 v4, 0x3e800000, v4
	s_andn2_b64 s[30:31], s[30:31], exec
; %bb.128:                              ;   in Loop: Header=BB296_4 Depth=1
	s_or_b64 exec, exec, s[2:3]
	v_max_f32_e64 v1, |v4|, |v4|
	v_max_f32_e64 v2, |v3|, |v3|
	v_max_f32_e32 v11, v2, v1
	v_cvt_f64_f32_e32 v[1:2], v11
	v_cmp_neq_f32_e64 s[2:3], s33, v11
	v_cmp_le_f32_e32 vcc, 0, v3
                                        ; implicit-def: $vgpr11
	v_frexp_exp_i32_f64_e32 v1, v[1:2]
	v_sub_u32_e32 v2, 0, v1
	v_ldexp_f32 v12, |v3|, v2
	v_ldexp_f32 v2, |v4|, v2
	v_mul_f32_e32 v2, v2, v2
	v_fmac_f32_e32 v2, v12, v12
	v_sqrt_f32_e32 v2, v2
	v_ldexp_f32 v1, v2, v1
	v_cndmask_b32_e64 v1, v17, v1, s[2:3]
                                        ; implicit-def: $vgpr2
	s_and_saveexec_b64 s[2:3], vcc
	s_xor_b64 s[34:35], exec, s[2:3]
	s_cbranch_execz .LBB296_130
; %bb.129:                              ;   in Loop: Header=BB296_4 Depth=1
	v_add_f32_e32 v1, v3, v1
	v_mul_f32_e32 v1, 0.5, v1
	v_mul_f32_e32 v2, 0x4f800000, v1
	v_cmp_gt_f32_e32 vcc, s40, v1
	v_cndmask_b32_e32 v1, v1, v2, vcc
	v_sqrt_f32_e32 v2, v1
	v_add_u32_e32 v3, -1, v2
	v_fma_f32 v12, -v3, v2, v1
	v_add_u32_e32 v11, 1, v2
	v_cmp_ge_f32_e64 s[2:3], 0, v12
	v_cndmask_b32_e64 v3, v2, v3, s[2:3]
	v_fma_f32 v2, -v11, v2, v1
	v_cmp_lt_f32_e64 s[2:3], 0, v2
	v_cndmask_b32_e64 v2, v3, v11, s[2:3]
	v_mul_f32_e32 v3, 0x37800000, v2
	v_cndmask_b32_e32 v2, v2, v3, vcc
	v_cmp_class_f32_e32 vcc, v1, v16
	v_cndmask_b32_e32 v2, v2, v1, vcc
	v_add_f32_e32 v1, v2, v2
	v_div_scale_f32 v3, s[2:3], v1, v1, v4
	v_div_scale_f32 v11, vcc, v4, v1, v4
	v_rcp_f32_e32 v12, v3
	v_fma_f32 v18, -v3, v12, 1.0
	v_fmac_f32_e32 v12, v18, v12
	v_mul_f32_e32 v18, v11, v12
	v_fma_f32 v19, -v3, v18, v11
	v_fmac_f32_e32 v18, v19, v12
	v_fma_f32 v3, -v3, v18, v11
	v_div_fmas_f32 v3, v3, v12, v18
	v_div_fixup_f32 v11, v3, v1, v4
                                        ; implicit-def: $vgpr1
                                        ; implicit-def: $vgpr3
	s_andn2_saveexec_b64 s[34:35], s[34:35]
	s_cbranch_execz .LBB296_132
	s_branch .LBB296_131
.LBB296_130:                            ;   in Loop: Header=BB296_4 Depth=1
	s_andn2_saveexec_b64 s[34:35], s[34:35]
	s_cbranch_execz .LBB296_132
.LBB296_131:                            ;   in Loop: Header=BB296_4 Depth=1
	v_sub_f32_e32 v1, v1, v3
	v_mul_f32_e32 v1, 0.5, v1
	v_mul_f32_e32 v2, 0x4f800000, v1
	v_cmp_gt_f32_e32 vcc, s40, v1
	v_cndmask_b32_e32 v1, v1, v2, vcc
	v_sqrt_f32_e32 v2, v1
	v_add_u32_e32 v3, -1, v2
	v_fma_f32 v12, -v3, v2, v1
	v_add_u32_e32 v11, 1, v2
	v_cmp_ge_f32_e64 s[2:3], 0, v12
	v_cndmask_b32_e64 v3, v2, v3, s[2:3]
	v_fma_f32 v2, -v11, v2, v1
	v_cmp_lt_f32_e64 s[2:3], 0, v2
	v_cndmask_b32_e64 v2, v3, v11, s[2:3]
	v_mul_f32_e32 v3, 0x37800000, v2
	v_cndmask_b32_e32 v2, v2, v3, vcc
	v_cmp_class_f32_e32 vcc, v1, v16
	v_cndmask_b32_e32 v1, v2, v1, vcc
	v_add_f32_e32 v2, v1, v1
	v_and_b32_e32 v3, 0x7fffffff, v4
	v_div_scale_f32 v11, s[2:3], v2, v2, v3
	v_div_scale_f32 v3, vcc, v3, v2, v3
	v_rcp_f32_e32 v12, v11
	v_fma_f32 v18, -v11, v12, 1.0
	v_fmac_f32_e32 v12, v18, v12
	v_mul_f32_e32 v18, v3, v12
	v_fma_f32 v19, -v11, v18, v3
	v_fmac_f32_e32 v18, v19, v12
	v_fma_f32 v3, -v11, v18, v3
	v_div_fmas_f32 v3, v3, v12, v18
	v_bfi_b32 v11, s41, v1, v4
	v_div_fixup_f32 v2, v3, v2, |v4|
.LBB296_132:                            ;   in Loop: Header=BB296_4 Depth=1
	s_or_b64 exec, exec, s[34:35]
                                        ; implicit-def: $vgpr4
                                        ; implicit-def: $vgpr1
	s_and_saveexec_b64 s[2:3], s[0:1]
	s_xor_b64 s[0:1], exec, s[2:3]
	s_cbranch_execz .LBB296_134
; %bb.133:                              ;   in Loop: Header=BB296_4 Depth=1
	v_mul_f32_e32 v1, 0.5, v2
	v_mul_f32_e32 v3, 0.5, v11
	v_cndmask_b32_e64 v1, v2, v1, s[30:31]
	v_cndmask_b32_e64 v4, v11, v3, s[30:31]
                                        ; implicit-def: $vgpr2
                                        ; implicit-def: $vgpr11
	s_andn2_saveexec_b64 s[0:1], s[0:1]
	s_cbranch_execnz .LBB296_135
	s_branch .LBB296_136
.LBB296_134:                            ;   in Loop: Header=BB296_4 Depth=1
	s_andn2_saveexec_b64 s[0:1], s[0:1]
.LBB296_135:                            ;   in Loop: Header=BB296_4 Depth=1
	v_add_f32_e32 v1, v2, v2
	v_add_f32_e32 v4, v11, v11
.LBB296_136:                            ;   in Loop: Header=BB296_4 Depth=1
	s_or_b64 exec, exec, s[0:1]
.LBB296_137:                            ;   in Loop: Header=BB296_4 Depth=1
	s_andn2_saveexec_b64 s[0:1], s[28:29]
	s_cbranch_execz .LBB296_143
; %bb.138:                              ;   in Loop: Header=BB296_4 Depth=1
	v_sub_f32_e32 v2, v4, v4
	v_cmp_lt_i32_e32 vcc, -1, v3
	v_and_b32_e32 v1, 0x7fffffff, v2
	s_and_saveexec_b64 s[2:3], vcc
	s_xor_b64 s[2:3], exec, s[2:3]
; %bb.139:                              ;   in Loop: Header=BB296_4 Depth=1
	v_bfi_b32 v4, s41, v2, v4
	v_mov_b32_e32 v1, v3
; %bb.140:                              ;   in Loop: Header=BB296_4 Depth=1
	s_andn2_saveexec_b64 s[2:3], s[2:3]
; %bb.141:                              ;   in Loop: Header=BB296_4 Depth=1
	v_bfi_b32 v4, s41, v3, v4
; %bb.142:                              ;   in Loop: Header=BB296_4 Depth=1
	s_or_b64 exec, exec, s[2:3]
.LBB296_143:                            ;   in Loop: Header=BB296_4 Depth=1
	s_or_b64 exec, exec, s[0:1]
.LBB296_144:                            ;   in Loop: Header=BB296_4 Depth=1
	s_andn2_saveexec_b64 s[0:1], s[26:27]
	s_cbranch_execz .LBB296_146
; %bb.145:                              ;   in Loop: Header=BB296_4 Depth=1
	v_sub_f32_e32 v1, v4, v4
	v_div_scale_f32 v2, vcc, v1, v1, v1
	v_rcp_f32_e32 v4, v2
	v_fma_f32 v11, -v2, v4, 1.0
	v_fmac_f32_e32 v4, v11, v4
	v_mul_f32_e32 v11, v2, v4
	v_fma_f32 v12, -v2, v11, v2
	v_fmac_f32_e32 v11, v12, v4
	v_fma_f32 v2, -v2, v11, v2
	v_div_fmas_f32 v2, v2, v4, v11
	v_div_fixup_f32 v4, v2, v1, v1
	v_mov_b32_e32 v1, v3
.LBB296_146:                            ;   in Loop: Header=BB296_4 Depth=1
	s_or_b64 exec, exec, s[0:1]
.LBB296_147:                            ;   in Loop: Header=BB296_4 Depth=1
	s_or_b64 exec, exec, s[24:25]
.LBB296_148:                            ;   in Loop: Header=BB296_4 Depth=1
	s_or_b64 exec, exec, s[22:23]
	v_cmp_gt_f32_e32 vcc, 0, v1
	v_cndmask_b32_e64 v2, v1, -v1, vcc
	v_cmp_gt_f32_e32 vcc, 0, v4
	v_cndmask_b32_e64 v3, v4, -v4, vcc
	v_cmp_ge_f32_e32 vcc, v2, v3
	s_and_saveexec_b64 s[0:1], vcc
	s_xor_b64 s[2:3], exec, s[0:1]
	s_cbranch_execz .LBB296_154
; %bb.149:                              ;   in Loop: Header=BB296_4 Depth=1
	v_cmp_neq_f32_e32 vcc, 0, v1
	v_cmp_neq_f32_e64 s[0:1], 0, v4
	s_or_b64 s[0:1], vcc, s[0:1]
	s_and_saveexec_b64 s[22:23], s[0:1]
	s_xor_b64 s[0:1], exec, s[22:23]
	s_cbranch_execz .LBB296_151
; %bb.150:                              ;   in Loop: Header=BB296_4 Depth=1
	v_div_scale_f32 v2, s[22:23], v1, v1, v4
	v_div_scale_f32 v3, vcc, v4, v1, v4
	v_rcp_f32_e32 v11, v2
	v_fma_f32 v12, -v2, v11, 1.0
	v_fmac_f32_e32 v11, v12, v11
	v_mul_f32_e32 v12, v3, v11
	v_fma_f32 v18, -v2, v12, v3
	v_fmac_f32_e32 v12, v18, v11
	v_fma_f32 v2, -v2, v12, v3
	v_div_fmas_f32 v2, v2, v11, v12
	v_div_fixup_f32 v2, v2, v1, v4
	v_fmac_f32_e32 v1, v4, v2
	v_div_scale_f32 v3, s[22:23], v1, v1, 1.0
	v_div_scale_f32 v4, vcc, 1.0, v1, 1.0
	v_rcp_f32_e32 v11, v3
	v_fma_f32 v12, -v3, v11, 1.0
	v_fmac_f32_e32 v11, v12, v11
	v_mul_f32_e32 v12, v4, v11
	v_fma_f32 v18, -v3, v12, v4
	v_fmac_f32_e32 v12, v18, v11
	v_fma_f32 v3, -v3, v12, v4
	v_div_fmas_f32 v3, v3, v11, v12
	v_fma_f32 v4, v2, 0, 1.0
	v_div_fixup_f32 v1, v3, v1, 1.0
	v_mul_f32_e32 v11, v4, v1
	v_mul_f32_e64 v12, -v2, v1
                                        ; implicit-def: $vgpr2
                                        ; implicit-def: $vgpr3
.LBB296_151:                            ;   in Loop: Header=BB296_4 Depth=1
	s_andn2_saveexec_b64 s[22:23], s[0:1]
	s_cbranch_execz .LBB296_153
; %bb.152:                              ;   in Loop: Header=BB296_4 Depth=1
	v_div_scale_f32 v1, s[0:1], v2, v2, 1.0
	v_div_scale_f32 v4, s[0:1], v3, v3, 0
	v_div_scale_f32 v11, vcc, 1.0, v2, 1.0
	v_div_scale_f32 v12, s[0:1], 0, v3, 0
	v_rcp_f32_e32 v18, v1
	v_rcp_f32_e32 v19, v4
	v_fma_f32 v20, -v1, v18, 1.0
	v_fmac_f32_e32 v18, v20, v18
	v_fma_f32 v21, -v4, v19, 1.0
	v_fmac_f32_e32 v19, v21, v19
	v_mul_f32_e32 v20, v11, v18
	v_mul_f32_e32 v21, v12, v19
	v_fma_f32 v22, -v1, v20, v11
	v_fma_f32 v23, -v4, v21, v12
	v_fmac_f32_e32 v20, v22, v18
	v_fmac_f32_e32 v21, v23, v19
	v_fma_f32 v1, -v1, v20, v11
	v_fma_f32 v4, -v4, v21, v12
	v_div_fmas_f32 v1, v1, v18, v20
	s_mov_b64 vcc, s[0:1]
	v_div_fmas_f32 v4, v4, v19, v21
	v_div_fixup_f32 v11, v1, v2, 1.0
	v_div_fixup_f32 v12, v4, v3, 0
.LBB296_153:                            ;   in Loop: Header=BB296_4 Depth=1
	s_or_b64 exec, exec, s[22:23]
                                        ; implicit-def: $vgpr4
                                        ; implicit-def: $vgpr1
.LBB296_154:                            ;   in Loop: Header=BB296_4 Depth=1
	s_andn2_saveexec_b64 s[0:1], s[2:3]
	s_cbranch_execz .LBB296_3
; %bb.155:                              ;   in Loop: Header=BB296_4 Depth=1
	v_div_scale_f32 v2, s[2:3], v4, v4, v1
	v_div_scale_f32 v3, vcc, v1, v4, v1
	v_rcp_f32_e32 v11, v2
	v_fma_f32 v12, -v2, v11, 1.0
	v_fmac_f32_e32 v11, v12, v11
	v_mul_f32_e32 v12, v3, v11
	v_fma_f32 v18, -v2, v12, v3
	v_fmac_f32_e32 v12, v18, v11
	v_fma_f32 v2, -v2, v12, v3
	v_div_fmas_f32 v2, v2, v11, v12
	v_div_fixup_f32 v2, v2, v4, v1
	v_fmac_f32_e32 v4, v1, v2
	v_div_scale_f32 v1, s[2:3], v4, v4, 1.0
	v_div_scale_f32 v3, vcc, 1.0, v4, 1.0
	v_rcp_f32_e32 v11, v1
	v_fma_f32 v12, -v1, v11, 1.0
	v_fmac_f32_e32 v11, v12, v11
	v_mul_f32_e32 v12, v3, v11
	v_fma_f32 v18, -v1, v12, v3
	v_fmac_f32_e32 v12, v18, v11
	v_fma_f32 v1, -v1, v12, v3
	v_div_fmas_f32 v1, v1, v11, v12
	v_add_f32_e32 v3, 0, v2
	v_fma_f32 v2, v2, 0, -1.0
	v_div_fixup_f32 v1, v1, v4, 1.0
	v_mul_f32_e32 v11, v3, v1
	v_mul_f32_e32 v12, v2, v1
	s_branch .LBB296_3
.LBB296_156:
	s_or_b64 exec, exec, s[10:11]
	s_mov_b64 s[0:1], 0
.LBB296_157:
	s_andn2_b64 vcc, exec, s[0:1]
	s_cbranch_vccnz .LBB296_329
; %bb.158:
	v_cmp_lt_i64_e64 s[0:1], s[6:7], 1
	s_and_b64 vcc, exec, s[0:1]
	s_cbranch_vccnz .LBB296_329
; %bb.159:
	v_mov_b32_e32 v1, 0x10000
	s_load_dword s2, s[4:5], 0xc5c
	v_mov_b32_e32 v2, 0
	v_cmp_lt_i64_e32 vcc, s[6:7], v[1:2]
	s_mov_b64 s[20:21], 0
	s_and_b64 s[0:1], vcc, exec
	v_cmp_lt_u64_e32 vcc, s[6:7], v[1:2]
	s_cselect_b32 s17, s7, 0
	s_cselect_b32 s16, s6, 0x10000
	s_waitcnt lgkmcnt(0)
	s_and_b32 s33, s2, 0xffff
	s_and_b64 s[0:1], vcc, exec
	s_cselect_b32 s19, s7, 0
	s_cselect_b32 s18, s6, 0x10000
	s_lshl_b32 s36, s33, 1
	s_mul_i32 s37, s33, 3
	s_lshl_b32 s38, s33, 2
	s_mov_b32 s39, 0x7f800000
	s_mov_b32 s40, 0x7ed413cb
	;; [unrolled: 1-line block ×4, first 2 shown]
	v_mov_b32_e32 v20, 0x260
	s_brev_b32 s43, -2
	v_mov_b32_e32 v21, 0x7f800000
	s_branch .LBB296_161
.LBB296_160:                            ;   in Loop: Header=BB296_161 Depth=1
	s_or_b64 exec, exec, s[0:1]
	s_add_u32 s20, s20, s38
	v_mov_b32_e32 v1, s16
	s_addc_u32 s21, s21, 0
	v_mov_b32_e32 v2, s17
	v_cmp_ge_i64_e32 vcc, s[20:21], v[1:2]
	s_cbranch_vccnz .LBB296_329
.LBB296_161:                            ; =>This Inner Loop Header: Depth=1
	v_mov_b32_e32 v2, s21
	v_add_co_u32_e32 v1, vcc, s20, v0
	v_addc_co_u32_e32 v2, vcc, 0, v2, vcc
	v_cmp_gt_u64_e64 s[0:1], s[18:19], v[1:2]
	v_mov_b32_e32 v19, 0
	v_mov_b32_e32 v18, 0
	s_and_saveexec_b64 s[2:3], s[0:1]
	s_cbranch_execz .LBB296_163
; %bb.162:                              ;   in Loop: Header=BB296_161 Depth=1
	v_lshlrev_b64 v[3:4], 3, v[1:2]
	v_mov_b32_e32 v5, s13
	v_add_co_u32_e32 v3, vcc, s12, v3
	v_addc_co_u32_e32 v4, vcc, v5, v4, vcc
	global_load_dwordx2 v[18:19], v[3:4], off
.LBB296_163:                            ;   in Loop: Header=BB296_161 Depth=1
	s_or_b64 exec, exec, s[2:3]
	v_add_co_u32_e32 v3, vcc, s33, v1
	v_addc_co_u32_e32 v4, vcc, 0, v2, vcc
	v_cmp_gt_u64_e64 s[2:3], s[18:19], v[3:4]
	v_mov_b32_e32 v14, 0
	v_mov_b32_e32 v17, 0
	;; [unrolled: 1-line block ×3, first 2 shown]
	s_and_saveexec_b64 s[4:5], s[2:3]
	s_cbranch_execz .LBB296_165
; %bb.164:                              ;   in Loop: Header=BB296_161 Depth=1
	v_lshlrev_b64 v[5:6], 3, v[3:4]
	v_mov_b32_e32 v7, s13
	v_add_co_u32_e32 v5, vcc, s12, v5
	v_addc_co_u32_e32 v6, vcc, v7, v6, vcc
	global_load_dwordx2 v[16:17], v[5:6], off
.LBB296_165:                            ;   in Loop: Header=BB296_161 Depth=1
	s_or_b64 exec, exec, s[4:5]
	v_add_co_u32_e32 v5, vcc, s36, v1
	v_addc_co_u32_e32 v6, vcc, 0, v2, vcc
	v_cmp_gt_u64_e64 s[4:5], s[18:19], v[5:6]
	v_mov_b32_e32 v13, 0
	s_and_saveexec_b64 s[6:7], s[4:5]
	s_cbranch_execz .LBB296_167
; %bb.166:                              ;   in Loop: Header=BB296_161 Depth=1
	v_lshlrev_b64 v[7:8], 3, v[5:6]
	v_mov_b32_e32 v9, s13
	v_add_co_u32_e32 v7, vcc, s12, v7
	v_addc_co_u32_e32 v8, vcc, v9, v8, vcc
	global_load_dwordx2 v[13:14], v[7:8], off
.LBB296_167:                            ;   in Loop: Header=BB296_161 Depth=1
	s_or_b64 exec, exec, s[6:7]
	v_add_co_u32_e32 v7, vcc, s37, v1
	v_addc_co_u32_e32 v8, vcc, 0, v2, vcc
	v_cmp_gt_u64_e64 s[6:7], s[18:19], v[7:8]
	v_mov_b32_e32 v15, 0
	v_mov_b32_e32 v10, 0
	;; [unrolled: 1-line block ×3, first 2 shown]
	s_and_saveexec_b64 s[8:9], s[6:7]
	s_cbranch_execz .LBB296_169
; %bb.168:                              ;   in Loop: Header=BB296_161 Depth=1
	v_lshlrev_b64 v[9:10], 3, v[7:8]
	v_mov_b32_e32 v11, s13
	v_add_co_u32_e32 v9, vcc, s12, v9
	v_addc_co_u32_e32 v10, vcc, v11, v10, vcc
	global_load_dwordx2 v[9:10], v[9:10], off
.LBB296_169:                            ;   in Loop: Header=BB296_161 Depth=1
	s_or_b64 exec, exec, s[8:9]
	s_waitcnt vmcnt(0)
	v_cmp_neq_f32_e32 vcc, 0, v18
	v_cmp_neq_f32_e64 s[8:9], 0, v19
	s_or_b64 s[8:9], vcc, s[8:9]
	s_and_saveexec_b64 s[22:23], s[8:9]
	s_cbranch_execz .LBB296_198
; %bb.170:                              ;   in Loop: Header=BB296_161 Depth=1
	v_mov_b32_e32 v15, 0x7f800000
	v_cmp_neq_f32_e64 s[8:9], |v19|, v15
	s_and_saveexec_b64 s[24:25], s[8:9]
	s_cbranch_execz .LBB296_197
; %bb.171:                              ;   in Loop: Header=BB296_161 Depth=1
	v_cmp_o_f32_e32 vcc, v18, v18
                                        ; implicit-def: $vgpr15
	s_and_saveexec_b64 s[8:9], vcc
	s_xor_b64 s[26:27], exec, s[8:9]
	s_cbranch_execz .LBB296_194
; %bb.172:                              ;   in Loop: Header=BB296_161 Depth=1
	v_cmp_neq_f32_e64 s[8:9], |v18|, s39
                                        ; implicit-def: $vgpr15
	s_and_saveexec_b64 s[10:11], s[8:9]
	s_xor_b64 s[28:29], exec, s[10:11]
	s_cbranch_execz .LBB296_188
; %bb.173:                              ;   in Loop: Header=BB296_161 Depth=1
	v_max_f32_e64 v11, |v18|, |v18|
	v_max_f32_e64 v12, |v19|, |v19|
	v_max_f32_e32 v11, v12, v11
	v_cmp_nle_f32_e64 s[8:9], s40, v11
                                        ; implicit-def: $sgpr30_sgpr31
	s_and_saveexec_b64 s[10:11], s[8:9]
	s_xor_b64 s[10:11], exec, s[10:11]
	s_cbranch_execz .LBB296_177
; %bb.174:                              ;   in Loop: Header=BB296_161 Depth=1
	v_cmp_le_f32_e64 s[30:31], |v18|, s41
	v_cmp_le_f32_e64 s[34:35], |v19|, s41
	s_and_b64 s[44:45], s[34:35], s[30:31]
	s_mov_b64 s[30:31], 0
	s_and_saveexec_b64 s[34:35], s[44:45]
; %bb.175:                              ;   in Loop: Header=BB296_161 Depth=1
	s_mov_b64 s[30:31], exec
	v_mul_f32_e32 v18, 4.0, v18
	v_mul_f32_e32 v19, 4.0, v19
; %bb.176:                              ;   in Loop: Header=BB296_161 Depth=1
	s_or_b64 exec, exec, s[34:35]
.LBB296_177:                            ;   in Loop: Header=BB296_161 Depth=1
	s_andn2_saveexec_b64 s[10:11], s[10:11]
; %bb.178:                              ;   in Loop: Header=BB296_161 Depth=1
	v_mul_f32_e32 v18, 0x3e800000, v18
	v_mul_f32_e32 v19, 0x3e800000, v19
	s_andn2_b64 s[30:31], s[30:31], exec
; %bb.179:                              ;   in Loop: Header=BB296_161 Depth=1
	s_or_b64 exec, exec, s[10:11]
	v_max_f32_e64 v11, |v19|, |v19|
	v_max_f32_e64 v12, |v18|, |v18|
	v_max_f32_e32 v15, v12, v11
	v_cvt_f64_f32_e32 v[11:12], v15
	v_cmp_neq_f32_e64 s[10:11], s39, v15
	v_cmp_le_f32_e32 vcc, 0, v18
	v_frexp_exp_i32_f64_e32 v11, v[11:12]
	v_sub_u32_e32 v12, 0, v11
	v_ldexp_f32 v22, |v18|, v12
	v_ldexp_f32 v12, |v19|, v12
	v_mul_f32_e32 v12, v12, v12
	v_fmac_f32_e32 v12, v22, v22
	v_sqrt_f32_e32 v12, v12
	v_ldexp_f32 v11, v12, v11
	v_cndmask_b32_e64 v15, v21, v11, s[10:11]
                                        ; implicit-def: $vgpr12
                                        ; implicit-def: $vgpr11
	s_and_saveexec_b64 s[10:11], vcc
	s_xor_b64 s[34:35], exec, s[10:11]
	s_cbranch_execz .LBB296_181
; %bb.180:                              ;   in Loop: Header=BB296_161 Depth=1
	v_add_f32_e32 v11, v18, v15
	v_mul_f32_e32 v11, 0.5, v11
	v_mul_f32_e32 v12, 0x4f800000, v11
	v_cmp_gt_f32_e32 vcc, s42, v11
	v_cndmask_b32_e32 v11, v11, v12, vcc
	v_sqrt_f32_e32 v12, v11
	v_add_u32_e32 v15, -1, v12
	v_fma_f32 v22, -v15, v12, v11
	v_add_u32_e32 v18, 1, v12
	v_cmp_ge_f32_e64 s[10:11], 0, v22
	v_cndmask_b32_e64 v15, v12, v15, s[10:11]
	v_fma_f32 v12, -v18, v12, v11
	v_cmp_lt_f32_e64 s[10:11], 0, v12
	v_cndmask_b32_e64 v12, v15, v18, s[10:11]
	v_mul_f32_e32 v15, 0x37800000, v12
	v_cndmask_b32_e32 v12, v12, v15, vcc
	v_cmp_class_f32_e32 vcc, v11, v20
	v_cndmask_b32_e32 v11, v12, v11, vcc
	v_add_f32_e32 v12, v11, v11
	v_div_scale_f32 v15, s[10:11], v12, v12, v19
	v_div_scale_f32 v18, vcc, v19, v12, v19
	v_rcp_f32_e32 v22, v15
	v_fma_f32 v23, -v15, v22, 1.0
	v_fmac_f32_e32 v22, v23, v22
	v_mul_f32_e32 v23, v18, v22
	v_fma_f32 v24, -v15, v23, v18
	v_fmac_f32_e32 v23, v24, v22
	v_fma_f32 v15, -v15, v23, v18
	v_div_fmas_f32 v15, v15, v22, v23
	v_div_fixup_f32 v12, v15, v12, v19
                                        ; implicit-def: $vgpr15
                                        ; implicit-def: $vgpr18
	s_andn2_saveexec_b64 s[34:35], s[34:35]
	s_cbranch_execz .LBB296_183
	s_branch .LBB296_182
.LBB296_181:                            ;   in Loop: Header=BB296_161 Depth=1
	s_andn2_saveexec_b64 s[34:35], s[34:35]
	s_cbranch_execz .LBB296_183
.LBB296_182:                            ;   in Loop: Header=BB296_161 Depth=1
	v_sub_f32_e32 v11, v15, v18
	v_mul_f32_e32 v11, 0.5, v11
	v_mul_f32_e32 v12, 0x4f800000, v11
	v_cmp_gt_f32_e32 vcc, s42, v11
	v_cndmask_b32_e32 v11, v11, v12, vcc
	v_sqrt_f32_e32 v12, v11
	v_add_u32_e32 v15, -1, v12
	v_fma_f32 v22, -v15, v12, v11
	v_add_u32_e32 v18, 1, v12
	v_cmp_ge_f32_e64 s[10:11], 0, v22
	v_cndmask_b32_e64 v15, v12, v15, s[10:11]
	v_fma_f32 v12, -v18, v12, v11
	v_cmp_lt_f32_e64 s[10:11], 0, v12
	v_cndmask_b32_e64 v12, v15, v18, s[10:11]
	v_mul_f32_e32 v15, 0x37800000, v12
	v_cndmask_b32_e32 v12, v12, v15, vcc
	v_cmp_class_f32_e32 vcc, v11, v20
	v_cndmask_b32_e32 v12, v12, v11, vcc
	v_add_f32_e32 v11, v12, v12
	v_and_b32_e32 v15, 0x7fffffff, v19
	v_div_scale_f32 v18, s[10:11], v11, v11, v15
	v_div_scale_f32 v15, vcc, v15, v11, v15
	v_bfi_b32 v12, s43, v12, v19
	v_rcp_f32_e32 v22, v18
	v_fma_f32 v23, -v18, v22, 1.0
	v_fmac_f32_e32 v22, v23, v22
	v_mul_f32_e32 v23, v15, v22
	v_fma_f32 v24, -v18, v23, v15
	v_fmac_f32_e32 v23, v24, v22
	v_fma_f32 v15, -v18, v23, v15
	v_div_fmas_f32 v15, v15, v22, v23
	v_div_fixup_f32 v11, v15, v11, |v19|
.LBB296_183:                            ;   in Loop: Header=BB296_161 Depth=1
	s_or_b64 exec, exec, s[34:35]
                                        ; implicit-def: $vgpr19
                                        ; implicit-def: $vgpr15
	s_and_saveexec_b64 s[10:11], s[8:9]
	s_xor_b64 s[8:9], exec, s[10:11]
	s_cbranch_execz .LBB296_185
; %bb.184:                              ;   in Loop: Header=BB296_161 Depth=1
	v_mul_f32_e32 v15, 0.5, v11
	v_mul_f32_e32 v18, 0.5, v12
	v_cndmask_b32_e64 v15, v11, v15, s[30:31]
	v_cndmask_b32_e64 v19, v12, v18, s[30:31]
                                        ; implicit-def: $vgpr11
                                        ; implicit-def: $vgpr12
	s_andn2_saveexec_b64 s[8:9], s[8:9]
	s_cbranch_execnz .LBB296_186
	s_branch .LBB296_187
.LBB296_185:                            ;   in Loop: Header=BB296_161 Depth=1
	s_andn2_saveexec_b64 s[8:9], s[8:9]
.LBB296_186:                            ;   in Loop: Header=BB296_161 Depth=1
	v_add_f32_e32 v15, v11, v11
	v_add_f32_e32 v19, v12, v12
.LBB296_187:                            ;   in Loop: Header=BB296_161 Depth=1
	s_or_b64 exec, exec, s[8:9]
.LBB296_188:                            ;   in Loop: Header=BB296_161 Depth=1
	s_andn2_saveexec_b64 s[8:9], s[28:29]
	s_cbranch_execz .LBB296_218
; %bb.189:                              ;   in Loop: Header=BB296_161 Depth=1
	v_sub_f32_e32 v11, v19, v19
	v_cmp_lt_i32_e32 vcc, -1, v18
	v_and_b32_e32 v15, 0x7fffffff, v11
	s_and_saveexec_b64 s[10:11], vcc
	s_xor_b64 s[10:11], exec, s[10:11]
; %bb.190:                              ;   in Loop: Header=BB296_161 Depth=1
	v_bfi_b32 v19, s43, v11, v19
	v_mov_b32_e32 v15, v18
; %bb.191:                              ;   in Loop: Header=BB296_161 Depth=1
	s_andn2_saveexec_b64 s[10:11], s[10:11]
; %bb.192:                              ;   in Loop: Header=BB296_161 Depth=1
	v_bfi_b32 v19, s43, v18, v19
; %bb.193:                              ;   in Loop: Header=BB296_161 Depth=1
	s_or_b64 exec, exec, s[10:11]
	s_or_b64 exec, exec, s[8:9]
.LBB296_194:                            ;   in Loop: Header=BB296_161 Depth=1
	s_andn2_saveexec_b64 s[8:9], s[26:27]
	s_cbranch_execz .LBB296_196
.LBB296_195:                            ;   in Loop: Header=BB296_161 Depth=1
	v_sub_f32_e32 v11, v19, v19
	v_div_scale_f32 v12, vcc, v11, v11, v11
	v_rcp_f32_e32 v15, v12
	v_fma_f32 v19, -v12, v15, 1.0
	v_fmac_f32_e32 v15, v19, v15
	v_mul_f32_e32 v19, v12, v15
	v_fma_f32 v22, -v12, v19, v12
	v_fmac_f32_e32 v19, v22, v15
	v_fma_f32 v12, -v12, v19, v12
	v_div_fmas_f32 v12, v12, v15, v19
	v_mov_b32_e32 v15, v18
	v_div_fixup_f32 v19, v12, v11, v11
.LBB296_196:                            ;   in Loop: Header=BB296_161 Depth=1
	s_or_b64 exec, exec, s[8:9]
.LBB296_197:                            ;   in Loop: Header=BB296_161 Depth=1
	s_or_b64 exec, exec, s[24:25]
.LBB296_198:                            ;   in Loop: Header=BB296_161 Depth=1
	s_or_b64 exec, exec, s[22:23]
	v_cmp_gt_f32_e32 vcc, 0, v15
	v_cndmask_b32_e64 v22, v15, -v15, vcc
	v_cmp_gt_f32_e32 vcc, 0, v19
	v_cndmask_b32_e64 v18, v19, -v19, vcc
	v_cmp_ge_f32_e32 vcc, v22, v18
                                        ; implicit-def: $vgpr12
	s_and_saveexec_b64 s[8:9], vcc
	s_xor_b64 s[10:11], exec, s[8:9]
	s_cbranch_execz .LBB296_204
; %bb.199:                              ;   in Loop: Header=BB296_161 Depth=1
	v_cmp_neq_f32_e32 vcc, 0, v15
	v_cmp_neq_f32_e64 s[8:9], 0, v19
	s_or_b64 s[8:9], vcc, s[8:9]
                                        ; implicit-def: $vgpr12
	s_and_saveexec_b64 s[22:23], s[8:9]
	s_xor_b64 s[8:9], exec, s[22:23]
	s_cbranch_execz .LBB296_201
; %bb.200:                              ;   in Loop: Header=BB296_161 Depth=1
	v_div_scale_f32 v11, s[22:23], v15, v15, v19
	v_div_scale_f32 v12, vcc, v19, v15, v19
	v_rcp_f32_e32 v18, v11
	v_fma_f32 v22, -v11, v18, 1.0
	v_fmac_f32_e32 v18, v22, v18
	v_mul_f32_e32 v22, v12, v18
	v_fma_f32 v23, -v11, v22, v12
	v_fmac_f32_e32 v22, v23, v18
	v_fma_f32 v11, -v11, v22, v12
	v_div_fmas_f32 v11, v11, v18, v22
	v_div_fixup_f32 v12, v11, v15, v19
	v_fmac_f32_e32 v15, v19, v12
	v_div_scale_f32 v11, s[22:23], v15, v15, 1.0
	v_div_scale_f32 v18, vcc, 1.0, v15, 1.0
	v_rcp_f32_e32 v19, v11
	v_fma_f32 v22, -v11, v19, 1.0
	v_fmac_f32_e32 v19, v22, v19
	v_mul_f32_e32 v22, v18, v19
	v_fma_f32 v23, -v11, v22, v18
	v_fmac_f32_e32 v22, v23, v19
	v_fma_f32 v11, -v11, v22, v18
	v_div_fmas_f32 v11, v11, v19, v22
	v_fma_f32 v18, v12, 0, 1.0
                                        ; implicit-def: $vgpr22
	v_div_fixup_f32 v15, v11, v15, 1.0
	v_mul_f32_e32 v11, v18, v15
	v_mul_f32_e64 v12, -v12, v15
                                        ; implicit-def: $vgpr18
.LBB296_201:                            ;   in Loop: Header=BB296_161 Depth=1
	s_andn2_saveexec_b64 s[8:9], s[8:9]
	s_cbranch_execz .LBB296_203
; %bb.202:                              ;   in Loop: Header=BB296_161 Depth=1
	v_div_scale_f32 v11, s[22:23], v22, v22, 1.0
	v_rcp_f32_e32 v12, v11
	v_fma_f32 v15, -v11, v12, 1.0
	v_fmac_f32_e32 v12, v15, v12
	v_div_scale_f32 v15, vcc, 1.0, v22, 1.0
	v_mul_f32_e32 v19, v15, v12
	v_fma_f32 v23, -v11, v19, v15
	v_fmac_f32_e32 v19, v23, v12
	v_fma_f32 v11, -v11, v19, v15
	v_div_fmas_f32 v11, v11, v12, v19
	v_div_scale_f32 v12, s[22:23], v18, v18, 0
	v_div_fixup_f32 v11, v11, v22, 1.0
	v_rcp_f32_e32 v15, v12
	v_fma_f32 v19, -v12, v15, 1.0
	v_fmac_f32_e32 v15, v19, v15
	v_div_scale_f32 v19, vcc, 0, v18, 0
	v_mul_f32_e32 v22, v19, v15
	v_fma_f32 v23, -v12, v22, v19
	v_fmac_f32_e32 v22, v23, v15
	v_fma_f32 v12, -v12, v22, v19
	v_div_fmas_f32 v12, v12, v15, v22
	v_div_fixup_f32 v12, v12, v18, 0
.LBB296_203:                            ;   in Loop: Header=BB296_161 Depth=1
	s_or_b64 exec, exec, s[8:9]
                                        ; implicit-def: $vgpr19
                                        ; implicit-def: $vgpr15
.LBB296_204:                            ;   in Loop: Header=BB296_161 Depth=1
	s_andn2_saveexec_b64 s[8:9], s[10:11]
	s_cbranch_execz .LBB296_206
; %bb.205:                              ;   in Loop: Header=BB296_161 Depth=1
	v_div_scale_f32 v11, s[10:11], v19, v19, v15
	v_div_scale_f32 v12, vcc, v15, v19, v15
	v_rcp_f32_e32 v18, v11
	v_fma_f32 v22, -v11, v18, 1.0
	v_fmac_f32_e32 v18, v22, v18
	v_mul_f32_e32 v22, v12, v18
	v_fma_f32 v23, -v11, v22, v12
	v_fmac_f32_e32 v22, v23, v18
	v_fma_f32 v11, -v11, v22, v12
	v_div_fmas_f32 v11, v11, v18, v22
	v_div_fixup_f32 v11, v11, v19, v15
	v_fmac_f32_e32 v19, v15, v11
	v_div_scale_f32 v12, s[10:11], v19, v19, 1.0
	v_div_scale_f32 v15, vcc, 1.0, v19, 1.0
	v_rcp_f32_e32 v18, v12
	v_fma_f32 v22, -v12, v18, 1.0
	v_fmac_f32_e32 v18, v22, v18
	v_mul_f32_e32 v22, v15, v18
	v_fma_f32 v23, -v12, v22, v15
	v_fmac_f32_e32 v22, v23, v18
	v_fma_f32 v12, -v12, v22, v15
	v_div_fmas_f32 v12, v12, v18, v22
	v_add_f32_e32 v15, 0, v11
	v_fma_f32 v18, v11, 0, -1.0
	v_div_fixup_f32 v12, v12, v19, 1.0
	v_mul_f32_e32 v11, v15, v12
	v_mul_f32_e32 v12, v18, v12
.LBB296_206:                            ;   in Loop: Header=BB296_161 Depth=1
	s_or_b64 exec, exec, s[8:9]
	v_cmp_neq_f32_e32 vcc, 0, v16
	v_cmp_neq_f32_e64 s[8:9], 0, v17
	v_mov_b32_e32 v18, 0
	s_or_b64 s[8:9], vcc, s[8:9]
	s_and_saveexec_b64 s[22:23], s[8:9]
	s_cbranch_execz .LBB296_237
; %bb.207:                              ;   in Loop: Header=BB296_161 Depth=1
	v_mov_b32_e32 v18, 0x7f800000
	v_cmp_neq_f32_e64 s[8:9], |v17|, v18
	s_and_saveexec_b64 s[24:25], s[8:9]
	s_cbranch_execz .LBB296_236
; %bb.208:                              ;   in Loop: Header=BB296_161 Depth=1
	v_cmp_o_f32_e32 vcc, v16, v16
                                        ; implicit-def: $vgpr18
	s_and_saveexec_b64 s[8:9], vcc
	s_xor_b64 s[26:27], exec, s[8:9]
	s_cbranch_execz .LBB296_233
; %bb.209:                              ;   in Loop: Header=BB296_161 Depth=1
	v_cmp_neq_f32_e64 s[8:9], |v16|, s39
                                        ; implicit-def: $vgpr18
	s_and_saveexec_b64 s[10:11], s[8:9]
	s_xor_b64 s[28:29], exec, s[10:11]
	s_cbranch_execz .LBB296_226
; %bb.210:                              ;   in Loop: Header=BB296_161 Depth=1
	v_max_f32_e64 v15, |v16|, |v16|
	v_max_f32_e64 v18, |v17|, |v17|
	v_max_f32_e32 v15, v18, v15
	v_cmp_nle_f32_e64 s[8:9], s40, v15
                                        ; implicit-def: $sgpr30_sgpr31
	s_and_saveexec_b64 s[10:11], s[8:9]
	s_xor_b64 s[10:11], exec, s[10:11]
	s_cbranch_execz .LBB296_214
; %bb.211:                              ;   in Loop: Header=BB296_161 Depth=1
	v_cmp_le_f32_e64 s[30:31], |v16|, s41
	v_cmp_le_f32_e64 s[34:35], |v17|, s41
	s_and_b64 s[44:45], s[34:35], s[30:31]
	s_mov_b64 s[30:31], 0
	s_and_saveexec_b64 s[34:35], s[44:45]
; %bb.212:                              ;   in Loop: Header=BB296_161 Depth=1
	s_mov_b64 s[30:31], exec
	v_mul_f32_e32 v16, 4.0, v16
	v_mul_f32_e32 v17, 4.0, v17
; %bb.213:                              ;   in Loop: Header=BB296_161 Depth=1
	s_or_b64 exec, exec, s[34:35]
.LBB296_214:                            ;   in Loop: Header=BB296_161 Depth=1
	s_andn2_saveexec_b64 s[10:11], s[10:11]
; %bb.215:                              ;   in Loop: Header=BB296_161 Depth=1
	v_mul_f32_e32 v16, 0x3e800000, v16
	v_mul_f32_e32 v17, 0x3e800000, v17
	s_andn2_b64 s[30:31], s[30:31], exec
; %bb.216:                              ;   in Loop: Header=BB296_161 Depth=1
	s_or_b64 exec, exec, s[10:11]
	v_max_f32_e64 v15, |v17|, |v17|
	v_max_f32_e64 v18, |v16|, |v16|
	v_max_f32_e32 v15, v18, v15
	v_cvt_f64_f32_e32 v[18:19], v15
	v_cmp_neq_f32_e64 s[10:11], s39, v15
	v_cmp_le_f32_e32 vcc, 0, v16
                                        ; implicit-def: $vgpr15
	v_frexp_exp_i32_f64_e32 v18, v[18:19]
	v_sub_u32_e32 v19, 0, v18
	v_ldexp_f32 v22, |v16|, v19
	v_ldexp_f32 v19, |v17|, v19
	v_mul_f32_e32 v19, v19, v19
	v_fmac_f32_e32 v19, v22, v22
	v_sqrt_f32_e32 v19, v19
	v_ldexp_f32 v18, v19, v18
	v_cndmask_b32_e64 v18, v21, v18, s[10:11]
                                        ; implicit-def: $vgpr19
	s_and_saveexec_b64 s[10:11], vcc
	s_xor_b64 s[34:35], exec, s[10:11]
	s_cbranch_execz .LBB296_219
; %bb.217:                              ;   in Loop: Header=BB296_161 Depth=1
	v_add_f32_e32 v15, v16, v18
	v_mul_f32_e32 v15, 0.5, v15
	v_mul_f32_e32 v16, 0x4f800000, v15
	v_cmp_gt_f32_e32 vcc, s42, v15
	v_cndmask_b32_e32 v15, v15, v16, vcc
	v_sqrt_f32_e32 v16, v15
	v_add_u32_e32 v18, -1, v16
	v_fma_f32 v22, -v18, v16, v15
	v_add_u32_e32 v19, 1, v16
	v_cmp_ge_f32_e64 s[10:11], 0, v22
	v_cndmask_b32_e64 v18, v16, v18, s[10:11]
	v_fma_f32 v16, -v19, v16, v15
	v_cmp_lt_f32_e64 s[10:11], 0, v16
	v_cndmask_b32_e64 v16, v18, v19, s[10:11]
	v_mul_f32_e32 v18, 0x37800000, v16
	v_cndmask_b32_e32 v16, v16, v18, vcc
	v_cmp_class_f32_e32 vcc, v15, v20
	v_cndmask_b32_e32 v15, v16, v15, vcc
	v_add_f32_e32 v16, v15, v15
	v_div_scale_f32 v18, s[10:11], v16, v16, v17
	v_div_scale_f32 v19, vcc, v17, v16, v17
	v_rcp_f32_e32 v22, v18
	v_fma_f32 v23, -v18, v22, 1.0
	v_fmac_f32_e32 v22, v23, v22
	v_mul_f32_e32 v23, v19, v22
	v_fma_f32 v24, -v18, v23, v19
	v_fmac_f32_e32 v23, v24, v22
	v_fma_f32 v18, -v18, v23, v19
	v_div_fmas_f32 v18, v18, v22, v23
	v_div_fixup_f32 v19, v18, v16, v17
                                        ; implicit-def: $vgpr18
                                        ; implicit-def: $vgpr16
	s_andn2_saveexec_b64 s[34:35], s[34:35]
	s_cbranch_execz .LBB296_221
	s_branch .LBB296_220
.LBB296_218:                            ;   in Loop: Header=BB296_161 Depth=1
	s_or_b64 exec, exec, s[8:9]
	s_andn2_saveexec_b64 s[8:9], s[26:27]
	s_cbranch_execnz .LBB296_195
	s_branch .LBB296_196
.LBB296_219:                            ;   in Loop: Header=BB296_161 Depth=1
	s_andn2_saveexec_b64 s[34:35], s[34:35]
	s_cbranch_execz .LBB296_221
.LBB296_220:                            ;   in Loop: Header=BB296_161 Depth=1
	v_sub_f32_e32 v15, v18, v16
	v_mul_f32_e32 v15, 0.5, v15
	v_mul_f32_e32 v16, 0x4f800000, v15
	v_cmp_gt_f32_e32 vcc, s42, v15
	v_cndmask_b32_e32 v15, v15, v16, vcc
	v_sqrt_f32_e32 v16, v15
	v_add_u32_e32 v18, -1, v16
	v_fma_f32 v22, -v18, v16, v15
	v_add_u32_e32 v19, 1, v16
	v_cmp_ge_f32_e64 s[10:11], 0, v22
	v_cndmask_b32_e64 v18, v16, v18, s[10:11]
	v_fma_f32 v16, -v19, v16, v15
	v_cmp_lt_f32_e64 s[10:11], 0, v16
	v_cndmask_b32_e64 v16, v18, v19, s[10:11]
	v_mul_f32_e32 v18, 0x37800000, v16
	v_cndmask_b32_e32 v16, v16, v18, vcc
	v_cmp_class_f32_e32 vcc, v15, v20
	v_cndmask_b32_e32 v16, v16, v15, vcc
	v_add_f32_e32 v15, v16, v16
	v_and_b32_e32 v18, 0x7fffffff, v17
	v_div_scale_f32 v19, s[10:11], v15, v15, v18
	v_div_scale_f32 v18, vcc, v18, v15, v18
	v_rcp_f32_e32 v22, v19
	v_fma_f32 v23, -v19, v22, 1.0
	v_fmac_f32_e32 v22, v23, v22
	v_mul_f32_e32 v23, v18, v22
	v_fma_f32 v24, -v19, v23, v18
	v_fmac_f32_e32 v23, v24, v22
	v_fma_f32 v18, -v19, v23, v18
	v_div_fmas_f32 v18, v18, v22, v23
	v_bfi_b32 v19, s43, v16, v17
	v_div_fixup_f32 v15, v18, v15, |v17|
.LBB296_221:                            ;   in Loop: Header=BB296_161 Depth=1
	s_or_b64 exec, exec, s[34:35]
                                        ; implicit-def: $vgpr17
                                        ; implicit-def: $vgpr18
	s_and_saveexec_b64 s[10:11], s[8:9]
	s_xor_b64 s[8:9], exec, s[10:11]
	s_cbranch_execz .LBB296_223
; %bb.222:                              ;   in Loop: Header=BB296_161 Depth=1
	v_mul_f32_e32 v16, 0.5, v15
	v_mul_f32_e32 v17, 0.5, v19
	v_cndmask_b32_e64 v18, v15, v16, s[30:31]
	v_cndmask_b32_e64 v17, v19, v17, s[30:31]
                                        ; implicit-def: $vgpr15
                                        ; implicit-def: $vgpr19
	s_andn2_saveexec_b64 s[8:9], s[8:9]
	s_cbranch_execnz .LBB296_224
	s_branch .LBB296_225
.LBB296_223:                            ;   in Loop: Header=BB296_161 Depth=1
	s_andn2_saveexec_b64 s[8:9], s[8:9]
.LBB296_224:                            ;   in Loop: Header=BB296_161 Depth=1
	v_add_f32_e32 v18, v15, v15
	v_add_f32_e32 v17, v19, v19
.LBB296_225:                            ;   in Loop: Header=BB296_161 Depth=1
	s_or_b64 exec, exec, s[8:9]
.LBB296_226:                            ;   in Loop: Header=BB296_161 Depth=1
	s_andn2_saveexec_b64 s[8:9], s[28:29]
	s_cbranch_execz .LBB296_232
; %bb.227:                              ;   in Loop: Header=BB296_161 Depth=1
	v_sub_f32_e32 v15, v17, v17
	v_cmp_lt_i32_e32 vcc, -1, v16
	v_and_b32_e32 v18, 0x7fffffff, v15
	s_and_saveexec_b64 s[10:11], vcc
	s_xor_b64 s[10:11], exec, s[10:11]
; %bb.228:                              ;   in Loop: Header=BB296_161 Depth=1
	v_bfi_b32 v17, s43, v15, v17
	v_mov_b32_e32 v18, v16
; %bb.229:                              ;   in Loop: Header=BB296_161 Depth=1
	s_andn2_saveexec_b64 s[10:11], s[10:11]
; %bb.230:                              ;   in Loop: Header=BB296_161 Depth=1
	v_bfi_b32 v17, s43, v16, v17
; %bb.231:                              ;   in Loop: Header=BB296_161 Depth=1
	s_or_b64 exec, exec, s[10:11]
.LBB296_232:                            ;   in Loop: Header=BB296_161 Depth=1
	s_or_b64 exec, exec, s[8:9]
.LBB296_233:                            ;   in Loop: Header=BB296_161 Depth=1
	s_andn2_saveexec_b64 s[8:9], s[26:27]
	s_cbranch_execz .LBB296_235
; %bb.234:                              ;   in Loop: Header=BB296_161 Depth=1
	v_sub_f32_e32 v15, v17, v17
	v_div_scale_f32 v17, vcc, v15, v15, v15
	v_rcp_f32_e32 v18, v17
	v_fma_f32 v19, -v17, v18, 1.0
	v_fmac_f32_e32 v18, v19, v18
	v_mul_f32_e32 v19, v17, v18
	v_fma_f32 v22, -v17, v19, v17
	v_fmac_f32_e32 v19, v22, v18
	v_fma_f32 v17, -v17, v19, v17
	v_div_fmas_f32 v17, v17, v18, v19
	v_mov_b32_e32 v18, v16
	v_div_fixup_f32 v17, v17, v15, v15
.LBB296_235:                            ;   in Loop: Header=BB296_161 Depth=1
	s_or_b64 exec, exec, s[8:9]
.LBB296_236:                            ;   in Loop: Header=BB296_161 Depth=1
	s_or_b64 exec, exec, s[24:25]
.LBB296_237:                            ;   in Loop: Header=BB296_161 Depth=1
	s_or_b64 exec, exec, s[22:23]
	v_cmp_gt_f32_e32 vcc, 0, v18
	v_cndmask_b32_e64 v22, v18, -v18, vcc
	v_cmp_gt_f32_e32 vcc, 0, v17
	v_cndmask_b32_e64 v19, v17, -v17, vcc
	v_cmp_ge_f32_e32 vcc, v22, v19
                                        ; implicit-def: $vgpr16
	s_and_saveexec_b64 s[8:9], vcc
	s_xor_b64 s[10:11], exec, s[8:9]
	s_cbranch_execz .LBB296_243
; %bb.238:                              ;   in Loop: Header=BB296_161 Depth=1
	v_cmp_neq_f32_e32 vcc, 0, v18
	v_cmp_neq_f32_e64 s[8:9], 0, v17
	s_or_b64 s[8:9], vcc, s[8:9]
                                        ; implicit-def: $vgpr16
	s_and_saveexec_b64 s[22:23], s[8:9]
	s_xor_b64 s[8:9], exec, s[22:23]
	s_cbranch_execz .LBB296_240
; %bb.239:                              ;   in Loop: Header=BB296_161 Depth=1
	v_div_scale_f32 v15, s[22:23], v18, v18, v17
	v_div_scale_f32 v16, vcc, v17, v18, v17
	v_rcp_f32_e32 v19, v15
	v_fma_f32 v22, -v15, v19, 1.0
	v_fmac_f32_e32 v19, v22, v19
	v_mul_f32_e32 v22, v16, v19
	v_fma_f32 v23, -v15, v22, v16
	v_fmac_f32_e32 v22, v23, v19
	v_fma_f32 v15, -v15, v22, v16
	v_div_fmas_f32 v15, v15, v19, v22
	v_div_fixup_f32 v16, v15, v18, v17
	v_fmac_f32_e32 v18, v17, v16
	v_div_scale_f32 v15, s[22:23], v18, v18, 1.0
	v_div_scale_f32 v17, vcc, 1.0, v18, 1.0
	v_rcp_f32_e32 v19, v15
	v_fma_f32 v22, -v15, v19, 1.0
	v_fmac_f32_e32 v19, v22, v19
	v_mul_f32_e32 v22, v17, v19
	v_fma_f32 v23, -v15, v22, v17
	v_fmac_f32_e32 v22, v23, v19
	v_fma_f32 v15, -v15, v22, v17
	v_div_fmas_f32 v15, v15, v19, v22
	v_fma_f32 v17, v16, 0, 1.0
                                        ; implicit-def: $vgpr22
                                        ; implicit-def: $vgpr19
	v_div_fixup_f32 v18, v15, v18, 1.0
	v_mul_f32_e32 v15, v17, v18
	v_mul_f32_e64 v16, -v16, v18
.LBB296_240:                            ;   in Loop: Header=BB296_161 Depth=1
	s_andn2_saveexec_b64 s[8:9], s[8:9]
	s_cbranch_execz .LBB296_242
; %bb.241:                              ;   in Loop: Header=BB296_161 Depth=1
	v_div_scale_f32 v15, s[22:23], v22, v22, 1.0
	v_rcp_f32_e32 v16, v15
	v_fma_f32 v17, -v15, v16, 1.0
	v_fmac_f32_e32 v16, v17, v16
	v_div_scale_f32 v17, vcc, 1.0, v22, 1.0
	v_mul_f32_e32 v18, v17, v16
	v_fma_f32 v23, -v15, v18, v17
	v_fmac_f32_e32 v18, v23, v16
	v_fma_f32 v15, -v15, v18, v17
	v_div_fmas_f32 v15, v15, v16, v18
	v_div_scale_f32 v16, s[22:23], v19, v19, 0
	v_div_fixup_f32 v15, v15, v22, 1.0
	v_rcp_f32_e32 v17, v16
	v_fma_f32 v18, -v16, v17, 1.0
	v_fmac_f32_e32 v17, v18, v17
	v_div_scale_f32 v18, vcc, 0, v19, 0
	v_mul_f32_e32 v22, v18, v17
	v_fma_f32 v23, -v16, v22, v18
	v_fmac_f32_e32 v22, v23, v17
	v_fma_f32 v16, -v16, v22, v18
	v_div_fmas_f32 v16, v16, v17, v22
	v_div_fixup_f32 v16, v16, v19, 0
.LBB296_242:                            ;   in Loop: Header=BB296_161 Depth=1
	s_or_b64 exec, exec, s[8:9]
                                        ; implicit-def: $vgpr17
                                        ; implicit-def: $vgpr18
.LBB296_243:                            ;   in Loop: Header=BB296_161 Depth=1
	s_andn2_saveexec_b64 s[8:9], s[10:11]
	s_cbranch_execz .LBB296_245
; %bb.244:                              ;   in Loop: Header=BB296_161 Depth=1
	v_div_scale_f32 v15, s[10:11], v17, v17, v18
	v_div_scale_f32 v16, vcc, v18, v17, v18
	v_rcp_f32_e32 v19, v15
	v_fma_f32 v22, -v15, v19, 1.0
	v_fmac_f32_e32 v19, v22, v19
	v_mul_f32_e32 v22, v16, v19
	v_fma_f32 v23, -v15, v22, v16
	v_fmac_f32_e32 v22, v23, v19
	v_fma_f32 v15, -v15, v22, v16
	v_div_fmas_f32 v15, v15, v19, v22
	v_div_fixup_f32 v15, v15, v17, v18
	v_fmac_f32_e32 v17, v18, v15
	v_div_scale_f32 v16, s[10:11], v17, v17, 1.0
	v_div_scale_f32 v18, vcc, 1.0, v17, 1.0
	v_rcp_f32_e32 v19, v16
	v_fma_f32 v22, -v16, v19, 1.0
	v_fmac_f32_e32 v19, v22, v19
	v_mul_f32_e32 v22, v18, v19
	v_fma_f32 v23, -v16, v22, v18
	v_fmac_f32_e32 v22, v23, v19
	v_fma_f32 v16, -v16, v22, v18
	v_div_fmas_f32 v16, v16, v19, v22
	v_add_f32_e32 v18, 0, v15
	v_fma_f32 v19, v15, 0, -1.0
	v_div_fixup_f32 v16, v16, v17, 1.0
	v_mul_f32_e32 v15, v18, v16
	v_mul_f32_e32 v16, v19, v16
.LBB296_245:                            ;   in Loop: Header=BB296_161 Depth=1
	s_or_b64 exec, exec, s[8:9]
	v_cmp_neq_f32_e32 vcc, 0, v13
	v_cmp_neq_f32_e64 s[8:9], 0, v14
	v_mov_b32_e32 v19, 0
	s_or_b64 s[8:9], vcc, s[8:9]
	s_and_saveexec_b64 s[22:23], s[8:9]
	s_cbranch_execz .LBB296_275
; %bb.246:                              ;   in Loop: Header=BB296_161 Depth=1
	v_mov_b32_e32 v19, 0x7f800000
	v_cmp_neq_f32_e64 s[8:9], |v14|, v19
	s_and_saveexec_b64 s[24:25], s[8:9]
	s_cbranch_execz .LBB296_274
; %bb.247:                              ;   in Loop: Header=BB296_161 Depth=1
	v_cmp_o_f32_e32 vcc, v13, v13
                                        ; implicit-def: $vgpr19
	s_and_saveexec_b64 s[8:9], vcc
	s_xor_b64 s[26:27], exec, s[8:9]
	s_cbranch_execz .LBB296_271
; %bb.248:                              ;   in Loop: Header=BB296_161 Depth=1
	v_cmp_neq_f32_e64 s[8:9], |v13|, s39
                                        ; implicit-def: $vgpr19
	s_and_saveexec_b64 s[10:11], s[8:9]
	s_xor_b64 s[28:29], exec, s[10:11]
	s_cbranch_execz .LBB296_264
; %bb.249:                              ;   in Loop: Header=BB296_161 Depth=1
	v_max_f32_e64 v17, |v13|, |v13|
	v_max_f32_e64 v18, |v14|, |v14|
	v_max_f32_e32 v17, v18, v17
	v_cmp_nle_f32_e64 s[8:9], s40, v17
                                        ; implicit-def: $sgpr30_sgpr31
	s_and_saveexec_b64 s[10:11], s[8:9]
	s_xor_b64 s[10:11], exec, s[10:11]
	s_cbranch_execz .LBB296_253
; %bb.250:                              ;   in Loop: Header=BB296_161 Depth=1
	v_cmp_le_f32_e64 s[30:31], |v13|, s41
	v_cmp_le_f32_e64 s[34:35], |v14|, s41
	s_and_b64 s[44:45], s[34:35], s[30:31]
	s_mov_b64 s[30:31], 0
	s_and_saveexec_b64 s[34:35], s[44:45]
; %bb.251:                              ;   in Loop: Header=BB296_161 Depth=1
	s_mov_b64 s[30:31], exec
	v_mul_f32_e32 v13, 4.0, v13
	v_mul_f32_e32 v14, 4.0, v14
; %bb.252:                              ;   in Loop: Header=BB296_161 Depth=1
	s_or_b64 exec, exec, s[34:35]
.LBB296_253:                            ;   in Loop: Header=BB296_161 Depth=1
	s_andn2_saveexec_b64 s[10:11], s[10:11]
; %bb.254:                              ;   in Loop: Header=BB296_161 Depth=1
	v_mul_f32_e32 v13, 0x3e800000, v13
	v_mul_f32_e32 v14, 0x3e800000, v14
	s_andn2_b64 s[30:31], s[30:31], exec
; %bb.255:                              ;   in Loop: Header=BB296_161 Depth=1
	s_or_b64 exec, exec, s[10:11]
	v_max_f32_e64 v17, |v14|, |v14|
	v_max_f32_e64 v18, |v13|, |v13|
	v_max_f32_e32 v19, v18, v17
	v_cvt_f64_f32_e32 v[17:18], v19
	v_cmp_neq_f32_e64 s[10:11], s39, v19
	v_cmp_le_f32_e32 vcc, 0, v13
	v_frexp_exp_i32_f64_e32 v17, v[17:18]
	v_sub_u32_e32 v18, 0, v17
	v_ldexp_f32 v22, |v13|, v18
	v_ldexp_f32 v18, |v14|, v18
	v_mul_f32_e32 v18, v18, v18
	v_fmac_f32_e32 v18, v22, v22
	v_sqrt_f32_e32 v18, v18
	v_ldexp_f32 v17, v18, v17
	v_cndmask_b32_e64 v19, v21, v17, s[10:11]
                                        ; implicit-def: $vgpr18
                                        ; implicit-def: $vgpr17
	s_and_saveexec_b64 s[10:11], vcc
	s_xor_b64 s[34:35], exec, s[10:11]
	s_cbranch_execz .LBB296_257
; %bb.256:                              ;   in Loop: Header=BB296_161 Depth=1
	v_add_f32_e32 v13, v13, v19
	v_mul_f32_e32 v13, 0.5, v13
	v_mul_f32_e32 v17, 0x4f800000, v13
	v_cmp_gt_f32_e32 vcc, s42, v13
	v_cndmask_b32_e32 v13, v13, v17, vcc
	v_sqrt_f32_e32 v17, v13
	v_add_u32_e32 v18, -1, v17
	v_fma_f32 v22, -v18, v17, v13
	v_add_u32_e32 v19, 1, v17
	v_cmp_ge_f32_e64 s[10:11], 0, v22
	v_cndmask_b32_e64 v18, v17, v18, s[10:11]
	v_fma_f32 v17, -v19, v17, v13
	v_cmp_lt_f32_e64 s[10:11], 0, v17
	v_cndmask_b32_e64 v17, v18, v19, s[10:11]
	v_mul_f32_e32 v18, 0x37800000, v17
	v_cndmask_b32_e32 v17, v17, v18, vcc
	v_cmp_class_f32_e32 vcc, v13, v20
	v_cndmask_b32_e32 v17, v17, v13, vcc
	v_add_f32_e32 v13, v17, v17
	v_div_scale_f32 v18, s[10:11], v13, v13, v14
	v_div_scale_f32 v19, vcc, v14, v13, v14
	v_rcp_f32_e32 v22, v18
	v_fma_f32 v23, -v18, v22, 1.0
	v_fmac_f32_e32 v22, v23, v22
	v_mul_f32_e32 v23, v19, v22
	v_fma_f32 v24, -v18, v23, v19
	v_fmac_f32_e32 v23, v24, v22
	v_fma_f32 v18, -v18, v23, v19
	v_div_fmas_f32 v18, v18, v22, v23
                                        ; implicit-def: $vgpr19
	v_div_fixup_f32 v18, v18, v13, v14
                                        ; implicit-def: $vgpr13
	s_andn2_saveexec_b64 s[34:35], s[34:35]
	s_cbranch_execz .LBB296_259
	s_branch .LBB296_258
.LBB296_257:                            ;   in Loop: Header=BB296_161 Depth=1
	s_andn2_saveexec_b64 s[34:35], s[34:35]
	s_cbranch_execz .LBB296_259
.LBB296_258:                            ;   in Loop: Header=BB296_161 Depth=1
	v_sub_f32_e32 v13, v19, v13
	v_mul_f32_e32 v13, 0.5, v13
	v_mul_f32_e32 v17, 0x4f800000, v13
	v_cmp_gt_f32_e32 vcc, s42, v13
	v_cndmask_b32_e32 v13, v13, v17, vcc
	v_sqrt_f32_e32 v17, v13
	v_add_u32_e32 v18, -1, v17
	v_fma_f32 v22, -v18, v17, v13
	v_add_u32_e32 v19, 1, v17
	v_cmp_ge_f32_e64 s[10:11], 0, v22
	v_cndmask_b32_e64 v18, v17, v18, s[10:11]
	v_fma_f32 v17, -v19, v17, v13
	v_cmp_lt_f32_e64 s[10:11], 0, v17
	v_cndmask_b32_e64 v17, v18, v19, s[10:11]
	v_mul_f32_e32 v18, 0x37800000, v17
	v_cndmask_b32_e32 v17, v17, v18, vcc
	v_cmp_class_f32_e32 vcc, v13, v20
	v_cndmask_b32_e32 v13, v17, v13, vcc
	v_add_f32_e32 v17, v13, v13
	v_and_b32_e32 v18, 0x7fffffff, v14
	v_div_scale_f32 v19, s[10:11], v17, v17, v18
	v_div_scale_f32 v18, vcc, v18, v17, v18
	v_rcp_f32_e32 v22, v19
	v_fma_f32 v23, -v19, v22, 1.0
	v_fmac_f32_e32 v22, v23, v22
	v_mul_f32_e32 v23, v18, v22
	v_fma_f32 v24, -v19, v23, v18
	v_fmac_f32_e32 v23, v24, v22
	v_fma_f32 v18, -v19, v23, v18
	v_div_fmas_f32 v18, v18, v22, v23
	v_div_fixup_f32 v17, v18, v17, |v14|
	v_bfi_b32 v18, s43, v13, v14
.LBB296_259:                            ;   in Loop: Header=BB296_161 Depth=1
	s_or_b64 exec, exec, s[34:35]
                                        ; implicit-def: $vgpr14
                                        ; implicit-def: $vgpr19
	s_and_saveexec_b64 s[10:11], s[8:9]
	s_xor_b64 s[8:9], exec, s[10:11]
	s_cbranch_execz .LBB296_261
; %bb.260:                              ;   in Loop: Header=BB296_161 Depth=1
	v_mul_f32_e32 v13, 0.5, v17
	v_mul_f32_e32 v14, 0.5, v18
	v_cndmask_b32_e64 v19, v17, v13, s[30:31]
	v_cndmask_b32_e64 v14, v18, v14, s[30:31]
                                        ; implicit-def: $vgpr17
                                        ; implicit-def: $vgpr18
	s_andn2_saveexec_b64 s[8:9], s[8:9]
	s_cbranch_execnz .LBB296_262
	s_branch .LBB296_263
.LBB296_261:                            ;   in Loop: Header=BB296_161 Depth=1
	s_andn2_saveexec_b64 s[8:9], s[8:9]
.LBB296_262:                            ;   in Loop: Header=BB296_161 Depth=1
	v_add_f32_e32 v19, v17, v17
	v_add_f32_e32 v14, v18, v18
.LBB296_263:                            ;   in Loop: Header=BB296_161 Depth=1
	s_or_b64 exec, exec, s[8:9]
.LBB296_264:                            ;   in Loop: Header=BB296_161 Depth=1
	s_andn2_saveexec_b64 s[8:9], s[28:29]
	s_cbranch_execz .LBB296_270
; %bb.265:                              ;   in Loop: Header=BB296_161 Depth=1
	v_sub_f32_e32 v17, v14, v14
	v_cmp_lt_i32_e32 vcc, -1, v13
	v_and_b32_e32 v19, 0x7fffffff, v17
	s_and_saveexec_b64 s[10:11], vcc
	s_xor_b64 s[10:11], exec, s[10:11]
; %bb.266:                              ;   in Loop: Header=BB296_161 Depth=1
	v_bfi_b32 v14, s43, v17, v14
	v_mov_b32_e32 v19, v13
; %bb.267:                              ;   in Loop: Header=BB296_161 Depth=1
	s_andn2_saveexec_b64 s[10:11], s[10:11]
; %bb.268:                              ;   in Loop: Header=BB296_161 Depth=1
	v_bfi_b32 v14, s43, v13, v14
; %bb.269:                              ;   in Loop: Header=BB296_161 Depth=1
	s_or_b64 exec, exec, s[10:11]
.LBB296_270:                            ;   in Loop: Header=BB296_161 Depth=1
	s_or_b64 exec, exec, s[8:9]
.LBB296_271:                            ;   in Loop: Header=BB296_161 Depth=1
	s_andn2_saveexec_b64 s[8:9], s[26:27]
	s_cbranch_execz .LBB296_273
; %bb.272:                              ;   in Loop: Header=BB296_161 Depth=1
	v_sub_f32_e32 v14, v14, v14
	v_div_scale_f32 v17, vcc, v14, v14, v14
	v_rcp_f32_e32 v18, v17
	v_fma_f32 v19, -v17, v18, 1.0
	v_fmac_f32_e32 v18, v19, v18
	v_mul_f32_e32 v19, v17, v18
	v_fma_f32 v22, -v17, v19, v17
	v_fmac_f32_e32 v19, v22, v18
	v_fma_f32 v17, -v17, v19, v17
	v_div_fmas_f32 v17, v17, v18, v19
	v_mov_b32_e32 v19, v13
	v_div_fixup_f32 v14, v17, v14, v14
.LBB296_273:                            ;   in Loop: Header=BB296_161 Depth=1
	s_or_b64 exec, exec, s[8:9]
.LBB296_274:                            ;   in Loop: Header=BB296_161 Depth=1
	s_or_b64 exec, exec, s[24:25]
.LBB296_275:                            ;   in Loop: Header=BB296_161 Depth=1
	s_or_b64 exec, exec, s[22:23]
	v_cmp_gt_f32_e32 vcc, 0, v19
	v_cndmask_b32_e64 v22, v19, -v19, vcc
	v_cmp_gt_f32_e32 vcc, 0, v14
	v_cndmask_b32_e64 v13, v14, -v14, vcc
	v_cmp_ge_f32_e32 vcc, v22, v13
                                        ; implicit-def: $vgpr18
	s_and_saveexec_b64 s[8:9], vcc
	s_xor_b64 s[10:11], exec, s[8:9]
	s_cbranch_execz .LBB296_281
; %bb.276:                              ;   in Loop: Header=BB296_161 Depth=1
	v_cmp_neq_f32_e32 vcc, 0, v19
	v_cmp_neq_f32_e64 s[8:9], 0, v14
	s_or_b64 s[8:9], vcc, s[8:9]
                                        ; implicit-def: $vgpr18
	s_and_saveexec_b64 s[22:23], s[8:9]
	s_xor_b64 s[8:9], exec, s[22:23]
	s_cbranch_execz .LBB296_278
; %bb.277:                              ;   in Loop: Header=BB296_161 Depth=1
	v_div_scale_f32 v13, s[22:23], v19, v19, v14
	v_div_scale_f32 v17, vcc, v14, v19, v14
	v_rcp_f32_e32 v18, v13
	v_fma_f32 v22, -v13, v18, 1.0
	v_fmac_f32_e32 v18, v22, v18
	v_mul_f32_e32 v22, v17, v18
	v_fma_f32 v23, -v13, v22, v17
	v_fmac_f32_e32 v22, v23, v18
	v_fma_f32 v13, -v13, v22, v17
	v_div_fmas_f32 v13, v13, v18, v22
	v_div_fixup_f32 v13, v13, v19, v14
	v_fmac_f32_e32 v19, v14, v13
	v_div_scale_f32 v14, s[22:23], v19, v19, 1.0
	v_div_scale_f32 v17, vcc, 1.0, v19, 1.0
	v_rcp_f32_e32 v18, v14
	v_fma_f32 v22, -v14, v18, 1.0
	v_fmac_f32_e32 v18, v22, v18
	v_mul_f32_e32 v22, v17, v18
	v_fma_f32 v23, -v14, v22, v17
	v_fmac_f32_e32 v22, v23, v18
	v_fma_f32 v14, -v14, v22, v17
	v_div_fmas_f32 v14, v14, v18, v22
	v_fma_f32 v17, v13, 0, 1.0
                                        ; implicit-def: $vgpr22
	v_div_fixup_f32 v14, v14, v19, 1.0
	v_mul_f32_e32 v17, v17, v14
	v_mul_f32_e64 v18, -v13, v14
                                        ; implicit-def: $vgpr13
.LBB296_278:                            ;   in Loop: Header=BB296_161 Depth=1
	s_andn2_saveexec_b64 s[8:9], s[8:9]
	s_cbranch_execz .LBB296_280
; %bb.279:                              ;   in Loop: Header=BB296_161 Depth=1
	v_div_scale_f32 v14, s[22:23], v22, v22, 1.0
	v_rcp_f32_e32 v17, v14
	v_fma_f32 v18, -v14, v17, 1.0
	v_fmac_f32_e32 v17, v18, v17
	v_div_scale_f32 v18, vcc, 1.0, v22, 1.0
	v_mul_f32_e32 v19, v18, v17
	v_fma_f32 v23, -v14, v19, v18
	v_fmac_f32_e32 v19, v23, v17
	v_fma_f32 v14, -v14, v19, v18
	v_div_fmas_f32 v14, v14, v17, v19
	v_div_fixup_f32 v17, v14, v22, 1.0
	v_div_scale_f32 v14, s[22:23], v13, v13, 0
	v_rcp_f32_e32 v18, v14
	v_fma_f32 v19, -v14, v18, 1.0
	v_fmac_f32_e32 v18, v19, v18
	v_div_scale_f32 v19, vcc, 0, v13, 0
	v_mul_f32_e32 v22, v19, v18
	v_fma_f32 v23, -v14, v22, v19
	v_fmac_f32_e32 v22, v23, v18
	v_fma_f32 v14, -v14, v22, v19
	v_div_fmas_f32 v14, v14, v18, v22
	v_div_fixup_f32 v18, v14, v13, 0
.LBB296_280:                            ;   in Loop: Header=BB296_161 Depth=1
	s_or_b64 exec, exec, s[8:9]
                                        ; implicit-def: $vgpr14
                                        ; implicit-def: $vgpr19
.LBB296_281:                            ;   in Loop: Header=BB296_161 Depth=1
	s_andn2_saveexec_b64 s[8:9], s[10:11]
	s_cbranch_execz .LBB296_283
; %bb.282:                              ;   in Loop: Header=BB296_161 Depth=1
	v_div_scale_f32 v13, s[10:11], v14, v14, v19
	v_div_scale_f32 v17, vcc, v19, v14, v19
	v_rcp_f32_e32 v18, v13
	v_fma_f32 v22, -v13, v18, 1.0
	v_fmac_f32_e32 v18, v22, v18
	v_mul_f32_e32 v22, v17, v18
	v_fma_f32 v23, -v13, v22, v17
	v_fmac_f32_e32 v22, v23, v18
	v_fma_f32 v13, -v13, v22, v17
	v_div_fmas_f32 v13, v13, v18, v22
	v_div_fixup_f32 v13, v13, v14, v19
	v_fmac_f32_e32 v14, v19, v13
	v_div_scale_f32 v17, s[10:11], v14, v14, 1.0
	v_div_scale_f32 v18, vcc, 1.0, v14, 1.0
	v_rcp_f32_e32 v19, v17
	v_fma_f32 v22, -v17, v19, 1.0
	v_fmac_f32_e32 v19, v22, v19
	v_mul_f32_e32 v22, v18, v19
	v_fma_f32 v23, -v17, v22, v18
	v_fmac_f32_e32 v22, v23, v19
	v_fma_f32 v17, -v17, v22, v18
	v_div_fmas_f32 v17, v17, v19, v22
	v_add_f32_e32 v18, 0, v13
	v_fma_f32 v13, v13, 0, -1.0
	v_div_fixup_f32 v14, v17, v14, 1.0
	v_mul_f32_e32 v17, v18, v14
	v_mul_f32_e32 v18, v13, v14
.LBB296_283:                            ;   in Loop: Header=BB296_161 Depth=1
	s_or_b64 exec, exec, s[8:9]
	v_cmp_neq_f32_e32 vcc, 0, v9
	v_cmp_neq_f32_e64 s[8:9], 0, v10
	v_mov_b32_e32 v19, 0
	s_or_b64 s[8:9], vcc, s[8:9]
	s_and_saveexec_b64 s[22:23], s[8:9]
	s_cbranch_execz .LBB296_313
; %bb.284:                              ;   in Loop: Header=BB296_161 Depth=1
	v_mov_b32_e32 v19, 0x7f800000
	v_cmp_neq_f32_e64 s[8:9], |v10|, v19
	s_and_saveexec_b64 s[24:25], s[8:9]
	s_cbranch_execz .LBB296_312
; %bb.285:                              ;   in Loop: Header=BB296_161 Depth=1
	v_cmp_o_f32_e32 vcc, v9, v9
                                        ; implicit-def: $vgpr19
	s_and_saveexec_b64 s[8:9], vcc
	s_xor_b64 s[26:27], exec, s[8:9]
	s_cbranch_execz .LBB296_309
; %bb.286:                              ;   in Loop: Header=BB296_161 Depth=1
	v_cmp_neq_f32_e64 s[8:9], |v9|, s39
                                        ; implicit-def: $vgpr19
	s_and_saveexec_b64 s[10:11], s[8:9]
	s_xor_b64 s[28:29], exec, s[10:11]
	s_cbranch_execz .LBB296_302
; %bb.287:                              ;   in Loop: Header=BB296_161 Depth=1
	v_max_f32_e64 v13, |v9|, |v9|
	v_max_f32_e64 v14, |v10|, |v10|
	v_max_f32_e32 v13, v14, v13
	v_cmp_nle_f32_e64 s[8:9], s40, v13
                                        ; implicit-def: $sgpr30_sgpr31
	s_and_saveexec_b64 s[10:11], s[8:9]
	s_xor_b64 s[10:11], exec, s[10:11]
	s_cbranch_execz .LBB296_291
; %bb.288:                              ;   in Loop: Header=BB296_161 Depth=1
	v_cmp_le_f32_e64 s[30:31], |v9|, s41
	v_cmp_le_f32_e64 s[34:35], |v10|, s41
	s_and_b64 s[44:45], s[34:35], s[30:31]
	s_mov_b64 s[30:31], 0
	s_and_saveexec_b64 s[34:35], s[44:45]
; %bb.289:                              ;   in Loop: Header=BB296_161 Depth=1
	s_mov_b64 s[30:31], exec
	v_mul_f32_e32 v9, 4.0, v9
	v_mul_f32_e32 v10, 4.0, v10
; %bb.290:                              ;   in Loop: Header=BB296_161 Depth=1
	s_or_b64 exec, exec, s[34:35]
.LBB296_291:                            ;   in Loop: Header=BB296_161 Depth=1
	s_andn2_saveexec_b64 s[10:11], s[10:11]
; %bb.292:                              ;   in Loop: Header=BB296_161 Depth=1
	v_mul_f32_e32 v9, 0x3e800000, v9
	v_mul_f32_e32 v10, 0x3e800000, v10
	s_andn2_b64 s[30:31], s[30:31], exec
; %bb.293:                              ;   in Loop: Header=BB296_161 Depth=1
	s_or_b64 exec, exec, s[10:11]
	v_max_f32_e64 v13, |v10|, |v10|
	v_max_f32_e64 v14, |v9|, |v9|
	v_max_f32_e32 v19, v14, v13
	v_cvt_f64_f32_e32 v[13:14], v19
	v_cmp_neq_f32_e64 s[10:11], s39, v19
	v_cmp_le_f32_e32 vcc, 0, v9
	v_frexp_exp_i32_f64_e32 v13, v[13:14]
	v_sub_u32_e32 v14, 0, v13
	v_ldexp_f32 v22, |v9|, v14
	v_ldexp_f32 v14, |v10|, v14
	v_mul_f32_e32 v14, v14, v14
	v_fmac_f32_e32 v14, v22, v22
	v_sqrt_f32_e32 v14, v14
	v_ldexp_f32 v13, v14, v13
	v_cndmask_b32_e64 v19, v21, v13, s[10:11]
                                        ; implicit-def: $vgpr14
                                        ; implicit-def: $vgpr13
	s_and_saveexec_b64 s[10:11], vcc
	s_xor_b64 s[34:35], exec, s[10:11]
	s_cbranch_execz .LBB296_295
; %bb.294:                              ;   in Loop: Header=BB296_161 Depth=1
	v_add_f32_e32 v9, v9, v19
	v_mul_f32_e32 v9, 0.5, v9
	v_mul_f32_e32 v13, 0x4f800000, v9
	v_cmp_gt_f32_e32 vcc, s42, v9
	v_cndmask_b32_e32 v9, v9, v13, vcc
	v_sqrt_f32_e32 v13, v9
	v_add_u32_e32 v14, -1, v13
	v_fma_f32 v22, -v14, v13, v9
	v_add_u32_e32 v19, 1, v13
	v_cmp_ge_f32_e64 s[10:11], 0, v22
	v_cndmask_b32_e64 v14, v13, v14, s[10:11]
	v_fma_f32 v13, -v19, v13, v9
	v_cmp_lt_f32_e64 s[10:11], 0, v13
	v_cndmask_b32_e64 v13, v14, v19, s[10:11]
	v_mul_f32_e32 v14, 0x37800000, v13
	v_cndmask_b32_e32 v13, v13, v14, vcc
	v_cmp_class_f32_e32 vcc, v9, v20
	v_cndmask_b32_e32 v13, v13, v9, vcc
	v_add_f32_e32 v9, v13, v13
	v_div_scale_f32 v14, s[10:11], v9, v9, v10
	v_div_scale_f32 v19, vcc, v10, v9, v10
	v_rcp_f32_e32 v22, v14
	v_fma_f32 v23, -v14, v22, 1.0
	v_fmac_f32_e32 v22, v23, v22
	v_mul_f32_e32 v23, v19, v22
	v_fma_f32 v24, -v14, v23, v19
	v_fmac_f32_e32 v23, v24, v22
	v_fma_f32 v14, -v14, v23, v19
	v_div_fmas_f32 v14, v14, v22, v23
                                        ; implicit-def: $vgpr19
	v_div_fixup_f32 v14, v14, v9, v10
                                        ; implicit-def: $vgpr9
	s_andn2_saveexec_b64 s[34:35], s[34:35]
	s_cbranch_execz .LBB296_297
	s_branch .LBB296_296
.LBB296_295:                            ;   in Loop: Header=BB296_161 Depth=1
	s_andn2_saveexec_b64 s[34:35], s[34:35]
	s_cbranch_execz .LBB296_297
.LBB296_296:                            ;   in Loop: Header=BB296_161 Depth=1
	v_sub_f32_e32 v9, v19, v9
	v_mul_f32_e32 v9, 0.5, v9
	v_mul_f32_e32 v13, 0x4f800000, v9
	v_cmp_gt_f32_e32 vcc, s42, v9
	v_cndmask_b32_e32 v9, v9, v13, vcc
	v_sqrt_f32_e32 v13, v9
	v_add_u32_e32 v14, -1, v13
	v_fma_f32 v22, -v14, v13, v9
	v_add_u32_e32 v19, 1, v13
	v_cmp_ge_f32_e64 s[10:11], 0, v22
	v_cndmask_b32_e64 v14, v13, v14, s[10:11]
	v_fma_f32 v13, -v19, v13, v9
	v_cmp_lt_f32_e64 s[10:11], 0, v13
	v_cndmask_b32_e64 v13, v14, v19, s[10:11]
	v_mul_f32_e32 v14, 0x37800000, v13
	v_cndmask_b32_e32 v13, v13, v14, vcc
	v_cmp_class_f32_e32 vcc, v9, v20
	v_cndmask_b32_e32 v9, v13, v9, vcc
	v_add_f32_e32 v13, v9, v9
	v_and_b32_e32 v14, 0x7fffffff, v10
	v_div_scale_f32 v19, s[10:11], v13, v13, v14
	v_div_scale_f32 v14, vcc, v14, v13, v14
	v_rcp_f32_e32 v22, v19
	v_fma_f32 v23, -v19, v22, 1.0
	v_fmac_f32_e32 v22, v23, v22
	v_mul_f32_e32 v23, v14, v22
	v_fma_f32 v24, -v19, v23, v14
	v_fmac_f32_e32 v23, v24, v22
	v_fma_f32 v14, -v19, v23, v14
	v_div_fmas_f32 v14, v14, v22, v23
	v_div_fixup_f32 v13, v14, v13, |v10|
	v_bfi_b32 v14, s43, v9, v10
.LBB296_297:                            ;   in Loop: Header=BB296_161 Depth=1
	s_or_b64 exec, exec, s[34:35]
                                        ; implicit-def: $vgpr10
                                        ; implicit-def: $vgpr19
	s_and_saveexec_b64 s[10:11], s[8:9]
	s_xor_b64 s[8:9], exec, s[10:11]
	s_cbranch_execz .LBB296_299
; %bb.298:                              ;   in Loop: Header=BB296_161 Depth=1
	v_mul_f32_e32 v9, 0.5, v13
	v_mul_f32_e32 v10, 0.5, v14
	v_cndmask_b32_e64 v19, v13, v9, s[30:31]
	v_cndmask_b32_e64 v10, v14, v10, s[30:31]
                                        ; implicit-def: $vgpr13
                                        ; implicit-def: $vgpr14
	s_andn2_saveexec_b64 s[8:9], s[8:9]
	s_cbranch_execnz .LBB296_300
	s_branch .LBB296_301
.LBB296_299:                            ;   in Loop: Header=BB296_161 Depth=1
	s_andn2_saveexec_b64 s[8:9], s[8:9]
.LBB296_300:                            ;   in Loop: Header=BB296_161 Depth=1
	v_add_f32_e32 v19, v13, v13
	v_add_f32_e32 v10, v14, v14
.LBB296_301:                            ;   in Loop: Header=BB296_161 Depth=1
	s_or_b64 exec, exec, s[8:9]
.LBB296_302:                            ;   in Loop: Header=BB296_161 Depth=1
	s_andn2_saveexec_b64 s[8:9], s[28:29]
	s_cbranch_execz .LBB296_308
; %bb.303:                              ;   in Loop: Header=BB296_161 Depth=1
	v_sub_f32_e32 v13, v10, v10
	v_cmp_lt_i32_e32 vcc, -1, v9
	v_and_b32_e32 v19, 0x7fffffff, v13
	s_and_saveexec_b64 s[10:11], vcc
	s_xor_b64 s[10:11], exec, s[10:11]
; %bb.304:                              ;   in Loop: Header=BB296_161 Depth=1
	v_bfi_b32 v10, s43, v13, v10
	v_mov_b32_e32 v19, v9
; %bb.305:                              ;   in Loop: Header=BB296_161 Depth=1
	s_andn2_saveexec_b64 s[10:11], s[10:11]
; %bb.306:                              ;   in Loop: Header=BB296_161 Depth=1
	v_bfi_b32 v10, s43, v9, v10
; %bb.307:                              ;   in Loop: Header=BB296_161 Depth=1
	s_or_b64 exec, exec, s[10:11]
.LBB296_308:                            ;   in Loop: Header=BB296_161 Depth=1
	s_or_b64 exec, exec, s[8:9]
.LBB296_309:                            ;   in Loop: Header=BB296_161 Depth=1
	s_andn2_saveexec_b64 s[8:9], s[26:27]
	s_cbranch_execz .LBB296_311
; %bb.310:                              ;   in Loop: Header=BB296_161 Depth=1
	v_sub_f32_e32 v10, v10, v10
	v_div_scale_f32 v13, vcc, v10, v10, v10
	v_rcp_f32_e32 v14, v13
	v_fma_f32 v19, -v13, v14, 1.0
	v_fmac_f32_e32 v14, v19, v14
	v_mul_f32_e32 v19, v13, v14
	v_fma_f32 v22, -v13, v19, v13
	v_fmac_f32_e32 v19, v22, v14
	v_fma_f32 v13, -v13, v19, v13
	v_div_fmas_f32 v13, v13, v14, v19
	v_mov_b32_e32 v19, v9
	v_div_fixup_f32 v10, v13, v10, v10
.LBB296_311:                            ;   in Loop: Header=BB296_161 Depth=1
	s_or_b64 exec, exec, s[8:9]
.LBB296_312:                            ;   in Loop: Header=BB296_161 Depth=1
	s_or_b64 exec, exec, s[24:25]
.LBB296_313:                            ;   in Loop: Header=BB296_161 Depth=1
	s_or_b64 exec, exec, s[22:23]
	v_cmp_gt_f32_e32 vcc, 0, v19
	v_cndmask_b32_e64 v22, v19, -v19, vcc
	v_cmp_gt_f32_e32 vcc, 0, v10
	v_cndmask_b32_e64 v9, v10, -v10, vcc
	v_cmp_ge_f32_e32 vcc, v22, v9
                                        ; implicit-def: $vgpr14
	s_and_saveexec_b64 s[8:9], vcc
	s_xor_b64 s[10:11], exec, s[8:9]
	s_cbranch_execz .LBB296_323
; %bb.314:                              ;   in Loop: Header=BB296_161 Depth=1
	v_cmp_neq_f32_e32 vcc, 0, v19
	v_cmp_neq_f32_e64 s[8:9], 0, v10
	s_or_b64 s[8:9], vcc, s[8:9]
                                        ; implicit-def: $vgpr14
	s_and_saveexec_b64 s[22:23], s[8:9]
	s_xor_b64 s[8:9], exec, s[22:23]
	s_cbranch_execz .LBB296_316
; %bb.315:                              ;   in Loop: Header=BB296_161 Depth=1
	v_div_scale_f32 v9, s[22:23], v19, v19, v10
	v_div_scale_f32 v13, vcc, v10, v19, v10
	v_rcp_f32_e32 v14, v9
	v_fma_f32 v22, -v9, v14, 1.0
	v_fmac_f32_e32 v14, v22, v14
	v_mul_f32_e32 v22, v13, v14
	v_fma_f32 v23, -v9, v22, v13
	v_fmac_f32_e32 v22, v23, v14
	v_fma_f32 v9, -v9, v22, v13
	v_div_fmas_f32 v9, v9, v14, v22
	v_div_fixup_f32 v9, v9, v19, v10
	v_fmac_f32_e32 v19, v10, v9
	v_div_scale_f32 v10, s[22:23], v19, v19, 1.0
	v_div_scale_f32 v13, vcc, 1.0, v19, 1.0
	v_rcp_f32_e32 v14, v10
	v_fma_f32 v22, -v10, v14, 1.0
	v_fmac_f32_e32 v14, v22, v14
	v_mul_f32_e32 v22, v13, v14
	v_fma_f32 v23, -v10, v22, v13
	v_fmac_f32_e32 v22, v23, v14
	v_fma_f32 v10, -v10, v22, v13
	v_div_fmas_f32 v10, v10, v14, v22
	v_fma_f32 v13, v9, 0, 1.0
                                        ; implicit-def: $vgpr22
	v_div_fixup_f32 v10, v10, v19, 1.0
	v_mul_f32_e32 v13, v13, v10
	v_mul_f32_e64 v14, -v9, v10
                                        ; implicit-def: $vgpr9
.LBB296_316:                            ;   in Loop: Header=BB296_161 Depth=1
	s_andn2_saveexec_b64 s[8:9], s[8:9]
	s_cbranch_execz .LBB296_318
; %bb.317:                              ;   in Loop: Header=BB296_161 Depth=1
	v_div_scale_f32 v10, s[22:23], v22, v22, 1.0
	v_rcp_f32_e32 v13, v10
	v_fma_f32 v14, -v10, v13, 1.0
	v_fmac_f32_e32 v13, v14, v13
	v_div_scale_f32 v14, vcc, 1.0, v22, 1.0
	v_mul_f32_e32 v19, v14, v13
	v_fma_f32 v23, -v10, v19, v14
	v_fmac_f32_e32 v19, v23, v13
	v_fma_f32 v10, -v10, v19, v14
	v_div_fmas_f32 v10, v10, v13, v19
	v_div_fixup_f32 v13, v10, v22, 1.0
	v_div_scale_f32 v10, s[22:23], v9, v9, 0
	v_rcp_f32_e32 v14, v10
	v_fma_f32 v19, -v10, v14, 1.0
	v_fmac_f32_e32 v14, v19, v14
	v_div_scale_f32 v19, vcc, 0, v9, 0
	v_mul_f32_e32 v22, v19, v14
	v_fma_f32 v23, -v10, v22, v19
	v_fmac_f32_e32 v22, v23, v14
	v_fma_f32 v10, -v10, v22, v19
	v_div_fmas_f32 v10, v10, v14, v22
	v_div_fixup_f32 v14, v10, v9, 0
.LBB296_318:                            ;   in Loop: Header=BB296_161 Depth=1
	s_or_b64 exec, exec, s[8:9]
                                        ; implicit-def: $vgpr10
                                        ; implicit-def: $vgpr19
	s_andn2_saveexec_b64 s[8:9], s[10:11]
	s_cbranch_execnz .LBB296_324
.LBB296_319:                            ;   in Loop: Header=BB296_161 Depth=1
	s_or_b64 exec, exec, s[8:9]
	s_and_saveexec_b64 s[8:9], s[0:1]
	s_xor_b64 s[0:1], exec, s[8:9]
	s_cbranch_execz .LBB296_325
.LBB296_320:                            ;   in Loop: Header=BB296_161 Depth=1
	v_lshlrev_b64 v[1:2], 3, v[1:2]
	v_mov_b32_e32 v9, s15
	v_add_co_u32_e32 v1, vcc, s14, v1
	v_addc_co_u32_e32 v2, vcc, v9, v2, vcc
	global_store_dwordx2 v[1:2], v[11:12], off
	s_or_b64 exec, exec, s[0:1]
	s_and_saveexec_b64 s[0:1], s[2:3]
	s_cbranch_execnz .LBB296_326
.LBB296_321:                            ;   in Loop: Header=BB296_161 Depth=1
	s_or_b64 exec, exec, s[0:1]
	s_and_saveexec_b64 s[0:1], s[4:5]
	s_cbranch_execz .LBB296_327
.LBB296_322:                            ;   in Loop: Header=BB296_161 Depth=1
	v_lshlrev_b64 v[1:2], 3, v[5:6]
	v_mov_b32_e32 v3, s15
	v_add_co_u32_e32 v1, vcc, s14, v1
	v_addc_co_u32_e32 v2, vcc, v3, v2, vcc
	global_store_dwordx2 v[1:2], v[17:18], off
	s_or_b64 exec, exec, s[0:1]
	s_and_saveexec_b64 s[0:1], s[6:7]
	s_cbranch_execz .LBB296_160
	s_branch .LBB296_328
.LBB296_323:                            ;   in Loop: Header=BB296_161 Depth=1
	s_andn2_saveexec_b64 s[8:9], s[10:11]
	s_cbranch_execz .LBB296_319
.LBB296_324:                            ;   in Loop: Header=BB296_161 Depth=1
	v_div_scale_f32 v9, s[10:11], v10, v10, v19
	v_div_scale_f32 v13, vcc, v19, v10, v19
	v_rcp_f32_e32 v14, v9
	v_fma_f32 v22, -v9, v14, 1.0
	v_fmac_f32_e32 v14, v22, v14
	v_mul_f32_e32 v22, v13, v14
	v_fma_f32 v23, -v9, v22, v13
	v_fmac_f32_e32 v22, v23, v14
	v_fma_f32 v9, -v9, v22, v13
	v_div_fmas_f32 v9, v9, v14, v22
	v_div_fixup_f32 v9, v9, v10, v19
	v_fmac_f32_e32 v10, v19, v9
	v_div_scale_f32 v13, s[10:11], v10, v10, 1.0
	v_div_scale_f32 v14, vcc, 1.0, v10, 1.0
	v_rcp_f32_e32 v19, v13
	v_fma_f32 v22, -v13, v19, 1.0
	v_fmac_f32_e32 v19, v22, v19
	v_mul_f32_e32 v22, v14, v19
	v_fma_f32 v23, -v13, v22, v14
	v_fmac_f32_e32 v22, v23, v19
	v_fma_f32 v13, -v13, v22, v14
	v_div_fmas_f32 v13, v13, v19, v22
	v_add_f32_e32 v14, 0, v9
	v_fma_f32 v9, v9, 0, -1.0
	v_div_fixup_f32 v10, v13, v10, 1.0
	v_mul_f32_e32 v13, v14, v10
	v_mul_f32_e32 v14, v9, v10
	s_or_b64 exec, exec, s[8:9]
	s_and_saveexec_b64 s[8:9], s[0:1]
	s_xor_b64 s[0:1], exec, s[8:9]
	s_cbranch_execnz .LBB296_320
.LBB296_325:                            ;   in Loop: Header=BB296_161 Depth=1
	s_or_b64 exec, exec, s[0:1]
	s_and_saveexec_b64 s[0:1], s[2:3]
	s_cbranch_execz .LBB296_321
.LBB296_326:                            ;   in Loop: Header=BB296_161 Depth=1
	v_lshlrev_b64 v[1:2], 3, v[3:4]
	v_mov_b32_e32 v3, s15
	v_add_co_u32_e32 v1, vcc, s14, v1
	v_addc_co_u32_e32 v2, vcc, v3, v2, vcc
	global_store_dwordx2 v[1:2], v[15:16], off
	s_or_b64 exec, exec, s[0:1]
	s_and_saveexec_b64 s[0:1], s[4:5]
	s_cbranch_execnz .LBB296_322
.LBB296_327:                            ;   in Loop: Header=BB296_161 Depth=1
	s_or_b64 exec, exec, s[0:1]
	s_and_saveexec_b64 s[0:1], s[6:7]
	s_cbranch_execz .LBB296_160
.LBB296_328:                            ;   in Loop: Header=BB296_161 Depth=1
	v_lshlrev_b64 v[1:2], 3, v[7:8]
	v_mov_b32_e32 v3, s15
	v_add_co_u32_e32 v1, vcc, s14, v1
	v_addc_co_u32_e32 v2, vcc, v3, v2, vcc
	global_store_dwordx2 v[1:2], v[13:14], off
	s_branch .LBB296_160
.LBB296_329:
	s_endpgm
	.section	.rodata,"a",@progbits
	.p2align	6, 0x0
	.amdhsa_kernel _ZN2at6native12_GLOBAL__N_125multi_tensor_apply_kernelINS1_18TensorListMetadataILi2EEENS1_14UnaryOpFunctorIN3c107complexIfEELi2ELi1ELi1EEEJNS0_5RsqrtIS8_EEEEEvT_T0_DpT1_
		.amdhsa_group_segment_fixed_size 0
		.amdhsa_private_segment_fixed_size 0
		.amdhsa_kernarg_size 3408
		.amdhsa_user_sgpr_count 6
		.amdhsa_user_sgpr_private_segment_buffer 1
		.amdhsa_user_sgpr_dispatch_ptr 0
		.amdhsa_user_sgpr_queue_ptr 0
		.amdhsa_user_sgpr_kernarg_segment_ptr 1
		.amdhsa_user_sgpr_dispatch_id 0
		.amdhsa_user_sgpr_flat_scratch_init 0
		.amdhsa_user_sgpr_private_segment_size 0
		.amdhsa_uses_dynamic_stack 0
		.amdhsa_system_sgpr_private_segment_wavefront_offset 0
		.amdhsa_system_sgpr_workgroup_id_x 1
		.amdhsa_system_sgpr_workgroup_id_y 0
		.amdhsa_system_sgpr_workgroup_id_z 0
		.amdhsa_system_sgpr_workgroup_info 0
		.amdhsa_system_vgpr_workitem_id 0
		.amdhsa_next_free_vgpr 25
		.amdhsa_next_free_sgpr 46
		.amdhsa_reserve_vcc 1
		.amdhsa_reserve_flat_scratch 0
		.amdhsa_float_round_mode_32 0
		.amdhsa_float_round_mode_16_64 0
		.amdhsa_float_denorm_mode_32 3
		.amdhsa_float_denorm_mode_16_64 3
		.amdhsa_dx10_clamp 1
		.amdhsa_ieee_mode 1
		.amdhsa_fp16_overflow 0
		.amdhsa_exception_fp_ieee_invalid_op 0
		.amdhsa_exception_fp_denorm_src 0
		.amdhsa_exception_fp_ieee_div_zero 0
		.amdhsa_exception_fp_ieee_overflow 0
		.amdhsa_exception_fp_ieee_underflow 0
		.amdhsa_exception_fp_ieee_inexact 0
		.amdhsa_exception_int_div_zero 0
	.end_amdhsa_kernel
	.section	.text._ZN2at6native12_GLOBAL__N_125multi_tensor_apply_kernelINS1_18TensorListMetadataILi2EEENS1_14UnaryOpFunctorIN3c107complexIfEELi2ELi1ELi1EEEJNS0_5RsqrtIS8_EEEEEvT_T0_DpT1_,"axG",@progbits,_ZN2at6native12_GLOBAL__N_125multi_tensor_apply_kernelINS1_18TensorListMetadataILi2EEENS1_14UnaryOpFunctorIN3c107complexIfEELi2ELi1ELi1EEEJNS0_5RsqrtIS8_EEEEEvT_T0_DpT1_,comdat
.Lfunc_end296:
	.size	_ZN2at6native12_GLOBAL__N_125multi_tensor_apply_kernelINS1_18TensorListMetadataILi2EEENS1_14UnaryOpFunctorIN3c107complexIfEELi2ELi1ELi1EEEJNS0_5RsqrtIS8_EEEEEvT_T0_DpT1_, .Lfunc_end296-_ZN2at6native12_GLOBAL__N_125multi_tensor_apply_kernelINS1_18TensorListMetadataILi2EEENS1_14UnaryOpFunctorIN3c107complexIfEELi2ELi1ELi1EEEJNS0_5RsqrtIS8_EEEEEvT_T0_DpT1_
                                        ; -- End function
	.set _ZN2at6native12_GLOBAL__N_125multi_tensor_apply_kernelINS1_18TensorListMetadataILi2EEENS1_14UnaryOpFunctorIN3c107complexIfEELi2ELi1ELi1EEEJNS0_5RsqrtIS8_EEEEEvT_T0_DpT1_.num_vgpr, 25
	.set _ZN2at6native12_GLOBAL__N_125multi_tensor_apply_kernelINS1_18TensorListMetadataILi2EEENS1_14UnaryOpFunctorIN3c107complexIfEELi2ELi1ELi1EEEJNS0_5RsqrtIS8_EEEEEvT_T0_DpT1_.num_agpr, 0
	.set _ZN2at6native12_GLOBAL__N_125multi_tensor_apply_kernelINS1_18TensorListMetadataILi2EEENS1_14UnaryOpFunctorIN3c107complexIfEELi2ELi1ELi1EEEJNS0_5RsqrtIS8_EEEEEvT_T0_DpT1_.numbered_sgpr, 46
	.set _ZN2at6native12_GLOBAL__N_125multi_tensor_apply_kernelINS1_18TensorListMetadataILi2EEENS1_14UnaryOpFunctorIN3c107complexIfEELi2ELi1ELi1EEEJNS0_5RsqrtIS8_EEEEEvT_T0_DpT1_.num_named_barrier, 0
	.set _ZN2at6native12_GLOBAL__N_125multi_tensor_apply_kernelINS1_18TensorListMetadataILi2EEENS1_14UnaryOpFunctorIN3c107complexIfEELi2ELi1ELi1EEEJNS0_5RsqrtIS8_EEEEEvT_T0_DpT1_.private_seg_size, 0
	.set _ZN2at6native12_GLOBAL__N_125multi_tensor_apply_kernelINS1_18TensorListMetadataILi2EEENS1_14UnaryOpFunctorIN3c107complexIfEELi2ELi1ELi1EEEJNS0_5RsqrtIS8_EEEEEvT_T0_DpT1_.uses_vcc, 1
	.set _ZN2at6native12_GLOBAL__N_125multi_tensor_apply_kernelINS1_18TensorListMetadataILi2EEENS1_14UnaryOpFunctorIN3c107complexIfEELi2ELi1ELi1EEEJNS0_5RsqrtIS8_EEEEEvT_T0_DpT1_.uses_flat_scratch, 0
	.set _ZN2at6native12_GLOBAL__N_125multi_tensor_apply_kernelINS1_18TensorListMetadataILi2EEENS1_14UnaryOpFunctorIN3c107complexIfEELi2ELi1ELi1EEEJNS0_5RsqrtIS8_EEEEEvT_T0_DpT1_.has_dyn_sized_stack, 0
	.set _ZN2at6native12_GLOBAL__N_125multi_tensor_apply_kernelINS1_18TensorListMetadataILi2EEENS1_14UnaryOpFunctorIN3c107complexIfEELi2ELi1ELi1EEEJNS0_5RsqrtIS8_EEEEEvT_T0_DpT1_.has_recursion, 0
	.set _ZN2at6native12_GLOBAL__N_125multi_tensor_apply_kernelINS1_18TensorListMetadataILi2EEENS1_14UnaryOpFunctorIN3c107complexIfEELi2ELi1ELi1EEEJNS0_5RsqrtIS8_EEEEEvT_T0_DpT1_.has_indirect_call, 0
	.section	.AMDGPU.csdata,"",@progbits
; Kernel info:
; codeLenInByte = 13160
; TotalNumSgprs: 50
; NumVgprs: 25
; ScratchSize: 0
; MemoryBound: 0
; FloatMode: 240
; IeeeMode: 1
; LDSByteSize: 0 bytes/workgroup (compile time only)
; SGPRBlocks: 6
; VGPRBlocks: 6
; NumSGPRsForWavesPerEU: 50
; NumVGPRsForWavesPerEU: 25
; Occupancy: 9
; WaveLimiterHint : 0
; COMPUTE_PGM_RSRC2:SCRATCH_EN: 0
; COMPUTE_PGM_RSRC2:USER_SGPR: 6
; COMPUTE_PGM_RSRC2:TRAP_HANDLER: 0
; COMPUTE_PGM_RSRC2:TGID_X_EN: 1
; COMPUTE_PGM_RSRC2:TGID_Y_EN: 0
; COMPUTE_PGM_RSRC2:TGID_Z_EN: 0
; COMPUTE_PGM_RSRC2:TIDIG_COMP_CNT: 0
	.section	.text._ZN2at6native12_GLOBAL__N_125multi_tensor_apply_kernelINS1_18TensorListMetadataILi2EEENS1_14UnaryOpFunctorIN3c104HalfELi2ELi1ELi1EEEJNS0_5RsqrtIfEEEEEvT_T0_DpT1_,"axG",@progbits,_ZN2at6native12_GLOBAL__N_125multi_tensor_apply_kernelINS1_18TensorListMetadataILi2EEENS1_14UnaryOpFunctorIN3c104HalfELi2ELi1ELi1EEEJNS0_5RsqrtIfEEEEEvT_T0_DpT1_,comdat
	.globl	_ZN2at6native12_GLOBAL__N_125multi_tensor_apply_kernelINS1_18TensorListMetadataILi2EEENS1_14UnaryOpFunctorIN3c104HalfELi2ELi1ELi1EEEJNS0_5RsqrtIfEEEEEvT_T0_DpT1_ ; -- Begin function _ZN2at6native12_GLOBAL__N_125multi_tensor_apply_kernelINS1_18TensorListMetadataILi2EEENS1_14UnaryOpFunctorIN3c104HalfELi2ELi1ELi1EEEJNS0_5RsqrtIfEEEEEvT_T0_DpT1_
	.p2align	8
	.type	_ZN2at6native12_GLOBAL__N_125multi_tensor_apply_kernelINS1_18TensorListMetadataILi2EEENS1_14UnaryOpFunctorIN3c104HalfELi2ELi1ELi1EEEJNS0_5RsqrtIfEEEEEvT_T0_DpT1_,@function
_ZN2at6native12_GLOBAL__N_125multi_tensor_apply_kernelINS1_18TensorListMetadataILi2EEENS1_14UnaryOpFunctorIN3c104HalfELi2ELi1ELi1EEEJNS0_5RsqrtIfEEEEEvT_T0_DpT1_: ; @_ZN2at6native12_GLOBAL__N_125multi_tensor_apply_kernelINS1_18TensorListMetadataILi2EEENS1_14UnaryOpFunctorIN3c104HalfELi2ELi1ELi1EEEJNS0_5RsqrtIfEEEEEvT_T0_DpT1_
; %bb.0:
	v_mov_b32_e32 v1, s6
	global_load_ubyte v1, v1, s[4:5] offset:1536
	s_add_u32 s0, s4, s6
	s_mul_hi_u32 s2, s6, 3
	s_mul_i32 s6, s6, 3
	s_addc_u32 s7, s5, 0
	s_add_u32 s6, s0, s6
	s_addc_u32 s7, s7, s2
	s_load_dword s6, s[6:7], 0x740
	s_mov_b32 s1, 0
	s_mov_b32 s3, s1
	s_waitcnt lgkmcnt(0)
	s_ashr_i32 s7, s6, 31
	s_lshl_b64 s[8:9], s[6:7], 17
	s_lshl_b64 s[6:7], s[6:7], 16
	s_waitcnt vmcnt(0)
	v_readfirstlane_b32 s0, v1
	s_lshl_b32 s0, s0, 3
	s_load_dwordx2 s[10:11], s[4:5], s0 offset:0x400
	s_load_dwordx2 s[16:17], s[4:5], s0 offset:0x0
	;; [unrolled: 1-line block ×3, first 2 shown]
	s_waitcnt lgkmcnt(0)
	s_add_u32 s0, s16, s8
	s_and_b32 s2, s14, 7
	s_and_b32 s0, s0, 7
	s_sub_u32 s12, s10, s6
	s_subb_u32 s13, s11, s7
	s_and_b32 s6, s10, 3
	s_mov_b32 s7, s1
	s_or_b64 s[2:3], s[2:3], s[6:7]
	s_or_b64 s[0:1], s[2:3], s[0:1]
	s_cmp_eq_u64 s[0:1], 0
	s_mov_b64 s[0:1], -1
	s_cbranch_scc0 .LBB297_5
; %bb.1:
	v_mov_b32_e32 v1, 0x10000
	v_mov_b32_e32 v2, 0
	v_cmp_lt_i64_e32 vcc, s[12:13], v[1:2]
	v_mov_b32_e32 v2, 0
	s_and_b64 s[0:1], vcc, exec
	s_cselect_b32 s11, s13, 0
	s_cselect_b32 s10, s12, 0x10000
	v_lshlrev_b32_e32 v1, 2, v0
	v_cmp_gt_i64_e32 vcc, s[10:11], v[1:2]
	s_and_saveexec_b64 s[18:19], vcc
	s_cbranch_execz .LBB297_4
; %bb.2:
	s_load_dword s0, s[4:5], 0xc5c
	v_mov_b32_e32 v1, v2
	v_lshlrev_b32_e32 v2, 3, v0
	v_mov_b32_e32 v4, s9
	v_add_co_u32_e32 v3, vcc, s8, v2
	s_waitcnt lgkmcnt(0)
	s_and_b32 s22, s0, 0xffff
	v_mov_b32_e32 v2, v1
	v_addc_co_u32_e32 v4, vcc, 0, v4, vcc
	s_lshl_b32 s23, s22, 3
	s_mov_b64 s[20:21], 0
	v_mov_b32_e32 v5, s17
	s_mov_b32 s24, 0x800000
	v_mov_b32_e32 v6, s15
	v_mov_b32_e32 v1, v0
.LBB297_3:                              ; =>This Inner Loop Header: Depth=1
	v_add_co_u32_e32 v7, vcc, s16, v3
	v_addc_co_u32_e32 v8, vcc, v5, v4, vcc
	global_load_dwordx2 v[7:8], v[7:8], off
	v_add_co_u32_e32 v9, vcc, s14, v3
	v_addc_co_u32_e32 v10, vcc, v6, v4, vcc
	v_add_co_u32_e32 v1, vcc, s22, v1
	v_addc_co_u32_e32 v2, vcc, 0, v2, vcc
	v_add_co_u32_e32 v3, vcc, s23, v3
	v_addc_co_u32_e32 v4, vcc, 0, v4, vcc
	v_lshlrev_b64 v[11:12], 2, v[1:2]
	s_waitcnt vmcnt(0)
	v_cvt_f32_f16_e32 v13, v7
	v_cvt_f32_f16_sdwa v7, v7 dst_sel:DWORD dst_unused:UNUSED_PAD src0_sel:WORD_1
	v_cvt_f32_f16_e32 v14, v8
	v_cvt_f32_f16_sdwa v8, v8 dst_sel:DWORD dst_unused:UNUSED_PAD src0_sel:WORD_1
	v_mul_f32_e32 v15, 0x4b800000, v13
	v_mul_f32_e32 v16, 0x4b800000, v7
	v_cmp_gt_f32_e32 vcc, s24, v7
	v_mul_f32_e32 v17, 0x4b800000, v14
	v_cmp_gt_f32_e64 s[0:1], s24, v14
	v_mul_f32_e32 v18, 0x4b800000, v8
	v_cmp_gt_f32_e64 s[2:3], s24, v8
	v_cmp_gt_f32_e64 s[6:7], s24, v13
	v_cndmask_b32_e64 v13, v13, v15, s[6:7]
	v_cndmask_b32_e32 v7, v7, v16, vcc
	v_cndmask_b32_e64 v14, v14, v17, s[0:1]
	v_cndmask_b32_e64 v8, v8, v18, s[2:3]
	v_rsq_f32_e32 v13, v13
	v_rsq_f32_e32 v7, v7
	;; [unrolled: 1-line block ×4, first 2 shown]
	v_mul_f32_e32 v15, 0x45800000, v13
	v_mul_f32_e32 v16, 0x45800000, v7
	;; [unrolled: 1-line block ×4, first 2 shown]
	v_cndmask_b32_e64 v13, v13, v15, s[6:7]
	v_cndmask_b32_e32 v7, v7, v16, vcc
	v_cndmask_b32_e64 v14, v14, v17, s[0:1]
	v_cndmask_b32_e64 v8, v8, v18, s[2:3]
	v_cvt_f16_f32_e32 v13, v13
	v_cvt_f16_f32_e32 v7, v7
	v_cvt_f16_f32_e32 v14, v14
	v_cvt_f16_f32_e32 v8, v8
	v_cmp_le_i64_e32 vcc, s[10:11], v[11:12]
	v_pack_b32_f16 v7, v13, v7
	s_or_b64 s[20:21], vcc, s[20:21]
	v_pack_b32_f16 v8, v14, v8
	global_store_dwordx2 v[9:10], v[7:8], off
	s_andn2_b64 exec, exec, s[20:21]
	s_cbranch_execnz .LBB297_3
.LBB297_4:
	s_or_b64 exec, exec, s[18:19]
	s_mov_b64 s[0:1], 0
.LBB297_5:
	s_andn2_b64 vcc, exec, s[0:1]
	s_cbranch_vccnz .LBB297_25
; %bb.6:
	v_cmp_lt_i64_e64 s[0:1], s[12:13], 1
	s_and_b64 vcc, exec, s[0:1]
	s_cbranch_vccnz .LBB297_25
; %bb.7:
	v_mov_b32_e32 v1, 0x10000
	s_load_dword s2, s[4:5], 0xc5c
	v_mov_b32_e32 v2, 0
	v_cmp_lt_i64_e32 vcc, s[12:13], v[1:2]
	v_mov_b32_e32 v10, 0
	s_and_b64 s[0:1], vcc, exec
	v_cmp_lt_u64_e32 vcc, s[12:13], v[1:2]
	s_cselect_b32 s11, s13, 0
	s_cselect_b32 s10, s12, 0x10000
	s_waitcnt lgkmcnt(0)
	s_and_b32 s2, s2, 0xffff
	v_lshlrev_b32_e32 v9, 1, v0
	s_and_b64 s[0:1], vcc, exec
	v_mov_b32_e32 v2, s17
	v_add_co_u32_e32 v1, vcc, s16, v9
	v_mad_u64_u32 v[7:8], s[0:1], s2, 6, v[9:10]
	v_addc_co_u32_e32 v2, vcc, 0, v2, vcc
	v_mov_b32_e32 v4, s15
	v_add_co_u32_e32 v3, vcc, s14, v9
	v_addc_co_u32_e32 v4, vcc, 0, v4, vcc
	v_mov_b32_e32 v6, s17
	v_add_co_u32_e32 v5, vcc, s16, v7
	;; [unrolled: 3-line block ×3, first 2 shown]
	s_cselect_b32 s13, s13, 0
	s_cselect_b32 s12, s12, 0x10000
	s_lshl_b32 s18, s2, 2
	v_addc_co_u32_e32 v8, vcc, v10, v8, vcc
	v_add_co_u32_e32 v11, vcc, s18, v9
	v_addc_co_u32_e64 v12, s[0:1], 0, 0, vcc
	v_mov_b32_e32 v10, s17
	v_add_co_u32_e32 v9, vcc, s16, v11
	v_addc_co_u32_e32 v10, vcc, v10, v12, vcc
	v_mov_b32_e32 v13, s15
	v_add_co_u32_e32 v11, vcc, s14, v11
	v_addc_co_u32_e32 v12, vcc, v13, v12, vcc
	v_add_co_u32_e32 v13, vcc, s2, v0
	v_lshlrev_b32_e32 v17, 1, v13
	v_addc_co_u32_e64 v14, s[0:1], 0, 0, vcc
	v_mov_b32_e32 v16, s17
	v_add_co_u32_e32 v15, vcc, s16, v17
	v_addc_co_u32_e32 v16, vcc, 0, v16, vcc
	v_mov_b32_e32 v18, s15
	v_add_co_u32_e32 v17, vcc, s14, v17
	s_mul_i32 s4, s2, 3
	v_addc_co_u32_e32 v18, vcc, 0, v18, vcc
	s_lshl_b32 s3, s2, 1
	v_add_co_u32_e32 v19, vcc, s4, v0
	v_addc_co_u32_e64 v20, s[0:1], 0, 0, vcc
	v_add_co_u32_e32 v21, vcc, s3, v0
	s_lshl_b32 s19, s2, 3
	s_mov_b64 s[14:15], 0
	s_mov_b32 s20, 0x800000
	v_addc_co_u32_e64 v22, s[0:1], 0, 0, vcc
	s_branch .LBB297_9
.LBB297_8:                              ;   in Loop: Header=BB297_9 Depth=1
	s_or_b64 exec, exec, s[0:1]
	v_add_co_u32_e32 v1, vcc, s19, v1
	v_addc_co_u32_e32 v2, vcc, 0, v2, vcc
	v_add_co_u32_e32 v3, vcc, s19, v3
	v_addc_co_u32_e32 v4, vcc, 0, v4, vcc
	v_add_co_u32_e32 v5, vcc, s19, v5
	v_addc_co_u32_e32 v6, vcc, 0, v6, vcc
	v_add_co_u32_e32 v7, vcc, s19, v7
	v_addc_co_u32_e32 v8, vcc, 0, v8, vcc
	v_add_co_u32_e32 v9, vcc, s19, v9
	v_addc_co_u32_e32 v10, vcc, 0, v10, vcc
	v_add_co_u32_e32 v11, vcc, s19, v11
	v_addc_co_u32_e32 v12, vcc, 0, v12, vcc
	s_add_u32 s14, s14, s18
	v_add_co_u32_e32 v15, vcc, s19, v15
	v_mov_b32_e32 v24, s11
	s_addc_u32 s15, s15, 0
	v_addc_co_u32_e32 v16, vcc, 0, v16, vcc
	v_mov_b32_e32 v23, s10
	v_cmp_ge_i64_e32 vcc, s[14:15], v[23:24]
	v_add_co_u32_e64 v17, s[0:1], s19, v17
	v_addc_co_u32_e64 v18, s[0:1], 0, v18, s[0:1]
	s_cbranch_vccnz .LBB297_25
.LBB297_9:                              ; =>This Inner Loop Header: Depth=1
	v_mov_b32_e32 v24, s15
	v_add_co_u32_e32 v23, vcc, s14, v0
	v_addc_co_u32_e32 v24, vcc, 0, v24, vcc
	v_cmp_gt_u64_e32 vcc, s[12:13], v[23:24]
	v_mov_b32_e32 v24, 0
	s_and_saveexec_b64 s[2:3], vcc
	s_cbranch_execz .LBB297_11
; %bb.10:                               ;   in Loop: Header=BB297_9 Depth=1
	v_mov_b32_e32 v24, s9
	v_add_co_u32_e64 v23, s[0:1], s8, v1
	v_addc_co_u32_e64 v24, s[0:1], v2, v24, s[0:1]
	global_load_ushort v23, v[23:24], off
	s_waitcnt vmcnt(0)
	v_cvt_f32_f16_e32 v24, v23
.LBB297_11:                             ;   in Loop: Header=BB297_9 Depth=1
	s_or_b64 exec, exec, s[2:3]
	v_mov_b32_e32 v23, s15
	v_add_co_u32_e64 v25, s[0:1], s14, v13
	v_addc_co_u32_e64 v26, s[0:1], v14, v23, s[0:1]
	v_cmp_gt_u64_e64 s[0:1], s[12:13], v[25:26]
	v_mov_b32_e32 v23, 0
	v_mov_b32_e32 v25, 0
	s_and_saveexec_b64 s[4:5], s[0:1]
	s_cbranch_execz .LBB297_13
; %bb.12:                               ;   in Loop: Header=BB297_9 Depth=1
	v_mov_b32_e32 v26, s9
	v_add_co_u32_e64 v25, s[2:3], s8, v15
	v_addc_co_u32_e64 v26, s[2:3], v16, v26, s[2:3]
	global_load_ushort v25, v[25:26], off
	s_waitcnt vmcnt(0)
	v_cvt_f32_f16_e32 v25, v25
.LBB297_13:                             ;   in Loop: Header=BB297_9 Depth=1
	s_or_b64 exec, exec, s[4:5]
	v_mov_b32_e32 v27, s15
	v_add_co_u32_e64 v26, s[2:3], s14, v21
	v_addc_co_u32_e64 v27, s[2:3], v22, v27, s[2:3]
	v_cmp_gt_u64_e64 s[2:3], s[12:13], v[26:27]
	s_and_saveexec_b64 s[6:7], s[2:3]
	s_cbranch_execz .LBB297_15
; %bb.14:                               ;   in Loop: Header=BB297_9 Depth=1
	v_mov_b32_e32 v23, s9
	v_add_co_u32_e64 v26, s[4:5], s8, v9
	v_addc_co_u32_e64 v27, s[4:5], v10, v23, s[4:5]
	global_load_ushort v23, v[26:27], off
	s_waitcnt vmcnt(0)
	v_cvt_f32_f16_e32 v23, v23
.LBB297_15:                             ;   in Loop: Header=BB297_9 Depth=1
	s_or_b64 exec, exec, s[6:7]
	v_mov_b32_e32 v27, s15
	v_add_co_u32_e64 v26, s[4:5], s14, v19
	v_addc_co_u32_e64 v27, s[4:5], v20, v27, s[4:5]
	v_cmp_gt_u64_e64 s[4:5], s[12:13], v[26:27]
	v_mov_b32_e32 v26, 0
	s_and_saveexec_b64 s[16:17], s[4:5]
	s_cbranch_execnz .LBB297_20
; %bb.16:                               ;   in Loop: Header=BB297_9 Depth=1
	s_or_b64 exec, exec, s[16:17]
	s_and_saveexec_b64 s[6:7], vcc
	s_cbranch_execnz .LBB297_21
.LBB297_17:                             ;   in Loop: Header=BB297_9 Depth=1
	s_or_b64 exec, exec, s[6:7]
	s_and_saveexec_b64 s[6:7], s[0:1]
	s_cbranch_execnz .LBB297_22
.LBB297_18:                             ;   in Loop: Header=BB297_9 Depth=1
	s_or_b64 exec, exec, s[6:7]
	s_and_saveexec_b64 s[0:1], s[2:3]
	s_cbranch_execnz .LBB297_23
.LBB297_19:                             ;   in Loop: Header=BB297_9 Depth=1
	s_or_b64 exec, exec, s[0:1]
	s_and_saveexec_b64 s[0:1], s[4:5]
	s_cbranch_execz .LBB297_8
	s_branch .LBB297_24
.LBB297_20:                             ;   in Loop: Header=BB297_9 Depth=1
	v_mov_b32_e32 v27, s9
	v_add_co_u32_e64 v26, s[6:7], s8, v5
	v_addc_co_u32_e64 v27, s[6:7], v6, v27, s[6:7]
	global_load_ushort v26, v[26:27], off
	s_waitcnt vmcnt(0)
	v_cvt_f32_f16_e32 v26, v26
	s_or_b64 exec, exec, s[16:17]
	s_and_saveexec_b64 s[6:7], vcc
	s_cbranch_execz .LBB297_17
.LBB297_21:                             ;   in Loop: Header=BB297_9 Depth=1
	v_mul_f32_e32 v27, 0x4b800000, v24
	v_cmp_gt_f32_e32 vcc, s20, v24
	v_cndmask_b32_e32 v24, v24, v27, vcc
	v_rsq_f32_e32 v24, v24
	v_mov_b32_e32 v28, s9
	v_mul_f32_e32 v27, 0x45800000, v24
	v_cndmask_b32_e32 v24, v24, v27, vcc
	v_cvt_f16_f32_e32 v24, v24
	v_add_co_u32_e32 v27, vcc, s8, v3
	v_addc_co_u32_e32 v28, vcc, v4, v28, vcc
	global_store_short v[27:28], v24, off
	s_or_b64 exec, exec, s[6:7]
	s_and_saveexec_b64 s[6:7], s[0:1]
	s_cbranch_execz .LBB297_18
.LBB297_22:                             ;   in Loop: Header=BB297_9 Depth=1
	v_mul_f32_e32 v24, 0x4b800000, v25
	v_cmp_gt_f32_e32 vcc, s20, v25
	v_cndmask_b32_e32 v24, v25, v24, vcc
	v_rsq_f32_e32 v24, v24
	v_mov_b32_e32 v25, s9
	v_mul_f32_e32 v27, 0x45800000, v24
	v_cndmask_b32_e32 v24, v24, v27, vcc
	v_cvt_f16_f32_e32 v27, v24
	v_add_co_u32_e32 v24, vcc, s8, v17
	v_addc_co_u32_e32 v25, vcc, v18, v25, vcc
	global_store_short v[24:25], v27, off
	s_or_b64 exec, exec, s[6:7]
	s_and_saveexec_b64 s[0:1], s[2:3]
	s_cbranch_execz .LBB297_19
.LBB297_23:                             ;   in Loop: Header=BB297_9 Depth=1
	v_mul_f32_e32 v24, 0x4b800000, v23
	v_cmp_gt_f32_e32 vcc, s20, v23
	v_cndmask_b32_e32 v23, v23, v24, vcc
	v_rsq_f32_e32 v23, v23
	v_mov_b32_e32 v24, s9
	v_mul_f32_e32 v25, 0x45800000, v23
	v_cndmask_b32_e32 v23, v23, v25, vcc
	v_cvt_f16_f32_e32 v25, v23
	v_add_co_u32_e32 v23, vcc, s8, v11
	v_addc_co_u32_e32 v24, vcc, v12, v24, vcc
	global_store_short v[23:24], v25, off
	s_or_b64 exec, exec, s[0:1]
	s_and_saveexec_b64 s[0:1], s[4:5]
	s_cbranch_execz .LBB297_8
.LBB297_24:                             ;   in Loop: Header=BB297_9 Depth=1
	v_mul_f32_e32 v23, 0x4b800000, v26
	v_cmp_gt_f32_e32 vcc, s20, v26
	v_cndmask_b32_e32 v23, v26, v23, vcc
	v_rsq_f32_e32 v23, v23
	v_mov_b32_e32 v24, s9
	v_mul_f32_e32 v25, 0x45800000, v23
	v_cndmask_b32_e32 v23, v23, v25, vcc
	v_cvt_f16_f32_e32 v25, v23
	v_add_co_u32_e32 v23, vcc, s8, v7
	v_addc_co_u32_e32 v24, vcc, v8, v24, vcc
	global_store_short v[23:24], v25, off
	s_branch .LBB297_8
.LBB297_25:
	s_endpgm
	.section	.rodata,"a",@progbits
	.p2align	6, 0x0
	.amdhsa_kernel _ZN2at6native12_GLOBAL__N_125multi_tensor_apply_kernelINS1_18TensorListMetadataILi2EEENS1_14UnaryOpFunctorIN3c104HalfELi2ELi1ELi1EEEJNS0_5RsqrtIfEEEEEvT_T0_DpT1_
		.amdhsa_group_segment_fixed_size 0
		.amdhsa_private_segment_fixed_size 0
		.amdhsa_kernarg_size 3408
		.amdhsa_user_sgpr_count 6
		.amdhsa_user_sgpr_private_segment_buffer 1
		.amdhsa_user_sgpr_dispatch_ptr 0
		.amdhsa_user_sgpr_queue_ptr 0
		.amdhsa_user_sgpr_kernarg_segment_ptr 1
		.amdhsa_user_sgpr_dispatch_id 0
		.amdhsa_user_sgpr_flat_scratch_init 0
		.amdhsa_user_sgpr_private_segment_size 0
		.amdhsa_uses_dynamic_stack 0
		.amdhsa_system_sgpr_private_segment_wavefront_offset 0
		.amdhsa_system_sgpr_workgroup_id_x 1
		.amdhsa_system_sgpr_workgroup_id_y 0
		.amdhsa_system_sgpr_workgroup_id_z 0
		.amdhsa_system_sgpr_workgroup_info 0
		.amdhsa_system_vgpr_workitem_id 0
		.amdhsa_next_free_vgpr 29
		.amdhsa_next_free_sgpr 25
		.amdhsa_reserve_vcc 1
		.amdhsa_reserve_flat_scratch 0
		.amdhsa_float_round_mode_32 0
		.amdhsa_float_round_mode_16_64 0
		.amdhsa_float_denorm_mode_32 3
		.amdhsa_float_denorm_mode_16_64 3
		.amdhsa_dx10_clamp 1
		.amdhsa_ieee_mode 1
		.amdhsa_fp16_overflow 0
		.amdhsa_exception_fp_ieee_invalid_op 0
		.amdhsa_exception_fp_denorm_src 0
		.amdhsa_exception_fp_ieee_div_zero 0
		.amdhsa_exception_fp_ieee_overflow 0
		.amdhsa_exception_fp_ieee_underflow 0
		.amdhsa_exception_fp_ieee_inexact 0
		.amdhsa_exception_int_div_zero 0
	.end_amdhsa_kernel
	.section	.text._ZN2at6native12_GLOBAL__N_125multi_tensor_apply_kernelINS1_18TensorListMetadataILi2EEENS1_14UnaryOpFunctorIN3c104HalfELi2ELi1ELi1EEEJNS0_5RsqrtIfEEEEEvT_T0_DpT1_,"axG",@progbits,_ZN2at6native12_GLOBAL__N_125multi_tensor_apply_kernelINS1_18TensorListMetadataILi2EEENS1_14UnaryOpFunctorIN3c104HalfELi2ELi1ELi1EEEJNS0_5RsqrtIfEEEEEvT_T0_DpT1_,comdat
.Lfunc_end297:
	.size	_ZN2at6native12_GLOBAL__N_125multi_tensor_apply_kernelINS1_18TensorListMetadataILi2EEENS1_14UnaryOpFunctorIN3c104HalfELi2ELi1ELi1EEEJNS0_5RsqrtIfEEEEEvT_T0_DpT1_, .Lfunc_end297-_ZN2at6native12_GLOBAL__N_125multi_tensor_apply_kernelINS1_18TensorListMetadataILi2EEENS1_14UnaryOpFunctorIN3c104HalfELi2ELi1ELi1EEEJNS0_5RsqrtIfEEEEEvT_T0_DpT1_
                                        ; -- End function
	.set _ZN2at6native12_GLOBAL__N_125multi_tensor_apply_kernelINS1_18TensorListMetadataILi2EEENS1_14UnaryOpFunctorIN3c104HalfELi2ELi1ELi1EEEJNS0_5RsqrtIfEEEEEvT_T0_DpT1_.num_vgpr, 29
	.set _ZN2at6native12_GLOBAL__N_125multi_tensor_apply_kernelINS1_18TensorListMetadataILi2EEENS1_14UnaryOpFunctorIN3c104HalfELi2ELi1ELi1EEEJNS0_5RsqrtIfEEEEEvT_T0_DpT1_.num_agpr, 0
	.set _ZN2at6native12_GLOBAL__N_125multi_tensor_apply_kernelINS1_18TensorListMetadataILi2EEENS1_14UnaryOpFunctorIN3c104HalfELi2ELi1ELi1EEEJNS0_5RsqrtIfEEEEEvT_T0_DpT1_.numbered_sgpr, 25
	.set _ZN2at6native12_GLOBAL__N_125multi_tensor_apply_kernelINS1_18TensorListMetadataILi2EEENS1_14UnaryOpFunctorIN3c104HalfELi2ELi1ELi1EEEJNS0_5RsqrtIfEEEEEvT_T0_DpT1_.num_named_barrier, 0
	.set _ZN2at6native12_GLOBAL__N_125multi_tensor_apply_kernelINS1_18TensorListMetadataILi2EEENS1_14UnaryOpFunctorIN3c104HalfELi2ELi1ELi1EEEJNS0_5RsqrtIfEEEEEvT_T0_DpT1_.private_seg_size, 0
	.set _ZN2at6native12_GLOBAL__N_125multi_tensor_apply_kernelINS1_18TensorListMetadataILi2EEENS1_14UnaryOpFunctorIN3c104HalfELi2ELi1ELi1EEEJNS0_5RsqrtIfEEEEEvT_T0_DpT1_.uses_vcc, 1
	.set _ZN2at6native12_GLOBAL__N_125multi_tensor_apply_kernelINS1_18TensorListMetadataILi2EEENS1_14UnaryOpFunctorIN3c104HalfELi2ELi1ELi1EEEJNS0_5RsqrtIfEEEEEvT_T0_DpT1_.uses_flat_scratch, 0
	.set _ZN2at6native12_GLOBAL__N_125multi_tensor_apply_kernelINS1_18TensorListMetadataILi2EEENS1_14UnaryOpFunctorIN3c104HalfELi2ELi1ELi1EEEJNS0_5RsqrtIfEEEEEvT_T0_DpT1_.has_dyn_sized_stack, 0
	.set _ZN2at6native12_GLOBAL__N_125multi_tensor_apply_kernelINS1_18TensorListMetadataILi2EEENS1_14UnaryOpFunctorIN3c104HalfELi2ELi1ELi1EEEJNS0_5RsqrtIfEEEEEvT_T0_DpT1_.has_recursion, 0
	.set _ZN2at6native12_GLOBAL__N_125multi_tensor_apply_kernelINS1_18TensorListMetadataILi2EEENS1_14UnaryOpFunctorIN3c104HalfELi2ELi1ELi1EEEJNS0_5RsqrtIfEEEEEvT_T0_DpT1_.has_indirect_call, 0
	.section	.AMDGPU.csdata,"",@progbits
; Kernel info:
; codeLenInByte = 1612
; TotalNumSgprs: 29
; NumVgprs: 29
; ScratchSize: 0
; MemoryBound: 0
; FloatMode: 240
; IeeeMode: 1
; LDSByteSize: 0 bytes/workgroup (compile time only)
; SGPRBlocks: 3
; VGPRBlocks: 7
; NumSGPRsForWavesPerEU: 29
; NumVGPRsForWavesPerEU: 29
; Occupancy: 8
; WaveLimiterHint : 0
; COMPUTE_PGM_RSRC2:SCRATCH_EN: 0
; COMPUTE_PGM_RSRC2:USER_SGPR: 6
; COMPUTE_PGM_RSRC2:TRAP_HANDLER: 0
; COMPUTE_PGM_RSRC2:TGID_X_EN: 1
; COMPUTE_PGM_RSRC2:TGID_Y_EN: 0
; COMPUTE_PGM_RSRC2:TGID_Z_EN: 0
; COMPUTE_PGM_RSRC2:TIDIG_COMP_CNT: 0
	.section	.text._ZN2at6native12_GLOBAL__N_125multi_tensor_apply_kernelINS1_18TensorListMetadataILi2EEENS1_14UnaryOpFunctorIN3c108BFloat16ELi2ELi1ELi1EEEJNS0_5RsqrtIfEEEEEvT_T0_DpT1_,"axG",@progbits,_ZN2at6native12_GLOBAL__N_125multi_tensor_apply_kernelINS1_18TensorListMetadataILi2EEENS1_14UnaryOpFunctorIN3c108BFloat16ELi2ELi1ELi1EEEJNS0_5RsqrtIfEEEEEvT_T0_DpT1_,comdat
	.globl	_ZN2at6native12_GLOBAL__N_125multi_tensor_apply_kernelINS1_18TensorListMetadataILi2EEENS1_14UnaryOpFunctorIN3c108BFloat16ELi2ELi1ELi1EEEJNS0_5RsqrtIfEEEEEvT_T0_DpT1_ ; -- Begin function _ZN2at6native12_GLOBAL__N_125multi_tensor_apply_kernelINS1_18TensorListMetadataILi2EEENS1_14UnaryOpFunctorIN3c108BFloat16ELi2ELi1ELi1EEEJNS0_5RsqrtIfEEEEEvT_T0_DpT1_
	.p2align	8
	.type	_ZN2at6native12_GLOBAL__N_125multi_tensor_apply_kernelINS1_18TensorListMetadataILi2EEENS1_14UnaryOpFunctorIN3c108BFloat16ELi2ELi1ELi1EEEJNS0_5RsqrtIfEEEEEvT_T0_DpT1_,@function
_ZN2at6native12_GLOBAL__N_125multi_tensor_apply_kernelINS1_18TensorListMetadataILi2EEENS1_14UnaryOpFunctorIN3c108BFloat16ELi2ELi1ELi1EEEJNS0_5RsqrtIfEEEEEvT_T0_DpT1_: ; @_ZN2at6native12_GLOBAL__N_125multi_tensor_apply_kernelINS1_18TensorListMetadataILi2EEENS1_14UnaryOpFunctorIN3c108BFloat16ELi2ELi1ELi1EEEJNS0_5RsqrtIfEEEEEvT_T0_DpT1_
; %bb.0:
	v_mov_b32_e32 v1, s6
	global_load_ubyte v1, v1, s[4:5] offset:1536
	s_add_u32 s0, s4, s6
	s_mul_hi_u32 s2, s6, 3
	s_mul_i32 s6, s6, 3
	s_addc_u32 s7, s5, 0
	s_add_u32 s6, s0, s6
	s_addc_u32 s7, s7, s2
	s_load_dword s6, s[6:7], 0x740
	s_mov_b32 s1, 0
	s_mov_b32 s3, s1
	s_waitcnt lgkmcnt(0)
	s_ashr_i32 s7, s6, 31
	s_lshl_b64 s[8:9], s[6:7], 17
	s_lshl_b64 s[6:7], s[6:7], 16
	s_waitcnt vmcnt(0)
	v_readfirstlane_b32 s0, v1
	s_lshl_b32 s0, s0, 3
	s_load_dwordx2 s[10:11], s[4:5], s0 offset:0x400
	s_load_dwordx2 s[16:17], s[4:5], s0 offset:0x0
	;; [unrolled: 1-line block ×3, first 2 shown]
	s_waitcnt lgkmcnt(0)
	s_add_u32 s0, s16, s8
	s_and_b32 s2, s14, 7
	s_and_b32 s0, s0, 7
	s_sub_u32 s12, s10, s6
	s_subb_u32 s13, s11, s7
	s_and_b32 s6, s10, 3
	s_mov_b32 s7, s1
	s_or_b64 s[2:3], s[2:3], s[6:7]
	s_or_b64 s[0:1], s[2:3], s[0:1]
	s_cmp_eq_u64 s[0:1], 0
	s_mov_b64 s[0:1], -1
	s_cbranch_scc0 .LBB298_5
; %bb.1:
	v_mov_b32_e32 v1, 0x10000
	v_mov_b32_e32 v2, 0
	v_cmp_lt_i64_e32 vcc, s[12:13], v[1:2]
	v_mov_b32_e32 v2, 0
	s_and_b64 s[0:1], vcc, exec
	s_cselect_b32 s11, s13, 0
	s_cselect_b32 s10, s12, 0x10000
	v_lshlrev_b32_e32 v1, 2, v0
	v_cmp_gt_i64_e32 vcc, s[10:11], v[1:2]
	s_and_saveexec_b64 s[18:19], vcc
	s_cbranch_execz .LBB298_4
; %bb.2:
	s_load_dword s0, s[4:5], 0xc5c
	v_mov_b32_e32 v1, v2
	v_lshlrev_b32_e32 v2, 3, v0
	v_mov_b32_e32 v4, s9
	v_add_co_u32_e32 v3, vcc, s8, v2
	s_waitcnt lgkmcnt(0)
	s_and_b32 s22, s0, 0xffff
	v_mov_b32_e32 v2, v1
	v_addc_co_u32_e32 v4, vcc, 0, v4, vcc
	s_lshl_b32 s23, s22, 3
	s_mov_b64 s[20:21], 0
	v_mov_b32_e32 v5, s17
	s_mov_b32 s24, 0x800000
	s_movk_i32 s25, 0x7fff
	v_mov_b32_e32 v6, s15
	v_mov_b32_e32 v7, 0x7fc00000
	;; [unrolled: 1-line block ×4, first 2 shown]
.LBB298_3:                              ; =>This Inner Loop Header: Depth=1
	v_add_co_u32_e32 v9, vcc, s16, v3
	v_addc_co_u32_e32 v10, vcc, v5, v4, vcc
	global_load_dwordx2 v[9:10], v[9:10], off
	v_add_co_u32_e32 v11, vcc, s14, v3
	v_addc_co_u32_e32 v12, vcc, v6, v4, vcc
	v_add_co_u32_e32 v1, vcc, s22, v1
	v_addc_co_u32_e32 v2, vcc, 0, v2, vcc
	v_add_co_u32_e32 v3, vcc, s23, v3
	v_lshlrev_b64 v[13:14], 2, v[1:2]
	v_addc_co_u32_e32 v4, vcc, 0, v4, vcc
	v_cmp_le_i64_e32 vcc, s[10:11], v[13:14]
	s_or_b64 s[20:21], vcc, s[20:21]
	s_waitcnt vmcnt(0)
	v_and_b32_e32 v13, 0xffff0000, v9
	v_lshlrev_b32_e32 v14, 16, v9
	v_alignbit_b32 v9, v10, v9, 16
	v_and_b32_e32 v10, 0xffff0000, v10
	v_mul_f32_e32 v15, 0x4b800000, v14
	v_mul_f32_e32 v16, 0x4b800000, v13
	v_cmp_gt_f32_e32 vcc, s24, v13
	v_and_b32_e32 v9, 0xffff0000, v9
	v_mul_f32_e32 v17, 0x4b800000, v10
	v_cmp_gt_f32_e64 s[0:1], s24, v10
	v_cmp_gt_f32_e64 s[2:3], s24, v14
	v_cndmask_b32_e64 v14, v14, v15, s[2:3]
	v_cndmask_b32_e32 v13, v13, v16, vcc
	v_mul_f32_e32 v15, 0x4b800000, v9
	v_cmp_gt_f32_e64 s[6:7], s24, v9
	v_cndmask_b32_e64 v10, v10, v17, s[0:1]
	v_rsq_f32_e32 v14, v14
	v_rsq_f32_e32 v13, v13
	v_cndmask_b32_e64 v9, v9, v15, s[6:7]
	v_rsq_f32_e32 v10, v10
	v_rsq_f32_e32 v9, v9
	v_mul_f32_e32 v15, 0x45800000, v14
	v_mul_f32_e32 v16, 0x45800000, v13
	;; [unrolled: 1-line block ×3, first 2 shown]
	v_cndmask_b32_e64 v14, v14, v15, s[2:3]
	v_cndmask_b32_e32 v13, v13, v16, vcc
	v_mul_f32_e32 v15, 0x45800000, v9
	v_cndmask_b32_e64 v10, v10, v17, s[0:1]
	v_bfe_u32 v16, v14, 16, 1
	v_bfe_u32 v17, v13, 16, 1
	v_cndmask_b32_e64 v9, v9, v15, s[6:7]
	v_bfe_u32 v15, v10, 16, 1
	v_add3_u32 v16, v14, v16, s25
	v_add3_u32 v17, v13, v17, s25
	v_bfe_u32 v18, v9, 16, 1
	v_add3_u32 v15, v10, v15, s25
	v_lshrrev_b32_e32 v16, 16, v16
	v_and_b32_e32 v17, 0xffff0000, v17
	v_add3_u32 v18, v9, v18, s25
	v_and_b32_e32 v15, 0xffff0000, v15
	v_cmp_o_f32_e32 vcc, v10, v10
	v_cmp_o_f32_e64 s[0:1], v13, v13
	v_cmp_o_f32_e64 s[2:3], v14, v14
	v_lshrrev_b32_e32 v10, 16, v18
	v_cndmask_b32_e32 v13, v7, v15, vcc
	v_cndmask_b32_e64 v14, v7, v17, s[0:1]
	v_cndmask_b32_e64 v15, v8, v16, s[2:3]
	v_cmp_o_f32_e32 vcc, v9, v9
	v_cndmask_b32_e32 v9, v8, v10, vcc
	v_or_b32_e32 v14, v15, v14
	v_or3_b32 v10, 0, v9, v13
	v_or3_b32 v9, v14, 0, 0
	global_store_dwordx2 v[11:12], v[9:10], off
	s_andn2_b64 exec, exec, s[20:21]
	s_cbranch_execnz .LBB298_3
.LBB298_4:
	s_or_b64 exec, exec, s[18:19]
	s_mov_b64 s[0:1], 0
.LBB298_5:
	s_andn2_b64 vcc, exec, s[0:1]
	s_cbranch_vccnz .LBB298_25
; %bb.6:
	v_cmp_lt_i64_e64 s[0:1], s[12:13], 1
	s_and_b64 vcc, exec, s[0:1]
	s_cbranch_vccnz .LBB298_25
; %bb.7:
	v_mov_b32_e32 v1, 0x10000
	s_load_dword s2, s[4:5], 0xc5c
	v_mov_b32_e32 v2, 0
	v_cmp_lt_i64_e32 vcc, s[12:13], v[1:2]
	v_mov_b32_e32 v10, 0
	s_and_b64 s[0:1], vcc, exec
	v_cmp_lt_u64_e32 vcc, s[12:13], v[1:2]
	s_cselect_b32 s11, s13, 0
	s_cselect_b32 s10, s12, 0x10000
	s_waitcnt lgkmcnt(0)
	s_and_b32 s2, s2, 0xffff
	v_lshlrev_b32_e32 v9, 1, v0
	s_and_b64 s[0:1], vcc, exec
	v_mov_b32_e32 v2, s17
	v_add_co_u32_e32 v1, vcc, s16, v9
	v_mad_u64_u32 v[7:8], s[0:1], s2, 6, v[9:10]
	v_addc_co_u32_e32 v2, vcc, 0, v2, vcc
	v_mov_b32_e32 v4, s15
	v_add_co_u32_e32 v3, vcc, s14, v9
	v_addc_co_u32_e32 v4, vcc, 0, v4, vcc
	v_mov_b32_e32 v6, s17
	v_add_co_u32_e32 v5, vcc, s16, v7
	;; [unrolled: 3-line block ×3, first 2 shown]
	s_cselect_b32 s13, s13, 0
	s_cselect_b32 s12, s12, 0x10000
	s_lshl_b32 s18, s2, 2
	v_addc_co_u32_e32 v8, vcc, v10, v8, vcc
	v_add_co_u32_e32 v11, vcc, s18, v9
	v_addc_co_u32_e64 v12, s[0:1], 0, 0, vcc
	v_mov_b32_e32 v10, s17
	v_add_co_u32_e32 v9, vcc, s16, v11
	v_addc_co_u32_e32 v10, vcc, v10, v12, vcc
	v_mov_b32_e32 v13, s15
	v_add_co_u32_e32 v11, vcc, s14, v11
	v_addc_co_u32_e32 v12, vcc, v13, v12, vcc
	v_add_co_u32_e32 v13, vcc, s2, v0
	v_lshlrev_b32_e32 v17, 1, v13
	v_addc_co_u32_e64 v14, s[0:1], 0, 0, vcc
	v_mov_b32_e32 v16, s17
	v_add_co_u32_e32 v15, vcc, s16, v17
	v_addc_co_u32_e32 v16, vcc, 0, v16, vcc
	v_mov_b32_e32 v18, s15
	v_add_co_u32_e32 v17, vcc, s14, v17
	s_mul_i32 s4, s2, 3
	v_addc_co_u32_e32 v18, vcc, 0, v18, vcc
	s_lshl_b32 s3, s2, 1
	v_add_co_u32_e32 v19, vcc, s4, v0
	v_addc_co_u32_e64 v20, s[0:1], 0, 0, vcc
	v_add_co_u32_e32 v21, vcc, s3, v0
	s_lshl_b32 s19, s2, 3
	s_mov_b64 s[14:15], 0
	s_mov_b32 s20, 0x800000
	s_movk_i32 s21, 0x7fff
	v_addc_co_u32_e64 v22, s[0:1], 0, 0, vcc
	v_mov_b32_e32 v23, 0x7fc0
	s_branch .LBB298_9
.LBB298_8:                              ;   in Loop: Header=BB298_9 Depth=1
	s_or_b64 exec, exec, s[2:3]
	v_add_co_u32_e32 v1, vcc, s19, v1
	v_addc_co_u32_e32 v2, vcc, 0, v2, vcc
	v_add_co_u32_e32 v3, vcc, s19, v3
	v_addc_co_u32_e32 v4, vcc, 0, v4, vcc
	;; [unrolled: 2-line block ×6, first 2 shown]
	s_add_u32 s14, s14, s18
	v_add_co_u32_e32 v15, vcc, s19, v15
	v_mov_b32_e32 v25, s11
	s_addc_u32 s15, s15, 0
	v_addc_co_u32_e32 v16, vcc, 0, v16, vcc
	v_mov_b32_e32 v24, s10
	v_cmp_ge_i64_e32 vcc, s[14:15], v[24:25]
	v_add_co_u32_e64 v17, s[0:1], s19, v17
	v_addc_co_u32_e64 v18, s[0:1], 0, v18, s[0:1]
	s_cbranch_vccnz .LBB298_25
.LBB298_9:                              ; =>This Inner Loop Header: Depth=1
	v_mov_b32_e32 v25, s15
	v_add_co_u32_e32 v24, vcc, s14, v0
	v_addc_co_u32_e32 v25, vcc, 0, v25, vcc
	v_cmp_gt_u64_e32 vcc, s[12:13], v[24:25]
	v_mov_b32_e32 v27, 0
	s_and_saveexec_b64 s[2:3], vcc
	s_cbranch_execz .LBB298_11
; %bb.10:                               ;   in Loop: Header=BB298_9 Depth=1
	v_mov_b32_e32 v25, s9
	v_add_co_u32_e64 v24, s[0:1], s8, v1
	v_addc_co_u32_e64 v25, s[0:1], v2, v25, s[0:1]
	global_load_ushort v24, v[24:25], off
	s_waitcnt vmcnt(0)
	v_lshlrev_b32_e32 v27, 16, v24
.LBB298_11:                             ;   in Loop: Header=BB298_9 Depth=1
	s_or_b64 exec, exec, s[2:3]
	v_mov_b32_e32 v25, s15
	v_add_co_u32_e64 v24, s[0:1], s14, v13
	v_addc_co_u32_e64 v25, s[0:1], v14, v25, s[0:1]
	v_cmp_gt_u64_e64 s[4:5], s[12:13], v[24:25]
	v_mov_b32_e32 v24, 0
	v_mov_b32_e32 v26, 0
	s_and_saveexec_b64 s[2:3], s[4:5]
	s_cbranch_execz .LBB298_13
; %bb.12:                               ;   in Loop: Header=BB298_9 Depth=1
	v_mov_b32_e32 v26, s9
	v_add_co_u32_e64 v25, s[0:1], s8, v15
	v_addc_co_u32_e64 v26, s[0:1], v16, v26, s[0:1]
	global_load_ushort v25, v[25:26], off
	s_waitcnt vmcnt(0)
	v_lshlrev_b32_e32 v26, 16, v25
.LBB298_13:                             ;   in Loop: Header=BB298_9 Depth=1
	s_or_b64 exec, exec, s[2:3]
	v_mov_b32_e32 v25, s15
	v_add_co_u32_e64 v28, s[0:1], s14, v21
	v_addc_co_u32_e64 v29, s[0:1], v22, v25, s[0:1]
	v_cmp_gt_u64_e64 s[2:3], s[12:13], v[28:29]
	s_and_saveexec_b64 s[6:7], s[2:3]
	s_cbranch_execz .LBB298_15
; %bb.14:                               ;   in Loop: Header=BB298_9 Depth=1
	v_mov_b32_e32 v25, s9
	v_add_co_u32_e64 v24, s[0:1], s8, v9
	v_addc_co_u32_e64 v25, s[0:1], v10, v25, s[0:1]
	global_load_ushort v24, v[24:25], off
	s_waitcnt vmcnt(0)
	v_lshlrev_b32_e32 v24, 16, v24
.LBB298_15:                             ;   in Loop: Header=BB298_9 Depth=1
	s_or_b64 exec, exec, s[6:7]
	v_mov_b32_e32 v25, s15
	v_add_co_u32_e64 v28, s[0:1], s14, v19
	v_addc_co_u32_e64 v29, s[0:1], v20, v25, s[0:1]
	v_cmp_gt_u64_e64 s[0:1], s[12:13], v[28:29]
	v_mov_b32_e32 v25, 0
	s_and_saveexec_b64 s[16:17], s[0:1]
	s_cbranch_execnz .LBB298_20
; %bb.16:                               ;   in Loop: Header=BB298_9 Depth=1
	s_or_b64 exec, exec, s[16:17]
	s_and_saveexec_b64 s[6:7], vcc
	s_cbranch_execnz .LBB298_21
.LBB298_17:                             ;   in Loop: Header=BB298_9 Depth=1
	s_or_b64 exec, exec, s[6:7]
	s_and_saveexec_b64 s[6:7], s[4:5]
	s_cbranch_execnz .LBB298_22
.LBB298_18:                             ;   in Loop: Header=BB298_9 Depth=1
	s_or_b64 exec, exec, s[6:7]
	s_and_saveexec_b64 s[4:5], s[2:3]
	s_cbranch_execnz .LBB298_23
.LBB298_19:                             ;   in Loop: Header=BB298_9 Depth=1
	s_or_b64 exec, exec, s[4:5]
	s_and_saveexec_b64 s[2:3], s[0:1]
	s_cbranch_execz .LBB298_8
	s_branch .LBB298_24
.LBB298_20:                             ;   in Loop: Header=BB298_9 Depth=1
	v_mov_b32_e32 v25, s9
	v_add_co_u32_e64 v28, s[6:7], s8, v5
	v_addc_co_u32_e64 v29, s[6:7], v6, v25, s[6:7]
	global_load_ushort v25, v[28:29], off
	s_waitcnt vmcnt(0)
	v_lshlrev_b32_e32 v25, 16, v25
	s_or_b64 exec, exec, s[16:17]
	s_and_saveexec_b64 s[6:7], vcc
	s_cbranch_execz .LBB298_17
.LBB298_21:                             ;   in Loop: Header=BB298_9 Depth=1
	v_mul_f32_e32 v28, 0x4b800000, v27
	v_cmp_gt_f32_e32 vcc, s20, v27
	v_cndmask_b32_e32 v27, v27, v28, vcc
	v_rsq_f32_e32 v27, v27
	v_mul_f32_e32 v28, 0x45800000, v27
	v_cndmask_b32_e32 v27, v27, v28, vcc
	v_bfe_u32 v28, v27, 16, 1
	v_cmp_o_f32_e32 vcc, v27, v27
	v_add3_u32 v27, v27, v28, s21
	v_cndmask_b32_sdwa v29, v23, v27, vcc dst_sel:DWORD dst_unused:UNUSED_PAD src0_sel:DWORD src1_sel:WORD_1
	v_mov_b32_e32 v28, s9
	v_add_co_u32_e32 v27, vcc, s8, v3
	v_addc_co_u32_e32 v28, vcc, v4, v28, vcc
	global_store_short v[27:28], v29, off
	s_or_b64 exec, exec, s[6:7]
	s_and_saveexec_b64 s[6:7], s[4:5]
	s_cbranch_execz .LBB298_18
.LBB298_22:                             ;   in Loop: Header=BB298_9 Depth=1
	v_mul_f32_e32 v27, 0x4b800000, v26
	v_cmp_gt_f32_e32 vcc, s20, v26
	v_cndmask_b32_e32 v26, v26, v27, vcc
	v_rsq_f32_e32 v26, v26
	v_mul_f32_e32 v27, 0x45800000, v26
	v_cndmask_b32_e32 v26, v26, v27, vcc
	v_bfe_u32 v27, v26, 16, 1
	v_cmp_o_f32_e32 vcc, v26, v26
	v_add3_u32 v26, v26, v27, s21
	v_cndmask_b32_sdwa v28, v23, v26, vcc dst_sel:DWORD dst_unused:UNUSED_PAD src0_sel:DWORD src1_sel:WORD_1
	v_mov_b32_e32 v27, s9
	v_add_co_u32_e32 v26, vcc, s8, v17
	v_addc_co_u32_e32 v27, vcc, v18, v27, vcc
	global_store_short v[26:27], v28, off
	s_or_b64 exec, exec, s[6:7]
	s_and_saveexec_b64 s[4:5], s[2:3]
	s_cbranch_execz .LBB298_19
.LBB298_23:                             ;   in Loop: Header=BB298_9 Depth=1
	v_mul_f32_e32 v26, 0x4b800000, v24
	v_cmp_gt_f32_e32 vcc, s20, v24
	v_cndmask_b32_e32 v24, v24, v26, vcc
	v_rsq_f32_e32 v24, v24
	v_mov_b32_e32 v27, s9
	v_mul_f32_e32 v26, 0x45800000, v24
	v_cndmask_b32_e32 v24, v24, v26, vcc
	v_bfe_u32 v26, v24, 16, 1
	v_cmp_o_f32_e32 vcc, v24, v24
	v_add3_u32 v24, v24, v26, s21
	v_cndmask_b32_sdwa v24, v23, v24, vcc dst_sel:DWORD dst_unused:UNUSED_PAD src0_sel:DWORD src1_sel:WORD_1
	v_add_co_u32_e32 v26, vcc, s8, v11
	v_addc_co_u32_e32 v27, vcc, v12, v27, vcc
	global_store_short v[26:27], v24, off
	s_or_b64 exec, exec, s[4:5]
	s_and_saveexec_b64 s[2:3], s[0:1]
	s_cbranch_execz .LBB298_8
.LBB298_24:                             ;   in Loop: Header=BB298_9 Depth=1
	v_mul_f32_e32 v24, 0x4b800000, v25
	v_cmp_gt_f32_e32 vcc, s20, v25
	v_cndmask_b32_e32 v24, v25, v24, vcc
	v_rsq_f32_e32 v24, v24
	v_mul_f32_e32 v25, 0x45800000, v24
	v_cndmask_b32_e32 v24, v24, v25, vcc
	v_bfe_u32 v25, v24, 16, 1
	v_cmp_o_f32_e32 vcc, v24, v24
	v_add3_u32 v24, v24, v25, s21
	v_cndmask_b32_sdwa v26, v23, v24, vcc dst_sel:DWORD dst_unused:UNUSED_PAD src0_sel:DWORD src1_sel:WORD_1
	v_mov_b32_e32 v25, s9
	v_add_co_u32_e32 v24, vcc, s8, v7
	v_addc_co_u32_e32 v25, vcc, v8, v25, vcc
	global_store_short v[24:25], v26, off
	s_branch .LBB298_8
.LBB298_25:
	s_endpgm
	.section	.rodata,"a",@progbits
	.p2align	6, 0x0
	.amdhsa_kernel _ZN2at6native12_GLOBAL__N_125multi_tensor_apply_kernelINS1_18TensorListMetadataILi2EEENS1_14UnaryOpFunctorIN3c108BFloat16ELi2ELi1ELi1EEEJNS0_5RsqrtIfEEEEEvT_T0_DpT1_
		.amdhsa_group_segment_fixed_size 0
		.amdhsa_private_segment_fixed_size 0
		.amdhsa_kernarg_size 3408
		.amdhsa_user_sgpr_count 6
		.amdhsa_user_sgpr_private_segment_buffer 1
		.amdhsa_user_sgpr_dispatch_ptr 0
		.amdhsa_user_sgpr_queue_ptr 0
		.amdhsa_user_sgpr_kernarg_segment_ptr 1
		.amdhsa_user_sgpr_dispatch_id 0
		.amdhsa_user_sgpr_flat_scratch_init 0
		.amdhsa_user_sgpr_private_segment_size 0
		.amdhsa_uses_dynamic_stack 0
		.amdhsa_system_sgpr_private_segment_wavefront_offset 0
		.amdhsa_system_sgpr_workgroup_id_x 1
		.amdhsa_system_sgpr_workgroup_id_y 0
		.amdhsa_system_sgpr_workgroup_id_z 0
		.amdhsa_system_sgpr_workgroup_info 0
		.amdhsa_system_vgpr_workitem_id 0
		.amdhsa_next_free_vgpr 30
		.amdhsa_next_free_sgpr 26
		.amdhsa_reserve_vcc 1
		.amdhsa_reserve_flat_scratch 0
		.amdhsa_float_round_mode_32 0
		.amdhsa_float_round_mode_16_64 0
		.amdhsa_float_denorm_mode_32 3
		.amdhsa_float_denorm_mode_16_64 3
		.amdhsa_dx10_clamp 1
		.amdhsa_ieee_mode 1
		.amdhsa_fp16_overflow 0
		.amdhsa_exception_fp_ieee_invalid_op 0
		.amdhsa_exception_fp_denorm_src 0
		.amdhsa_exception_fp_ieee_div_zero 0
		.amdhsa_exception_fp_ieee_overflow 0
		.amdhsa_exception_fp_ieee_underflow 0
		.amdhsa_exception_fp_ieee_inexact 0
		.amdhsa_exception_int_div_zero 0
	.end_amdhsa_kernel
	.section	.text._ZN2at6native12_GLOBAL__N_125multi_tensor_apply_kernelINS1_18TensorListMetadataILi2EEENS1_14UnaryOpFunctorIN3c108BFloat16ELi2ELi1ELi1EEEJNS0_5RsqrtIfEEEEEvT_T0_DpT1_,"axG",@progbits,_ZN2at6native12_GLOBAL__N_125multi_tensor_apply_kernelINS1_18TensorListMetadataILi2EEENS1_14UnaryOpFunctorIN3c108BFloat16ELi2ELi1ELi1EEEJNS0_5RsqrtIfEEEEEvT_T0_DpT1_,comdat
.Lfunc_end298:
	.size	_ZN2at6native12_GLOBAL__N_125multi_tensor_apply_kernelINS1_18TensorListMetadataILi2EEENS1_14UnaryOpFunctorIN3c108BFloat16ELi2ELi1ELi1EEEJNS0_5RsqrtIfEEEEEvT_T0_DpT1_, .Lfunc_end298-_ZN2at6native12_GLOBAL__N_125multi_tensor_apply_kernelINS1_18TensorListMetadataILi2EEENS1_14UnaryOpFunctorIN3c108BFloat16ELi2ELi1ELi1EEEJNS0_5RsqrtIfEEEEEvT_T0_DpT1_
                                        ; -- End function
	.set _ZN2at6native12_GLOBAL__N_125multi_tensor_apply_kernelINS1_18TensorListMetadataILi2EEENS1_14UnaryOpFunctorIN3c108BFloat16ELi2ELi1ELi1EEEJNS0_5RsqrtIfEEEEEvT_T0_DpT1_.num_vgpr, 30
	.set _ZN2at6native12_GLOBAL__N_125multi_tensor_apply_kernelINS1_18TensorListMetadataILi2EEENS1_14UnaryOpFunctorIN3c108BFloat16ELi2ELi1ELi1EEEJNS0_5RsqrtIfEEEEEvT_T0_DpT1_.num_agpr, 0
	.set _ZN2at6native12_GLOBAL__N_125multi_tensor_apply_kernelINS1_18TensorListMetadataILi2EEENS1_14UnaryOpFunctorIN3c108BFloat16ELi2ELi1ELi1EEEJNS0_5RsqrtIfEEEEEvT_T0_DpT1_.numbered_sgpr, 26
	.set _ZN2at6native12_GLOBAL__N_125multi_tensor_apply_kernelINS1_18TensorListMetadataILi2EEENS1_14UnaryOpFunctorIN3c108BFloat16ELi2ELi1ELi1EEEJNS0_5RsqrtIfEEEEEvT_T0_DpT1_.num_named_barrier, 0
	.set _ZN2at6native12_GLOBAL__N_125multi_tensor_apply_kernelINS1_18TensorListMetadataILi2EEENS1_14UnaryOpFunctorIN3c108BFloat16ELi2ELi1ELi1EEEJNS0_5RsqrtIfEEEEEvT_T0_DpT1_.private_seg_size, 0
	.set _ZN2at6native12_GLOBAL__N_125multi_tensor_apply_kernelINS1_18TensorListMetadataILi2EEENS1_14UnaryOpFunctorIN3c108BFloat16ELi2ELi1ELi1EEEJNS0_5RsqrtIfEEEEEvT_T0_DpT1_.uses_vcc, 1
	.set _ZN2at6native12_GLOBAL__N_125multi_tensor_apply_kernelINS1_18TensorListMetadataILi2EEENS1_14UnaryOpFunctorIN3c108BFloat16ELi2ELi1ELi1EEEJNS0_5RsqrtIfEEEEEvT_T0_DpT1_.uses_flat_scratch, 0
	.set _ZN2at6native12_GLOBAL__N_125multi_tensor_apply_kernelINS1_18TensorListMetadataILi2EEENS1_14UnaryOpFunctorIN3c108BFloat16ELi2ELi1ELi1EEEJNS0_5RsqrtIfEEEEEvT_T0_DpT1_.has_dyn_sized_stack, 0
	.set _ZN2at6native12_GLOBAL__N_125multi_tensor_apply_kernelINS1_18TensorListMetadataILi2EEENS1_14UnaryOpFunctorIN3c108BFloat16ELi2ELi1ELi1EEEJNS0_5RsqrtIfEEEEEvT_T0_DpT1_.has_recursion, 0
	.set _ZN2at6native12_GLOBAL__N_125multi_tensor_apply_kernelINS1_18TensorListMetadataILi2EEENS1_14UnaryOpFunctorIN3c108BFloat16ELi2ELi1ELi1EEEJNS0_5RsqrtIfEEEEEvT_T0_DpT1_.has_indirect_call, 0
	.section	.AMDGPU.csdata,"",@progbits
; Kernel info:
; codeLenInByte = 1876
; TotalNumSgprs: 30
; NumVgprs: 30
; ScratchSize: 0
; MemoryBound: 0
; FloatMode: 240
; IeeeMode: 1
; LDSByteSize: 0 bytes/workgroup (compile time only)
; SGPRBlocks: 3
; VGPRBlocks: 7
; NumSGPRsForWavesPerEU: 30
; NumVGPRsForWavesPerEU: 30
; Occupancy: 8
; WaveLimiterHint : 0
; COMPUTE_PGM_RSRC2:SCRATCH_EN: 0
; COMPUTE_PGM_RSRC2:USER_SGPR: 6
; COMPUTE_PGM_RSRC2:TRAP_HANDLER: 0
; COMPUTE_PGM_RSRC2:TGID_X_EN: 1
; COMPUTE_PGM_RSRC2:TGID_Y_EN: 0
; COMPUTE_PGM_RSRC2:TGID_Z_EN: 0
; COMPUTE_PGM_RSRC2:TIDIG_COMP_CNT: 0
	.section	.text._ZN2at6native12_GLOBAL__N_125multi_tensor_apply_kernelINS1_18TensorListMetadataILi1EEENS1_14UnaryOpFunctorIdLi1ELi1ELi0EEEJNS0_5RsqrtIdEEEEEvT_T0_DpT1_,"axG",@progbits,_ZN2at6native12_GLOBAL__N_125multi_tensor_apply_kernelINS1_18TensorListMetadataILi1EEENS1_14UnaryOpFunctorIdLi1ELi1ELi0EEEJNS0_5RsqrtIdEEEEEvT_T0_DpT1_,comdat
	.globl	_ZN2at6native12_GLOBAL__N_125multi_tensor_apply_kernelINS1_18TensorListMetadataILi1EEENS1_14UnaryOpFunctorIdLi1ELi1ELi0EEEJNS0_5RsqrtIdEEEEEvT_T0_DpT1_ ; -- Begin function _ZN2at6native12_GLOBAL__N_125multi_tensor_apply_kernelINS1_18TensorListMetadataILi1EEENS1_14UnaryOpFunctorIdLi1ELi1ELi0EEEJNS0_5RsqrtIdEEEEEvT_T0_DpT1_
	.p2align	8
	.type	_ZN2at6native12_GLOBAL__N_125multi_tensor_apply_kernelINS1_18TensorListMetadataILi1EEENS1_14UnaryOpFunctorIdLi1ELi1ELi0EEEJNS0_5RsqrtIdEEEEEvT_T0_DpT1_,@function
_ZN2at6native12_GLOBAL__N_125multi_tensor_apply_kernelINS1_18TensorListMetadataILi1EEENS1_14UnaryOpFunctorIdLi1ELi1ELi0EEEJNS0_5RsqrtIdEEEEEvT_T0_DpT1_: ; @_ZN2at6native12_GLOBAL__N_125multi_tensor_apply_kernelINS1_18TensorListMetadataILi1EEENS1_14UnaryOpFunctorIdLi1ELi1ELi0EEEJNS0_5RsqrtIdEEEEEvT_T0_DpT1_
; %bb.0:
	v_mov_b32_e32 v1, s6
	global_load_ubyte v1, v1, s[4:5] offset:1760
	s_add_u32 s0, s4, s6
	s_mul_hi_u32 s1, s6, 3
	s_mul_i32 s6, s6, 3
	s_addc_u32 s2, s5, 0
	s_add_u32 s0, s0, s6
	s_addc_u32 s1, s2, s1
	s_load_dword s0, s[0:1], 0x820
	s_mov_b32 s7, 0
	s_waitcnt vmcnt(0)
	v_readfirstlane_b32 s1, v1
	s_lshl_b32 s1, s1, 3
	s_load_dwordx2 s[2:3], s[4:5], s1 offset:0x370
	s_load_dwordx2 s[10:11], s[4:5], s1 offset:0x0
	s_waitcnt lgkmcnt(0)
	s_ashr_i32 s1, s0, 31
	s_lshl_b64 s[12:13], s[0:1], 19
	s_lshl_b64 s[0:1], s[0:1], 16
	s_and_b32 s6, s10, 31
	s_sub_u32 s14, s2, s0
	s_subb_u32 s15, s3, s1
	s_and_b32 s0, s2, 3
	s_mov_b32 s1, s7
	s_or_b64 s[0:1], s[6:7], s[0:1]
	s_cmp_eq_u64 s[0:1], 0
	s_cbranch_scc1 .LBB299_21
; %bb.1:
	v_cmp_lt_i64_e64 s[0:1], s[14:15], 1
	s_and_b64 vcc, exec, s[0:1]
	s_cbranch_vccnz .LBB299_20
; %bb.2:
	v_mov_b32_e32 v1, 0x10000
	s_load_dword s2, s[4:5], 0xd3c
	v_mov_b32_e32 v2, 0
	v_cmp_lt_i64_e32 vcc, s[14:15], v[1:2]
	s_mov_b32 s22, 0
	s_and_b64 s[0:1], vcc, exec
	v_cmp_lt_u64_e32 vcc, s[14:15], v[1:2]
	s_cselect_b32 s17, s15, 0
	s_cselect_b32 s16, s14, 0x10000
	s_waitcnt lgkmcnt(0)
	s_and_b32 s2, s2, 0xffff
	s_and_b64 s[0:1], vcc, exec
	s_cselect_b32 s19, s15, 0
	s_cselect_b32 s18, s14, 0x10000
	s_lshl_b32 s3, s2, 1
	s_lshl_b32 s26, s2, 2
	s_add_u32 s6, s10, s12
	v_lshlrev_b32_e32 v1, 3, v0
	s_addc_u32 s7, s11, s13
	v_mov_b32_e32 v2, s7
	v_add_co_u32_e32 v1, vcc, s6, v1
	s_mul_i32 s0, s2, 3
	v_addc_co_u32_e32 v2, vcc, 0, v2, vcc
	v_add_co_u32_e32 v13, vcc, s0, v0
	v_addc_co_u32_e64 v14, s[0:1], 0, 0, vcc
	v_add_co_u32_e32 v15, vcc, s3, v0
	v_addc_co_u32_e64 v16, s[0:1], 0, 0, vcc
	v_add_co_u32_e32 v17, vcc, s2, v0
	v_lshlrev_b32_e32 v3, 3, v17
	v_addc_co_u32_e64 v18, s[0:1], 0, 0, vcc
	v_mov_b32_e32 v4, s7
	v_add_co_u32_e32 v3, vcc, s6, v3
	s_lshl_b32 s27, s2, 5
	s_mul_i32 s28, s2, 24
	s_lshl_b32 s29, s2, 4
	v_addc_co_u32_e32 v4, vcc, 0, v4, vcc
	s_mov_b64 s[20:21], 0
	s_mov_b32 s23, 0x3fd80000
	v_mov_b32_e32 v19, 0x180
	s_branch .LBB299_4
.LBB299_3:                              ;   in Loop: Header=BB299_4 Depth=1
	s_or_b64 exec, exec, s[2:3]
	s_add_u32 s20, s20, s26
	v_add_co_u32_e32 v1, vcc, s27, v1
	s_waitcnt vmcnt(0)
	v_mov_b32_e32 v5, s16
	s_addc_u32 s21, s21, 0
	v_addc_co_u32_e32 v2, vcc, 0, v2, vcc
	v_mov_b32_e32 v6, s17
	v_cmp_lt_i64_e32 vcc, s[20:21], v[5:6]
	v_add_co_u32_e64 v3, s[0:1], s27, v3
	v_addc_co_u32_e64 v4, s[0:1], 0, v4, s[0:1]
	s_cbranch_vccz .LBB299_20
.LBB299_4:                              ; =>This Inner Loop Header: Depth=1
	v_mov_b32_e32 v6, s21
	v_add_co_u32_e32 v5, vcc, s20, v0
	v_addc_co_u32_e32 v6, vcc, 0, v6, vcc
	v_cmp_gt_u64_e64 s[6:7], s[18:19], v[5:6]
	v_mov_b32_e32 v7, 0
	v_mov_b32_e32 v9, 0
	;; [unrolled: 1-line block ×4, first 2 shown]
	s_and_saveexec_b64 s[0:1], s[6:7]
	s_cbranch_execz .LBB299_6
; %bb.5:                                ;   in Loop: Header=BB299_4 Depth=1
	global_load_dwordx2 v[9:10], v[1:2], off
.LBB299_6:                              ;   in Loop: Header=BB299_4 Depth=1
	s_or_b64 exec, exec, s[0:1]
	v_mov_b32_e32 v6, s21
	v_add_co_u32_e32 v5, vcc, s20, v17
	v_addc_co_u32_e32 v6, vcc, v18, v6, vcc
	v_cmp_gt_u64_e64 s[2:3], s[18:19], v[5:6]
	s_and_saveexec_b64 s[0:1], s[2:3]
	s_cbranch_execz .LBB299_8
; %bb.7:                                ;   in Loop: Header=BB299_4 Depth=1
	global_load_dwordx2 v[7:8], v[3:4], off
.LBB299_8:                              ;   in Loop: Header=BB299_4 Depth=1
	s_or_b64 exec, exec, s[0:1]
	v_mov_b32_e32 v6, s21
	v_add_co_u32_e32 v5, vcc, s20, v15
	v_addc_co_u32_e32 v6, vcc, v16, v6, vcc
	v_cmp_gt_u64_e32 vcc, s[18:19], v[5:6]
	v_mov_b32_e32 v5, 0
	v_mov_b32_e32 v11, 0
	;; [unrolled: 1-line block ×4, first 2 shown]
	s_and_saveexec_b64 s[8:9], vcc
	s_cbranch_execz .LBB299_10
; %bb.9:                                ;   in Loop: Header=BB299_4 Depth=1
	v_add_co_u32_e64 v11, s[0:1], s29, v1
	v_addc_co_u32_e64 v12, s[0:1], 0, v2, s[0:1]
	global_load_dwordx2 v[11:12], v[11:12], off
.LBB299_10:                             ;   in Loop: Header=BB299_4 Depth=1
	s_or_b64 exec, exec, s[8:9]
	v_mov_b32_e32 v21, s21
	v_add_co_u32_e64 v20, s[0:1], s20, v13
	v_addc_co_u32_e64 v21, s[0:1], v14, v21, s[0:1]
	v_cmp_gt_u64_e64 s[0:1], s[18:19], v[20:21]
	s_and_saveexec_b64 s[24:25], s[0:1]
	s_cbranch_execnz .LBB299_15
; %bb.11:                               ;   in Loop: Header=BB299_4 Depth=1
	s_or_b64 exec, exec, s[24:25]
	s_and_saveexec_b64 s[8:9], s[6:7]
	s_cbranch_execnz .LBB299_16
.LBB299_12:                             ;   in Loop: Header=BB299_4 Depth=1
	s_or_b64 exec, exec, s[8:9]
	s_and_saveexec_b64 s[6:7], s[2:3]
	s_cbranch_execnz .LBB299_17
.LBB299_13:                             ;   in Loop: Header=BB299_4 Depth=1
	s_or_b64 exec, exec, s[6:7]
	s_and_saveexec_b64 s[2:3], vcc
	s_cbranch_execnz .LBB299_18
.LBB299_14:                             ;   in Loop: Header=BB299_4 Depth=1
	s_or_b64 exec, exec, s[2:3]
	s_and_saveexec_b64 s[2:3], s[0:1]
	s_cbranch_execz .LBB299_3
	s_branch .LBB299_19
.LBB299_15:                             ;   in Loop: Header=BB299_4 Depth=1
	v_add_co_u32_e64 v5, s[8:9], s28, v1
	v_addc_co_u32_e64 v6, s[8:9], 0, v2, s[8:9]
	global_load_dwordx2 v[5:6], v[5:6], off
	s_or_b64 exec, exec, s[24:25]
	s_and_saveexec_b64 s[8:9], s[6:7]
	s_cbranch_execz .LBB299_12
.LBB299_16:                             ;   in Loop: Header=BB299_4 Depth=1
	s_waitcnt vmcnt(0)
	v_rsq_f64_e32 v[20:21], v[9:10]
	v_mul_f64 v[9:10], v[20:21], -v[9:10]
	v_cmp_class_f64_e64 s[6:7], v[20:21], v19
	v_fma_f64 v[9:10], v[9:10], v[20:21], 1.0
	v_mul_f64 v[22:23], v[20:21], v[9:10]
	v_fma_f64 v[9:10], v[9:10], s[22:23], 0.5
	v_fma_f64 v[9:10], v[22:23], v[9:10], v[20:21]
	v_cndmask_b32_e64 v10, v21, v10, s[6:7]
	v_cndmask_b32_e64 v9, v20, v9, s[6:7]
	global_store_dwordx2 v[1:2], v[9:10], off
	s_or_b64 exec, exec, s[8:9]
	s_and_saveexec_b64 s[6:7], s[2:3]
	s_cbranch_execz .LBB299_13
.LBB299_17:                             ;   in Loop: Header=BB299_4 Depth=1
	s_waitcnt vmcnt(0)
	v_rsq_f64_e32 v[9:10], v[7:8]
	v_mul_f64 v[7:8], v[9:10], -v[7:8]
	v_cmp_class_f64_e64 s[2:3], v[9:10], v19
	v_fma_f64 v[7:8], v[7:8], v[9:10], 1.0
	v_mul_f64 v[20:21], v[9:10], v[7:8]
	v_fma_f64 v[7:8], v[7:8], s[22:23], 0.5
	v_fma_f64 v[7:8], v[20:21], v[7:8], v[9:10]
	v_cndmask_b32_e64 v8, v10, v8, s[2:3]
	v_cndmask_b32_e64 v7, v9, v7, s[2:3]
	global_store_dwordx2 v[3:4], v[7:8], off
	s_or_b64 exec, exec, s[6:7]
	s_and_saveexec_b64 s[2:3], vcc
	s_cbranch_execz .LBB299_14
.LBB299_18:                             ;   in Loop: Header=BB299_4 Depth=1
	s_waitcnt vmcnt(0)
	v_rsq_f64_e32 v[7:8], v[11:12]
	v_mul_f64 v[9:10], v[7:8], -v[11:12]
	v_cmp_class_f64_e32 vcc, v[7:8], v19
	v_fma_f64 v[9:10], v[9:10], v[7:8], 1.0
	v_mul_f64 v[11:12], v[7:8], v[9:10]
	v_fma_f64 v[9:10], v[9:10], s[22:23], 0.5
	v_fma_f64 v[9:10], v[11:12], v[9:10], v[7:8]
	v_cndmask_b32_e32 v8, v8, v10, vcc
	v_cndmask_b32_e32 v7, v7, v9, vcc
	v_add_co_u32_e32 v9, vcc, s29, v1
	v_addc_co_u32_e32 v10, vcc, 0, v2, vcc
	global_store_dwordx2 v[9:10], v[7:8], off
	s_or_b64 exec, exec, s[2:3]
	s_and_saveexec_b64 s[2:3], s[0:1]
	s_cbranch_execz .LBB299_3
.LBB299_19:                             ;   in Loop: Header=BB299_4 Depth=1
	s_waitcnt vmcnt(0)
	v_rsq_f64_e32 v[7:8], v[5:6]
	v_mul_f64 v[5:6], v[7:8], -v[5:6]
	v_cmp_class_f64_e32 vcc, v[7:8], v19
	v_fma_f64 v[5:6], v[5:6], v[7:8], 1.0
	v_mul_f64 v[9:10], v[7:8], v[5:6]
	v_fma_f64 v[5:6], v[5:6], s[22:23], 0.5
	v_fma_f64 v[5:6], v[9:10], v[5:6], v[7:8]
	v_cndmask_b32_e32 v6, v8, v6, vcc
	v_cndmask_b32_e32 v5, v7, v5, vcc
	v_add_co_u32_e32 v7, vcc, s28, v1
	v_addc_co_u32_e32 v8, vcc, 0, v2, vcc
	global_store_dwordx2 v[7:8], v[5:6], off
	s_branch .LBB299_3
.LBB299_20:
	s_cbranch_execz .LBB299_22
	s_branch .LBB299_25
.LBB299_21:
.LBB299_22:
	v_mov_b32_e32 v1, 0x10000
	v_mov_b32_e32 v2, 0
	v_cmp_lt_i64_e32 vcc, s[14:15], v[1:2]
	v_mov_b32_e32 v2, 0
	s_and_b64 s[0:1], vcc, exec
	s_cselect_b32 s7, s15, 0
	s_cselect_b32 s6, s14, 0x10000
	v_lshlrev_b32_e32 v1, 2, v0
	v_cmp_gt_i64_e32 vcc, s[6:7], v[1:2]
	s_and_saveexec_b64 s[0:1], vcc
	s_cbranch_execz .LBB299_25
; %bb.23:
	s_load_dword s0, s[4:5], 0xd3c
	v_mov_b32_e32 v1, v2
	v_lshlrev_b32_e32 v2, 5, v0
	s_mov_b64 s[8:9], 0
	v_mov_b32_e32 v4, 0x180
	s_waitcnt lgkmcnt(0)
	s_and_b32 s14, s0, 0xffff
	s_add_u32 s0, s10, s12
	s_addc_u32 s1, s11, s13
	v_mov_b32_e32 v3, s1
	v_add_co_u32_e32 v2, vcc, s0, v2
	v_addc_co_u32_e32 v3, vcc, 0, v3, vcc
	v_add_co_u32_e32 v2, vcc, 16, v2
	s_mov_b32 s10, 0
	v_addc_co_u32_e32 v3, vcc, 0, v3, vcc
	s_lshl_b32 s12, s14, 5
	s_mov_b32 s11, 0x3fd80000
.LBB299_24:                             ; =>This Inner Loop Header: Depth=1
	global_load_dwordx4 v[5:8], v[2:3], off offset:-16
	global_load_dwordx4 v[9:12], v[2:3], off
	s_waitcnt vmcnt(1)
	v_rsq_f64_e32 v[13:14], v[5:6]
	v_rsq_f64_e32 v[17:18], v[7:8]
	v_mul_f64 v[5:6], v[13:14], -v[5:6]
	v_cmp_class_f64_e32 vcc, v[13:14], v4
	v_mul_f64 v[7:8], v[17:18], -v[7:8]
	v_cmp_class_f64_e64 s[0:1], v[17:18], v4
	v_fma_f64 v[5:6], v[5:6], v[13:14], 1.0
	v_fma_f64 v[7:8], v[7:8], v[17:18], 1.0
	v_mul_f64 v[15:16], v[13:14], v[5:6]
	v_fma_f64 v[5:6], v[5:6], s[10:11], 0.5
	v_fma_f64 v[5:6], v[15:16], v[5:6], v[13:14]
	s_waitcnt vmcnt(0)
	v_rsq_f64_e32 v[15:16], v[11:12]
	v_cndmask_b32_e32 v6, v14, v6, vcc
	v_cndmask_b32_e32 v5, v13, v5, vcc
	v_rsq_f64_e32 v[13:14], v[9:10]
	v_add_co_u32_e32 v0, vcc, s14, v0
	v_addc_co_u32_e32 v1, vcc, 0, v1, vcc
	v_lshlrev_b64 v[19:20], 2, v[0:1]
	v_cmp_le_i64_e32 vcc, s[6:7], v[19:20]
	v_mul_f64 v[11:12], v[15:16], -v[11:12]
	v_mul_f64 v[19:20], v[17:18], v[7:8]
	v_fma_f64 v[7:8], v[7:8], s[10:11], 0.5
	v_cmp_class_f64_e64 s[4:5], v[15:16], v4
	s_or_b64 s[8:9], vcc, s[8:9]
	v_mul_f64 v[9:10], v[13:14], -v[9:10]
	v_fma_f64 v[11:12], v[11:12], v[15:16], 1.0
	v_fma_f64 v[7:8], v[19:20], v[7:8], v[17:18]
	v_cmp_class_f64_e64 s[2:3], v[13:14], v4
	v_fma_f64 v[9:10], v[9:10], v[13:14], 1.0
	v_cndmask_b32_e64 v8, v18, v8, s[0:1]
	v_cndmask_b32_e64 v7, v17, v7, s[0:1]
	v_mul_f64 v[19:20], v[13:14], v[9:10]
	v_fma_f64 v[9:10], v[9:10], s[10:11], 0.5
	v_fma_f64 v[9:10], v[19:20], v[9:10], v[13:14]
	v_mul_f64 v[19:20], v[15:16], v[11:12]
	v_fma_f64 v[11:12], v[11:12], s[10:11], 0.5
	v_cndmask_b32_e64 v10, v14, v10, s[2:3]
	v_cndmask_b32_e64 v9, v13, v9, s[2:3]
	v_fma_f64 v[11:12], v[19:20], v[11:12], v[15:16]
	v_cndmask_b32_e64 v12, v16, v12, s[4:5]
	v_cndmask_b32_e64 v11, v15, v11, s[4:5]
	global_store_dwordx4 v[2:3], v[5:8], off offset:-16
	global_store_dwordx4 v[2:3], v[9:12], off
	v_add_co_u32_e32 v2, vcc, s12, v2
	v_addc_co_u32_e32 v3, vcc, 0, v3, vcc
	s_andn2_b64 exec, exec, s[8:9]
	s_cbranch_execnz .LBB299_24
.LBB299_25:
	s_endpgm
	.section	.rodata,"a",@progbits
	.p2align	6, 0x0
	.amdhsa_kernel _ZN2at6native12_GLOBAL__N_125multi_tensor_apply_kernelINS1_18TensorListMetadataILi1EEENS1_14UnaryOpFunctorIdLi1ELi1ELi0EEEJNS0_5RsqrtIdEEEEEvT_T0_DpT1_
		.amdhsa_group_segment_fixed_size 0
		.amdhsa_private_segment_fixed_size 0
		.amdhsa_kernarg_size 3632
		.amdhsa_user_sgpr_count 6
		.amdhsa_user_sgpr_private_segment_buffer 1
		.amdhsa_user_sgpr_dispatch_ptr 0
		.amdhsa_user_sgpr_queue_ptr 0
		.amdhsa_user_sgpr_kernarg_segment_ptr 1
		.amdhsa_user_sgpr_dispatch_id 0
		.amdhsa_user_sgpr_flat_scratch_init 0
		.amdhsa_user_sgpr_private_segment_size 0
		.amdhsa_uses_dynamic_stack 0
		.amdhsa_system_sgpr_private_segment_wavefront_offset 0
		.amdhsa_system_sgpr_workgroup_id_x 1
		.amdhsa_system_sgpr_workgroup_id_y 0
		.amdhsa_system_sgpr_workgroup_id_z 0
		.amdhsa_system_sgpr_workgroup_info 0
		.amdhsa_system_vgpr_workitem_id 0
		.amdhsa_next_free_vgpr 24
		.amdhsa_next_free_sgpr 30
		.amdhsa_reserve_vcc 1
		.amdhsa_reserve_flat_scratch 0
		.amdhsa_float_round_mode_32 0
		.amdhsa_float_round_mode_16_64 0
		.amdhsa_float_denorm_mode_32 3
		.amdhsa_float_denorm_mode_16_64 3
		.amdhsa_dx10_clamp 1
		.amdhsa_ieee_mode 1
		.amdhsa_fp16_overflow 0
		.amdhsa_exception_fp_ieee_invalid_op 0
		.amdhsa_exception_fp_denorm_src 0
		.amdhsa_exception_fp_ieee_div_zero 0
		.amdhsa_exception_fp_ieee_overflow 0
		.amdhsa_exception_fp_ieee_underflow 0
		.amdhsa_exception_fp_ieee_inexact 0
		.amdhsa_exception_int_div_zero 0
	.end_amdhsa_kernel
	.section	.text._ZN2at6native12_GLOBAL__N_125multi_tensor_apply_kernelINS1_18TensorListMetadataILi1EEENS1_14UnaryOpFunctorIdLi1ELi1ELi0EEEJNS0_5RsqrtIdEEEEEvT_T0_DpT1_,"axG",@progbits,_ZN2at6native12_GLOBAL__N_125multi_tensor_apply_kernelINS1_18TensorListMetadataILi1EEENS1_14UnaryOpFunctorIdLi1ELi1ELi0EEEJNS0_5RsqrtIdEEEEEvT_T0_DpT1_,comdat
.Lfunc_end299:
	.size	_ZN2at6native12_GLOBAL__N_125multi_tensor_apply_kernelINS1_18TensorListMetadataILi1EEENS1_14UnaryOpFunctorIdLi1ELi1ELi0EEEJNS0_5RsqrtIdEEEEEvT_T0_DpT1_, .Lfunc_end299-_ZN2at6native12_GLOBAL__N_125multi_tensor_apply_kernelINS1_18TensorListMetadataILi1EEENS1_14UnaryOpFunctorIdLi1ELi1ELi0EEEJNS0_5RsqrtIdEEEEEvT_T0_DpT1_
                                        ; -- End function
	.set _ZN2at6native12_GLOBAL__N_125multi_tensor_apply_kernelINS1_18TensorListMetadataILi1EEENS1_14UnaryOpFunctorIdLi1ELi1ELi0EEEJNS0_5RsqrtIdEEEEEvT_T0_DpT1_.num_vgpr, 24
	.set _ZN2at6native12_GLOBAL__N_125multi_tensor_apply_kernelINS1_18TensorListMetadataILi1EEENS1_14UnaryOpFunctorIdLi1ELi1ELi0EEEJNS0_5RsqrtIdEEEEEvT_T0_DpT1_.num_agpr, 0
	.set _ZN2at6native12_GLOBAL__N_125multi_tensor_apply_kernelINS1_18TensorListMetadataILi1EEENS1_14UnaryOpFunctorIdLi1ELi1ELi0EEEJNS0_5RsqrtIdEEEEEvT_T0_DpT1_.numbered_sgpr, 30
	.set _ZN2at6native12_GLOBAL__N_125multi_tensor_apply_kernelINS1_18TensorListMetadataILi1EEENS1_14UnaryOpFunctorIdLi1ELi1ELi0EEEJNS0_5RsqrtIdEEEEEvT_T0_DpT1_.num_named_barrier, 0
	.set _ZN2at6native12_GLOBAL__N_125multi_tensor_apply_kernelINS1_18TensorListMetadataILi1EEENS1_14UnaryOpFunctorIdLi1ELi1ELi0EEEJNS0_5RsqrtIdEEEEEvT_T0_DpT1_.private_seg_size, 0
	.set _ZN2at6native12_GLOBAL__N_125multi_tensor_apply_kernelINS1_18TensorListMetadataILi1EEENS1_14UnaryOpFunctorIdLi1ELi1ELi0EEEJNS0_5RsqrtIdEEEEEvT_T0_DpT1_.uses_vcc, 1
	.set _ZN2at6native12_GLOBAL__N_125multi_tensor_apply_kernelINS1_18TensorListMetadataILi1EEENS1_14UnaryOpFunctorIdLi1ELi1ELi0EEEJNS0_5RsqrtIdEEEEEvT_T0_DpT1_.uses_flat_scratch, 0
	.set _ZN2at6native12_GLOBAL__N_125multi_tensor_apply_kernelINS1_18TensorListMetadataILi1EEENS1_14UnaryOpFunctorIdLi1ELi1ELi0EEEJNS0_5RsqrtIdEEEEEvT_T0_DpT1_.has_dyn_sized_stack, 0
	.set _ZN2at6native12_GLOBAL__N_125multi_tensor_apply_kernelINS1_18TensorListMetadataILi1EEENS1_14UnaryOpFunctorIdLi1ELi1ELi0EEEJNS0_5RsqrtIdEEEEEvT_T0_DpT1_.has_recursion, 0
	.set _ZN2at6native12_GLOBAL__N_125multi_tensor_apply_kernelINS1_18TensorListMetadataILi1EEENS1_14UnaryOpFunctorIdLi1ELi1ELi0EEEJNS0_5RsqrtIdEEEEEvT_T0_DpT1_.has_indirect_call, 0
	.section	.AMDGPU.csdata,"",@progbits
; Kernel info:
; codeLenInByte = 1524
; TotalNumSgprs: 34
; NumVgprs: 24
; ScratchSize: 0
; MemoryBound: 0
; FloatMode: 240
; IeeeMode: 1
; LDSByteSize: 0 bytes/workgroup (compile time only)
; SGPRBlocks: 4
; VGPRBlocks: 5
; NumSGPRsForWavesPerEU: 34
; NumVGPRsForWavesPerEU: 24
; Occupancy: 10
; WaveLimiterHint : 0
; COMPUTE_PGM_RSRC2:SCRATCH_EN: 0
; COMPUTE_PGM_RSRC2:USER_SGPR: 6
; COMPUTE_PGM_RSRC2:TRAP_HANDLER: 0
; COMPUTE_PGM_RSRC2:TGID_X_EN: 1
; COMPUTE_PGM_RSRC2:TGID_Y_EN: 0
; COMPUTE_PGM_RSRC2:TGID_Z_EN: 0
; COMPUTE_PGM_RSRC2:TIDIG_COMP_CNT: 0
	.section	.text._ZN2at6native12_GLOBAL__N_125multi_tensor_apply_kernelINS1_18TensorListMetadataILi1EEENS1_14UnaryOpFunctorIfLi1ELi1ELi0EEEJNS0_5RsqrtIfEEEEEvT_T0_DpT1_,"axG",@progbits,_ZN2at6native12_GLOBAL__N_125multi_tensor_apply_kernelINS1_18TensorListMetadataILi1EEENS1_14UnaryOpFunctorIfLi1ELi1ELi0EEEJNS0_5RsqrtIfEEEEEvT_T0_DpT1_,comdat
	.globl	_ZN2at6native12_GLOBAL__N_125multi_tensor_apply_kernelINS1_18TensorListMetadataILi1EEENS1_14UnaryOpFunctorIfLi1ELi1ELi0EEEJNS0_5RsqrtIfEEEEEvT_T0_DpT1_ ; -- Begin function _ZN2at6native12_GLOBAL__N_125multi_tensor_apply_kernelINS1_18TensorListMetadataILi1EEENS1_14UnaryOpFunctorIfLi1ELi1ELi0EEEJNS0_5RsqrtIfEEEEEvT_T0_DpT1_
	.p2align	8
	.type	_ZN2at6native12_GLOBAL__N_125multi_tensor_apply_kernelINS1_18TensorListMetadataILi1EEENS1_14UnaryOpFunctorIfLi1ELi1ELi0EEEJNS0_5RsqrtIfEEEEEvT_T0_DpT1_,@function
_ZN2at6native12_GLOBAL__N_125multi_tensor_apply_kernelINS1_18TensorListMetadataILi1EEENS1_14UnaryOpFunctorIfLi1ELi1ELi0EEEJNS0_5RsqrtIfEEEEEvT_T0_DpT1_: ; @_ZN2at6native12_GLOBAL__N_125multi_tensor_apply_kernelINS1_18TensorListMetadataILi1EEENS1_14UnaryOpFunctorIfLi1ELi1ELi0EEEJNS0_5RsqrtIfEEEEEvT_T0_DpT1_
; %bb.0:
	v_mov_b32_e32 v1, s6
	global_load_ubyte v1, v1, s[4:5] offset:1760
	s_add_u32 s0, s4, s6
	s_mul_hi_u32 s1, s6, 3
	s_mul_i32 s6, s6, 3
	s_addc_u32 s2, s5, 0
	s_add_u32 s0, s0, s6
	s_addc_u32 s1, s2, s1
	s_load_dword s0, s[0:1], 0x820
	s_mov_b32 s7, 0
	s_waitcnt vmcnt(0)
	v_readfirstlane_b32 s1, v1
	s_lshl_b32 s1, s1, 3
	s_load_dwordx2 s[2:3], s[4:5], s1 offset:0x370
	s_load_dwordx2 s[10:11], s[4:5], s1 offset:0x0
	s_waitcnt lgkmcnt(0)
	s_ashr_i32 s1, s0, 31
	s_lshl_b64 s[12:13], s[0:1], 18
	s_lshl_b64 s[0:1], s[0:1], 16
	s_and_b32 s6, s10, 15
	s_sub_u32 s14, s2, s0
	s_subb_u32 s15, s3, s1
	s_and_b32 s0, s2, 3
	s_mov_b32 s1, s7
	s_or_b64 s[0:1], s[6:7], s[0:1]
	s_cmp_eq_u64 s[0:1], 0
	s_cbranch_scc1 .LBB300_21
; %bb.1:
	v_cmp_lt_i64_e64 s[0:1], s[14:15], 1
	s_and_b64 vcc, exec, s[0:1]
	s_cbranch_vccnz .LBB300_20
; %bb.2:
	v_mov_b32_e32 v1, 0x10000
	s_load_dword s2, s[4:5], 0xd3c
	v_mov_b32_e32 v2, 0
	v_cmp_lt_i64_e32 vcc, s[14:15], v[1:2]
	s_mov_b64 s[20:21], 0
	s_and_b64 s[0:1], vcc, exec
	v_cmp_lt_u64_e32 vcc, s[14:15], v[1:2]
	s_cselect_b32 s17, s15, 0
	s_cselect_b32 s16, s14, 0x10000
	s_waitcnt lgkmcnt(0)
	s_and_b32 s2, s2, 0xffff
	s_and_b64 s[0:1], vcc, exec
	s_cselect_b32 s19, s15, 0
	s_cselect_b32 s18, s14, 0x10000
	s_lshl_b32 s3, s2, 1
	s_lshl_b32 s24, s2, 2
	s_add_u32 s6, s10, s12
	v_lshlrev_b32_e32 v1, 2, v0
	s_addc_u32 s7, s11, s13
	v_mov_b32_e32 v2, s7
	v_add_co_u32_e32 v1, vcc, s6, v1
	s_mul_i32 s0, s2, 3
	v_addc_co_u32_e32 v2, vcc, 0, v2, vcc
	v_add_co_u32_e32 v5, vcc, s0, v0
	v_addc_co_u32_e64 v6, s[0:1], 0, 0, vcc
	v_add_co_u32_e32 v7, vcc, s3, v0
	v_addc_co_u32_e64 v8, s[0:1], 0, 0, vcc
	v_add_co_u32_e32 v9, vcc, s2, v0
	v_lshlrev_b32_e32 v3, 2, v9
	v_addc_co_u32_e64 v10, s[0:1], 0, 0, vcc
	v_mov_b32_e32 v4, s7
	v_add_co_u32_e32 v3, vcc, s6, v3
	s_lshl_b32 s25, s2, 4
	s_mul_i32 s26, s2, 12
	s_lshl_b32 s27, s2, 3
	v_addc_co_u32_e32 v4, vcc, 0, v4, vcc
	s_mov_b32 s28, 0x800000
	s_branch .LBB300_4
.LBB300_3:                              ;   in Loop: Header=BB300_4 Depth=1
	s_or_b64 exec, exec, s[0:1]
	s_add_u32 s20, s20, s24
	v_add_co_u32_e32 v1, vcc, s25, v1
	s_waitcnt vmcnt(0)
	v_mov_b32_e32 v11, s16
	s_addc_u32 s21, s21, 0
	v_addc_co_u32_e32 v2, vcc, 0, v2, vcc
	v_mov_b32_e32 v12, s17
	v_cmp_lt_i64_e32 vcc, s[20:21], v[11:12]
	v_add_co_u32_e64 v3, s[0:1], s25, v3
	v_addc_co_u32_e64 v4, s[0:1], 0, v4, s[0:1]
	s_cbranch_vccz .LBB300_20
.LBB300_4:                              ; =>This Inner Loop Header: Depth=1
	v_mov_b32_e32 v12, s21
	v_add_co_u32_e32 v11, vcc, s20, v0
	v_addc_co_u32_e32 v12, vcc, 0, v12, vcc
	v_cmp_gt_u64_e32 vcc, s[18:19], v[11:12]
	v_mov_b32_e32 v12, 0
	s_and_saveexec_b64 s[0:1], vcc
	s_cbranch_execz .LBB300_6
; %bb.5:                                ;   in Loop: Header=BB300_4 Depth=1
	global_load_dword v12, v[1:2], off
.LBB300_6:                              ;   in Loop: Header=BB300_4 Depth=1
	s_or_b64 exec, exec, s[0:1]
	v_mov_b32_e32 v11, s21
	v_add_co_u32_e64 v13, s[0:1], s20, v9
	v_addc_co_u32_e64 v14, s[0:1], v10, v11, s[0:1]
	v_cmp_gt_u64_e64 s[0:1], s[18:19], v[13:14]
	v_mov_b32_e32 v11, 0
	v_mov_b32_e32 v13, 0
	s_and_saveexec_b64 s[2:3], s[0:1]
	s_cbranch_execz .LBB300_8
; %bb.7:                                ;   in Loop: Header=BB300_4 Depth=1
	global_load_dword v13, v[3:4], off
.LBB300_8:                              ;   in Loop: Header=BB300_4 Depth=1
	s_or_b64 exec, exec, s[2:3]
	v_mov_b32_e32 v15, s21
	v_add_co_u32_e64 v14, s[2:3], s20, v7
	v_addc_co_u32_e64 v15, s[2:3], v8, v15, s[2:3]
	v_cmp_gt_u64_e64 s[2:3], s[18:19], v[14:15]
	s_and_saveexec_b64 s[8:9], s[2:3]
	s_cbranch_execz .LBB300_10
; %bb.9:                                ;   in Loop: Header=BB300_4 Depth=1
	v_add_co_u32_e64 v14, s[6:7], s27, v1
	v_addc_co_u32_e64 v15, s[6:7], 0, v2, s[6:7]
	global_load_dword v11, v[14:15], off
.LBB300_10:                             ;   in Loop: Header=BB300_4 Depth=1
	s_or_b64 exec, exec, s[8:9]
	v_mov_b32_e32 v15, s21
	v_add_co_u32_e64 v14, s[6:7], s20, v5
	v_addc_co_u32_e64 v15, s[6:7], v6, v15, s[6:7]
	v_cmp_gt_u64_e64 s[6:7], s[18:19], v[14:15]
	v_mov_b32_e32 v14, 0
	s_and_saveexec_b64 s[22:23], s[6:7]
	s_cbranch_execnz .LBB300_15
; %bb.11:                               ;   in Loop: Header=BB300_4 Depth=1
	s_or_b64 exec, exec, s[22:23]
	s_and_saveexec_b64 s[8:9], vcc
	s_cbranch_execnz .LBB300_16
.LBB300_12:                             ;   in Loop: Header=BB300_4 Depth=1
	s_or_b64 exec, exec, s[8:9]
	s_and_saveexec_b64 s[8:9], s[0:1]
	s_cbranch_execnz .LBB300_17
.LBB300_13:                             ;   in Loop: Header=BB300_4 Depth=1
	s_or_b64 exec, exec, s[8:9]
	s_and_saveexec_b64 s[0:1], s[2:3]
	s_cbranch_execnz .LBB300_18
.LBB300_14:                             ;   in Loop: Header=BB300_4 Depth=1
	s_or_b64 exec, exec, s[0:1]
	s_and_saveexec_b64 s[0:1], s[6:7]
	s_cbranch_execz .LBB300_3
	s_branch .LBB300_19
.LBB300_15:                             ;   in Loop: Header=BB300_4 Depth=1
	v_add_co_u32_e64 v14, s[8:9], s26, v1
	v_addc_co_u32_e64 v15, s[8:9], 0, v2, s[8:9]
	global_load_dword v14, v[14:15], off
	s_or_b64 exec, exec, s[22:23]
	s_and_saveexec_b64 s[8:9], vcc
	s_cbranch_execz .LBB300_12
.LBB300_16:                             ;   in Loop: Header=BB300_4 Depth=1
	s_waitcnt vmcnt(0)
	v_mul_f32_e32 v15, 0x4b800000, v12
	v_cmp_gt_f32_e32 vcc, s28, v12
	v_cndmask_b32_e32 v12, v12, v15, vcc
	v_rsq_f32_e32 v12, v12
	v_mul_f32_e32 v15, 0x45800000, v12
	v_cndmask_b32_e32 v12, v12, v15, vcc
	global_store_dword v[1:2], v12, off
	s_or_b64 exec, exec, s[8:9]
	s_and_saveexec_b64 s[8:9], s[0:1]
	s_cbranch_execz .LBB300_13
.LBB300_17:                             ;   in Loop: Header=BB300_4 Depth=1
	s_waitcnt vmcnt(0)
	v_mul_f32_e32 v12, 0x4b800000, v13
	v_cmp_gt_f32_e32 vcc, s28, v13
	v_cndmask_b32_e32 v12, v13, v12, vcc
	v_rsq_f32_e32 v12, v12
	v_mul_f32_e32 v13, 0x45800000, v12
	v_cndmask_b32_e32 v12, v12, v13, vcc
	global_store_dword v[3:4], v12, off
	s_or_b64 exec, exec, s[8:9]
	s_and_saveexec_b64 s[0:1], s[2:3]
	s_cbranch_execz .LBB300_14
.LBB300_18:                             ;   in Loop: Header=BB300_4 Depth=1
	s_waitcnt vmcnt(0)
	v_mul_f32_e32 v12, 0x4b800000, v11
	v_cmp_gt_f32_e32 vcc, s28, v11
	v_cndmask_b32_e32 v11, v11, v12, vcc
	v_rsq_f32_e32 v11, v11
	v_mul_f32_e32 v12, 0x45800000, v11
	v_cndmask_b32_e32 v13, v11, v12, vcc
	v_add_co_u32_e32 v11, vcc, s27, v1
	v_addc_co_u32_e32 v12, vcc, 0, v2, vcc
	global_store_dword v[11:12], v13, off
	s_or_b64 exec, exec, s[0:1]
	s_and_saveexec_b64 s[0:1], s[6:7]
	s_cbranch_execz .LBB300_3
.LBB300_19:                             ;   in Loop: Header=BB300_4 Depth=1
	s_waitcnt vmcnt(0)
	v_mul_f32_e32 v11, 0x4b800000, v14
	v_cmp_gt_f32_e32 vcc, s28, v14
	v_cndmask_b32_e32 v11, v14, v11, vcc
	v_rsq_f32_e32 v11, v11
	v_mul_f32_e32 v12, 0x45800000, v11
	v_cndmask_b32_e32 v13, v11, v12, vcc
	v_add_co_u32_e32 v11, vcc, s26, v1
	v_addc_co_u32_e32 v12, vcc, 0, v2, vcc
	global_store_dword v[11:12], v13, off
	s_branch .LBB300_3
.LBB300_20:
	s_cbranch_execz .LBB300_22
	s_branch .LBB300_25
.LBB300_21:
.LBB300_22:
	v_mov_b32_e32 v1, 0x10000
	v_mov_b32_e32 v2, 0
	v_cmp_lt_i64_e32 vcc, s[14:15], v[1:2]
	v_mov_b32_e32 v2, 0
	s_and_b64 s[0:1], vcc, exec
	s_cselect_b32 s7, s15, 0
	s_cselect_b32 s6, s14, 0x10000
	v_lshlrev_b32_e32 v1, 2, v0
	v_cmp_gt_i64_e32 vcc, s[6:7], v[1:2]
	s_and_saveexec_b64 s[0:1], vcc
	s_cbranch_execz .LBB300_25
; %bb.23:
	s_load_dword s0, s[4:5], 0xd3c
	v_mov_b32_e32 v1, v2
	v_lshlrev_b32_e32 v2, 4, v0
	s_mov_b64 s[8:9], 0
	s_waitcnt lgkmcnt(0)
	s_and_b32 s14, s0, 0xffff
	s_add_u32 s0, s10, s12
	s_addc_u32 s1, s11, s13
	v_mov_b32_e32 v3, s1
	v_add_co_u32_e32 v2, vcc, s0, v2
	v_addc_co_u32_e32 v3, vcc, 0, v3, vcc
	v_add_co_u32_e32 v2, vcc, 8, v2
	v_addc_co_u32_e32 v3, vcc, 0, v3, vcc
	s_lshl_b32 s10, s14, 4
	s_mov_b32 s11, 0x800000
.LBB300_24:                             ; =>This Inner Loop Header: Depth=1
	global_load_dwordx4 v[4:7], v[2:3], off offset:-8
	v_add_co_u32_e32 v0, vcc, s14, v0
	v_addc_co_u32_e32 v1, vcc, 0, v1, vcc
	v_lshlrev_b64 v[8:9], 2, v[0:1]
	v_cmp_le_i64_e32 vcc, s[6:7], v[8:9]
	s_or_b64 s[8:9], vcc, s[8:9]
	s_waitcnt vmcnt(0)
	v_mul_f32_e32 v8, 0x4b800000, v4
	v_mul_f32_e32 v9, 0x4b800000, v5
	v_mul_f32_e32 v10, 0x4b800000, v6
	v_mul_f32_e32 v11, 0x4b800000, v7
	v_cmp_gt_f32_e32 vcc, s11, v4
	v_cmp_gt_f32_e64 s[0:1], s11, v5
	v_cmp_gt_f32_e64 s[2:3], s11, v6
	;; [unrolled: 1-line block ×3, first 2 shown]
	v_cndmask_b32_e32 v4, v4, v8, vcc
	v_cndmask_b32_e64 v5, v5, v9, s[0:1]
	v_cndmask_b32_e64 v6, v6, v10, s[2:3]
	v_cndmask_b32_e64 v7, v7, v11, s[4:5]
	v_rsq_f32_e32 v4, v4
	v_rsq_f32_e32 v5, v5
	;; [unrolled: 1-line block ×4, first 2 shown]
	v_mul_f32_e32 v8, 0x45800000, v4
	v_mul_f32_e32 v9, 0x45800000, v5
	;; [unrolled: 1-line block ×4, first 2 shown]
	v_cndmask_b32_e32 v4, v4, v8, vcc
	v_cndmask_b32_e64 v5, v5, v9, s[0:1]
	v_cndmask_b32_e64 v6, v6, v10, s[2:3]
	;; [unrolled: 1-line block ×3, first 2 shown]
	global_store_dwordx4 v[2:3], v[4:7], off offset:-8
	v_add_co_u32_e32 v2, vcc, s10, v2
	v_addc_co_u32_e32 v3, vcc, 0, v3, vcc
	s_andn2_b64 exec, exec, s[8:9]
	s_cbranch_execnz .LBB300_24
.LBB300_25:
	s_endpgm
	.section	.rodata,"a",@progbits
	.p2align	6, 0x0
	.amdhsa_kernel _ZN2at6native12_GLOBAL__N_125multi_tensor_apply_kernelINS1_18TensorListMetadataILi1EEENS1_14UnaryOpFunctorIfLi1ELi1ELi0EEEJNS0_5RsqrtIfEEEEEvT_T0_DpT1_
		.amdhsa_group_segment_fixed_size 0
		.amdhsa_private_segment_fixed_size 0
		.amdhsa_kernarg_size 3632
		.amdhsa_user_sgpr_count 6
		.amdhsa_user_sgpr_private_segment_buffer 1
		.amdhsa_user_sgpr_dispatch_ptr 0
		.amdhsa_user_sgpr_queue_ptr 0
		.amdhsa_user_sgpr_kernarg_segment_ptr 1
		.amdhsa_user_sgpr_dispatch_id 0
		.amdhsa_user_sgpr_flat_scratch_init 0
		.amdhsa_user_sgpr_private_segment_size 0
		.amdhsa_uses_dynamic_stack 0
		.amdhsa_system_sgpr_private_segment_wavefront_offset 0
		.amdhsa_system_sgpr_workgroup_id_x 1
		.amdhsa_system_sgpr_workgroup_id_y 0
		.amdhsa_system_sgpr_workgroup_id_z 0
		.amdhsa_system_sgpr_workgroup_info 0
		.amdhsa_system_vgpr_workitem_id 0
		.amdhsa_next_free_vgpr 16
		.amdhsa_next_free_sgpr 29
		.amdhsa_reserve_vcc 1
		.amdhsa_reserve_flat_scratch 0
		.amdhsa_float_round_mode_32 0
		.amdhsa_float_round_mode_16_64 0
		.amdhsa_float_denorm_mode_32 3
		.amdhsa_float_denorm_mode_16_64 3
		.amdhsa_dx10_clamp 1
		.amdhsa_ieee_mode 1
		.amdhsa_fp16_overflow 0
		.amdhsa_exception_fp_ieee_invalid_op 0
		.amdhsa_exception_fp_denorm_src 0
		.amdhsa_exception_fp_ieee_div_zero 0
		.amdhsa_exception_fp_ieee_overflow 0
		.amdhsa_exception_fp_ieee_underflow 0
		.amdhsa_exception_fp_ieee_inexact 0
		.amdhsa_exception_int_div_zero 0
	.end_amdhsa_kernel
	.section	.text._ZN2at6native12_GLOBAL__N_125multi_tensor_apply_kernelINS1_18TensorListMetadataILi1EEENS1_14UnaryOpFunctorIfLi1ELi1ELi0EEEJNS0_5RsqrtIfEEEEEvT_T0_DpT1_,"axG",@progbits,_ZN2at6native12_GLOBAL__N_125multi_tensor_apply_kernelINS1_18TensorListMetadataILi1EEENS1_14UnaryOpFunctorIfLi1ELi1ELi0EEEJNS0_5RsqrtIfEEEEEvT_T0_DpT1_,comdat
.Lfunc_end300:
	.size	_ZN2at6native12_GLOBAL__N_125multi_tensor_apply_kernelINS1_18TensorListMetadataILi1EEENS1_14UnaryOpFunctorIfLi1ELi1ELi0EEEJNS0_5RsqrtIfEEEEEvT_T0_DpT1_, .Lfunc_end300-_ZN2at6native12_GLOBAL__N_125multi_tensor_apply_kernelINS1_18TensorListMetadataILi1EEENS1_14UnaryOpFunctorIfLi1ELi1ELi0EEEJNS0_5RsqrtIfEEEEEvT_T0_DpT1_
                                        ; -- End function
	.set _ZN2at6native12_GLOBAL__N_125multi_tensor_apply_kernelINS1_18TensorListMetadataILi1EEENS1_14UnaryOpFunctorIfLi1ELi1ELi0EEEJNS0_5RsqrtIfEEEEEvT_T0_DpT1_.num_vgpr, 16
	.set _ZN2at6native12_GLOBAL__N_125multi_tensor_apply_kernelINS1_18TensorListMetadataILi1EEENS1_14UnaryOpFunctorIfLi1ELi1ELi0EEEJNS0_5RsqrtIfEEEEEvT_T0_DpT1_.num_agpr, 0
	.set _ZN2at6native12_GLOBAL__N_125multi_tensor_apply_kernelINS1_18TensorListMetadataILi1EEENS1_14UnaryOpFunctorIfLi1ELi1ELi0EEEJNS0_5RsqrtIfEEEEEvT_T0_DpT1_.numbered_sgpr, 29
	.set _ZN2at6native12_GLOBAL__N_125multi_tensor_apply_kernelINS1_18TensorListMetadataILi1EEENS1_14UnaryOpFunctorIfLi1ELi1ELi0EEEJNS0_5RsqrtIfEEEEEvT_T0_DpT1_.num_named_barrier, 0
	.set _ZN2at6native12_GLOBAL__N_125multi_tensor_apply_kernelINS1_18TensorListMetadataILi1EEENS1_14UnaryOpFunctorIfLi1ELi1ELi0EEEJNS0_5RsqrtIfEEEEEvT_T0_DpT1_.private_seg_size, 0
	.set _ZN2at6native12_GLOBAL__N_125multi_tensor_apply_kernelINS1_18TensorListMetadataILi1EEENS1_14UnaryOpFunctorIfLi1ELi1ELi0EEEJNS0_5RsqrtIfEEEEEvT_T0_DpT1_.uses_vcc, 1
	.set _ZN2at6native12_GLOBAL__N_125multi_tensor_apply_kernelINS1_18TensorListMetadataILi1EEENS1_14UnaryOpFunctorIfLi1ELi1ELi0EEEJNS0_5RsqrtIfEEEEEvT_T0_DpT1_.uses_flat_scratch, 0
	.set _ZN2at6native12_GLOBAL__N_125multi_tensor_apply_kernelINS1_18TensorListMetadataILi1EEENS1_14UnaryOpFunctorIfLi1ELi1ELi0EEEJNS0_5RsqrtIfEEEEEvT_T0_DpT1_.has_dyn_sized_stack, 0
	.set _ZN2at6native12_GLOBAL__N_125multi_tensor_apply_kernelINS1_18TensorListMetadataILi1EEENS1_14UnaryOpFunctorIfLi1ELi1ELi0EEEJNS0_5RsqrtIfEEEEEvT_T0_DpT1_.has_recursion, 0
	.set _ZN2at6native12_GLOBAL__N_125multi_tensor_apply_kernelINS1_18TensorListMetadataILi1EEENS1_14UnaryOpFunctorIfLi1ELi1ELi0EEEJNS0_5RsqrtIfEEEEEvT_T0_DpT1_.has_indirect_call, 0
	.section	.AMDGPU.csdata,"",@progbits
; Kernel info:
; codeLenInByte = 1264
; TotalNumSgprs: 33
; NumVgprs: 16
; ScratchSize: 0
; MemoryBound: 0
; FloatMode: 240
; IeeeMode: 1
; LDSByteSize: 0 bytes/workgroup (compile time only)
; SGPRBlocks: 4
; VGPRBlocks: 3
; NumSGPRsForWavesPerEU: 33
; NumVGPRsForWavesPerEU: 16
; Occupancy: 10
; WaveLimiterHint : 0
; COMPUTE_PGM_RSRC2:SCRATCH_EN: 0
; COMPUTE_PGM_RSRC2:USER_SGPR: 6
; COMPUTE_PGM_RSRC2:TRAP_HANDLER: 0
; COMPUTE_PGM_RSRC2:TGID_X_EN: 1
; COMPUTE_PGM_RSRC2:TGID_Y_EN: 0
; COMPUTE_PGM_RSRC2:TGID_Z_EN: 0
; COMPUTE_PGM_RSRC2:TIDIG_COMP_CNT: 0
	.section	.text._ZN2at6native12_GLOBAL__N_125multi_tensor_apply_kernelINS1_18TensorListMetadataILi1EEENS1_14UnaryOpFunctorIN3c107complexIdEELi1ELi1ELi0EEEJNS0_5RsqrtIS8_EEEEEvT_T0_DpT1_,"axG",@progbits,_ZN2at6native12_GLOBAL__N_125multi_tensor_apply_kernelINS1_18TensorListMetadataILi1EEENS1_14UnaryOpFunctorIN3c107complexIdEELi1ELi1ELi0EEEJNS0_5RsqrtIS8_EEEEEvT_T0_DpT1_,comdat
	.globl	_ZN2at6native12_GLOBAL__N_125multi_tensor_apply_kernelINS1_18TensorListMetadataILi1EEENS1_14UnaryOpFunctorIN3c107complexIdEELi1ELi1ELi0EEEJNS0_5RsqrtIS8_EEEEEvT_T0_DpT1_ ; -- Begin function _ZN2at6native12_GLOBAL__N_125multi_tensor_apply_kernelINS1_18TensorListMetadataILi1EEENS1_14UnaryOpFunctorIN3c107complexIdEELi1ELi1ELi0EEEJNS0_5RsqrtIS8_EEEEEvT_T0_DpT1_
	.p2align	8
	.type	_ZN2at6native12_GLOBAL__N_125multi_tensor_apply_kernelINS1_18TensorListMetadataILi1EEENS1_14UnaryOpFunctorIN3c107complexIdEELi1ELi1ELi0EEEJNS0_5RsqrtIS8_EEEEEvT_T0_DpT1_,@function
_ZN2at6native12_GLOBAL__N_125multi_tensor_apply_kernelINS1_18TensorListMetadataILi1EEENS1_14UnaryOpFunctorIN3c107complexIdEELi1ELi1ELi0EEEJNS0_5RsqrtIS8_EEEEEvT_T0_DpT1_: ; @_ZN2at6native12_GLOBAL__N_125multi_tensor_apply_kernelINS1_18TensorListMetadataILi1EEENS1_14UnaryOpFunctorIN3c107complexIdEELi1ELi1ELi0EEEJNS0_5RsqrtIS8_EEEEEvT_T0_DpT1_
; %bb.0:
	v_mov_b32_e32 v1, s6
	global_load_ubyte v1, v1, s[4:5] offset:1760
	s_add_u32 s0, s4, s6
	s_mul_hi_u32 s1, s6, 3
	s_mul_i32 s6, s6, 3
	s_addc_u32 s2, s5, 0
	s_add_u32 s0, s0, s6
	s_addc_u32 s1, s2, s1
	s_load_dword s0, s[0:1], 0x820
	s_mov_b32 s7, 0
	s_waitcnt vmcnt(0)
	v_readfirstlane_b32 s1, v1
	s_lshl_b32 s1, s1, 3
	s_load_dwordx2 s[14:15], s[4:5], s1 offset:0x0
	s_load_dwordx2 s[2:3], s[4:5], s1 offset:0x370
	s_waitcnt lgkmcnt(0)
	s_ashr_i32 s1, s0, 31
	s_lshl_b64 s[16:17], s[0:1], 20
	s_add_u32 s33, s14, s16
	s_addc_u32 s48, s15, s17
	s_lshl_b64 s[0:1], s[0:1], 16
	s_and_b32 s6, s33, 63
	s_sub_u32 s18, s2, s0
	s_subb_u32 s19, s3, s1
	s_and_b32 s0, s2, 3
	s_mov_b32 s1, s7
	s_or_b64 s[0:1], s[6:7], s[0:1]
	s_cmp_eq_u64 s[0:1], 0
	s_cbranch_scc1 .LBB301_173
; %bb.1:
	v_cmp_lt_i64_e64 s[0:1], s[18:19], 1
	s_and_b64 vcc, exec, s[0:1]
	s_cbranch_vccnz .LBB301_172
; %bb.2:
	v_mov_b32_e32 v1, 0x10000
	s_load_dword s2, s[4:5], 0xd3c
	v_mov_b32_e32 v2, 0
	v_cmp_lt_i64_e32 vcc, s[18:19], v[1:2]
	v_mov_b32_e32 v24, 0
	s_and_b64 s[0:1], vcc, exec
	v_cmp_lt_u64_e32 vcc, s[18:19], v[1:2]
	s_cselect_b32 s21, s19, 0
	s_cselect_b32 s20, s18, 0x10000
	s_waitcnt lgkmcnt(0)
	s_and_b32 s2, s2, 0xffff
	s_and_b64 s[0:1], vcc, exec
	s_mul_i32 s6, s2, 3
	v_add_co_u32_e32 v28, vcc, s2, v0
	v_lshlrev_b32_e32 v23, 4, v0
	v_addc_co_u32_e64 v29, s[0:1], 0, 0, vcc
	v_add_co_u32_e32 v30, vcc, s6, v0
	v_mad_u64_u32 v[24:25], s[0:1], s2, 48, v[23:24]
	v_addc_co_u32_e64 v31, s[0:1], 0, 0, vcc
	s_cselect_b32 s23, s19, 0
	s_cselect_b32 s22, s18, 0x10000
	s_lshl_b32 s0, s2, 5
	s_lshl_b32 s3, s2, 1
	v_add_co_u32_e32 v1, vcc, s0, v23
	v_addc_co_u32_e64 v33, s[0:1], 0, 0, vcc
	v_add_co_u32_e32 v35, vcc, s3, v0
	s_mov_b32 s26, 0
	s_mov_b32 s28, 0x99fcef32
	;; [unrolled: 1-line block ×4, first 2 shown]
	s_lshl_b32 s49, s2, 2
	s_lshl_b32 s50, s2, 6
	v_or_b32_e32 v24, 8, v24
	v_lshlrev_b32_e32 v32, 4, v28
	v_or_b32_e32 v34, 8, v1
	v_addc_co_u32_e64 v36, s[0:1], 0, 0, vcc
	s_mov_b64 s[24:25], 0
	s_mov_b32 s27, 0x7ff00000
	s_mov_b32 s29, 0x7fda8279
	;; [unrolled: 1-line block ×3, first 2 shown]
	s_movk_i32 s51, 0x204
	s_brev_b32 s35, 8
	v_mov_b32_e32 v37, 0x260
	s_brev_b32 s52, -2
	v_mov_b32_e32 v38, 0x7ff80000
	v_mov_b32_e32 v39, 0x7ff00000
	;; [unrolled: 1-line block ×4, first 2 shown]
	s_branch .LBB301_4
.LBB301_3:                              ;   in Loop: Header=BB301_4 Depth=1
	s_or_b64 exec, exec, s[0:1]
	s_add_u32 s24, s24, s49
	v_mov_b32_e32 v1, s20
	s_addc_u32 s25, s25, 0
	v_mov_b32_e32 v2, s21
	v_cmp_ge_i64_e32 vcc, s[24:25], v[1:2]
	s_add_u32 s33, s33, s50
	s_addc_u32 s48, s48, 0
	s_cbranch_vccnz .LBB301_172
.LBB301_4:                              ; =>This Inner Loop Header: Depth=1
	v_mov_b32_e32 v2, s25
	v_add_co_u32_e32 v1, vcc, s24, v0
	v_addc_co_u32_e32 v2, vcc, 0, v2, vcc
	v_cmp_gt_u64_e64 s[0:1], s[22:23], v[1:2]
	v_mov_b32_e32 v17, 0
	v_mov_b32_e32 v21, 0
	;; [unrolled: 1-line block ×6, first 2 shown]
	s_and_saveexec_b64 s[2:3], s[0:1]
	s_cbranch_execz .LBB301_6
; %bb.5:                                ;   in Loop: Header=BB301_4 Depth=1
	v_mov_b32_e32 v2, s48
	v_add_co_u32_e32 v1, vcc, s33, v23
	v_addc_co_u32_e32 v2, vcc, 0, v2, vcc
	global_load_dwordx4 v[19:22], v[1:2], off
.LBB301_6:                              ;   in Loop: Header=BB301_4 Depth=1
	s_or_b64 exec, exec, s[2:3]
	v_mov_b32_e32 v2, s25
	v_add_co_u32_e32 v1, vcc, s24, v28
	v_addc_co_u32_e32 v2, vcc, v29, v2, vcc
	v_cmp_gt_u64_e64 s[2:3], s[22:23], v[1:2]
	v_mov_b32_e32 v15, 0
	v_mov_b32_e32 v16, 0
	s_and_saveexec_b64 s[6:7], s[2:3]
	s_cbranch_execz .LBB301_8
; %bb.7:                                ;   in Loop: Header=BB301_4 Depth=1
	v_mov_b32_e32 v2, s48
	v_add_co_u32_e32 v1, vcc, s33, v32
	v_addc_co_u32_e32 v2, vcc, 0, v2, vcc
	global_load_dwordx4 v[15:18], v[1:2], off
.LBB301_8:                              ;   in Loop: Header=BB301_4 Depth=1
	s_or_b64 exec, exec, s[6:7]
	v_mov_b32_e32 v2, s25
	v_add_co_u32_e32 v1, vcc, s24, v35
	v_addc_co_u32_e32 v2, vcc, v36, v2, vcc
	v_cmp_gt_u64_e64 s[6:7], s[22:23], v[1:2]
	v_mov_b32_e32 v3, 0
	v_mov_b32_e32 v11, 0
	;; [unrolled: 1-line block ×6, first 2 shown]
	s_and_saveexec_b64 s[8:9], s[6:7]
	s_cbranch_execz .LBB301_10
; %bb.9:                                ;   in Loop: Header=BB301_4 Depth=1
	v_mov_b32_e32 v2, s48
	v_add_co_u32_e32 v1, vcc, s33, v34
	v_addc_co_u32_e32 v2, vcc, v2, v33, vcc
	global_load_dwordx4 v[9:12], v[1:2], off offset:-8
.LBB301_10:                             ;   in Loop: Header=BB301_4 Depth=1
	s_or_b64 exec, exec, s[8:9]
	v_mov_b32_e32 v2, s25
	v_add_co_u32_e32 v1, vcc, s24, v30
	v_addc_co_u32_e32 v2, vcc, v31, v2, vcc
	v_cmp_gt_u64_e64 s[8:9], s[22:23], v[1:2]
	v_mov_b32_e32 v1, 0
	v_mov_b32_e32 v2, 0
	s_and_saveexec_b64 s[10:11], s[8:9]
	s_cbranch_execz .LBB301_12
; %bb.11:                               ;   in Loop: Header=BB301_4 Depth=1
	v_mov_b32_e32 v2, s48
	v_add_co_u32_e32 v1, vcc, s33, v24
	v_addc_co_u32_e32 v2, vcc, v2, v25, vcc
	global_load_dwordx4 v[1:4], v[1:2], off offset:-8
.LBB301_12:                             ;   in Loop: Header=BB301_4 Depth=1
	s_or_b64 exec, exec, s[10:11]
	s_waitcnt vmcnt(0)
	v_cmp_neq_f64_e32 vcc, 0, v[19:20]
	v_cmp_neq_f64_e64 s[10:11], 0, v[21:22]
	v_mov_b32_e32 v13, 0
	v_mov_b32_e32 v14, 0
	s_or_b64 s[10:11], vcc, s[10:11]
	s_and_saveexec_b64 s[36:37], s[10:11]
	s_cbranch_execz .LBB301_41
; %bb.13:                               ;   in Loop: Header=BB301_4 Depth=1
	v_mov_b32_e32 v13, 0
	v_mov_b32_e32 v14, 0x7ff00000
	v_cmp_neq_f64_e64 s[10:11], |v[21:22]|, v[13:14]
	s_and_saveexec_b64 s[38:39], s[10:11]
	s_cbranch_execz .LBB301_40
; %bb.14:                               ;   in Loop: Header=BB301_4 Depth=1
	v_cmp_o_f64_e32 vcc, v[19:20], v[19:20]
                                        ; implicit-def: $vgpr13_vgpr14
	s_and_saveexec_b64 s[10:11], vcc
	s_xor_b64 s[40:41], exec, s[10:11]
	s_cbranch_execz .LBB301_37
; %bb.15:                               ;   in Loop: Header=BB301_4 Depth=1
	v_cmp_neq_f64_e64 s[10:11], |v[19:20]|, s[26:27]
                                        ; implicit-def: $vgpr13_vgpr14
	s_and_saveexec_b64 s[12:13], s[10:11]
	s_xor_b64 s[42:43], exec, s[12:13]
	s_cbranch_execz .LBB301_31
; %bb.16:                               ;   in Loop: Header=BB301_4 Depth=1
	v_max_f64 v[5:6], |v[19:20]|, |v[19:20]|
	v_max_f64 v[7:8], |v[21:22]|, |v[21:22]|
                                        ; implicit-def: $sgpr44_sgpr45
	v_max_f64 v[5:6], v[7:8], v[5:6]
	v_cmp_nle_f64_e64 s[10:11], s[28:29], v[5:6]
	s_and_saveexec_b64 s[12:13], s[10:11]
	s_xor_b64 s[12:13], exec, s[12:13]
	s_cbranch_execz .LBB301_20
; %bb.17:                               ;   in Loop: Header=BB301_4 Depth=1
	v_cmp_le_f64_e64 s[44:45], |v[19:20]|, s[30:31]
	v_cmp_le_f64_e64 s[46:47], |v[21:22]|, s[30:31]
	s_and_b64 s[54:55], s[46:47], s[44:45]
	s_mov_b64 s[44:45], 0
	s_and_saveexec_b64 s[46:47], s[54:55]
	s_cbranch_execz .LBB301_19
; %bb.18:                               ;   in Loop: Header=BB301_4 Depth=1
	v_mul_f64 v[19:20], v[19:20], 4.0
	v_mul_f64 v[21:22], v[21:22], 4.0
	s_mov_b64 s[44:45], exec
.LBB301_19:                             ;   in Loop: Header=BB301_4 Depth=1
	s_or_b64 exec, exec, s[46:47]
.LBB301_20:                             ;   in Loop: Header=BB301_4 Depth=1
	s_andn2_saveexec_b64 s[12:13], s[12:13]
	s_cbranch_execz .LBB301_22
; %bb.21:                               ;   in Loop: Header=BB301_4 Depth=1
	v_ldexp_f64 v[19:20], v[19:20], -2
	v_ldexp_f64 v[21:22], v[21:22], -2
	s_andn2_b64 s[44:45], s[44:45], exec
.LBB301_22:                             ;   in Loop: Header=BB301_4 Depth=1
	s_or_b64 exec, exec, s[12:13]
	v_max_f64 v[5:6], |v[21:22]|, |v[21:22]|
	v_max_f64 v[7:8], |v[19:20]|, |v[19:20]|
	v_cmp_class_f64_e64 s[46:47], v[19:20], s51
	v_cmp_class_f64_e64 s[54:55], v[21:22], s51
	v_cmp_le_f64_e64 s[12:13], 0, v[19:20]
	v_max_f64 v[5:6], v[7:8], v[5:6]
	v_frexp_exp_i32_f64_e32 v42, v[5:6]
	v_sub_u32_e32 v7, 0, v42
	v_ldexp_f64 v[5:6], |v[21:22]|, v7
	v_ldexp_f64 v[7:8], |v[19:20]|, v7
	v_mul_f64 v[5:6], v[5:6], v[5:6]
	v_fma_f64 v[5:6], v[7:8], v[7:8], v[5:6]
	v_rsq_f64_e32 v[7:8], v[5:6]
	v_cmp_eq_f64_e32 vcc, 0, v[5:6]
	v_mul_f64 v[13:14], v[5:6], v[7:8]
	v_mul_f64 v[7:8], v[7:8], 0.5
	v_fma_f64 v[26:27], -v[7:8], v[13:14], 0.5
	v_fma_f64 v[13:14], v[13:14], v[26:27], v[13:14]
	v_fma_f64 v[7:8], v[7:8], v[26:27], v[7:8]
	v_fma_f64 v[26:27], -v[13:14], v[13:14], v[5:6]
	v_fma_f64 v[7:8], v[26:27], v[7:8], v[13:14]
	v_cndmask_b32_e32 v6, v8, v6, vcc
	v_cndmask_b32_e32 v5, v7, v5, vcc
	v_ldexp_f64 v[5:6], v[5:6], v42
	v_cmp_o_f64_e32 vcc, v[21:22], v[21:22]
                                        ; implicit-def: $vgpr7_vgpr8
	v_cndmask_b32_e32 v5, 0, v5, vcc
	v_cndmask_b32_e32 v6, v38, v6, vcc
	s_or_b64 vcc, s[54:55], s[46:47]
	v_cndmask_b32_e32 v14, v6, v39, vcc
	v_cndmask_b32_e64 v13, v5, 0, vcc
                                        ; implicit-def: $vgpr5_vgpr6
	s_and_saveexec_b64 s[46:47], s[12:13]
	s_xor_b64 s[12:13], exec, s[46:47]
	s_cbranch_execz .LBB301_24
; %bb.23:                               ;   in Loop: Header=BB301_4 Depth=1
	v_add_f64 v[5:6], v[19:20], v[13:14]
	v_mul_f64 v[5:6], v[5:6], 0.5
	v_cmp_gt_f64_e32 vcc, s[34:35], v[5:6]
	v_cndmask_b32_e32 v7, 0, v40, vcc
	v_ldexp_f64 v[5:6], v[5:6], v7
	v_rsq_f64_e32 v[7:8], v[5:6]
	v_mul_f64 v[13:14], v[5:6], v[7:8]
	v_mul_f64 v[7:8], v[7:8], 0.5
	v_fma_f64 v[19:20], -v[7:8], v[13:14], 0.5
	v_fma_f64 v[13:14], v[13:14], v[19:20], v[13:14]
	v_fma_f64 v[7:8], v[7:8], v[19:20], v[7:8]
	v_fma_f64 v[19:20], -v[13:14], v[13:14], v[5:6]
	v_fma_f64 v[13:14], v[19:20], v[7:8], v[13:14]
	v_fma_f64 v[19:20], -v[13:14], v[13:14], v[5:6]
	v_fma_f64 v[7:8], v[19:20], v[7:8], v[13:14]
	v_cndmask_b32_e32 v13, 0, v41, vcc
	v_cmp_class_f64_e32 vcc, v[5:6], v37
	v_ldexp_f64 v[7:8], v[7:8], v13
	v_cndmask_b32_e32 v8, v8, v6, vcc
	v_cndmask_b32_e32 v7, v7, v5, vcc
	v_add_f64 v[5:6], v[7:8], v[7:8]
	v_div_scale_f64 v[13:14], s[46:47], v[5:6], v[5:6], v[21:22]
	v_div_scale_f64 v[42:43], vcc, v[21:22], v[5:6], v[21:22]
	v_rcp_f64_e32 v[19:20], v[13:14]
	v_fma_f64 v[26:27], -v[13:14], v[19:20], 1.0
	v_fma_f64 v[19:20], v[19:20], v[26:27], v[19:20]
	v_fma_f64 v[26:27], -v[13:14], v[19:20], 1.0
	v_fma_f64 v[19:20], v[19:20], v[26:27], v[19:20]
	v_mul_f64 v[26:27], v[42:43], v[19:20]
	v_fma_f64 v[13:14], -v[13:14], v[26:27], v[42:43]
	v_div_fmas_f64 v[13:14], v[13:14], v[19:20], v[26:27]
	v_div_fixup_f64 v[5:6], v[13:14], v[5:6], v[21:22]
                                        ; implicit-def: $vgpr13_vgpr14
                                        ; implicit-def: $vgpr19_vgpr20
	s_andn2_saveexec_b64 s[12:13], s[12:13]
	s_cbranch_execz .LBB301_26
	s_branch .LBB301_25
.LBB301_24:                             ;   in Loop: Header=BB301_4 Depth=1
	s_andn2_saveexec_b64 s[12:13], s[12:13]
	s_cbranch_execz .LBB301_26
.LBB301_25:                             ;   in Loop: Header=BB301_4 Depth=1
	v_add_f64 v[5:6], v[13:14], -v[19:20]
	v_mul_f64 v[5:6], v[5:6], 0.5
	v_cmp_gt_f64_e32 vcc, s[34:35], v[5:6]
	v_cndmask_b32_e32 v7, 0, v40, vcc
	v_ldexp_f64 v[5:6], v[5:6], v7
	v_rsq_f64_e32 v[7:8], v[5:6]
	v_mul_f64 v[13:14], v[5:6], v[7:8]
	v_mul_f64 v[7:8], v[7:8], 0.5
	v_fma_f64 v[19:20], -v[7:8], v[13:14], 0.5
	v_fma_f64 v[13:14], v[13:14], v[19:20], v[13:14]
	v_fma_f64 v[7:8], v[7:8], v[19:20], v[7:8]
	v_fma_f64 v[19:20], -v[13:14], v[13:14], v[5:6]
	v_fma_f64 v[13:14], v[19:20], v[7:8], v[13:14]
	v_fma_f64 v[19:20], -v[13:14], v[13:14], v[5:6]
	v_fma_f64 v[7:8], v[19:20], v[7:8], v[13:14]
	v_cndmask_b32_e32 v13, 0, v41, vcc
	v_cmp_class_f64_e32 vcc, v[5:6], v37
	v_and_b32_e32 v14, 0x7fffffff, v22
	v_ldexp_f64 v[7:8], v[7:8], v13
	v_mov_b32_e32 v13, v21
	v_cndmask_b32_e32 v6, v8, v6, vcc
	v_cndmask_b32_e32 v5, v7, v5, vcc
	v_add_f64 v[7:8], v[5:6], v[5:6]
	v_bfi_b32 v6, s52, v6, v22
	v_div_scale_f64 v[19:20], s[46:47], v[7:8], v[7:8], v[13:14]
	v_div_scale_f64 v[13:14], vcc, v[13:14], v[7:8], v[13:14]
	v_rcp_f64_e32 v[26:27], v[19:20]
	v_fma_f64 v[42:43], -v[19:20], v[26:27], 1.0
	v_fma_f64 v[26:27], v[26:27], v[42:43], v[26:27]
	v_fma_f64 v[42:43], -v[19:20], v[26:27], 1.0
	v_fma_f64 v[26:27], v[26:27], v[42:43], v[26:27]
	v_mul_f64 v[42:43], v[13:14], v[26:27]
	v_fma_f64 v[13:14], -v[19:20], v[42:43], v[13:14]
	v_div_fmas_f64 v[13:14], v[13:14], v[26:27], v[42:43]
	v_div_fixup_f64 v[7:8], v[13:14], v[7:8], |v[21:22]|
.LBB301_26:                             ;   in Loop: Header=BB301_4 Depth=1
	s_or_b64 exec, exec, s[12:13]
                                        ; implicit-def: $vgpr21_vgpr22
                                        ; implicit-def: $vgpr13_vgpr14
	s_and_saveexec_b64 s[12:13], s[10:11]
	s_xor_b64 s[10:11], exec, s[12:13]
	s_cbranch_execz .LBB301_28
; %bb.27:                               ;   in Loop: Header=BB301_4 Depth=1
	v_mul_f64 v[13:14], v[7:8], 0.5
	v_mul_f64 v[19:20], v[5:6], 0.5
	v_cndmask_b32_e64 v14, v8, v14, s[44:45]
	v_cndmask_b32_e64 v13, v7, v13, s[44:45]
	;; [unrolled: 1-line block ×4, first 2 shown]
                                        ; implicit-def: $vgpr7_vgpr8
                                        ; implicit-def: $vgpr5_vgpr6
	s_andn2_saveexec_b64 s[10:11], s[10:11]
	s_cbranch_execnz .LBB301_29
	s_branch .LBB301_30
.LBB301_28:                             ;   in Loop: Header=BB301_4 Depth=1
	s_andn2_saveexec_b64 s[10:11], s[10:11]
	s_cbranch_execz .LBB301_30
.LBB301_29:                             ;   in Loop: Header=BB301_4 Depth=1
	v_add_f64 v[13:14], v[7:8], v[7:8]
	v_add_f64 v[21:22], v[5:6], v[5:6]
.LBB301_30:                             ;   in Loop: Header=BB301_4 Depth=1
	s_or_b64 exec, exec, s[10:11]
.LBB301_31:                             ;   in Loop: Header=BB301_4 Depth=1
	s_andn2_saveexec_b64 s[10:11], s[42:43]
	s_cbranch_execz .LBB301_61
; %bb.32:                               ;   in Loop: Header=BB301_4 Depth=1
	v_add_f64 v[5:6], v[21:22], -v[21:22]
	v_cmp_lt_i64_e32 vcc, -1, v[19:20]
	v_and_b32_e32 v14, 0x7fffffff, v6
	v_mov_b32_e32 v13, v5
	s_and_saveexec_b64 s[12:13], vcc
	s_xor_b64 s[12:13], exec, s[12:13]
; %bb.33:                               ;   in Loop: Header=BB301_4 Depth=1
	v_bfi_b32 v6, s52, v6, v22
	v_mov_b32_e32 v22, v6
	v_mov_b32_e32 v13, v19
	v_mov_b32_e32 v21, v5
	v_mov_b32_e32 v14, v20
; %bb.34:                               ;   in Loop: Header=BB301_4 Depth=1
	s_andn2_saveexec_b64 s[12:13], s[12:13]
; %bb.35:                               ;   in Loop: Header=BB301_4 Depth=1
	v_bfi_b32 v20, s52, v20, v22
	v_mov_b32_e32 v22, v20
	v_mov_b32_e32 v21, v19
; %bb.36:                               ;   in Loop: Header=BB301_4 Depth=1
	s_or_b64 exec, exec, s[12:13]
	s_or_b64 exec, exec, s[10:11]
.LBB301_37:                             ;   in Loop: Header=BB301_4 Depth=1
	s_andn2_saveexec_b64 s[10:11], s[40:41]
	s_cbranch_execz .LBB301_39
.LBB301_38:                             ;   in Loop: Header=BB301_4 Depth=1
	v_add_f64 v[5:6], v[21:22], -v[21:22]
	v_div_scale_f64 v[7:8], vcc, v[5:6], v[5:6], v[5:6]
	v_rcp_f64_e32 v[13:14], v[7:8]
	v_fma_f64 v[21:22], -v[7:8], v[13:14], 1.0
	v_fma_f64 v[13:14], v[13:14], v[21:22], v[13:14]
	v_fma_f64 v[21:22], -v[7:8], v[13:14], 1.0
	v_fma_f64 v[13:14], v[13:14], v[21:22], v[13:14]
	v_mul_f64 v[21:22], v[7:8], v[13:14]
	v_fma_f64 v[7:8], -v[7:8], v[21:22], v[7:8]
	v_div_fmas_f64 v[7:8], v[7:8], v[13:14], v[21:22]
	v_mov_b32_e32 v13, v19
	v_mov_b32_e32 v14, v20
	v_div_fixup_f64 v[21:22], v[7:8], v[5:6], v[5:6]
.LBB301_39:                             ;   in Loop: Header=BB301_4 Depth=1
	s_or_b64 exec, exec, s[10:11]
.LBB301_40:                             ;   in Loop: Header=BB301_4 Depth=1
	s_or_b64 exec, exec, s[38:39]
.LBB301_41:                             ;   in Loop: Header=BB301_4 Depth=1
	s_or_b64 exec, exec, s[36:37]
	v_cmp_gt_f64_e32 vcc, 0, v[13:14]
	v_xor_b32_e32 v5, 0x80000000, v14
	v_mov_b32_e32 v19, v13
	v_mov_b32_e32 v26, v21
	v_cndmask_b32_e32 v20, v14, v5, vcc
	v_cmp_gt_f64_e32 vcc, 0, v[21:22]
	v_xor_b32_e32 v5, 0x80000000, v22
	v_cndmask_b32_e32 v27, v22, v5, vcc
	v_cmp_ge_f64_e32 vcc, v[19:20], v[26:27]
                                        ; implicit-def: $vgpr7_vgpr8
	s_and_saveexec_b64 s[10:11], vcc
	s_xor_b64 s[12:13], exec, s[10:11]
	s_cbranch_execz .LBB301_47
; %bb.42:                               ;   in Loop: Header=BB301_4 Depth=1
	v_cmp_neq_f64_e32 vcc, 0, v[13:14]
	v_cmp_neq_f64_e64 s[10:11], 0, v[21:22]
                                        ; implicit-def: $vgpr7_vgpr8
	s_or_b64 s[10:11], vcc, s[10:11]
	s_and_saveexec_b64 s[36:37], s[10:11]
	s_xor_b64 s[10:11], exec, s[36:37]
	s_cbranch_execz .LBB301_44
; %bb.43:                               ;   in Loop: Header=BB301_4 Depth=1
	v_div_scale_f64 v[5:6], s[36:37], v[13:14], v[13:14], v[21:22]
	v_rcp_f64_e32 v[7:8], v[5:6]
	v_fma_f64 v[19:20], -v[5:6], v[7:8], 1.0
	v_fma_f64 v[7:8], v[7:8], v[19:20], v[7:8]
	v_div_scale_f64 v[19:20], vcc, v[21:22], v[13:14], v[21:22]
	v_fma_f64 v[26:27], -v[5:6], v[7:8], 1.0
	v_fma_f64 v[7:8], v[7:8], v[26:27], v[7:8]
	v_mul_f64 v[26:27], v[19:20], v[7:8]
	v_fma_f64 v[5:6], -v[5:6], v[26:27], v[19:20]
	v_div_fmas_f64 v[5:6], v[5:6], v[7:8], v[26:27]
	v_div_fixup_f64 v[5:6], v[5:6], v[13:14], v[21:22]
	v_fma_f64 v[7:8], v[21:22], v[5:6], v[13:14]
	v_div_scale_f64 v[13:14], s[36:37], v[7:8], v[7:8], 1.0
	v_rcp_f64_e32 v[19:20], v[13:14]
	v_fma_f64 v[21:22], -v[13:14], v[19:20], 1.0
	v_fma_f64 v[19:20], v[19:20], v[21:22], v[19:20]
	v_div_scale_f64 v[21:22], vcc, 1.0, v[7:8], 1.0
	v_fma_f64 v[26:27], -v[13:14], v[19:20], 1.0
	v_fma_f64 v[19:20], v[19:20], v[26:27], v[19:20]
	v_mul_f64 v[26:27], v[21:22], v[19:20]
	v_fma_f64 v[13:14], -v[13:14], v[26:27], v[21:22]
	v_div_fmas_f64 v[13:14], v[13:14], v[19:20], v[26:27]
	v_fma_f64 v[19:20], v[5:6], 0, 1.0
                                        ; implicit-def: $vgpr26_vgpr27
	v_div_fixup_f64 v[7:8], v[13:14], v[7:8], 1.0
	v_add_f64 v[13:14], -v[5:6], 0
	v_mul_f64 v[5:6], v[19:20], v[7:8]
	v_mul_f64 v[7:8], v[13:14], v[7:8]
                                        ; implicit-def: $vgpr19_vgpr20
.LBB301_44:                             ;   in Loop: Header=BB301_4 Depth=1
	s_andn2_saveexec_b64 s[36:37], s[10:11]
	s_cbranch_execz .LBB301_46
; %bb.45:                               ;   in Loop: Header=BB301_4 Depth=1
	v_div_scale_f64 v[5:6], s[10:11], v[19:20], v[19:20], 1.0
	v_div_scale_f64 v[7:8], s[10:11], v[26:27], v[26:27], 0
	v_div_scale_f64 v[46:47], s[10:11], 0, v[26:27], 0
	v_rcp_f64_e32 v[13:14], v[5:6]
	v_rcp_f64_e32 v[21:22], v[7:8]
	v_fma_f64 v[42:43], -v[5:6], v[13:14], 1.0
	v_fma_f64 v[44:45], -v[7:8], v[21:22], 1.0
	v_fma_f64 v[13:14], v[13:14], v[42:43], v[13:14]
	v_div_scale_f64 v[42:43], vcc, 1.0, v[19:20], 1.0
	v_fma_f64 v[21:22], v[21:22], v[44:45], v[21:22]
	v_fma_f64 v[44:45], -v[5:6], v[13:14], 1.0
	v_fma_f64 v[48:49], -v[7:8], v[21:22], 1.0
	v_fma_f64 v[13:14], v[13:14], v[44:45], v[13:14]
	v_fma_f64 v[21:22], v[21:22], v[48:49], v[21:22]
	v_mul_f64 v[44:45], v[42:43], v[13:14]
	v_mul_f64 v[48:49], v[46:47], v[21:22]
	v_fma_f64 v[5:6], -v[5:6], v[44:45], v[42:43]
	v_fma_f64 v[7:8], -v[7:8], v[48:49], v[46:47]
	v_div_fmas_f64 v[5:6], v[5:6], v[13:14], v[44:45]
	s_mov_b64 vcc, s[10:11]
	v_div_fmas_f64 v[7:8], v[7:8], v[21:22], v[48:49]
	v_div_fixup_f64 v[5:6], v[5:6], v[19:20], 1.0
	v_div_fixup_f64 v[7:8], v[7:8], v[26:27], 0
.LBB301_46:                             ;   in Loop: Header=BB301_4 Depth=1
	s_or_b64 exec, exec, s[36:37]
                                        ; implicit-def: $vgpr21_vgpr22
                                        ; implicit-def: $vgpr13_vgpr14
.LBB301_47:                             ;   in Loop: Header=BB301_4 Depth=1
	s_andn2_saveexec_b64 s[10:11], s[12:13]
	s_cbranch_execz .LBB301_49
; %bb.48:                               ;   in Loop: Header=BB301_4 Depth=1
	v_div_scale_f64 v[5:6], s[12:13], v[21:22], v[21:22], v[13:14]
	v_rcp_f64_e32 v[7:8], v[5:6]
	v_fma_f64 v[19:20], -v[5:6], v[7:8], 1.0
	v_fma_f64 v[7:8], v[7:8], v[19:20], v[7:8]
	v_div_scale_f64 v[19:20], vcc, v[13:14], v[21:22], v[13:14]
	v_fma_f64 v[26:27], -v[5:6], v[7:8], 1.0
	v_fma_f64 v[7:8], v[7:8], v[26:27], v[7:8]
	v_mul_f64 v[26:27], v[19:20], v[7:8]
	v_fma_f64 v[5:6], -v[5:6], v[26:27], v[19:20]
	v_div_fmas_f64 v[5:6], v[5:6], v[7:8], v[26:27]
	v_div_fixup_f64 v[5:6], v[5:6], v[21:22], v[13:14]
	v_fma_f64 v[7:8], v[13:14], v[5:6], v[21:22]
	v_div_scale_f64 v[13:14], s[12:13], v[7:8], v[7:8], 1.0
	v_rcp_f64_e32 v[19:20], v[13:14]
	v_fma_f64 v[21:22], -v[13:14], v[19:20], 1.0
	v_fma_f64 v[19:20], v[19:20], v[21:22], v[19:20]
	v_div_scale_f64 v[21:22], vcc, 1.0, v[7:8], 1.0
	v_fma_f64 v[26:27], -v[13:14], v[19:20], 1.0
	v_fma_f64 v[19:20], v[19:20], v[26:27], v[19:20]
	v_mul_f64 v[26:27], v[21:22], v[19:20]
	v_fma_f64 v[13:14], -v[13:14], v[26:27], v[21:22]
	v_div_fmas_f64 v[13:14], v[13:14], v[19:20], v[26:27]
	v_add_f64 v[19:20], v[5:6], 0
	v_div_fixup_f64 v[7:8], v[13:14], v[7:8], 1.0
	v_fma_f64 v[13:14], v[5:6], 0, -1.0
	v_mul_f64 v[5:6], v[19:20], v[7:8]
	v_mul_f64 v[7:8], v[13:14], v[7:8]
.LBB301_49:                             ;   in Loop: Header=BB301_4 Depth=1
	s_or_b64 exec, exec, s[10:11]
	v_cmp_neq_f64_e32 vcc, 0, v[15:16]
	v_cmp_neq_f64_e64 s[10:11], 0, v[17:18]
	v_mov_b32_e32 v19, 0
	v_mov_b32_e32 v20, 0
	s_or_b64 s[10:11], vcc, s[10:11]
	s_and_saveexec_b64 s[36:37], s[10:11]
	s_cbranch_execz .LBB301_80
; %bb.50:                               ;   in Loop: Header=BB301_4 Depth=1
	v_mov_b32_e32 v19, 0
	v_mov_b32_e32 v20, 0x7ff00000
	v_cmp_neq_f64_e64 s[10:11], |v[17:18]|, v[19:20]
	s_and_saveexec_b64 s[38:39], s[10:11]
	s_cbranch_execz .LBB301_79
; %bb.51:                               ;   in Loop: Header=BB301_4 Depth=1
	v_cmp_o_f64_e32 vcc, v[15:16], v[15:16]
                                        ; implicit-def: $vgpr19_vgpr20
	s_and_saveexec_b64 s[10:11], vcc
	s_xor_b64 s[40:41], exec, s[10:11]
	s_cbranch_execz .LBB301_76
; %bb.52:                               ;   in Loop: Header=BB301_4 Depth=1
	v_cmp_neq_f64_e64 s[10:11], |v[15:16]|, s[26:27]
                                        ; implicit-def: $vgpr19_vgpr20
	s_and_saveexec_b64 s[12:13], s[10:11]
	s_xor_b64 s[42:43], exec, s[12:13]
	s_cbranch_execz .LBB301_69
; %bb.53:                               ;   in Loop: Header=BB301_4 Depth=1
	v_max_f64 v[13:14], |v[15:16]|, |v[15:16]|
	v_max_f64 v[19:20], |v[17:18]|, |v[17:18]|
                                        ; implicit-def: $sgpr44_sgpr45
	v_max_f64 v[13:14], v[19:20], v[13:14]
	v_cmp_nle_f64_e64 s[10:11], s[28:29], v[13:14]
	s_and_saveexec_b64 s[12:13], s[10:11]
	s_xor_b64 s[12:13], exec, s[12:13]
	s_cbranch_execz .LBB301_57
; %bb.54:                               ;   in Loop: Header=BB301_4 Depth=1
	v_cmp_le_f64_e64 s[44:45], |v[15:16]|, s[30:31]
	v_cmp_le_f64_e64 s[46:47], |v[17:18]|, s[30:31]
	s_and_b64 s[54:55], s[46:47], s[44:45]
	s_mov_b64 s[44:45], 0
	s_and_saveexec_b64 s[46:47], s[54:55]
	s_cbranch_execz .LBB301_56
; %bb.55:                               ;   in Loop: Header=BB301_4 Depth=1
	v_mul_f64 v[15:16], v[15:16], 4.0
	v_mul_f64 v[17:18], v[17:18], 4.0
	s_mov_b64 s[44:45], exec
.LBB301_56:                             ;   in Loop: Header=BB301_4 Depth=1
	s_or_b64 exec, exec, s[46:47]
.LBB301_57:                             ;   in Loop: Header=BB301_4 Depth=1
	s_andn2_saveexec_b64 s[12:13], s[12:13]
	s_cbranch_execz .LBB301_59
; %bb.58:                               ;   in Loop: Header=BB301_4 Depth=1
	v_ldexp_f64 v[15:16], v[15:16], -2
	v_ldexp_f64 v[17:18], v[17:18], -2
	s_andn2_b64 s[44:45], s[44:45], exec
.LBB301_59:                             ;   in Loop: Header=BB301_4 Depth=1
	s_or_b64 exec, exec, s[12:13]
	v_max_f64 v[13:14], |v[17:18]|, |v[17:18]|
	v_max_f64 v[19:20], |v[15:16]|, |v[15:16]|
	v_cmp_class_f64_e64 s[46:47], v[15:16], s51
	v_cmp_class_f64_e64 s[54:55], v[17:18], s51
	v_cmp_le_f64_e64 s[12:13], 0, v[15:16]
	v_max_f64 v[13:14], v[19:20], v[13:14]
	v_frexp_exp_i32_f64_e32 v42, v[13:14]
	v_sub_u32_e32 v19, 0, v42
	v_ldexp_f64 v[13:14], |v[17:18]|, v19
	v_ldexp_f64 v[19:20], |v[15:16]|, v19
	v_mul_f64 v[13:14], v[13:14], v[13:14]
	v_fma_f64 v[13:14], v[19:20], v[19:20], v[13:14]
	v_rsq_f64_e32 v[19:20], v[13:14]
	v_cmp_eq_f64_e32 vcc, 0, v[13:14]
	v_mul_f64 v[21:22], v[13:14], v[19:20]
	v_mul_f64 v[19:20], v[19:20], 0.5
	v_fma_f64 v[26:27], -v[19:20], v[21:22], 0.5
	v_fma_f64 v[21:22], v[21:22], v[26:27], v[21:22]
	v_fma_f64 v[19:20], v[19:20], v[26:27], v[19:20]
	v_fma_f64 v[26:27], -v[21:22], v[21:22], v[13:14]
	v_fma_f64 v[19:20], v[26:27], v[19:20], v[21:22]
                                        ; implicit-def: $vgpr21_vgpr22
	v_cndmask_b32_e32 v14, v20, v14, vcc
	v_cndmask_b32_e32 v13, v19, v13, vcc
	v_ldexp_f64 v[13:14], v[13:14], v42
	v_cmp_o_f64_e32 vcc, v[17:18], v[17:18]
	v_cndmask_b32_e32 v13, 0, v13, vcc
	v_cndmask_b32_e32 v14, v38, v14, vcc
	s_or_b64 vcc, s[54:55], s[46:47]
	v_cndmask_b32_e32 v20, v14, v39, vcc
	v_cndmask_b32_e64 v19, v13, 0, vcc
                                        ; implicit-def: $vgpr13_vgpr14
	s_and_saveexec_b64 s[46:47], s[12:13]
	s_xor_b64 s[12:13], exec, s[46:47]
	s_cbranch_execz .LBB301_62
; %bb.60:                               ;   in Loop: Header=BB301_4 Depth=1
	v_add_f64 v[13:14], v[15:16], v[19:20]
	v_mul_f64 v[13:14], v[13:14], 0.5
	v_cmp_gt_f64_e32 vcc, s[34:35], v[13:14]
	v_cndmask_b32_e32 v15, 0, v40, vcc
	v_ldexp_f64 v[13:14], v[13:14], v15
	v_rsq_f64_e32 v[15:16], v[13:14]
	v_mul_f64 v[19:20], v[13:14], v[15:16]
	v_mul_f64 v[15:16], v[15:16], 0.5
	v_fma_f64 v[21:22], -v[15:16], v[19:20], 0.5
	v_fma_f64 v[19:20], v[19:20], v[21:22], v[19:20]
	v_fma_f64 v[15:16], v[15:16], v[21:22], v[15:16]
	v_fma_f64 v[21:22], -v[19:20], v[19:20], v[13:14]
	v_fma_f64 v[19:20], v[21:22], v[15:16], v[19:20]
	v_fma_f64 v[21:22], -v[19:20], v[19:20], v[13:14]
	v_fma_f64 v[15:16], v[21:22], v[15:16], v[19:20]
	v_cndmask_b32_e32 v19, 0, v41, vcc
	v_cmp_class_f64_e32 vcc, v[13:14], v37
	v_ldexp_f64 v[15:16], v[15:16], v19
	v_cndmask_b32_e32 v22, v16, v14, vcc
	v_cndmask_b32_e32 v21, v15, v13, vcc
	v_add_f64 v[13:14], v[21:22], v[21:22]
	v_div_scale_f64 v[15:16], s[46:47], v[13:14], v[13:14], v[17:18]
	v_div_scale_f64 v[42:43], vcc, v[17:18], v[13:14], v[17:18]
	v_rcp_f64_e32 v[19:20], v[15:16]
	v_fma_f64 v[26:27], -v[15:16], v[19:20], 1.0
	v_fma_f64 v[19:20], v[19:20], v[26:27], v[19:20]
	v_fma_f64 v[26:27], -v[15:16], v[19:20], 1.0
	v_fma_f64 v[19:20], v[19:20], v[26:27], v[19:20]
	v_mul_f64 v[26:27], v[42:43], v[19:20]
	v_fma_f64 v[15:16], -v[15:16], v[26:27], v[42:43]
	v_div_fmas_f64 v[15:16], v[15:16], v[19:20], v[26:27]
                                        ; implicit-def: $vgpr19_vgpr20
	v_div_fixup_f64 v[13:14], v[15:16], v[13:14], v[17:18]
                                        ; implicit-def: $vgpr15_vgpr16
	s_andn2_saveexec_b64 s[12:13], s[12:13]
	s_cbranch_execz .LBB301_64
	s_branch .LBB301_63
.LBB301_61:                             ;   in Loop: Header=BB301_4 Depth=1
	s_or_b64 exec, exec, s[10:11]
	s_andn2_saveexec_b64 s[10:11], s[40:41]
	s_cbranch_execnz .LBB301_38
	s_branch .LBB301_39
.LBB301_62:                             ;   in Loop: Header=BB301_4 Depth=1
	s_andn2_saveexec_b64 s[12:13], s[12:13]
	s_cbranch_execz .LBB301_64
.LBB301_63:                             ;   in Loop: Header=BB301_4 Depth=1
	v_add_f64 v[13:14], v[19:20], -v[15:16]
	v_mul_f64 v[13:14], v[13:14], 0.5
	v_cmp_gt_f64_e32 vcc, s[34:35], v[13:14]
	v_cndmask_b32_e32 v15, 0, v40, vcc
	v_ldexp_f64 v[13:14], v[13:14], v15
	v_rsq_f64_e32 v[15:16], v[13:14]
	v_mul_f64 v[19:20], v[13:14], v[15:16]
	v_mul_f64 v[15:16], v[15:16], 0.5
	v_fma_f64 v[21:22], -v[15:16], v[19:20], 0.5
	v_fma_f64 v[19:20], v[19:20], v[21:22], v[19:20]
	v_fma_f64 v[15:16], v[15:16], v[21:22], v[15:16]
	v_fma_f64 v[21:22], -v[19:20], v[19:20], v[13:14]
	v_fma_f64 v[19:20], v[21:22], v[15:16], v[19:20]
	v_fma_f64 v[21:22], -v[19:20], v[19:20], v[13:14]
	v_fma_f64 v[15:16], v[21:22], v[15:16], v[19:20]
	v_cndmask_b32_e32 v19, 0, v41, vcc
	v_cmp_class_f64_e32 vcc, v[13:14], v37
	v_and_b32_e32 v20, 0x7fffffff, v18
	v_ldexp_f64 v[15:16], v[15:16], v19
	v_mov_b32_e32 v19, v17
	v_cndmask_b32_e32 v14, v16, v14, vcc
	v_cndmask_b32_e32 v13, v15, v13, vcc
	v_add_f64 v[15:16], v[13:14], v[13:14]
	v_bfi_b32 v14, s52, v14, v18
	v_div_scale_f64 v[21:22], s[46:47], v[15:16], v[15:16], v[19:20]
	v_div_scale_f64 v[19:20], vcc, v[19:20], v[15:16], v[19:20]
	v_rcp_f64_e32 v[26:27], v[21:22]
	v_fma_f64 v[42:43], -v[21:22], v[26:27], 1.0
	v_fma_f64 v[26:27], v[26:27], v[42:43], v[26:27]
	v_fma_f64 v[42:43], -v[21:22], v[26:27], 1.0
	v_fma_f64 v[26:27], v[26:27], v[42:43], v[26:27]
	v_mul_f64 v[42:43], v[19:20], v[26:27]
	v_fma_f64 v[19:20], -v[21:22], v[42:43], v[19:20]
	v_div_fmas_f64 v[19:20], v[19:20], v[26:27], v[42:43]
	v_div_fixup_f64 v[21:22], v[19:20], v[15:16], |v[17:18]|
.LBB301_64:                             ;   in Loop: Header=BB301_4 Depth=1
	s_or_b64 exec, exec, s[12:13]
                                        ; implicit-def: $vgpr17_vgpr18
                                        ; implicit-def: $vgpr19_vgpr20
	s_and_saveexec_b64 s[12:13], s[10:11]
	s_xor_b64 s[10:11], exec, s[12:13]
	s_cbranch_execz .LBB301_66
; %bb.65:                               ;   in Loop: Header=BB301_4 Depth=1
	v_mul_f64 v[15:16], v[21:22], 0.5
	v_mul_f64 v[17:18], v[13:14], 0.5
	v_cndmask_b32_e64 v20, v22, v16, s[44:45]
	v_cndmask_b32_e64 v19, v21, v15, s[44:45]
	;; [unrolled: 1-line block ×4, first 2 shown]
                                        ; implicit-def: $vgpr21_vgpr22
                                        ; implicit-def: $vgpr13_vgpr14
	s_andn2_saveexec_b64 s[10:11], s[10:11]
	s_cbranch_execnz .LBB301_67
	s_branch .LBB301_68
.LBB301_66:                             ;   in Loop: Header=BB301_4 Depth=1
	s_andn2_saveexec_b64 s[10:11], s[10:11]
	s_cbranch_execz .LBB301_68
.LBB301_67:                             ;   in Loop: Header=BB301_4 Depth=1
	v_add_f64 v[19:20], v[21:22], v[21:22]
	v_add_f64 v[17:18], v[13:14], v[13:14]
.LBB301_68:                             ;   in Loop: Header=BB301_4 Depth=1
	s_or_b64 exec, exec, s[10:11]
.LBB301_69:                             ;   in Loop: Header=BB301_4 Depth=1
	s_andn2_saveexec_b64 s[10:11], s[42:43]
	s_cbranch_execz .LBB301_75
; %bb.70:                               ;   in Loop: Header=BB301_4 Depth=1
	v_add_f64 v[13:14], v[17:18], -v[17:18]
	v_cmp_lt_i64_e32 vcc, -1, v[15:16]
	v_and_b32_e32 v20, 0x7fffffff, v14
	v_mov_b32_e32 v19, v13
	s_and_saveexec_b64 s[12:13], vcc
	s_xor_b64 s[12:13], exec, s[12:13]
; %bb.71:                               ;   in Loop: Header=BB301_4 Depth=1
	v_bfi_b32 v14, s52, v14, v18
	v_mov_b32_e32 v18, v14
	v_mov_b32_e32 v20, v16
	;; [unrolled: 1-line block ×4, first 2 shown]
; %bb.72:                               ;   in Loop: Header=BB301_4 Depth=1
	s_andn2_saveexec_b64 s[12:13], s[12:13]
; %bb.73:                               ;   in Loop: Header=BB301_4 Depth=1
	v_bfi_b32 v16, s52, v16, v18
	v_mov_b32_e32 v18, v16
	v_mov_b32_e32 v17, v15
; %bb.74:                               ;   in Loop: Header=BB301_4 Depth=1
	s_or_b64 exec, exec, s[12:13]
.LBB301_75:                             ;   in Loop: Header=BB301_4 Depth=1
	s_or_b64 exec, exec, s[10:11]
.LBB301_76:                             ;   in Loop: Header=BB301_4 Depth=1
	s_andn2_saveexec_b64 s[10:11], s[40:41]
	s_cbranch_execz .LBB301_78
; %bb.77:                               ;   in Loop: Header=BB301_4 Depth=1
	v_add_f64 v[13:14], v[17:18], -v[17:18]
	v_div_scale_f64 v[17:18], vcc, v[13:14], v[13:14], v[13:14]
	v_rcp_f64_e32 v[19:20], v[17:18]
	v_fma_f64 v[21:22], -v[17:18], v[19:20], 1.0
	v_fma_f64 v[19:20], v[19:20], v[21:22], v[19:20]
	v_fma_f64 v[21:22], -v[17:18], v[19:20], 1.0
	v_fma_f64 v[19:20], v[19:20], v[21:22], v[19:20]
	v_mul_f64 v[21:22], v[17:18], v[19:20]
	v_fma_f64 v[17:18], -v[17:18], v[21:22], v[17:18]
	v_div_fmas_f64 v[17:18], v[17:18], v[19:20], v[21:22]
	v_mov_b32_e32 v20, v16
	v_mov_b32_e32 v19, v15
	v_div_fixup_f64 v[17:18], v[17:18], v[13:14], v[13:14]
.LBB301_78:                             ;   in Loop: Header=BB301_4 Depth=1
	s_or_b64 exec, exec, s[10:11]
.LBB301_79:                             ;   in Loop: Header=BB301_4 Depth=1
	s_or_b64 exec, exec, s[38:39]
.LBB301_80:                             ;   in Loop: Header=BB301_4 Depth=1
	s_or_b64 exec, exec, s[36:37]
	v_cmp_gt_f64_e32 vcc, 0, v[19:20]
	v_xor_b32_e32 v13, 0x80000000, v20
	v_mov_b32_e32 v21, v19
	v_mov_b32_e32 v26, v17
	v_cndmask_b32_e32 v22, v20, v13, vcc
	v_cmp_gt_f64_e32 vcc, 0, v[17:18]
	v_xor_b32_e32 v13, 0x80000000, v18
	v_cndmask_b32_e32 v27, v18, v13, vcc
	v_cmp_ge_f64_e32 vcc, v[21:22], v[26:27]
                                        ; implicit-def: $vgpr15_vgpr16
	s_and_saveexec_b64 s[10:11], vcc
	s_xor_b64 s[12:13], exec, s[10:11]
	s_cbranch_execz .LBB301_86
; %bb.81:                               ;   in Loop: Header=BB301_4 Depth=1
	v_cmp_neq_f64_e32 vcc, 0, v[19:20]
	v_cmp_neq_f64_e64 s[10:11], 0, v[17:18]
                                        ; implicit-def: $vgpr15_vgpr16
	s_or_b64 s[10:11], vcc, s[10:11]
	s_and_saveexec_b64 s[36:37], s[10:11]
	s_xor_b64 s[10:11], exec, s[36:37]
	s_cbranch_execz .LBB301_83
; %bb.82:                               ;   in Loop: Header=BB301_4 Depth=1
	v_div_scale_f64 v[13:14], s[36:37], v[19:20], v[19:20], v[17:18]
	v_rcp_f64_e32 v[15:16], v[13:14]
	v_fma_f64 v[21:22], -v[13:14], v[15:16], 1.0
	v_fma_f64 v[15:16], v[15:16], v[21:22], v[15:16]
	v_div_scale_f64 v[21:22], vcc, v[17:18], v[19:20], v[17:18]
	v_fma_f64 v[26:27], -v[13:14], v[15:16], 1.0
	v_fma_f64 v[15:16], v[15:16], v[26:27], v[15:16]
	v_mul_f64 v[26:27], v[21:22], v[15:16]
	v_fma_f64 v[13:14], -v[13:14], v[26:27], v[21:22]
	v_div_fmas_f64 v[13:14], v[13:14], v[15:16], v[26:27]
	v_div_fixup_f64 v[13:14], v[13:14], v[19:20], v[17:18]
	v_fma_f64 v[15:16], v[17:18], v[13:14], v[19:20]
	v_div_scale_f64 v[17:18], s[36:37], v[15:16], v[15:16], 1.0
	v_rcp_f64_e32 v[19:20], v[17:18]
	v_fma_f64 v[21:22], -v[17:18], v[19:20], 1.0
	v_fma_f64 v[19:20], v[19:20], v[21:22], v[19:20]
	v_div_scale_f64 v[21:22], vcc, 1.0, v[15:16], 1.0
	v_fma_f64 v[26:27], -v[17:18], v[19:20], 1.0
	v_fma_f64 v[19:20], v[19:20], v[26:27], v[19:20]
	v_mul_f64 v[26:27], v[21:22], v[19:20]
	v_fma_f64 v[17:18], -v[17:18], v[26:27], v[21:22]
                                        ; implicit-def: $vgpr21_vgpr22
	v_div_fmas_f64 v[17:18], v[17:18], v[19:20], v[26:27]
	v_fma_f64 v[19:20], v[13:14], 0, 1.0
                                        ; implicit-def: $vgpr26_vgpr27
	v_div_fixup_f64 v[15:16], v[17:18], v[15:16], 1.0
	v_add_f64 v[17:18], -v[13:14], 0
	v_mul_f64 v[13:14], v[19:20], v[15:16]
	v_mul_f64 v[15:16], v[17:18], v[15:16]
.LBB301_83:                             ;   in Loop: Header=BB301_4 Depth=1
	s_andn2_saveexec_b64 s[36:37], s[10:11]
	s_cbranch_execz .LBB301_85
; %bb.84:                               ;   in Loop: Header=BB301_4 Depth=1
	v_div_scale_f64 v[13:14], s[10:11], v[21:22], v[21:22], 1.0
	v_div_scale_f64 v[15:16], s[10:11], v[26:27], v[26:27], 0
	v_div_scale_f64 v[46:47], s[10:11], 0, v[26:27], 0
	v_rcp_f64_e32 v[17:18], v[13:14]
	v_rcp_f64_e32 v[19:20], v[15:16]
	v_fma_f64 v[42:43], -v[13:14], v[17:18], 1.0
	v_fma_f64 v[44:45], -v[15:16], v[19:20], 1.0
	v_fma_f64 v[17:18], v[17:18], v[42:43], v[17:18]
	v_div_scale_f64 v[42:43], vcc, 1.0, v[21:22], 1.0
	v_fma_f64 v[19:20], v[19:20], v[44:45], v[19:20]
	v_fma_f64 v[44:45], -v[13:14], v[17:18], 1.0
	v_fma_f64 v[48:49], -v[15:16], v[19:20], 1.0
	v_fma_f64 v[17:18], v[17:18], v[44:45], v[17:18]
	v_fma_f64 v[19:20], v[19:20], v[48:49], v[19:20]
	v_mul_f64 v[44:45], v[42:43], v[17:18]
	v_mul_f64 v[48:49], v[46:47], v[19:20]
	v_fma_f64 v[13:14], -v[13:14], v[44:45], v[42:43]
	v_fma_f64 v[15:16], -v[15:16], v[48:49], v[46:47]
	v_div_fmas_f64 v[13:14], v[13:14], v[17:18], v[44:45]
	s_mov_b64 vcc, s[10:11]
	v_div_fmas_f64 v[15:16], v[15:16], v[19:20], v[48:49]
	v_div_fixup_f64 v[13:14], v[13:14], v[21:22], 1.0
	v_div_fixup_f64 v[15:16], v[15:16], v[26:27], 0
.LBB301_85:                             ;   in Loop: Header=BB301_4 Depth=1
	s_or_b64 exec, exec, s[36:37]
                                        ; implicit-def: $vgpr17_vgpr18
                                        ; implicit-def: $vgpr19_vgpr20
.LBB301_86:                             ;   in Loop: Header=BB301_4 Depth=1
	s_andn2_saveexec_b64 s[10:11], s[12:13]
	s_cbranch_execz .LBB301_88
; %bb.87:                               ;   in Loop: Header=BB301_4 Depth=1
	v_div_scale_f64 v[13:14], s[12:13], v[17:18], v[17:18], v[19:20]
	v_rcp_f64_e32 v[15:16], v[13:14]
	v_fma_f64 v[21:22], -v[13:14], v[15:16], 1.0
	v_fma_f64 v[15:16], v[15:16], v[21:22], v[15:16]
	v_div_scale_f64 v[21:22], vcc, v[19:20], v[17:18], v[19:20]
	v_fma_f64 v[26:27], -v[13:14], v[15:16], 1.0
	v_fma_f64 v[15:16], v[15:16], v[26:27], v[15:16]
	v_mul_f64 v[26:27], v[21:22], v[15:16]
	v_fma_f64 v[13:14], -v[13:14], v[26:27], v[21:22]
	v_div_fmas_f64 v[13:14], v[13:14], v[15:16], v[26:27]
	v_div_fixup_f64 v[13:14], v[13:14], v[17:18], v[19:20]
	v_fma_f64 v[15:16], v[19:20], v[13:14], v[17:18]
	v_div_scale_f64 v[17:18], s[12:13], v[15:16], v[15:16], 1.0
	v_rcp_f64_e32 v[19:20], v[17:18]
	v_fma_f64 v[21:22], -v[17:18], v[19:20], 1.0
	v_fma_f64 v[19:20], v[19:20], v[21:22], v[19:20]
	v_div_scale_f64 v[21:22], vcc, 1.0, v[15:16], 1.0
	v_fma_f64 v[26:27], -v[17:18], v[19:20], 1.0
	v_fma_f64 v[19:20], v[19:20], v[26:27], v[19:20]
	v_mul_f64 v[26:27], v[21:22], v[19:20]
	v_fma_f64 v[17:18], -v[17:18], v[26:27], v[21:22]
	v_div_fmas_f64 v[17:18], v[17:18], v[19:20], v[26:27]
	v_add_f64 v[19:20], v[13:14], 0
	v_div_fixup_f64 v[15:16], v[17:18], v[15:16], 1.0
	v_fma_f64 v[17:18], v[13:14], 0, -1.0
	v_mul_f64 v[13:14], v[19:20], v[15:16]
	v_mul_f64 v[15:16], v[17:18], v[15:16]
.LBB301_88:                             ;   in Loop: Header=BB301_4 Depth=1
	s_or_b64 exec, exec, s[10:11]
	v_cmp_neq_f64_e32 vcc, 0, v[9:10]
	v_cmp_neq_f64_e64 s[10:11], 0, v[11:12]
	v_mov_b32_e32 v21, 0
	v_mov_b32_e32 v22, 0
	s_or_b64 s[10:11], vcc, s[10:11]
	s_and_saveexec_b64 s[36:37], s[10:11]
	s_cbranch_execz .LBB301_118
; %bb.89:                               ;   in Loop: Header=BB301_4 Depth=1
	v_mov_b32_e32 v21, 0
	v_mov_b32_e32 v22, 0x7ff00000
	v_cmp_neq_f64_e64 s[10:11], |v[11:12]|, v[21:22]
	s_and_saveexec_b64 s[38:39], s[10:11]
	s_cbranch_execz .LBB301_117
; %bb.90:                               ;   in Loop: Header=BB301_4 Depth=1
	v_cmp_o_f64_e32 vcc, v[9:10], v[9:10]
                                        ; implicit-def: $vgpr21_vgpr22
	s_and_saveexec_b64 s[10:11], vcc
	s_xor_b64 s[40:41], exec, s[10:11]
	s_cbranch_execz .LBB301_114
; %bb.91:                               ;   in Loop: Header=BB301_4 Depth=1
	v_cmp_neq_f64_e64 s[10:11], |v[9:10]|, s[26:27]
                                        ; implicit-def: $vgpr21_vgpr22
	s_and_saveexec_b64 s[12:13], s[10:11]
	s_xor_b64 s[42:43], exec, s[12:13]
	s_cbranch_execz .LBB301_107
; %bb.92:                               ;   in Loop: Header=BB301_4 Depth=1
	v_max_f64 v[17:18], |v[9:10]|, |v[9:10]|
	v_max_f64 v[19:20], |v[11:12]|, |v[11:12]|
                                        ; implicit-def: $sgpr44_sgpr45
	v_max_f64 v[17:18], v[19:20], v[17:18]
	v_cmp_nle_f64_e64 s[10:11], s[28:29], v[17:18]
	s_and_saveexec_b64 s[12:13], s[10:11]
	s_xor_b64 s[12:13], exec, s[12:13]
	s_cbranch_execz .LBB301_96
; %bb.93:                               ;   in Loop: Header=BB301_4 Depth=1
	v_cmp_le_f64_e64 s[44:45], |v[9:10]|, s[30:31]
	v_cmp_le_f64_e64 s[46:47], |v[11:12]|, s[30:31]
	s_and_b64 s[54:55], s[46:47], s[44:45]
	s_mov_b64 s[44:45], 0
	s_and_saveexec_b64 s[46:47], s[54:55]
	s_cbranch_execz .LBB301_95
; %bb.94:                               ;   in Loop: Header=BB301_4 Depth=1
	v_mul_f64 v[9:10], v[9:10], 4.0
	v_mul_f64 v[11:12], v[11:12], 4.0
	s_mov_b64 s[44:45], exec
.LBB301_95:                             ;   in Loop: Header=BB301_4 Depth=1
	s_or_b64 exec, exec, s[46:47]
.LBB301_96:                             ;   in Loop: Header=BB301_4 Depth=1
	s_andn2_saveexec_b64 s[12:13], s[12:13]
	s_cbranch_execz .LBB301_98
; %bb.97:                               ;   in Loop: Header=BB301_4 Depth=1
	v_ldexp_f64 v[9:10], v[9:10], -2
	v_ldexp_f64 v[11:12], v[11:12], -2
	s_andn2_b64 s[44:45], s[44:45], exec
.LBB301_98:                             ;   in Loop: Header=BB301_4 Depth=1
	s_or_b64 exec, exec, s[12:13]
	v_max_f64 v[17:18], |v[11:12]|, |v[11:12]|
	v_max_f64 v[19:20], |v[9:10]|, |v[9:10]|
	v_cmp_class_f64_e64 s[46:47], v[9:10], s51
	v_cmp_class_f64_e64 s[54:55], v[11:12], s51
	v_cmp_le_f64_e64 s[12:13], 0, v[9:10]
	v_max_f64 v[17:18], v[19:20], v[17:18]
	v_frexp_exp_i32_f64_e32 v42, v[17:18]
	v_sub_u32_e32 v19, 0, v42
	v_ldexp_f64 v[17:18], |v[11:12]|, v19
	v_ldexp_f64 v[19:20], |v[9:10]|, v19
	v_mul_f64 v[17:18], v[17:18], v[17:18]
	v_fma_f64 v[17:18], v[19:20], v[19:20], v[17:18]
	v_rsq_f64_e32 v[19:20], v[17:18]
	v_cmp_eq_f64_e32 vcc, 0, v[17:18]
	v_mul_f64 v[21:22], v[17:18], v[19:20]
	v_mul_f64 v[19:20], v[19:20], 0.5
	v_fma_f64 v[26:27], -v[19:20], v[21:22], 0.5
	v_fma_f64 v[21:22], v[21:22], v[26:27], v[21:22]
	v_fma_f64 v[19:20], v[19:20], v[26:27], v[19:20]
	v_fma_f64 v[26:27], -v[21:22], v[21:22], v[17:18]
	v_fma_f64 v[19:20], v[26:27], v[19:20], v[21:22]
	v_cndmask_b32_e32 v18, v20, v18, vcc
	v_cndmask_b32_e32 v17, v19, v17, vcc
	v_ldexp_f64 v[17:18], v[17:18], v42
	v_cmp_o_f64_e32 vcc, v[11:12], v[11:12]
                                        ; implicit-def: $vgpr19_vgpr20
	v_cndmask_b32_e32 v17, 0, v17, vcc
	v_cndmask_b32_e32 v18, v38, v18, vcc
	s_or_b64 vcc, s[54:55], s[46:47]
	v_cndmask_b32_e32 v22, v18, v39, vcc
	v_cndmask_b32_e64 v21, v17, 0, vcc
                                        ; implicit-def: $vgpr17_vgpr18
	s_and_saveexec_b64 s[46:47], s[12:13]
	s_xor_b64 s[12:13], exec, s[46:47]
	s_cbranch_execz .LBB301_100
; %bb.99:                               ;   in Loop: Header=BB301_4 Depth=1
	v_add_f64 v[9:10], v[9:10], v[21:22]
	v_mul_f64 v[9:10], v[9:10], 0.5
	v_cmp_gt_f64_e32 vcc, s[34:35], v[9:10]
	v_cndmask_b32_e32 v17, 0, v40, vcc
	v_ldexp_f64 v[9:10], v[9:10], v17
	v_rsq_f64_e32 v[17:18], v[9:10]
	v_mul_f64 v[19:20], v[9:10], v[17:18]
	v_mul_f64 v[17:18], v[17:18], 0.5
	v_fma_f64 v[21:22], -v[17:18], v[19:20], 0.5
	v_fma_f64 v[19:20], v[19:20], v[21:22], v[19:20]
	v_fma_f64 v[17:18], v[17:18], v[21:22], v[17:18]
	v_fma_f64 v[21:22], -v[19:20], v[19:20], v[9:10]
	v_fma_f64 v[19:20], v[21:22], v[17:18], v[19:20]
	v_fma_f64 v[21:22], -v[19:20], v[19:20], v[9:10]
	v_fma_f64 v[17:18], v[21:22], v[17:18], v[19:20]
	v_cndmask_b32_e32 v19, 0, v41, vcc
	v_cmp_class_f64_e32 vcc, v[9:10], v37
	v_ldexp_f64 v[17:18], v[17:18], v19
	v_cndmask_b32_e32 v20, v18, v10, vcc
	v_cndmask_b32_e32 v19, v17, v9, vcc
	v_add_f64 v[9:10], v[19:20], v[19:20]
	v_div_scale_f64 v[17:18], s[46:47], v[9:10], v[9:10], v[11:12]
	v_div_scale_f64 v[42:43], vcc, v[11:12], v[9:10], v[11:12]
	v_rcp_f64_e32 v[21:22], v[17:18]
	v_fma_f64 v[26:27], -v[17:18], v[21:22], 1.0
	v_fma_f64 v[21:22], v[21:22], v[26:27], v[21:22]
	v_fma_f64 v[26:27], -v[17:18], v[21:22], 1.0
	v_fma_f64 v[21:22], v[21:22], v[26:27], v[21:22]
	v_mul_f64 v[26:27], v[42:43], v[21:22]
	v_fma_f64 v[17:18], -v[17:18], v[26:27], v[42:43]
	v_div_fmas_f64 v[17:18], v[17:18], v[21:22], v[26:27]
                                        ; implicit-def: $vgpr21_vgpr22
	v_div_fixup_f64 v[17:18], v[17:18], v[9:10], v[11:12]
                                        ; implicit-def: $vgpr9_vgpr10
	s_andn2_saveexec_b64 s[12:13], s[12:13]
	s_cbranch_execz .LBB301_102
	s_branch .LBB301_101
.LBB301_100:                            ;   in Loop: Header=BB301_4 Depth=1
	s_andn2_saveexec_b64 s[12:13], s[12:13]
	s_cbranch_execz .LBB301_102
.LBB301_101:                            ;   in Loop: Header=BB301_4 Depth=1
	v_add_f64 v[9:10], v[21:22], -v[9:10]
	v_mul_f64 v[9:10], v[9:10], 0.5
	v_cmp_gt_f64_e32 vcc, s[34:35], v[9:10]
	v_cndmask_b32_e32 v17, 0, v40, vcc
	v_ldexp_f64 v[9:10], v[9:10], v17
	v_rsq_f64_e32 v[17:18], v[9:10]
	v_mul_f64 v[19:20], v[9:10], v[17:18]
	v_mul_f64 v[17:18], v[17:18], 0.5
	v_fma_f64 v[21:22], -v[17:18], v[19:20], 0.5
	v_fma_f64 v[19:20], v[19:20], v[21:22], v[19:20]
	v_fma_f64 v[17:18], v[17:18], v[21:22], v[17:18]
	v_fma_f64 v[21:22], -v[19:20], v[19:20], v[9:10]
	v_fma_f64 v[19:20], v[21:22], v[17:18], v[19:20]
	v_fma_f64 v[21:22], -v[19:20], v[19:20], v[9:10]
	v_fma_f64 v[17:18], v[21:22], v[17:18], v[19:20]
	v_cndmask_b32_e32 v19, 0, v41, vcc
	v_cmp_class_f64_e32 vcc, v[9:10], v37
	v_and_b32_e32 v20, 0x7fffffff, v12
	v_ldexp_f64 v[17:18], v[17:18], v19
	v_mov_b32_e32 v19, v11
	v_cndmask_b32_e32 v18, v18, v10, vcc
	v_cndmask_b32_e32 v17, v17, v9, vcc
	v_add_f64 v[9:10], v[17:18], v[17:18]
	v_bfi_b32 v18, s52, v18, v12
	v_div_scale_f64 v[21:22], s[46:47], v[9:10], v[9:10], v[19:20]
	v_div_scale_f64 v[19:20], vcc, v[19:20], v[9:10], v[19:20]
	v_rcp_f64_e32 v[26:27], v[21:22]
	v_fma_f64 v[42:43], -v[21:22], v[26:27], 1.0
	v_fma_f64 v[26:27], v[26:27], v[42:43], v[26:27]
	v_fma_f64 v[42:43], -v[21:22], v[26:27], 1.0
	v_fma_f64 v[26:27], v[26:27], v[42:43], v[26:27]
	v_mul_f64 v[42:43], v[19:20], v[26:27]
	v_fma_f64 v[19:20], -v[21:22], v[42:43], v[19:20]
	v_div_fmas_f64 v[19:20], v[19:20], v[26:27], v[42:43]
	v_div_fixup_f64 v[19:20], v[19:20], v[9:10], |v[11:12]|
.LBB301_102:                            ;   in Loop: Header=BB301_4 Depth=1
	s_or_b64 exec, exec, s[12:13]
                                        ; implicit-def: $vgpr11_vgpr12
                                        ; implicit-def: $vgpr21_vgpr22
	s_and_saveexec_b64 s[12:13], s[10:11]
	s_xor_b64 s[10:11], exec, s[12:13]
	s_cbranch_execz .LBB301_104
; %bb.103:                              ;   in Loop: Header=BB301_4 Depth=1
	v_mul_f64 v[9:10], v[19:20], 0.5
	v_mul_f64 v[11:12], v[17:18], 0.5
	v_cndmask_b32_e64 v22, v20, v10, s[44:45]
	v_cndmask_b32_e64 v21, v19, v9, s[44:45]
	;; [unrolled: 1-line block ×4, first 2 shown]
                                        ; implicit-def: $vgpr19_vgpr20
                                        ; implicit-def: $vgpr17_vgpr18
	s_andn2_saveexec_b64 s[10:11], s[10:11]
	s_cbranch_execnz .LBB301_105
	s_branch .LBB301_106
.LBB301_104:                            ;   in Loop: Header=BB301_4 Depth=1
	s_andn2_saveexec_b64 s[10:11], s[10:11]
	s_cbranch_execz .LBB301_106
.LBB301_105:                            ;   in Loop: Header=BB301_4 Depth=1
	v_add_f64 v[21:22], v[19:20], v[19:20]
	v_add_f64 v[11:12], v[17:18], v[17:18]
.LBB301_106:                            ;   in Loop: Header=BB301_4 Depth=1
	s_or_b64 exec, exec, s[10:11]
.LBB301_107:                            ;   in Loop: Header=BB301_4 Depth=1
	s_andn2_saveexec_b64 s[10:11], s[42:43]
	s_cbranch_execz .LBB301_113
; %bb.108:                              ;   in Loop: Header=BB301_4 Depth=1
	v_add_f64 v[17:18], v[11:12], -v[11:12]
	v_cmp_lt_i64_e32 vcc, -1, v[9:10]
	v_and_b32_e32 v22, 0x7fffffff, v18
	v_mov_b32_e32 v21, v17
	s_and_saveexec_b64 s[12:13], vcc
	s_xor_b64 s[12:13], exec, s[12:13]
; %bb.109:                              ;   in Loop: Header=BB301_4 Depth=1
	v_bfi_b32 v18, s52, v18, v12
	v_mov_b32_e32 v11, v17
	v_mov_b32_e32 v22, v10
	;; [unrolled: 1-line block ×4, first 2 shown]
; %bb.110:                              ;   in Loop: Header=BB301_4 Depth=1
	s_andn2_saveexec_b64 s[12:13], s[12:13]
; %bb.111:                              ;   in Loop: Header=BB301_4 Depth=1
	v_bfi_b32 v10, s52, v10, v12
	v_mov_b32_e32 v12, v10
	v_mov_b32_e32 v11, v9
; %bb.112:                              ;   in Loop: Header=BB301_4 Depth=1
	s_or_b64 exec, exec, s[12:13]
.LBB301_113:                            ;   in Loop: Header=BB301_4 Depth=1
	s_or_b64 exec, exec, s[10:11]
.LBB301_114:                            ;   in Loop: Header=BB301_4 Depth=1
	s_andn2_saveexec_b64 s[10:11], s[40:41]
	s_cbranch_execz .LBB301_116
; %bb.115:                              ;   in Loop: Header=BB301_4 Depth=1
	v_add_f64 v[11:12], v[11:12], -v[11:12]
	v_div_scale_f64 v[17:18], vcc, v[11:12], v[11:12], v[11:12]
	v_rcp_f64_e32 v[19:20], v[17:18]
	v_fma_f64 v[21:22], -v[17:18], v[19:20], 1.0
	v_fma_f64 v[19:20], v[19:20], v[21:22], v[19:20]
	v_fma_f64 v[21:22], -v[17:18], v[19:20], 1.0
	v_fma_f64 v[19:20], v[19:20], v[21:22], v[19:20]
	v_mul_f64 v[21:22], v[17:18], v[19:20]
	v_fma_f64 v[17:18], -v[17:18], v[21:22], v[17:18]
	v_div_fmas_f64 v[17:18], v[17:18], v[19:20], v[21:22]
	v_mov_b32_e32 v22, v10
	v_mov_b32_e32 v21, v9
	v_div_fixup_f64 v[11:12], v[17:18], v[11:12], v[11:12]
.LBB301_116:                            ;   in Loop: Header=BB301_4 Depth=1
	s_or_b64 exec, exec, s[10:11]
.LBB301_117:                            ;   in Loop: Header=BB301_4 Depth=1
	s_or_b64 exec, exec, s[38:39]
.LBB301_118:                            ;   in Loop: Header=BB301_4 Depth=1
	s_or_b64 exec, exec, s[36:37]
	v_cmp_gt_f64_e32 vcc, 0, v[21:22]
	v_xor_b32_e32 v9, 0x80000000, v22
	v_xor_b32_e32 v17, 0x80000000, v12
	v_mov_b32_e32 v26, v11
	v_cndmask_b32_e32 v10, v22, v9, vcc
	v_cmp_gt_f64_e32 vcc, 0, v[11:12]
	v_mov_b32_e32 v9, v21
	v_cndmask_b32_e32 v27, v12, v17, vcc
	v_cmp_ge_f64_e32 vcc, v[9:10], v[26:27]
                                        ; implicit-def: $vgpr19_vgpr20
	s_and_saveexec_b64 s[10:11], vcc
	s_xor_b64 s[12:13], exec, s[10:11]
	s_cbranch_execz .LBB301_124
; %bb.119:                              ;   in Loop: Header=BB301_4 Depth=1
	v_cmp_neq_f64_e32 vcc, 0, v[21:22]
	v_cmp_neq_f64_e64 s[10:11], 0, v[11:12]
                                        ; implicit-def: $vgpr19_vgpr20
	s_or_b64 s[10:11], vcc, s[10:11]
	s_and_saveexec_b64 s[36:37], s[10:11]
	s_xor_b64 s[10:11], exec, s[36:37]
	s_cbranch_execz .LBB301_121
; %bb.120:                              ;   in Loop: Header=BB301_4 Depth=1
	v_div_scale_f64 v[9:10], s[36:37], v[21:22], v[21:22], v[11:12]
	v_rcp_f64_e32 v[17:18], v[9:10]
	v_fma_f64 v[19:20], -v[9:10], v[17:18], 1.0
	v_fma_f64 v[17:18], v[17:18], v[19:20], v[17:18]
	v_div_scale_f64 v[19:20], vcc, v[11:12], v[21:22], v[11:12]
	v_fma_f64 v[26:27], -v[9:10], v[17:18], 1.0
	v_fma_f64 v[17:18], v[17:18], v[26:27], v[17:18]
	v_mul_f64 v[26:27], v[19:20], v[17:18]
	v_fma_f64 v[9:10], -v[9:10], v[26:27], v[19:20]
	v_div_fmas_f64 v[9:10], v[9:10], v[17:18], v[26:27]
	v_div_fixup_f64 v[9:10], v[9:10], v[21:22], v[11:12]
	v_fma_f64 v[11:12], v[11:12], v[9:10], v[21:22]
	v_div_scale_f64 v[17:18], s[36:37], v[11:12], v[11:12], 1.0
	v_rcp_f64_e32 v[19:20], v[17:18]
	v_fma_f64 v[21:22], -v[17:18], v[19:20], 1.0
	v_fma_f64 v[19:20], v[19:20], v[21:22], v[19:20]
	v_div_scale_f64 v[21:22], vcc, 1.0, v[11:12], 1.0
	v_fma_f64 v[26:27], -v[17:18], v[19:20], 1.0
	v_fma_f64 v[19:20], v[19:20], v[26:27], v[19:20]
	v_mul_f64 v[26:27], v[21:22], v[19:20]
	v_fma_f64 v[17:18], -v[17:18], v[26:27], v[21:22]
	v_div_fmas_f64 v[17:18], v[17:18], v[19:20], v[26:27]
	v_fma_f64 v[19:20], v[9:10], 0, 1.0
	v_add_f64 v[9:10], -v[9:10], 0
                                        ; implicit-def: $vgpr26_vgpr27
	v_div_fixup_f64 v[11:12], v[17:18], v[11:12], 1.0
	v_mul_f64 v[17:18], v[19:20], v[11:12]
	v_mul_f64 v[19:20], v[9:10], v[11:12]
                                        ; implicit-def: $vgpr9_vgpr10
.LBB301_121:                            ;   in Loop: Header=BB301_4 Depth=1
	s_andn2_saveexec_b64 s[36:37], s[10:11]
	s_cbranch_execz .LBB301_123
; %bb.122:                              ;   in Loop: Header=BB301_4 Depth=1
	v_div_scale_f64 v[11:12], s[10:11], v[9:10], v[9:10], 1.0
	v_div_scale_f64 v[17:18], s[10:11], v[26:27], v[26:27], 0
	v_div_scale_f64 v[46:47], s[10:11], 0, v[26:27], 0
	v_rcp_f64_e32 v[19:20], v[11:12]
	v_rcp_f64_e32 v[21:22], v[17:18]
	v_fma_f64 v[42:43], -v[11:12], v[19:20], 1.0
	v_fma_f64 v[44:45], -v[17:18], v[21:22], 1.0
	v_fma_f64 v[19:20], v[19:20], v[42:43], v[19:20]
	v_div_scale_f64 v[42:43], vcc, 1.0, v[9:10], 1.0
	v_fma_f64 v[21:22], v[21:22], v[44:45], v[21:22]
	v_fma_f64 v[44:45], -v[11:12], v[19:20], 1.0
	v_fma_f64 v[48:49], -v[17:18], v[21:22], 1.0
	v_fma_f64 v[19:20], v[19:20], v[44:45], v[19:20]
	v_fma_f64 v[21:22], v[21:22], v[48:49], v[21:22]
	v_mul_f64 v[44:45], v[42:43], v[19:20]
	v_mul_f64 v[48:49], v[46:47], v[21:22]
	v_fma_f64 v[11:12], -v[11:12], v[44:45], v[42:43]
	v_fma_f64 v[17:18], -v[17:18], v[48:49], v[46:47]
	v_div_fmas_f64 v[11:12], v[11:12], v[19:20], v[44:45]
	s_mov_b64 vcc, s[10:11]
	v_div_fmas_f64 v[19:20], v[17:18], v[21:22], v[48:49]
	v_div_fixup_f64 v[17:18], v[11:12], v[9:10], 1.0
	v_div_fixup_f64 v[19:20], v[19:20], v[26:27], 0
.LBB301_123:                            ;   in Loop: Header=BB301_4 Depth=1
	s_or_b64 exec, exec, s[36:37]
                                        ; implicit-def: $vgpr11_vgpr12
                                        ; implicit-def: $vgpr21_vgpr22
.LBB301_124:                            ;   in Loop: Header=BB301_4 Depth=1
	s_andn2_saveexec_b64 s[10:11], s[12:13]
	s_cbranch_execz .LBB301_126
; %bb.125:                              ;   in Loop: Header=BB301_4 Depth=1
	v_div_scale_f64 v[9:10], s[12:13], v[11:12], v[11:12], v[21:22]
	v_rcp_f64_e32 v[17:18], v[9:10]
	v_fma_f64 v[19:20], -v[9:10], v[17:18], 1.0
	v_fma_f64 v[17:18], v[17:18], v[19:20], v[17:18]
	v_div_scale_f64 v[19:20], vcc, v[21:22], v[11:12], v[21:22]
	v_fma_f64 v[26:27], -v[9:10], v[17:18], 1.0
	v_fma_f64 v[17:18], v[17:18], v[26:27], v[17:18]
	v_mul_f64 v[26:27], v[19:20], v[17:18]
	v_fma_f64 v[9:10], -v[9:10], v[26:27], v[19:20]
	v_div_fmas_f64 v[9:10], v[9:10], v[17:18], v[26:27]
	v_div_fixup_f64 v[9:10], v[9:10], v[11:12], v[21:22]
	v_fma_f64 v[11:12], v[21:22], v[9:10], v[11:12]
	v_div_scale_f64 v[17:18], s[12:13], v[11:12], v[11:12], 1.0
	v_rcp_f64_e32 v[19:20], v[17:18]
	v_fma_f64 v[21:22], -v[17:18], v[19:20], 1.0
	v_fma_f64 v[19:20], v[19:20], v[21:22], v[19:20]
	v_div_scale_f64 v[21:22], vcc, 1.0, v[11:12], 1.0
	v_fma_f64 v[26:27], -v[17:18], v[19:20], 1.0
	v_fma_f64 v[19:20], v[19:20], v[26:27], v[19:20]
	v_mul_f64 v[26:27], v[21:22], v[19:20]
	v_fma_f64 v[17:18], -v[17:18], v[26:27], v[21:22]
	v_div_fmas_f64 v[17:18], v[17:18], v[19:20], v[26:27]
	v_add_f64 v[19:20], v[9:10], 0
	v_fma_f64 v[9:10], v[9:10], 0, -1.0
	v_div_fixup_f64 v[11:12], v[17:18], v[11:12], 1.0
	v_mul_f64 v[17:18], v[19:20], v[11:12]
	v_mul_f64 v[19:20], v[9:10], v[11:12]
.LBB301_126:                            ;   in Loop: Header=BB301_4 Depth=1
	s_or_b64 exec, exec, s[10:11]
	v_cmp_neq_f64_e32 vcc, 0, v[1:2]
	v_cmp_neq_f64_e64 s[10:11], 0, v[3:4]
	v_mov_b32_e32 v21, 0
	v_mov_b32_e32 v22, 0
	s_or_b64 s[10:11], vcc, s[10:11]
	s_and_saveexec_b64 s[36:37], s[10:11]
	s_cbranch_execz .LBB301_156
; %bb.127:                              ;   in Loop: Header=BB301_4 Depth=1
	v_mov_b32_e32 v21, 0
	v_mov_b32_e32 v22, 0x7ff00000
	v_cmp_neq_f64_e64 s[10:11], |v[3:4]|, v[21:22]
	s_and_saveexec_b64 s[38:39], s[10:11]
	s_cbranch_execz .LBB301_155
; %bb.128:                              ;   in Loop: Header=BB301_4 Depth=1
	v_cmp_o_f64_e32 vcc, v[1:2], v[1:2]
                                        ; implicit-def: $vgpr21_vgpr22
	s_and_saveexec_b64 s[10:11], vcc
	s_xor_b64 s[40:41], exec, s[10:11]
	s_cbranch_execz .LBB301_152
; %bb.129:                              ;   in Loop: Header=BB301_4 Depth=1
	v_cmp_neq_f64_e64 s[10:11], |v[1:2]|, s[26:27]
                                        ; implicit-def: $vgpr21_vgpr22
	s_and_saveexec_b64 s[12:13], s[10:11]
	s_xor_b64 s[42:43], exec, s[12:13]
	s_cbranch_execz .LBB301_145
; %bb.130:                              ;   in Loop: Header=BB301_4 Depth=1
	v_max_f64 v[9:10], |v[1:2]|, |v[1:2]|
	v_max_f64 v[11:12], |v[3:4]|, |v[3:4]|
                                        ; implicit-def: $sgpr44_sgpr45
	v_max_f64 v[9:10], v[11:12], v[9:10]
	v_cmp_nle_f64_e64 s[10:11], s[28:29], v[9:10]
	s_and_saveexec_b64 s[12:13], s[10:11]
	s_xor_b64 s[12:13], exec, s[12:13]
	s_cbranch_execz .LBB301_134
; %bb.131:                              ;   in Loop: Header=BB301_4 Depth=1
	v_cmp_le_f64_e64 s[44:45], |v[1:2]|, s[30:31]
	v_cmp_le_f64_e64 s[46:47], |v[3:4]|, s[30:31]
	s_and_b64 s[54:55], s[46:47], s[44:45]
	s_mov_b64 s[44:45], 0
	s_and_saveexec_b64 s[46:47], s[54:55]
	s_cbranch_execz .LBB301_133
; %bb.132:                              ;   in Loop: Header=BB301_4 Depth=1
	v_mul_f64 v[1:2], v[1:2], 4.0
	v_mul_f64 v[3:4], v[3:4], 4.0
	s_mov_b64 s[44:45], exec
.LBB301_133:                            ;   in Loop: Header=BB301_4 Depth=1
	s_or_b64 exec, exec, s[46:47]
.LBB301_134:                            ;   in Loop: Header=BB301_4 Depth=1
	s_andn2_saveexec_b64 s[12:13], s[12:13]
	s_cbranch_execz .LBB301_136
; %bb.135:                              ;   in Loop: Header=BB301_4 Depth=1
	v_ldexp_f64 v[1:2], v[1:2], -2
	v_ldexp_f64 v[3:4], v[3:4], -2
	s_andn2_b64 s[44:45], s[44:45], exec
.LBB301_136:                            ;   in Loop: Header=BB301_4 Depth=1
	s_or_b64 exec, exec, s[12:13]
	v_max_f64 v[9:10], |v[3:4]|, |v[3:4]|
	v_max_f64 v[11:12], |v[1:2]|, |v[1:2]|
	v_cmp_class_f64_e64 s[46:47], v[1:2], s51
	v_cmp_class_f64_e64 s[54:55], v[3:4], s51
	v_cmp_le_f64_e64 s[12:13], 0, v[1:2]
	v_max_f64 v[9:10], v[11:12], v[9:10]
	v_frexp_exp_i32_f64_e32 v42, v[9:10]
	v_sub_u32_e32 v11, 0, v42
	v_ldexp_f64 v[9:10], |v[3:4]|, v11
	v_ldexp_f64 v[11:12], |v[1:2]|, v11
	v_mul_f64 v[9:10], v[9:10], v[9:10]
	v_fma_f64 v[9:10], v[11:12], v[11:12], v[9:10]
	v_rsq_f64_e32 v[11:12], v[9:10]
	v_cmp_eq_f64_e32 vcc, 0, v[9:10]
	v_mul_f64 v[21:22], v[9:10], v[11:12]
	v_mul_f64 v[11:12], v[11:12], 0.5
	v_fma_f64 v[26:27], -v[11:12], v[21:22], 0.5
	v_fma_f64 v[21:22], v[21:22], v[26:27], v[21:22]
	v_fma_f64 v[11:12], v[11:12], v[26:27], v[11:12]
	v_fma_f64 v[26:27], -v[21:22], v[21:22], v[9:10]
	v_fma_f64 v[11:12], v[26:27], v[11:12], v[21:22]
	v_cndmask_b32_e32 v10, v12, v10, vcc
	v_cndmask_b32_e32 v9, v11, v9, vcc
	v_ldexp_f64 v[9:10], v[9:10], v42
	v_cmp_o_f64_e32 vcc, v[3:4], v[3:4]
                                        ; implicit-def: $vgpr11_vgpr12
	v_cndmask_b32_e32 v9, 0, v9, vcc
	v_cndmask_b32_e32 v10, v38, v10, vcc
	s_or_b64 vcc, s[54:55], s[46:47]
	v_cndmask_b32_e32 v22, v10, v39, vcc
	v_cndmask_b32_e64 v21, v9, 0, vcc
                                        ; implicit-def: $vgpr9_vgpr10
	s_and_saveexec_b64 s[46:47], s[12:13]
	s_xor_b64 s[12:13], exec, s[46:47]
	s_cbranch_execz .LBB301_138
; %bb.137:                              ;   in Loop: Header=BB301_4 Depth=1
	v_add_f64 v[1:2], v[1:2], v[21:22]
	v_mul_f64 v[1:2], v[1:2], 0.5
	v_cmp_gt_f64_e32 vcc, s[34:35], v[1:2]
	v_cndmask_b32_e32 v9, 0, v40, vcc
	v_ldexp_f64 v[1:2], v[1:2], v9
	v_rsq_f64_e32 v[9:10], v[1:2]
	v_mul_f64 v[11:12], v[1:2], v[9:10]
	v_mul_f64 v[9:10], v[9:10], 0.5
	v_fma_f64 v[21:22], -v[9:10], v[11:12], 0.5
	v_fma_f64 v[11:12], v[11:12], v[21:22], v[11:12]
	v_fma_f64 v[9:10], v[9:10], v[21:22], v[9:10]
	v_fma_f64 v[21:22], -v[11:12], v[11:12], v[1:2]
	v_fma_f64 v[11:12], v[21:22], v[9:10], v[11:12]
	v_fma_f64 v[21:22], -v[11:12], v[11:12], v[1:2]
	v_fma_f64 v[9:10], v[21:22], v[9:10], v[11:12]
	v_cndmask_b32_e32 v11, 0, v41, vcc
	v_cmp_class_f64_e32 vcc, v[1:2], v37
	v_ldexp_f64 v[9:10], v[9:10], v11
	v_cndmask_b32_e32 v12, v10, v2, vcc
	v_cndmask_b32_e32 v11, v9, v1, vcc
	v_add_f64 v[1:2], v[11:12], v[11:12]
	v_div_scale_f64 v[9:10], s[46:47], v[1:2], v[1:2], v[3:4]
	v_div_scale_f64 v[42:43], vcc, v[3:4], v[1:2], v[3:4]
	v_rcp_f64_e32 v[21:22], v[9:10]
	v_fma_f64 v[26:27], -v[9:10], v[21:22], 1.0
	v_fma_f64 v[21:22], v[21:22], v[26:27], v[21:22]
	v_fma_f64 v[26:27], -v[9:10], v[21:22], 1.0
	v_fma_f64 v[21:22], v[21:22], v[26:27], v[21:22]
	v_mul_f64 v[26:27], v[42:43], v[21:22]
	v_fma_f64 v[9:10], -v[9:10], v[26:27], v[42:43]
	v_div_fmas_f64 v[9:10], v[9:10], v[21:22], v[26:27]
                                        ; implicit-def: $vgpr21_vgpr22
	v_div_fixup_f64 v[9:10], v[9:10], v[1:2], v[3:4]
                                        ; implicit-def: $vgpr1_vgpr2
	s_andn2_saveexec_b64 s[12:13], s[12:13]
	s_cbranch_execz .LBB301_140
	s_branch .LBB301_139
.LBB301_138:                            ;   in Loop: Header=BB301_4 Depth=1
	s_andn2_saveexec_b64 s[12:13], s[12:13]
	s_cbranch_execz .LBB301_140
.LBB301_139:                            ;   in Loop: Header=BB301_4 Depth=1
	v_add_f64 v[1:2], v[21:22], -v[1:2]
	v_mul_f64 v[1:2], v[1:2], 0.5
	v_cmp_gt_f64_e32 vcc, s[34:35], v[1:2]
	v_cndmask_b32_e32 v9, 0, v40, vcc
	v_ldexp_f64 v[1:2], v[1:2], v9
	v_rsq_f64_e32 v[9:10], v[1:2]
	v_mul_f64 v[11:12], v[1:2], v[9:10]
	v_mul_f64 v[9:10], v[9:10], 0.5
	v_fma_f64 v[21:22], -v[9:10], v[11:12], 0.5
	v_fma_f64 v[11:12], v[11:12], v[21:22], v[11:12]
	v_fma_f64 v[9:10], v[9:10], v[21:22], v[9:10]
	v_fma_f64 v[21:22], -v[11:12], v[11:12], v[1:2]
	v_fma_f64 v[11:12], v[21:22], v[9:10], v[11:12]
	v_fma_f64 v[21:22], -v[11:12], v[11:12], v[1:2]
	v_fma_f64 v[9:10], v[21:22], v[9:10], v[11:12]
	v_cndmask_b32_e32 v11, 0, v41, vcc
	v_cmp_class_f64_e32 vcc, v[1:2], v37
	v_and_b32_e32 v12, 0x7fffffff, v4
	v_ldexp_f64 v[9:10], v[9:10], v11
	v_mov_b32_e32 v11, v3
	v_cndmask_b32_e32 v10, v10, v2, vcc
	v_cndmask_b32_e32 v9, v9, v1, vcc
	v_add_f64 v[1:2], v[9:10], v[9:10]
	v_bfi_b32 v10, s52, v10, v4
	v_div_scale_f64 v[21:22], s[46:47], v[1:2], v[1:2], v[11:12]
	v_div_scale_f64 v[11:12], vcc, v[11:12], v[1:2], v[11:12]
	v_rcp_f64_e32 v[26:27], v[21:22]
	v_fma_f64 v[42:43], -v[21:22], v[26:27], 1.0
	v_fma_f64 v[26:27], v[26:27], v[42:43], v[26:27]
	v_fma_f64 v[42:43], -v[21:22], v[26:27], 1.0
	v_fma_f64 v[26:27], v[26:27], v[42:43], v[26:27]
	v_mul_f64 v[42:43], v[11:12], v[26:27]
	v_fma_f64 v[11:12], -v[21:22], v[42:43], v[11:12]
	v_div_fmas_f64 v[11:12], v[11:12], v[26:27], v[42:43]
	v_div_fixup_f64 v[11:12], v[11:12], v[1:2], |v[3:4]|
.LBB301_140:                            ;   in Loop: Header=BB301_4 Depth=1
	s_or_b64 exec, exec, s[12:13]
                                        ; implicit-def: $vgpr3_vgpr4
                                        ; implicit-def: $vgpr21_vgpr22
	s_and_saveexec_b64 s[12:13], s[10:11]
	s_xor_b64 s[10:11], exec, s[12:13]
	s_cbranch_execz .LBB301_142
; %bb.141:                              ;   in Loop: Header=BB301_4 Depth=1
	v_mul_f64 v[1:2], v[11:12], 0.5
	v_mul_f64 v[3:4], v[9:10], 0.5
	v_cndmask_b32_e64 v22, v12, v2, s[44:45]
	v_cndmask_b32_e64 v21, v11, v1, s[44:45]
	;; [unrolled: 1-line block ×4, first 2 shown]
                                        ; implicit-def: $vgpr11_vgpr12
                                        ; implicit-def: $vgpr9_vgpr10
	s_andn2_saveexec_b64 s[10:11], s[10:11]
	s_cbranch_execnz .LBB301_143
	s_branch .LBB301_144
.LBB301_142:                            ;   in Loop: Header=BB301_4 Depth=1
	s_andn2_saveexec_b64 s[10:11], s[10:11]
	s_cbranch_execz .LBB301_144
.LBB301_143:                            ;   in Loop: Header=BB301_4 Depth=1
	v_add_f64 v[21:22], v[11:12], v[11:12]
	v_add_f64 v[3:4], v[9:10], v[9:10]
.LBB301_144:                            ;   in Loop: Header=BB301_4 Depth=1
	s_or_b64 exec, exec, s[10:11]
.LBB301_145:                            ;   in Loop: Header=BB301_4 Depth=1
	s_andn2_saveexec_b64 s[10:11], s[42:43]
	s_cbranch_execz .LBB301_151
; %bb.146:                              ;   in Loop: Header=BB301_4 Depth=1
	v_add_f64 v[9:10], v[3:4], -v[3:4]
	v_cmp_lt_i64_e32 vcc, -1, v[1:2]
	v_and_b32_e32 v22, 0x7fffffff, v10
	v_mov_b32_e32 v21, v9
	s_and_saveexec_b64 s[12:13], vcc
	s_xor_b64 s[12:13], exec, s[12:13]
; %bb.147:                              ;   in Loop: Header=BB301_4 Depth=1
	v_bfi_b32 v10, s52, v10, v4
	v_mov_b32_e32 v3, v9
	v_mov_b32_e32 v22, v2
	;; [unrolled: 1-line block ×4, first 2 shown]
; %bb.148:                              ;   in Loop: Header=BB301_4 Depth=1
	s_andn2_saveexec_b64 s[12:13], s[12:13]
; %bb.149:                              ;   in Loop: Header=BB301_4 Depth=1
	v_bfi_b32 v2, s52, v2, v4
	v_mov_b32_e32 v4, v2
	v_mov_b32_e32 v3, v1
; %bb.150:                              ;   in Loop: Header=BB301_4 Depth=1
	s_or_b64 exec, exec, s[12:13]
.LBB301_151:                            ;   in Loop: Header=BB301_4 Depth=1
	s_or_b64 exec, exec, s[10:11]
.LBB301_152:                            ;   in Loop: Header=BB301_4 Depth=1
	s_andn2_saveexec_b64 s[10:11], s[40:41]
	s_cbranch_execz .LBB301_154
; %bb.153:                              ;   in Loop: Header=BB301_4 Depth=1
	v_add_f64 v[3:4], v[3:4], -v[3:4]
	v_div_scale_f64 v[9:10], vcc, v[3:4], v[3:4], v[3:4]
	v_rcp_f64_e32 v[11:12], v[9:10]
	v_fma_f64 v[21:22], -v[9:10], v[11:12], 1.0
	v_fma_f64 v[11:12], v[11:12], v[21:22], v[11:12]
	v_fma_f64 v[21:22], -v[9:10], v[11:12], 1.0
	v_fma_f64 v[11:12], v[11:12], v[21:22], v[11:12]
	v_mul_f64 v[21:22], v[9:10], v[11:12]
	v_fma_f64 v[9:10], -v[9:10], v[21:22], v[9:10]
	v_div_fmas_f64 v[9:10], v[9:10], v[11:12], v[21:22]
	v_mov_b32_e32 v22, v2
	v_mov_b32_e32 v21, v1
	v_div_fixup_f64 v[3:4], v[9:10], v[3:4], v[3:4]
.LBB301_154:                            ;   in Loop: Header=BB301_4 Depth=1
	s_or_b64 exec, exec, s[10:11]
.LBB301_155:                            ;   in Loop: Header=BB301_4 Depth=1
	s_or_b64 exec, exec, s[38:39]
.LBB301_156:                            ;   in Loop: Header=BB301_4 Depth=1
	s_or_b64 exec, exec, s[36:37]
	v_cmp_gt_f64_e32 vcc, 0, v[21:22]
	v_xor_b32_e32 v1, 0x80000000, v22
	v_xor_b32_e32 v9, 0x80000000, v4
	v_mov_b32_e32 v26, v3
	v_cndmask_b32_e32 v2, v22, v1, vcc
	v_cmp_gt_f64_e32 vcc, 0, v[3:4]
	v_mov_b32_e32 v1, v21
	v_cndmask_b32_e32 v27, v4, v9, vcc
	v_cmp_ge_f64_e32 vcc, v[1:2], v[26:27]
                                        ; implicit-def: $vgpr11_vgpr12
	s_and_saveexec_b64 s[10:11], vcc
	s_xor_b64 s[12:13], exec, s[10:11]
	s_cbranch_execz .LBB301_166
; %bb.157:                              ;   in Loop: Header=BB301_4 Depth=1
	v_cmp_neq_f64_e32 vcc, 0, v[21:22]
	v_cmp_neq_f64_e64 s[10:11], 0, v[3:4]
                                        ; implicit-def: $vgpr11_vgpr12
	s_or_b64 s[10:11], vcc, s[10:11]
	s_and_saveexec_b64 s[36:37], s[10:11]
	s_xor_b64 s[10:11], exec, s[36:37]
	s_cbranch_execz .LBB301_159
; %bb.158:                              ;   in Loop: Header=BB301_4 Depth=1
	v_div_scale_f64 v[1:2], s[36:37], v[21:22], v[21:22], v[3:4]
	v_rcp_f64_e32 v[9:10], v[1:2]
	v_fma_f64 v[11:12], -v[1:2], v[9:10], 1.0
	v_fma_f64 v[9:10], v[9:10], v[11:12], v[9:10]
	v_div_scale_f64 v[11:12], vcc, v[3:4], v[21:22], v[3:4]
	v_fma_f64 v[26:27], -v[1:2], v[9:10], 1.0
	v_fma_f64 v[9:10], v[9:10], v[26:27], v[9:10]
	v_mul_f64 v[26:27], v[11:12], v[9:10]
	v_fma_f64 v[1:2], -v[1:2], v[26:27], v[11:12]
	v_div_fmas_f64 v[1:2], v[1:2], v[9:10], v[26:27]
	v_div_fixup_f64 v[1:2], v[1:2], v[21:22], v[3:4]
	v_fma_f64 v[3:4], v[3:4], v[1:2], v[21:22]
	v_div_scale_f64 v[9:10], s[36:37], v[3:4], v[3:4], 1.0
	v_rcp_f64_e32 v[11:12], v[9:10]
	v_fma_f64 v[21:22], -v[9:10], v[11:12], 1.0
	v_fma_f64 v[11:12], v[11:12], v[21:22], v[11:12]
	v_div_scale_f64 v[21:22], vcc, 1.0, v[3:4], 1.0
	v_fma_f64 v[26:27], -v[9:10], v[11:12], 1.0
	v_fma_f64 v[11:12], v[11:12], v[26:27], v[11:12]
	v_mul_f64 v[26:27], v[21:22], v[11:12]
	v_fma_f64 v[9:10], -v[9:10], v[26:27], v[21:22]
	v_div_fmas_f64 v[9:10], v[9:10], v[11:12], v[26:27]
	v_fma_f64 v[11:12], v[1:2], 0, 1.0
	v_add_f64 v[1:2], -v[1:2], 0
                                        ; implicit-def: $vgpr26_vgpr27
	v_div_fixup_f64 v[3:4], v[9:10], v[3:4], 1.0
	v_mul_f64 v[9:10], v[11:12], v[3:4]
	v_mul_f64 v[11:12], v[1:2], v[3:4]
                                        ; implicit-def: $vgpr1_vgpr2
.LBB301_159:                            ;   in Loop: Header=BB301_4 Depth=1
	s_andn2_saveexec_b64 s[36:37], s[10:11]
	s_cbranch_execz .LBB301_161
; %bb.160:                              ;   in Loop: Header=BB301_4 Depth=1
	v_div_scale_f64 v[3:4], s[10:11], v[1:2], v[1:2], 1.0
	v_div_scale_f64 v[9:10], s[10:11], v[26:27], v[26:27], 0
	v_div_scale_f64 v[46:47], s[10:11], 0, v[26:27], 0
	v_rcp_f64_e32 v[11:12], v[3:4]
	v_rcp_f64_e32 v[21:22], v[9:10]
	v_fma_f64 v[42:43], -v[3:4], v[11:12], 1.0
	v_fma_f64 v[44:45], -v[9:10], v[21:22], 1.0
	v_fma_f64 v[11:12], v[11:12], v[42:43], v[11:12]
	v_div_scale_f64 v[42:43], vcc, 1.0, v[1:2], 1.0
	v_fma_f64 v[21:22], v[21:22], v[44:45], v[21:22]
	v_fma_f64 v[44:45], -v[3:4], v[11:12], 1.0
	v_fma_f64 v[48:49], -v[9:10], v[21:22], 1.0
	v_fma_f64 v[11:12], v[11:12], v[44:45], v[11:12]
	v_fma_f64 v[21:22], v[21:22], v[48:49], v[21:22]
	v_mul_f64 v[44:45], v[42:43], v[11:12]
	v_mul_f64 v[48:49], v[46:47], v[21:22]
	v_fma_f64 v[3:4], -v[3:4], v[44:45], v[42:43]
	v_fma_f64 v[9:10], -v[9:10], v[48:49], v[46:47]
	v_div_fmas_f64 v[3:4], v[3:4], v[11:12], v[44:45]
	s_mov_b64 vcc, s[10:11]
	v_div_fmas_f64 v[11:12], v[9:10], v[21:22], v[48:49]
	v_div_fixup_f64 v[9:10], v[3:4], v[1:2], 1.0
	v_div_fixup_f64 v[11:12], v[11:12], v[26:27], 0
.LBB301_161:                            ;   in Loop: Header=BB301_4 Depth=1
	s_or_b64 exec, exec, s[36:37]
                                        ; implicit-def: $vgpr3_vgpr4
                                        ; implicit-def: $vgpr21_vgpr22
	s_andn2_saveexec_b64 s[10:11], s[12:13]
	s_cbranch_execnz .LBB301_167
.LBB301_162:                            ;   in Loop: Header=BB301_4 Depth=1
	s_or_b64 exec, exec, s[10:11]
	s_and_saveexec_b64 s[10:11], s[0:1]
	s_xor_b64 s[0:1], exec, s[10:11]
	s_cbranch_execz .LBB301_168
.LBB301_163:                            ;   in Loop: Header=BB301_4 Depth=1
	v_mov_b32_e32 v2, s48
	v_add_co_u32_e32 v1, vcc, s33, v23
	v_addc_co_u32_e32 v2, vcc, 0, v2, vcc
	global_store_dwordx4 v[1:2], v[5:8], off
	s_or_b64 exec, exec, s[0:1]
	s_and_saveexec_b64 s[0:1], s[2:3]
	s_cbranch_execnz .LBB301_169
.LBB301_164:                            ;   in Loop: Header=BB301_4 Depth=1
	s_or_b64 exec, exec, s[0:1]
	s_and_saveexec_b64 s[0:1], s[6:7]
	s_cbranch_execz .LBB301_170
.LBB301_165:                            ;   in Loop: Header=BB301_4 Depth=1
	v_mov_b32_e32 v2, s48
	v_add_co_u32_e32 v1, vcc, s33, v34
	v_addc_co_u32_e32 v2, vcc, v2, v33, vcc
	global_store_dwordx4 v[1:2], v[17:20], off offset:-8
	s_or_b64 exec, exec, s[0:1]
	s_and_saveexec_b64 s[0:1], s[8:9]
	s_cbranch_execz .LBB301_3
	s_branch .LBB301_171
.LBB301_166:                            ;   in Loop: Header=BB301_4 Depth=1
	s_andn2_saveexec_b64 s[10:11], s[12:13]
	s_cbranch_execz .LBB301_162
.LBB301_167:                            ;   in Loop: Header=BB301_4 Depth=1
	v_div_scale_f64 v[1:2], s[12:13], v[3:4], v[3:4], v[21:22]
	v_rcp_f64_e32 v[9:10], v[1:2]
	v_fma_f64 v[11:12], -v[1:2], v[9:10], 1.0
	v_fma_f64 v[9:10], v[9:10], v[11:12], v[9:10]
	v_div_scale_f64 v[11:12], vcc, v[21:22], v[3:4], v[21:22]
	v_fma_f64 v[26:27], -v[1:2], v[9:10], 1.0
	v_fma_f64 v[9:10], v[9:10], v[26:27], v[9:10]
	v_mul_f64 v[26:27], v[11:12], v[9:10]
	v_fma_f64 v[1:2], -v[1:2], v[26:27], v[11:12]
	v_div_fmas_f64 v[1:2], v[1:2], v[9:10], v[26:27]
	v_div_fixup_f64 v[1:2], v[1:2], v[3:4], v[21:22]
	v_fma_f64 v[3:4], v[21:22], v[1:2], v[3:4]
	v_div_scale_f64 v[9:10], s[12:13], v[3:4], v[3:4], 1.0
	v_rcp_f64_e32 v[11:12], v[9:10]
	v_fma_f64 v[21:22], -v[9:10], v[11:12], 1.0
	v_fma_f64 v[11:12], v[11:12], v[21:22], v[11:12]
	v_div_scale_f64 v[21:22], vcc, 1.0, v[3:4], 1.0
	v_fma_f64 v[26:27], -v[9:10], v[11:12], 1.0
	v_fma_f64 v[11:12], v[11:12], v[26:27], v[11:12]
	v_mul_f64 v[26:27], v[21:22], v[11:12]
	v_fma_f64 v[9:10], -v[9:10], v[26:27], v[21:22]
	v_div_fmas_f64 v[9:10], v[9:10], v[11:12], v[26:27]
	v_add_f64 v[11:12], v[1:2], 0
	v_fma_f64 v[1:2], v[1:2], 0, -1.0
	v_div_fixup_f64 v[3:4], v[9:10], v[3:4], 1.0
	v_mul_f64 v[9:10], v[11:12], v[3:4]
	v_mul_f64 v[11:12], v[1:2], v[3:4]
	s_or_b64 exec, exec, s[10:11]
	s_and_saveexec_b64 s[10:11], s[0:1]
	s_xor_b64 s[0:1], exec, s[10:11]
	s_cbranch_execnz .LBB301_163
.LBB301_168:                            ;   in Loop: Header=BB301_4 Depth=1
	s_or_b64 exec, exec, s[0:1]
	s_and_saveexec_b64 s[0:1], s[2:3]
	s_cbranch_execz .LBB301_164
.LBB301_169:                            ;   in Loop: Header=BB301_4 Depth=1
	v_mov_b32_e32 v2, s48
	v_add_co_u32_e32 v1, vcc, s33, v32
	v_addc_co_u32_e32 v2, vcc, 0, v2, vcc
	global_store_dwordx4 v[1:2], v[13:16], off
	s_or_b64 exec, exec, s[0:1]
	s_and_saveexec_b64 s[0:1], s[6:7]
	s_cbranch_execnz .LBB301_165
.LBB301_170:                            ;   in Loop: Header=BB301_4 Depth=1
	s_or_b64 exec, exec, s[0:1]
	s_and_saveexec_b64 s[0:1], s[8:9]
	s_cbranch_execz .LBB301_3
.LBB301_171:                            ;   in Loop: Header=BB301_4 Depth=1
	v_mov_b32_e32 v2, s48
	v_add_co_u32_e32 v1, vcc, s33, v24
	v_addc_co_u32_e32 v2, vcc, v2, v25, vcc
	global_store_dwordx4 v[1:2], v[9:12], off offset:-8
	s_branch .LBB301_3
.LBB301_172:
	s_cbranch_execz .LBB301_174
	s_branch .LBB301_329
.LBB301_173:
.LBB301_174:
	v_mov_b32_e32 v1, 0x10000
	v_mov_b32_e32 v2, 0
	v_cmp_lt_i64_e32 vcc, s[18:19], v[1:2]
	v_mov_b32_e32 v2, 0
	s_and_b64 s[0:1], vcc, exec
	s_cselect_b32 s7, s19, 0
	s_cselect_b32 s6, s18, 0x10000
	v_lshlrev_b32_e32 v1, 2, v0
	v_cmp_gt_i64_e32 vcc, s[6:7], v[1:2]
	s_and_saveexec_b64 s[0:1], vcc
	s_cbranch_execz .LBB301_329
; %bb.175:
	s_load_dword s0, s[4:5], 0xd3c
	v_mov_b32_e32 v1, v2
	v_lshlrev_b32_e32 v2, 6, v0
	s_mov_b32 s8, 0
	s_mov_b32 s10, 0x99fcef32
	s_waitcnt lgkmcnt(0)
	s_and_b32 s28, s0, 0xffff
	s_add_u32 s0, s14, s16
	s_addc_u32 s1, s15, s17
	v_mov_b32_e32 v3, s1
	v_add_co_u32_e32 v24, vcc, s0, v2
	s_mov_b32 s12, 0
	s_mov_b32 s14, 0
	v_addc_co_u32_e32 v25, vcc, 0, v3, vcc
	s_lshl_b32 s29, s28, 6
	s_mov_b64 s[4:5], 0
	s_mov_b32 s9, 0x7ff00000
	s_mov_b32 s11, 0x7fda8279
	;; [unrolled: 1-line block ×3, first 2 shown]
	s_movk_i32 s30, 0x204
	s_brev_b32 s15, 8
	v_mov_b32_e32 v28, 0x260
	s_brev_b32 s31, -2
	v_mov_b32_e32 v29, 0x7ff80000
	v_mov_b32_e32 v30, 0x7ff00000
	v_mov_b32_e32 v31, 0x100
	v_mov_b32_e32 v32, 0xffffff80
	s_branch .LBB301_177
.LBB301_176:                            ;   in Loop: Header=BB301_177 Depth=1
	s_or_b64 exec, exec, s[0:1]
	v_add_co_u32_e32 v0, vcc, s28, v0
	v_addc_co_u32_e32 v1, vcc, 0, v1, vcc
	v_lshlrev_b64 v[2:3], 2, v[0:1]
	global_store_dwordx4 v[24:25], v[6:9], off
	global_store_dwordx4 v[24:25], v[14:17], off offset:16
	v_cmp_le_i64_e32 vcc, s[6:7], v[2:3]
	global_store_dwordx4 v[24:25], v[18:21], off offset:32
	global_store_dwordx4 v[24:25], v[10:13], off offset:48
	s_or_b64 s[4:5], vcc, s[4:5]
	v_add_co_u32_e32 v24, vcc, s29, v24
	v_addc_co_u32_e32 v25, vcc, 0, v25, vcc
	s_andn2_b64 exec, exec, s[4:5]
	s_cbranch_execz .LBB301_329
.LBB301_177:                            ; =>This Inner Loop Header: Depth=1
	global_load_dwordx4 v[20:23], v[24:25], off
	global_load_dwordx4 v[16:19], v[24:25], off offset:16
	global_load_dwordx4 v[2:5], v[24:25], off offset:48
	;; [unrolled: 1-line block ×3, first 2 shown]
	v_mov_b32_e32 v14, 0
	v_mov_b32_e32 v15, 0
	s_waitcnt vmcnt(3)
	v_cmp_neq_f64_e32 vcc, 0, v[20:21]
	v_cmp_neq_f64_e64 s[0:1], 0, v[22:23]
	s_or_b64 s[0:1], vcc, s[0:1]
	s_and_saveexec_b64 s[16:17], s[0:1]
	s_cbranch_execz .LBB301_206
; %bb.178:                              ;   in Loop: Header=BB301_177 Depth=1
	v_mov_b32_e32 v14, 0
	v_mov_b32_e32 v15, 0x7ff00000
	v_cmp_neq_f64_e64 s[0:1], |v[22:23]|, v[14:15]
	s_and_saveexec_b64 s[18:19], s[0:1]
	s_cbranch_execz .LBB301_205
; %bb.179:                              ;   in Loop: Header=BB301_177 Depth=1
	v_cmp_o_f64_e32 vcc, v[20:21], v[20:21]
                                        ; implicit-def: $vgpr14_vgpr15
	s_and_saveexec_b64 s[0:1], vcc
	s_xor_b64 s[20:21], exec, s[0:1]
	s_cbranch_execz .LBB301_202
; %bb.180:                              ;   in Loop: Header=BB301_177 Depth=1
	v_cmp_neq_f64_e64 s[0:1], |v[20:21]|, s[8:9]
                                        ; implicit-def: $vgpr14_vgpr15
	s_and_saveexec_b64 s[2:3], s[0:1]
	s_xor_b64 s[22:23], exec, s[2:3]
	s_cbranch_execz .LBB301_196
; %bb.181:                              ;   in Loop: Header=BB301_177 Depth=1
	v_max_f64 v[6:7], |v[22:23]|, |v[22:23]|
	v_max_f64 v[8:9], |v[20:21]|, |v[20:21]|
                                        ; implicit-def: $sgpr24_sgpr25
	v_max_f64 v[6:7], v[8:9], v[6:7]
	v_cmp_nle_f64_e64 s[0:1], s[10:11], v[6:7]
	s_and_saveexec_b64 s[2:3], s[0:1]
	s_xor_b64 s[2:3], exec, s[2:3]
	s_cbranch_execz .LBB301_185
; %bb.182:                              ;   in Loop: Header=BB301_177 Depth=1
	v_cmp_le_f64_e64 s[24:25], |v[20:21]|, s[12:13]
	v_cmp_le_f64_e64 s[26:27], |v[22:23]|, s[12:13]
	s_and_b64 s[34:35], s[24:25], s[26:27]
	s_mov_b64 s[24:25], 0
	s_and_saveexec_b64 s[26:27], s[34:35]
	s_cbranch_execz .LBB301_184
; %bb.183:                              ;   in Loop: Header=BB301_177 Depth=1
	v_mul_f64 v[20:21], v[20:21], 4.0
	v_mul_f64 v[22:23], v[22:23], 4.0
	s_mov_b64 s[24:25], exec
.LBB301_184:                            ;   in Loop: Header=BB301_177 Depth=1
	s_or_b64 exec, exec, s[26:27]
.LBB301_185:                            ;   in Loop: Header=BB301_177 Depth=1
	s_andn2_saveexec_b64 s[2:3], s[2:3]
	s_cbranch_execz .LBB301_187
; %bb.186:                              ;   in Loop: Header=BB301_177 Depth=1
	v_ldexp_f64 v[20:21], v[20:21], -2
	v_ldexp_f64 v[22:23], v[22:23], -2
	s_andn2_b64 s[24:25], s[24:25], exec
.LBB301_187:                            ;   in Loop: Header=BB301_177 Depth=1
	s_or_b64 exec, exec, s[2:3]
	v_max_f64 v[6:7], |v[22:23]|, |v[22:23]|
	v_max_f64 v[8:9], |v[20:21]|, |v[20:21]|
	v_cmp_class_f64_e64 s[26:27], v[20:21], s30
	v_cmp_class_f64_e64 s[34:35], v[22:23], s30
	v_cmp_le_f64_e64 s[2:3], 0, v[20:21]
	v_max_f64 v[6:7], v[8:9], v[6:7]
	v_frexp_exp_i32_f64_e32 v33, v[6:7]
	v_sub_u32_e32 v8, 0, v33
	v_ldexp_f64 v[6:7], |v[22:23]|, v8
	v_ldexp_f64 v[8:9], |v[20:21]|, v8
	v_mul_f64 v[6:7], v[6:7], v[6:7]
	v_fma_f64 v[6:7], v[8:9], v[8:9], v[6:7]
	v_rsq_f64_e32 v[8:9], v[6:7]
	v_cmp_eq_f64_e32 vcc, 0, v[6:7]
	v_mul_f64 v[14:15], v[6:7], v[8:9]
	v_mul_f64 v[8:9], v[8:9], 0.5
	v_fma_f64 v[26:27], -v[8:9], v[14:15], 0.5
	v_fma_f64 v[14:15], v[14:15], v[26:27], v[14:15]
	v_fma_f64 v[8:9], v[8:9], v[26:27], v[8:9]
	v_fma_f64 v[26:27], -v[14:15], v[14:15], v[6:7]
	v_fma_f64 v[8:9], v[26:27], v[8:9], v[14:15]
	v_cndmask_b32_e32 v7, v9, v7, vcc
	v_cndmask_b32_e32 v6, v8, v6, vcc
	v_ldexp_f64 v[6:7], v[6:7], v33
	v_cmp_o_f64_e32 vcc, v[22:23], v[22:23]
                                        ; implicit-def: $vgpr8_vgpr9
	v_cndmask_b32_e32 v6, 0, v6, vcc
	v_cndmask_b32_e32 v7, v29, v7, vcc
	s_or_b64 vcc, s[34:35], s[26:27]
	v_cndmask_b32_e32 v15, v7, v30, vcc
	v_cndmask_b32_e64 v14, v6, 0, vcc
                                        ; implicit-def: $vgpr6_vgpr7
	s_and_saveexec_b64 s[26:27], s[2:3]
	s_xor_b64 s[2:3], exec, s[26:27]
	s_cbranch_execz .LBB301_189
; %bb.188:                              ;   in Loop: Header=BB301_177 Depth=1
	v_add_f64 v[6:7], v[20:21], v[14:15]
	v_mul_f64 v[6:7], v[6:7], 0.5
	v_cmp_gt_f64_e32 vcc, s[14:15], v[6:7]
	v_cndmask_b32_e32 v8, 0, v31, vcc
	v_ldexp_f64 v[6:7], v[6:7], v8
	v_rsq_f64_e32 v[8:9], v[6:7]
	v_mul_f64 v[14:15], v[6:7], v[8:9]
	v_mul_f64 v[8:9], v[8:9], 0.5
	v_fma_f64 v[20:21], -v[8:9], v[14:15], 0.5
	v_fma_f64 v[14:15], v[14:15], v[20:21], v[14:15]
	v_fma_f64 v[8:9], v[8:9], v[20:21], v[8:9]
	v_fma_f64 v[20:21], -v[14:15], v[14:15], v[6:7]
	v_fma_f64 v[14:15], v[20:21], v[8:9], v[14:15]
	v_fma_f64 v[20:21], -v[14:15], v[14:15], v[6:7]
	v_fma_f64 v[8:9], v[20:21], v[8:9], v[14:15]
	v_cndmask_b32_e32 v14, 0, v32, vcc
	v_cmp_class_f64_e32 vcc, v[6:7], v28
	v_ldexp_f64 v[8:9], v[8:9], v14
	v_cndmask_b32_e32 v9, v9, v7, vcc
	v_cndmask_b32_e32 v8, v8, v6, vcc
	v_add_f64 v[6:7], v[8:9], v[8:9]
	v_div_scale_f64 v[14:15], s[26:27], v[6:7], v[6:7], v[22:23]
	v_div_scale_f64 v[33:34], vcc, v[22:23], v[6:7], v[22:23]
	v_rcp_f64_e32 v[20:21], v[14:15]
	v_fma_f64 v[26:27], -v[14:15], v[20:21], 1.0
	v_fma_f64 v[20:21], v[20:21], v[26:27], v[20:21]
	v_fma_f64 v[26:27], -v[14:15], v[20:21], 1.0
	v_fma_f64 v[20:21], v[20:21], v[26:27], v[20:21]
	v_mul_f64 v[26:27], v[33:34], v[20:21]
	v_fma_f64 v[14:15], -v[14:15], v[26:27], v[33:34]
	v_div_fmas_f64 v[14:15], v[14:15], v[20:21], v[26:27]
	v_div_fixup_f64 v[6:7], v[14:15], v[6:7], v[22:23]
                                        ; implicit-def: $vgpr14_vgpr15
                                        ; implicit-def: $vgpr20_vgpr21
	s_andn2_saveexec_b64 s[2:3], s[2:3]
	s_cbranch_execz .LBB301_191
	s_branch .LBB301_190
.LBB301_189:                            ;   in Loop: Header=BB301_177 Depth=1
	s_andn2_saveexec_b64 s[2:3], s[2:3]
	s_cbranch_execz .LBB301_191
.LBB301_190:                            ;   in Loop: Header=BB301_177 Depth=1
	v_add_f64 v[6:7], v[14:15], -v[20:21]
	v_mul_f64 v[6:7], v[6:7], 0.5
	v_cmp_gt_f64_e32 vcc, s[14:15], v[6:7]
	v_cndmask_b32_e32 v8, 0, v31, vcc
	v_ldexp_f64 v[6:7], v[6:7], v8
	v_rsq_f64_e32 v[8:9], v[6:7]
	v_mul_f64 v[14:15], v[6:7], v[8:9]
	v_mul_f64 v[8:9], v[8:9], 0.5
	v_fma_f64 v[20:21], -v[8:9], v[14:15], 0.5
	v_fma_f64 v[14:15], v[14:15], v[20:21], v[14:15]
	v_fma_f64 v[8:9], v[8:9], v[20:21], v[8:9]
	v_fma_f64 v[20:21], -v[14:15], v[14:15], v[6:7]
	v_fma_f64 v[14:15], v[20:21], v[8:9], v[14:15]
	v_fma_f64 v[20:21], -v[14:15], v[14:15], v[6:7]
	v_fma_f64 v[8:9], v[20:21], v[8:9], v[14:15]
	v_cndmask_b32_e32 v14, 0, v32, vcc
	v_cmp_class_f64_e32 vcc, v[6:7], v28
	v_and_b32_e32 v15, 0x7fffffff, v23
	v_ldexp_f64 v[8:9], v[8:9], v14
	v_mov_b32_e32 v14, v22
	v_cndmask_b32_e32 v7, v9, v7, vcc
	v_cndmask_b32_e32 v6, v8, v6, vcc
	v_add_f64 v[8:9], v[6:7], v[6:7]
	v_bfi_b32 v7, s31, v7, v23
	v_div_scale_f64 v[20:21], s[26:27], v[8:9], v[8:9], v[14:15]
	v_div_scale_f64 v[14:15], vcc, v[14:15], v[8:9], v[14:15]
	v_rcp_f64_e32 v[26:27], v[20:21]
	v_fma_f64 v[33:34], -v[20:21], v[26:27], 1.0
	v_fma_f64 v[26:27], v[26:27], v[33:34], v[26:27]
	v_fma_f64 v[33:34], -v[20:21], v[26:27], 1.0
	v_fma_f64 v[26:27], v[26:27], v[33:34], v[26:27]
	v_mul_f64 v[33:34], v[14:15], v[26:27]
	v_fma_f64 v[14:15], -v[20:21], v[33:34], v[14:15]
	v_div_fmas_f64 v[14:15], v[14:15], v[26:27], v[33:34]
	v_div_fixup_f64 v[8:9], v[14:15], v[8:9], |v[22:23]|
.LBB301_191:                            ;   in Loop: Header=BB301_177 Depth=1
	s_or_b64 exec, exec, s[2:3]
                                        ; implicit-def: $vgpr22_vgpr23
                                        ; implicit-def: $vgpr14_vgpr15
	s_and_saveexec_b64 s[2:3], s[0:1]
	s_xor_b64 s[0:1], exec, s[2:3]
	s_cbranch_execz .LBB301_193
; %bb.192:                              ;   in Loop: Header=BB301_177 Depth=1
	v_mul_f64 v[14:15], v[8:9], 0.5
	v_mul_f64 v[20:21], v[6:7], 0.5
	v_cndmask_b32_e64 v15, v9, v15, s[24:25]
	v_cndmask_b32_e64 v14, v8, v14, s[24:25]
	;; [unrolled: 1-line block ×4, first 2 shown]
                                        ; implicit-def: $vgpr8_vgpr9
                                        ; implicit-def: $vgpr6_vgpr7
	s_andn2_saveexec_b64 s[0:1], s[0:1]
	s_cbranch_execnz .LBB301_194
	s_branch .LBB301_195
.LBB301_193:                            ;   in Loop: Header=BB301_177 Depth=1
	s_andn2_saveexec_b64 s[0:1], s[0:1]
	s_cbranch_execz .LBB301_195
.LBB301_194:                            ;   in Loop: Header=BB301_177 Depth=1
	v_add_f64 v[14:15], v[8:9], v[8:9]
	v_add_f64 v[22:23], v[6:7], v[6:7]
.LBB301_195:                            ;   in Loop: Header=BB301_177 Depth=1
	s_or_b64 exec, exec, s[0:1]
.LBB301_196:                            ;   in Loop: Header=BB301_177 Depth=1
	s_andn2_saveexec_b64 s[0:1], s[22:23]
	s_cbranch_execz .LBB301_226
; %bb.197:                              ;   in Loop: Header=BB301_177 Depth=1
	v_add_f64 v[6:7], v[22:23], -v[22:23]
	v_cmp_lt_i64_e32 vcc, -1, v[20:21]
	v_and_b32_e32 v15, 0x7fffffff, v7
	v_mov_b32_e32 v14, v6
	s_and_saveexec_b64 s[2:3], vcc
	s_xor_b64 s[2:3], exec, s[2:3]
; %bb.198:                              ;   in Loop: Header=BB301_177 Depth=1
	v_bfi_b32 v7, s31, v7, v23
	v_mov_b32_e32 v23, v7
	v_mov_b32_e32 v14, v20
	;; [unrolled: 1-line block ×4, first 2 shown]
; %bb.199:                              ;   in Loop: Header=BB301_177 Depth=1
	s_andn2_saveexec_b64 s[2:3], s[2:3]
; %bb.200:                              ;   in Loop: Header=BB301_177 Depth=1
	v_bfi_b32 v21, s31, v21, v23
	v_mov_b32_e32 v23, v21
	v_mov_b32_e32 v22, v20
; %bb.201:                              ;   in Loop: Header=BB301_177 Depth=1
	s_or_b64 exec, exec, s[2:3]
	s_or_b64 exec, exec, s[0:1]
.LBB301_202:                            ;   in Loop: Header=BB301_177 Depth=1
	s_andn2_saveexec_b64 s[0:1], s[20:21]
	s_cbranch_execz .LBB301_204
.LBB301_203:                            ;   in Loop: Header=BB301_177 Depth=1
	v_add_f64 v[6:7], v[22:23], -v[22:23]
	v_div_scale_f64 v[8:9], vcc, v[6:7], v[6:7], v[6:7]
	v_rcp_f64_e32 v[14:15], v[8:9]
	v_fma_f64 v[22:23], -v[8:9], v[14:15], 1.0
	v_fma_f64 v[14:15], v[14:15], v[22:23], v[14:15]
	v_fma_f64 v[22:23], -v[8:9], v[14:15], 1.0
	v_fma_f64 v[14:15], v[14:15], v[22:23], v[14:15]
	v_mul_f64 v[22:23], v[8:9], v[14:15]
	v_fma_f64 v[8:9], -v[8:9], v[22:23], v[8:9]
	v_div_fmas_f64 v[8:9], v[8:9], v[14:15], v[22:23]
	v_mov_b32_e32 v14, v20
	v_mov_b32_e32 v15, v21
	v_div_fixup_f64 v[22:23], v[8:9], v[6:7], v[6:7]
.LBB301_204:                            ;   in Loop: Header=BB301_177 Depth=1
	s_or_b64 exec, exec, s[0:1]
.LBB301_205:                            ;   in Loop: Header=BB301_177 Depth=1
	s_or_b64 exec, exec, s[18:19]
.LBB301_206:                            ;   in Loop: Header=BB301_177 Depth=1
	s_or_b64 exec, exec, s[16:17]
	v_cmp_gt_f64_e32 vcc, 0, v[14:15]
	v_xor_b32_e32 v6, 0x80000000, v15
	v_mov_b32_e32 v20, v14
	v_mov_b32_e32 v26, v22
	v_cndmask_b32_e32 v21, v15, v6, vcc
	v_cmp_gt_f64_e32 vcc, 0, v[22:23]
	v_xor_b32_e32 v6, 0x80000000, v23
	v_cndmask_b32_e32 v27, v23, v6, vcc
	v_cmp_ge_f64_e32 vcc, v[20:21], v[26:27]
                                        ; implicit-def: $vgpr8_vgpr9
	s_and_saveexec_b64 s[0:1], vcc
	s_xor_b64 s[2:3], exec, s[0:1]
	s_cbranch_execz .LBB301_212
; %bb.207:                              ;   in Loop: Header=BB301_177 Depth=1
	v_cmp_neq_f64_e32 vcc, 0, v[14:15]
	v_cmp_neq_f64_e64 s[0:1], 0, v[22:23]
                                        ; implicit-def: $vgpr8_vgpr9
	s_or_b64 s[0:1], vcc, s[0:1]
	s_and_saveexec_b64 s[16:17], s[0:1]
	s_xor_b64 s[0:1], exec, s[16:17]
	s_cbranch_execz .LBB301_209
; %bb.208:                              ;   in Loop: Header=BB301_177 Depth=1
	v_div_scale_f64 v[6:7], s[16:17], v[14:15], v[14:15], v[22:23]
	v_rcp_f64_e32 v[8:9], v[6:7]
	v_fma_f64 v[20:21], -v[6:7], v[8:9], 1.0
	v_fma_f64 v[8:9], v[8:9], v[20:21], v[8:9]
	v_div_scale_f64 v[20:21], vcc, v[22:23], v[14:15], v[22:23]
	v_fma_f64 v[26:27], -v[6:7], v[8:9], 1.0
	v_fma_f64 v[8:9], v[8:9], v[26:27], v[8:9]
	v_mul_f64 v[26:27], v[20:21], v[8:9]
	v_fma_f64 v[6:7], -v[6:7], v[26:27], v[20:21]
	v_div_fmas_f64 v[6:7], v[6:7], v[8:9], v[26:27]
	v_div_fixup_f64 v[6:7], v[6:7], v[14:15], v[22:23]
	v_fma_f64 v[8:9], v[22:23], v[6:7], v[14:15]
	v_div_scale_f64 v[14:15], s[16:17], v[8:9], v[8:9], 1.0
	v_rcp_f64_e32 v[20:21], v[14:15]
	v_fma_f64 v[22:23], -v[14:15], v[20:21], 1.0
	v_fma_f64 v[20:21], v[20:21], v[22:23], v[20:21]
	v_div_scale_f64 v[22:23], vcc, 1.0, v[8:9], 1.0
	v_fma_f64 v[26:27], -v[14:15], v[20:21], 1.0
	v_fma_f64 v[20:21], v[20:21], v[26:27], v[20:21]
	v_mul_f64 v[26:27], v[22:23], v[20:21]
	v_fma_f64 v[14:15], -v[14:15], v[26:27], v[22:23]
	v_div_fmas_f64 v[14:15], v[14:15], v[20:21], v[26:27]
	v_fma_f64 v[20:21], v[6:7], 0, 1.0
                                        ; implicit-def: $vgpr26_vgpr27
	v_div_fixup_f64 v[8:9], v[14:15], v[8:9], 1.0
	v_add_f64 v[14:15], -v[6:7], 0
	v_mul_f64 v[6:7], v[20:21], v[8:9]
	v_mul_f64 v[8:9], v[14:15], v[8:9]
                                        ; implicit-def: $vgpr20_vgpr21
.LBB301_209:                            ;   in Loop: Header=BB301_177 Depth=1
	s_andn2_saveexec_b64 s[16:17], s[0:1]
	s_cbranch_execz .LBB301_211
; %bb.210:                              ;   in Loop: Header=BB301_177 Depth=1
	v_div_scale_f64 v[6:7], s[0:1], v[20:21], v[20:21], 1.0
	v_div_scale_f64 v[8:9], s[0:1], v[26:27], v[26:27], 0
	v_div_scale_f64 v[37:38], s[0:1], 0, v[26:27], 0
	v_rcp_f64_e32 v[14:15], v[6:7]
	v_rcp_f64_e32 v[22:23], v[8:9]
	v_fma_f64 v[33:34], -v[6:7], v[14:15], 1.0
	v_fma_f64 v[35:36], -v[8:9], v[22:23], 1.0
	v_fma_f64 v[14:15], v[14:15], v[33:34], v[14:15]
	v_div_scale_f64 v[33:34], vcc, 1.0, v[20:21], 1.0
	v_fma_f64 v[22:23], v[22:23], v[35:36], v[22:23]
	v_fma_f64 v[35:36], -v[6:7], v[14:15], 1.0
	v_fma_f64 v[39:40], -v[8:9], v[22:23], 1.0
	v_fma_f64 v[14:15], v[14:15], v[35:36], v[14:15]
	v_fma_f64 v[22:23], v[22:23], v[39:40], v[22:23]
	v_mul_f64 v[35:36], v[33:34], v[14:15]
	v_mul_f64 v[39:40], v[37:38], v[22:23]
	v_fma_f64 v[6:7], -v[6:7], v[35:36], v[33:34]
	v_fma_f64 v[8:9], -v[8:9], v[39:40], v[37:38]
	v_div_fmas_f64 v[6:7], v[6:7], v[14:15], v[35:36]
	s_mov_b64 vcc, s[0:1]
	v_div_fmas_f64 v[8:9], v[8:9], v[22:23], v[39:40]
	v_div_fixup_f64 v[6:7], v[6:7], v[20:21], 1.0
	v_div_fixup_f64 v[8:9], v[8:9], v[26:27], 0
.LBB301_211:                            ;   in Loop: Header=BB301_177 Depth=1
	s_or_b64 exec, exec, s[16:17]
                                        ; implicit-def: $vgpr22_vgpr23
                                        ; implicit-def: $vgpr14_vgpr15
.LBB301_212:                            ;   in Loop: Header=BB301_177 Depth=1
	s_andn2_saveexec_b64 s[0:1], s[2:3]
	s_cbranch_execz .LBB301_214
; %bb.213:                              ;   in Loop: Header=BB301_177 Depth=1
	v_div_scale_f64 v[6:7], s[2:3], v[22:23], v[22:23], v[14:15]
	v_rcp_f64_e32 v[8:9], v[6:7]
	v_fma_f64 v[20:21], -v[6:7], v[8:9], 1.0
	v_fma_f64 v[8:9], v[8:9], v[20:21], v[8:9]
	v_div_scale_f64 v[20:21], vcc, v[14:15], v[22:23], v[14:15]
	v_fma_f64 v[26:27], -v[6:7], v[8:9], 1.0
	v_fma_f64 v[8:9], v[8:9], v[26:27], v[8:9]
	v_mul_f64 v[26:27], v[20:21], v[8:9]
	v_fma_f64 v[6:7], -v[6:7], v[26:27], v[20:21]
	v_div_fmas_f64 v[6:7], v[6:7], v[8:9], v[26:27]
	v_div_fixup_f64 v[6:7], v[6:7], v[22:23], v[14:15]
	v_fma_f64 v[8:9], v[14:15], v[6:7], v[22:23]
	v_div_scale_f64 v[14:15], s[2:3], v[8:9], v[8:9], 1.0
	v_rcp_f64_e32 v[20:21], v[14:15]
	v_fma_f64 v[22:23], -v[14:15], v[20:21], 1.0
	v_fma_f64 v[20:21], v[20:21], v[22:23], v[20:21]
	v_div_scale_f64 v[22:23], vcc, 1.0, v[8:9], 1.0
	v_fma_f64 v[26:27], -v[14:15], v[20:21], 1.0
	v_fma_f64 v[20:21], v[20:21], v[26:27], v[20:21]
	v_mul_f64 v[26:27], v[22:23], v[20:21]
	v_fma_f64 v[14:15], -v[14:15], v[26:27], v[22:23]
	v_div_fmas_f64 v[14:15], v[14:15], v[20:21], v[26:27]
	v_add_f64 v[20:21], v[6:7], 0
	v_div_fixup_f64 v[8:9], v[14:15], v[8:9], 1.0
	v_fma_f64 v[14:15], v[6:7], 0, -1.0
	v_mul_f64 v[6:7], v[20:21], v[8:9]
	v_mul_f64 v[8:9], v[14:15], v[8:9]
.LBB301_214:                            ;   in Loop: Header=BB301_177 Depth=1
	s_or_b64 exec, exec, s[0:1]
	s_waitcnt vmcnt(2)
	v_cmp_neq_f64_e32 vcc, 0, v[16:17]
	v_cmp_neq_f64_e64 s[0:1], 0, v[18:19]
	v_mov_b32_e32 v20, 0
	v_mov_b32_e32 v21, 0
	s_or_b64 s[0:1], vcc, s[0:1]
	s_and_saveexec_b64 s[16:17], s[0:1]
	s_cbranch_execz .LBB301_245
; %bb.215:                              ;   in Loop: Header=BB301_177 Depth=1
	v_mov_b32_e32 v20, 0
	v_mov_b32_e32 v21, 0x7ff00000
	v_cmp_neq_f64_e64 s[0:1], |v[18:19]|, v[20:21]
	s_and_saveexec_b64 s[18:19], s[0:1]
	s_cbranch_execz .LBB301_244
; %bb.216:                              ;   in Loop: Header=BB301_177 Depth=1
	v_cmp_o_f64_e32 vcc, v[16:17], v[16:17]
                                        ; implicit-def: $vgpr20_vgpr21
	s_and_saveexec_b64 s[0:1], vcc
	s_xor_b64 s[20:21], exec, s[0:1]
	s_cbranch_execz .LBB301_241
; %bb.217:                              ;   in Loop: Header=BB301_177 Depth=1
	v_cmp_neq_f64_e64 s[0:1], |v[16:17]|, s[8:9]
                                        ; implicit-def: $vgpr20_vgpr21
	s_and_saveexec_b64 s[2:3], s[0:1]
	s_xor_b64 s[22:23], exec, s[2:3]
	s_cbranch_execz .LBB301_234
; %bb.218:                              ;   in Loop: Header=BB301_177 Depth=1
	v_max_f64 v[14:15], |v[18:19]|, |v[18:19]|
	v_max_f64 v[20:21], |v[16:17]|, |v[16:17]|
                                        ; implicit-def: $sgpr24_sgpr25
	v_max_f64 v[14:15], v[20:21], v[14:15]
	v_cmp_nle_f64_e64 s[0:1], s[10:11], v[14:15]
	s_and_saveexec_b64 s[2:3], s[0:1]
	s_xor_b64 s[2:3], exec, s[2:3]
	s_cbranch_execz .LBB301_222
; %bb.219:                              ;   in Loop: Header=BB301_177 Depth=1
	v_cmp_le_f64_e64 s[24:25], |v[16:17]|, s[12:13]
	v_cmp_le_f64_e64 s[26:27], |v[18:19]|, s[12:13]
	s_and_b64 s[34:35], s[24:25], s[26:27]
	s_mov_b64 s[24:25], 0
	s_and_saveexec_b64 s[26:27], s[34:35]
	s_cbranch_execz .LBB301_221
; %bb.220:                              ;   in Loop: Header=BB301_177 Depth=1
	v_mul_f64 v[16:17], v[16:17], 4.0
	v_mul_f64 v[18:19], v[18:19], 4.0
	s_mov_b64 s[24:25], exec
.LBB301_221:                            ;   in Loop: Header=BB301_177 Depth=1
	s_or_b64 exec, exec, s[26:27]
.LBB301_222:                            ;   in Loop: Header=BB301_177 Depth=1
	s_andn2_saveexec_b64 s[2:3], s[2:3]
	s_cbranch_execz .LBB301_224
; %bb.223:                              ;   in Loop: Header=BB301_177 Depth=1
	v_ldexp_f64 v[16:17], v[16:17], -2
	v_ldexp_f64 v[18:19], v[18:19], -2
	s_andn2_b64 s[24:25], s[24:25], exec
.LBB301_224:                            ;   in Loop: Header=BB301_177 Depth=1
	s_or_b64 exec, exec, s[2:3]
	v_max_f64 v[14:15], |v[18:19]|, |v[18:19]|
	v_max_f64 v[20:21], |v[16:17]|, |v[16:17]|
	v_cmp_class_f64_e64 s[26:27], v[16:17], s30
	v_cmp_class_f64_e64 s[34:35], v[18:19], s30
	v_cmp_le_f64_e64 s[2:3], 0, v[16:17]
	v_max_f64 v[14:15], v[20:21], v[14:15]
	v_frexp_exp_i32_f64_e32 v33, v[14:15]
	v_sub_u32_e32 v20, 0, v33
	v_ldexp_f64 v[14:15], |v[18:19]|, v20
	v_ldexp_f64 v[20:21], |v[16:17]|, v20
	v_mul_f64 v[14:15], v[14:15], v[14:15]
	v_fma_f64 v[14:15], v[20:21], v[20:21], v[14:15]
	v_rsq_f64_e32 v[20:21], v[14:15]
	v_cmp_eq_f64_e32 vcc, 0, v[14:15]
	v_mul_f64 v[22:23], v[14:15], v[20:21]
	v_mul_f64 v[20:21], v[20:21], 0.5
	v_fma_f64 v[26:27], -v[20:21], v[22:23], 0.5
	v_fma_f64 v[22:23], v[22:23], v[26:27], v[22:23]
	v_fma_f64 v[20:21], v[20:21], v[26:27], v[20:21]
	v_fma_f64 v[26:27], -v[22:23], v[22:23], v[14:15]
	v_fma_f64 v[20:21], v[26:27], v[20:21], v[22:23]
                                        ; implicit-def: $vgpr22_vgpr23
	v_cndmask_b32_e32 v15, v21, v15, vcc
	v_cndmask_b32_e32 v14, v20, v14, vcc
	v_ldexp_f64 v[14:15], v[14:15], v33
	v_cmp_o_f64_e32 vcc, v[18:19], v[18:19]
	v_cndmask_b32_e32 v14, 0, v14, vcc
	v_cndmask_b32_e32 v15, v29, v15, vcc
	s_or_b64 vcc, s[34:35], s[26:27]
	v_cndmask_b32_e32 v21, v15, v30, vcc
	v_cndmask_b32_e64 v20, v14, 0, vcc
                                        ; implicit-def: $vgpr14_vgpr15
	s_and_saveexec_b64 s[26:27], s[2:3]
	s_xor_b64 s[2:3], exec, s[26:27]
	s_cbranch_execz .LBB301_227
; %bb.225:                              ;   in Loop: Header=BB301_177 Depth=1
	v_add_f64 v[14:15], v[16:17], v[20:21]
	v_mul_f64 v[14:15], v[14:15], 0.5
	v_cmp_gt_f64_e32 vcc, s[14:15], v[14:15]
	v_cndmask_b32_e32 v16, 0, v31, vcc
	v_ldexp_f64 v[14:15], v[14:15], v16
	v_rsq_f64_e32 v[16:17], v[14:15]
	v_mul_f64 v[20:21], v[14:15], v[16:17]
	v_mul_f64 v[16:17], v[16:17], 0.5
	v_fma_f64 v[22:23], -v[16:17], v[20:21], 0.5
	v_fma_f64 v[20:21], v[20:21], v[22:23], v[20:21]
	v_fma_f64 v[16:17], v[16:17], v[22:23], v[16:17]
	v_fma_f64 v[22:23], -v[20:21], v[20:21], v[14:15]
	v_fma_f64 v[20:21], v[22:23], v[16:17], v[20:21]
	v_fma_f64 v[22:23], -v[20:21], v[20:21], v[14:15]
	v_fma_f64 v[16:17], v[22:23], v[16:17], v[20:21]
	v_cndmask_b32_e32 v20, 0, v32, vcc
	v_cmp_class_f64_e32 vcc, v[14:15], v28
	v_ldexp_f64 v[16:17], v[16:17], v20
	v_cndmask_b32_e32 v23, v17, v15, vcc
	v_cndmask_b32_e32 v22, v16, v14, vcc
	v_add_f64 v[14:15], v[22:23], v[22:23]
	v_div_scale_f64 v[16:17], s[26:27], v[14:15], v[14:15], v[18:19]
	v_div_scale_f64 v[33:34], vcc, v[18:19], v[14:15], v[18:19]
	v_rcp_f64_e32 v[20:21], v[16:17]
	v_fma_f64 v[26:27], -v[16:17], v[20:21], 1.0
	v_fma_f64 v[20:21], v[20:21], v[26:27], v[20:21]
	v_fma_f64 v[26:27], -v[16:17], v[20:21], 1.0
	v_fma_f64 v[20:21], v[20:21], v[26:27], v[20:21]
	v_mul_f64 v[26:27], v[33:34], v[20:21]
	v_fma_f64 v[16:17], -v[16:17], v[26:27], v[33:34]
	v_div_fmas_f64 v[16:17], v[16:17], v[20:21], v[26:27]
                                        ; implicit-def: $vgpr20_vgpr21
	v_div_fixup_f64 v[14:15], v[16:17], v[14:15], v[18:19]
                                        ; implicit-def: $vgpr16_vgpr17
	s_andn2_saveexec_b64 s[2:3], s[2:3]
	s_cbranch_execz .LBB301_229
	s_branch .LBB301_228
.LBB301_226:                            ;   in Loop: Header=BB301_177 Depth=1
	s_or_b64 exec, exec, s[0:1]
	s_andn2_saveexec_b64 s[0:1], s[20:21]
	s_cbranch_execnz .LBB301_203
	s_branch .LBB301_204
.LBB301_227:                            ;   in Loop: Header=BB301_177 Depth=1
	s_andn2_saveexec_b64 s[2:3], s[2:3]
	s_cbranch_execz .LBB301_229
.LBB301_228:                            ;   in Loop: Header=BB301_177 Depth=1
	v_add_f64 v[14:15], v[20:21], -v[16:17]
	v_mul_f64 v[14:15], v[14:15], 0.5
	v_cmp_gt_f64_e32 vcc, s[14:15], v[14:15]
	v_cndmask_b32_e32 v16, 0, v31, vcc
	v_ldexp_f64 v[14:15], v[14:15], v16
	v_rsq_f64_e32 v[16:17], v[14:15]
	v_mul_f64 v[20:21], v[14:15], v[16:17]
	v_mul_f64 v[16:17], v[16:17], 0.5
	v_fma_f64 v[22:23], -v[16:17], v[20:21], 0.5
	v_fma_f64 v[20:21], v[20:21], v[22:23], v[20:21]
	v_fma_f64 v[16:17], v[16:17], v[22:23], v[16:17]
	v_fma_f64 v[22:23], -v[20:21], v[20:21], v[14:15]
	v_fma_f64 v[20:21], v[22:23], v[16:17], v[20:21]
	v_fma_f64 v[22:23], -v[20:21], v[20:21], v[14:15]
	v_fma_f64 v[16:17], v[22:23], v[16:17], v[20:21]
	v_cndmask_b32_e32 v20, 0, v32, vcc
	v_cmp_class_f64_e32 vcc, v[14:15], v28
	v_and_b32_e32 v21, 0x7fffffff, v19
	v_ldexp_f64 v[16:17], v[16:17], v20
	v_mov_b32_e32 v20, v18
	v_cndmask_b32_e32 v15, v17, v15, vcc
	v_cndmask_b32_e32 v14, v16, v14, vcc
	v_add_f64 v[16:17], v[14:15], v[14:15]
	v_bfi_b32 v15, s31, v15, v19
	v_div_scale_f64 v[22:23], s[26:27], v[16:17], v[16:17], v[20:21]
	v_div_scale_f64 v[20:21], vcc, v[20:21], v[16:17], v[20:21]
	v_rcp_f64_e32 v[26:27], v[22:23]
	v_fma_f64 v[33:34], -v[22:23], v[26:27], 1.0
	v_fma_f64 v[26:27], v[26:27], v[33:34], v[26:27]
	v_fma_f64 v[33:34], -v[22:23], v[26:27], 1.0
	v_fma_f64 v[26:27], v[26:27], v[33:34], v[26:27]
	v_mul_f64 v[33:34], v[20:21], v[26:27]
	v_fma_f64 v[20:21], -v[22:23], v[33:34], v[20:21]
	v_div_fmas_f64 v[20:21], v[20:21], v[26:27], v[33:34]
	v_div_fixup_f64 v[22:23], v[20:21], v[16:17], |v[18:19]|
.LBB301_229:                            ;   in Loop: Header=BB301_177 Depth=1
	s_or_b64 exec, exec, s[2:3]
                                        ; implicit-def: $vgpr18_vgpr19
                                        ; implicit-def: $vgpr20_vgpr21
	s_and_saveexec_b64 s[2:3], s[0:1]
	s_xor_b64 s[0:1], exec, s[2:3]
	s_cbranch_execz .LBB301_231
; %bb.230:                              ;   in Loop: Header=BB301_177 Depth=1
	v_mul_f64 v[16:17], v[22:23], 0.5
	v_mul_f64 v[18:19], v[14:15], 0.5
	v_cndmask_b32_e64 v21, v23, v17, s[24:25]
	v_cndmask_b32_e64 v20, v22, v16, s[24:25]
	;; [unrolled: 1-line block ×4, first 2 shown]
                                        ; implicit-def: $vgpr22_vgpr23
                                        ; implicit-def: $vgpr14_vgpr15
	s_andn2_saveexec_b64 s[0:1], s[0:1]
	s_cbranch_execnz .LBB301_232
	s_branch .LBB301_233
.LBB301_231:                            ;   in Loop: Header=BB301_177 Depth=1
	s_andn2_saveexec_b64 s[0:1], s[0:1]
	s_cbranch_execz .LBB301_233
.LBB301_232:                            ;   in Loop: Header=BB301_177 Depth=1
	v_add_f64 v[20:21], v[22:23], v[22:23]
	v_add_f64 v[18:19], v[14:15], v[14:15]
.LBB301_233:                            ;   in Loop: Header=BB301_177 Depth=1
	s_or_b64 exec, exec, s[0:1]
.LBB301_234:                            ;   in Loop: Header=BB301_177 Depth=1
	s_andn2_saveexec_b64 s[0:1], s[22:23]
	s_cbranch_execz .LBB301_240
; %bb.235:                              ;   in Loop: Header=BB301_177 Depth=1
	v_add_f64 v[14:15], v[18:19], -v[18:19]
	v_cmp_lt_i64_e32 vcc, -1, v[16:17]
	v_and_b32_e32 v21, 0x7fffffff, v15
	v_mov_b32_e32 v20, v14
	s_and_saveexec_b64 s[2:3], vcc
	s_xor_b64 s[2:3], exec, s[2:3]
; %bb.236:                              ;   in Loop: Header=BB301_177 Depth=1
	v_bfi_b32 v15, s31, v15, v19
	v_mov_b32_e32 v19, v15
	v_mov_b32_e32 v21, v17
	;; [unrolled: 1-line block ×4, first 2 shown]
; %bb.237:                              ;   in Loop: Header=BB301_177 Depth=1
	s_andn2_saveexec_b64 s[2:3], s[2:3]
; %bb.238:                              ;   in Loop: Header=BB301_177 Depth=1
	v_bfi_b32 v17, s31, v17, v19
	v_mov_b32_e32 v19, v17
	v_mov_b32_e32 v18, v16
; %bb.239:                              ;   in Loop: Header=BB301_177 Depth=1
	s_or_b64 exec, exec, s[2:3]
.LBB301_240:                            ;   in Loop: Header=BB301_177 Depth=1
	s_or_b64 exec, exec, s[0:1]
.LBB301_241:                            ;   in Loop: Header=BB301_177 Depth=1
	s_andn2_saveexec_b64 s[0:1], s[20:21]
	s_cbranch_execz .LBB301_243
; %bb.242:                              ;   in Loop: Header=BB301_177 Depth=1
	v_add_f64 v[14:15], v[18:19], -v[18:19]
	v_div_scale_f64 v[18:19], vcc, v[14:15], v[14:15], v[14:15]
	v_rcp_f64_e32 v[20:21], v[18:19]
	v_fma_f64 v[22:23], -v[18:19], v[20:21], 1.0
	v_fma_f64 v[20:21], v[20:21], v[22:23], v[20:21]
	v_fma_f64 v[22:23], -v[18:19], v[20:21], 1.0
	v_fma_f64 v[20:21], v[20:21], v[22:23], v[20:21]
	v_mul_f64 v[22:23], v[18:19], v[20:21]
	v_fma_f64 v[18:19], -v[18:19], v[22:23], v[18:19]
	v_div_fmas_f64 v[18:19], v[18:19], v[20:21], v[22:23]
	v_mov_b32_e32 v21, v17
	v_mov_b32_e32 v20, v16
	v_div_fixup_f64 v[18:19], v[18:19], v[14:15], v[14:15]
.LBB301_243:                            ;   in Loop: Header=BB301_177 Depth=1
	s_or_b64 exec, exec, s[0:1]
.LBB301_244:                            ;   in Loop: Header=BB301_177 Depth=1
	s_or_b64 exec, exec, s[18:19]
.LBB301_245:                            ;   in Loop: Header=BB301_177 Depth=1
	s_or_b64 exec, exec, s[16:17]
	v_cmp_gt_f64_e32 vcc, 0, v[20:21]
	v_xor_b32_e32 v14, 0x80000000, v21
	v_mov_b32_e32 v22, v20
	v_mov_b32_e32 v26, v18
	v_cndmask_b32_e32 v23, v21, v14, vcc
	v_cmp_gt_f64_e32 vcc, 0, v[18:19]
	v_xor_b32_e32 v14, 0x80000000, v19
	v_cndmask_b32_e32 v27, v19, v14, vcc
	v_cmp_ge_f64_e32 vcc, v[22:23], v[26:27]
                                        ; implicit-def: $vgpr16_vgpr17
	s_and_saveexec_b64 s[0:1], vcc
	s_xor_b64 s[2:3], exec, s[0:1]
	s_cbranch_execz .LBB301_251
; %bb.246:                              ;   in Loop: Header=BB301_177 Depth=1
	v_cmp_neq_f64_e32 vcc, 0, v[20:21]
	v_cmp_neq_f64_e64 s[0:1], 0, v[18:19]
                                        ; implicit-def: $vgpr16_vgpr17
	s_or_b64 s[0:1], vcc, s[0:1]
	s_and_saveexec_b64 s[16:17], s[0:1]
	s_xor_b64 s[0:1], exec, s[16:17]
	s_cbranch_execz .LBB301_248
; %bb.247:                              ;   in Loop: Header=BB301_177 Depth=1
	v_div_scale_f64 v[14:15], s[16:17], v[20:21], v[20:21], v[18:19]
	v_rcp_f64_e32 v[16:17], v[14:15]
	v_fma_f64 v[22:23], -v[14:15], v[16:17], 1.0
	v_fma_f64 v[16:17], v[16:17], v[22:23], v[16:17]
	v_div_scale_f64 v[22:23], vcc, v[18:19], v[20:21], v[18:19]
	v_fma_f64 v[26:27], -v[14:15], v[16:17], 1.0
	v_fma_f64 v[16:17], v[16:17], v[26:27], v[16:17]
	v_mul_f64 v[26:27], v[22:23], v[16:17]
	v_fma_f64 v[14:15], -v[14:15], v[26:27], v[22:23]
	v_div_fmas_f64 v[14:15], v[14:15], v[16:17], v[26:27]
	v_div_fixup_f64 v[14:15], v[14:15], v[20:21], v[18:19]
	v_fma_f64 v[16:17], v[18:19], v[14:15], v[20:21]
	v_div_scale_f64 v[18:19], s[16:17], v[16:17], v[16:17], 1.0
	v_rcp_f64_e32 v[20:21], v[18:19]
	v_fma_f64 v[22:23], -v[18:19], v[20:21], 1.0
	v_fma_f64 v[20:21], v[20:21], v[22:23], v[20:21]
	v_div_scale_f64 v[22:23], vcc, 1.0, v[16:17], 1.0
	v_fma_f64 v[26:27], -v[18:19], v[20:21], 1.0
	v_fma_f64 v[20:21], v[20:21], v[26:27], v[20:21]
	v_mul_f64 v[26:27], v[22:23], v[20:21]
	v_fma_f64 v[18:19], -v[18:19], v[26:27], v[22:23]
                                        ; implicit-def: $vgpr22_vgpr23
	v_div_fmas_f64 v[18:19], v[18:19], v[20:21], v[26:27]
	v_fma_f64 v[20:21], v[14:15], 0, 1.0
                                        ; implicit-def: $vgpr26_vgpr27
	v_div_fixup_f64 v[16:17], v[18:19], v[16:17], 1.0
	v_add_f64 v[18:19], -v[14:15], 0
	v_mul_f64 v[14:15], v[20:21], v[16:17]
	v_mul_f64 v[16:17], v[18:19], v[16:17]
.LBB301_248:                            ;   in Loop: Header=BB301_177 Depth=1
	s_andn2_saveexec_b64 s[16:17], s[0:1]
	s_cbranch_execz .LBB301_250
; %bb.249:                              ;   in Loop: Header=BB301_177 Depth=1
	v_div_scale_f64 v[14:15], s[0:1], v[22:23], v[22:23], 1.0
	v_div_scale_f64 v[16:17], s[0:1], v[26:27], v[26:27], 0
	v_div_scale_f64 v[37:38], s[0:1], 0, v[26:27], 0
	v_rcp_f64_e32 v[18:19], v[14:15]
	v_rcp_f64_e32 v[20:21], v[16:17]
	v_fma_f64 v[33:34], -v[14:15], v[18:19], 1.0
	v_fma_f64 v[35:36], -v[16:17], v[20:21], 1.0
	v_fma_f64 v[18:19], v[18:19], v[33:34], v[18:19]
	v_div_scale_f64 v[33:34], vcc, 1.0, v[22:23], 1.0
	v_fma_f64 v[20:21], v[20:21], v[35:36], v[20:21]
	v_fma_f64 v[35:36], -v[14:15], v[18:19], 1.0
	v_fma_f64 v[39:40], -v[16:17], v[20:21], 1.0
	v_fma_f64 v[18:19], v[18:19], v[35:36], v[18:19]
	v_fma_f64 v[20:21], v[20:21], v[39:40], v[20:21]
	v_mul_f64 v[35:36], v[33:34], v[18:19]
	v_mul_f64 v[39:40], v[37:38], v[20:21]
	v_fma_f64 v[14:15], -v[14:15], v[35:36], v[33:34]
	v_fma_f64 v[16:17], -v[16:17], v[39:40], v[37:38]
	v_div_fmas_f64 v[14:15], v[14:15], v[18:19], v[35:36]
	s_mov_b64 vcc, s[0:1]
	v_div_fmas_f64 v[16:17], v[16:17], v[20:21], v[39:40]
	v_div_fixup_f64 v[14:15], v[14:15], v[22:23], 1.0
	v_div_fixup_f64 v[16:17], v[16:17], v[26:27], 0
.LBB301_250:                            ;   in Loop: Header=BB301_177 Depth=1
	s_or_b64 exec, exec, s[16:17]
                                        ; implicit-def: $vgpr18_vgpr19
                                        ; implicit-def: $vgpr20_vgpr21
.LBB301_251:                            ;   in Loop: Header=BB301_177 Depth=1
	s_andn2_saveexec_b64 s[0:1], s[2:3]
	s_cbranch_execz .LBB301_253
; %bb.252:                              ;   in Loop: Header=BB301_177 Depth=1
	v_div_scale_f64 v[14:15], s[2:3], v[18:19], v[18:19], v[20:21]
	v_rcp_f64_e32 v[16:17], v[14:15]
	v_fma_f64 v[22:23], -v[14:15], v[16:17], 1.0
	v_fma_f64 v[16:17], v[16:17], v[22:23], v[16:17]
	v_div_scale_f64 v[22:23], vcc, v[20:21], v[18:19], v[20:21]
	v_fma_f64 v[26:27], -v[14:15], v[16:17], 1.0
	v_fma_f64 v[16:17], v[16:17], v[26:27], v[16:17]
	v_mul_f64 v[26:27], v[22:23], v[16:17]
	v_fma_f64 v[14:15], -v[14:15], v[26:27], v[22:23]
	v_div_fmas_f64 v[14:15], v[14:15], v[16:17], v[26:27]
	v_div_fixup_f64 v[14:15], v[14:15], v[18:19], v[20:21]
	v_fma_f64 v[16:17], v[20:21], v[14:15], v[18:19]
	v_div_scale_f64 v[18:19], s[2:3], v[16:17], v[16:17], 1.0
	v_rcp_f64_e32 v[20:21], v[18:19]
	v_fma_f64 v[22:23], -v[18:19], v[20:21], 1.0
	v_fma_f64 v[20:21], v[20:21], v[22:23], v[20:21]
	v_div_scale_f64 v[22:23], vcc, 1.0, v[16:17], 1.0
	v_fma_f64 v[26:27], -v[18:19], v[20:21], 1.0
	v_fma_f64 v[20:21], v[20:21], v[26:27], v[20:21]
	v_mul_f64 v[26:27], v[22:23], v[20:21]
	v_fma_f64 v[18:19], -v[18:19], v[26:27], v[22:23]
	v_div_fmas_f64 v[18:19], v[18:19], v[20:21], v[26:27]
	v_add_f64 v[20:21], v[14:15], 0
	v_div_fixup_f64 v[16:17], v[18:19], v[16:17], 1.0
	v_fma_f64 v[18:19], v[14:15], 0, -1.0
	v_mul_f64 v[14:15], v[20:21], v[16:17]
	v_mul_f64 v[16:17], v[18:19], v[16:17]
.LBB301_253:                            ;   in Loop: Header=BB301_177 Depth=1
	s_or_b64 exec, exec, s[0:1]
	s_waitcnt vmcnt(0)
	v_cmp_neq_f64_e32 vcc, 0, v[10:11]
	v_cmp_neq_f64_e64 s[0:1], 0, v[12:13]
	v_mov_b32_e32 v22, 0
	v_mov_b32_e32 v23, 0
	s_or_b64 s[0:1], vcc, s[0:1]
	s_and_saveexec_b64 s[16:17], s[0:1]
	s_cbranch_execz .LBB301_283
; %bb.254:                              ;   in Loop: Header=BB301_177 Depth=1
	v_mov_b32_e32 v22, 0
	v_mov_b32_e32 v23, 0x7ff00000
	v_cmp_neq_f64_e64 s[0:1], |v[12:13]|, v[22:23]
	s_and_saveexec_b64 s[18:19], s[0:1]
	s_cbranch_execz .LBB301_282
; %bb.255:                              ;   in Loop: Header=BB301_177 Depth=1
	v_cmp_o_f64_e32 vcc, v[10:11], v[10:11]
                                        ; implicit-def: $vgpr22_vgpr23
	s_and_saveexec_b64 s[0:1], vcc
	s_xor_b64 s[20:21], exec, s[0:1]
	s_cbranch_execz .LBB301_279
; %bb.256:                              ;   in Loop: Header=BB301_177 Depth=1
	v_cmp_neq_f64_e64 s[0:1], |v[10:11]|, s[8:9]
                                        ; implicit-def: $vgpr22_vgpr23
	s_and_saveexec_b64 s[2:3], s[0:1]
	s_xor_b64 s[22:23], exec, s[2:3]
	s_cbranch_execz .LBB301_272
; %bb.257:                              ;   in Loop: Header=BB301_177 Depth=1
	v_max_f64 v[18:19], |v[12:13]|, |v[12:13]|
	v_max_f64 v[20:21], |v[10:11]|, |v[10:11]|
                                        ; implicit-def: $sgpr24_sgpr25
	v_max_f64 v[18:19], v[20:21], v[18:19]
	v_cmp_nle_f64_e64 s[0:1], s[10:11], v[18:19]
	s_and_saveexec_b64 s[2:3], s[0:1]
	s_xor_b64 s[2:3], exec, s[2:3]
	s_cbranch_execz .LBB301_261
; %bb.258:                              ;   in Loop: Header=BB301_177 Depth=1
	v_cmp_le_f64_e64 s[24:25], |v[10:11]|, s[12:13]
	v_cmp_le_f64_e64 s[26:27], |v[12:13]|, s[12:13]
	s_and_b64 s[34:35], s[24:25], s[26:27]
	s_mov_b64 s[24:25], 0
	s_and_saveexec_b64 s[26:27], s[34:35]
	s_cbranch_execz .LBB301_260
; %bb.259:                              ;   in Loop: Header=BB301_177 Depth=1
	v_mul_f64 v[10:11], v[10:11], 4.0
	v_mul_f64 v[12:13], v[12:13], 4.0
	s_mov_b64 s[24:25], exec
.LBB301_260:                            ;   in Loop: Header=BB301_177 Depth=1
	s_or_b64 exec, exec, s[26:27]
.LBB301_261:                            ;   in Loop: Header=BB301_177 Depth=1
	s_andn2_saveexec_b64 s[2:3], s[2:3]
	s_cbranch_execz .LBB301_263
; %bb.262:                              ;   in Loop: Header=BB301_177 Depth=1
	v_ldexp_f64 v[10:11], v[10:11], -2
	v_ldexp_f64 v[12:13], v[12:13], -2
	s_andn2_b64 s[24:25], s[24:25], exec
.LBB301_263:                            ;   in Loop: Header=BB301_177 Depth=1
	s_or_b64 exec, exec, s[2:3]
	v_max_f64 v[18:19], |v[12:13]|, |v[12:13]|
	v_max_f64 v[20:21], |v[10:11]|, |v[10:11]|
	v_cmp_class_f64_e64 s[26:27], v[10:11], s30
	v_cmp_class_f64_e64 s[34:35], v[12:13], s30
	v_cmp_le_f64_e64 s[2:3], 0, v[10:11]
	v_max_f64 v[18:19], v[20:21], v[18:19]
	v_frexp_exp_i32_f64_e32 v33, v[18:19]
	v_sub_u32_e32 v20, 0, v33
	v_ldexp_f64 v[18:19], |v[12:13]|, v20
	v_ldexp_f64 v[20:21], |v[10:11]|, v20
	v_mul_f64 v[18:19], v[18:19], v[18:19]
	v_fma_f64 v[18:19], v[20:21], v[20:21], v[18:19]
	v_rsq_f64_e32 v[20:21], v[18:19]
	v_cmp_eq_f64_e32 vcc, 0, v[18:19]
	v_mul_f64 v[22:23], v[18:19], v[20:21]
	v_mul_f64 v[20:21], v[20:21], 0.5
	v_fma_f64 v[26:27], -v[20:21], v[22:23], 0.5
	v_fma_f64 v[22:23], v[22:23], v[26:27], v[22:23]
	v_fma_f64 v[20:21], v[20:21], v[26:27], v[20:21]
	v_fma_f64 v[26:27], -v[22:23], v[22:23], v[18:19]
	v_fma_f64 v[20:21], v[26:27], v[20:21], v[22:23]
	v_cndmask_b32_e32 v19, v21, v19, vcc
	v_cndmask_b32_e32 v18, v20, v18, vcc
	v_ldexp_f64 v[18:19], v[18:19], v33
	v_cmp_o_f64_e32 vcc, v[12:13], v[12:13]
                                        ; implicit-def: $vgpr20_vgpr21
	v_cndmask_b32_e32 v18, 0, v18, vcc
	v_cndmask_b32_e32 v19, v29, v19, vcc
	s_or_b64 vcc, s[34:35], s[26:27]
	v_cndmask_b32_e32 v23, v19, v30, vcc
	v_cndmask_b32_e64 v22, v18, 0, vcc
                                        ; implicit-def: $vgpr18_vgpr19
	s_and_saveexec_b64 s[26:27], s[2:3]
	s_xor_b64 s[2:3], exec, s[26:27]
	s_cbranch_execz .LBB301_265
; %bb.264:                              ;   in Loop: Header=BB301_177 Depth=1
	v_add_f64 v[10:11], v[10:11], v[22:23]
	v_mul_f64 v[10:11], v[10:11], 0.5
	v_cmp_gt_f64_e32 vcc, s[14:15], v[10:11]
	v_cndmask_b32_e32 v18, 0, v31, vcc
	v_ldexp_f64 v[10:11], v[10:11], v18
	v_rsq_f64_e32 v[18:19], v[10:11]
	v_mul_f64 v[20:21], v[10:11], v[18:19]
	v_mul_f64 v[18:19], v[18:19], 0.5
	v_fma_f64 v[22:23], -v[18:19], v[20:21], 0.5
	v_fma_f64 v[20:21], v[20:21], v[22:23], v[20:21]
	v_fma_f64 v[18:19], v[18:19], v[22:23], v[18:19]
	v_fma_f64 v[22:23], -v[20:21], v[20:21], v[10:11]
	v_fma_f64 v[20:21], v[22:23], v[18:19], v[20:21]
	v_fma_f64 v[22:23], -v[20:21], v[20:21], v[10:11]
	v_fma_f64 v[18:19], v[22:23], v[18:19], v[20:21]
	v_cndmask_b32_e32 v20, 0, v32, vcc
	v_cmp_class_f64_e32 vcc, v[10:11], v28
	v_ldexp_f64 v[18:19], v[18:19], v20
	v_cndmask_b32_e32 v21, v19, v11, vcc
	v_cndmask_b32_e32 v20, v18, v10, vcc
	v_add_f64 v[10:11], v[20:21], v[20:21]
	v_div_scale_f64 v[18:19], s[26:27], v[10:11], v[10:11], v[12:13]
	v_div_scale_f64 v[33:34], vcc, v[12:13], v[10:11], v[12:13]
	v_rcp_f64_e32 v[22:23], v[18:19]
	v_fma_f64 v[26:27], -v[18:19], v[22:23], 1.0
	v_fma_f64 v[22:23], v[22:23], v[26:27], v[22:23]
	v_fma_f64 v[26:27], -v[18:19], v[22:23], 1.0
	v_fma_f64 v[22:23], v[22:23], v[26:27], v[22:23]
	v_mul_f64 v[26:27], v[33:34], v[22:23]
	v_fma_f64 v[18:19], -v[18:19], v[26:27], v[33:34]
	v_div_fmas_f64 v[18:19], v[18:19], v[22:23], v[26:27]
                                        ; implicit-def: $vgpr22_vgpr23
	v_div_fixup_f64 v[18:19], v[18:19], v[10:11], v[12:13]
                                        ; implicit-def: $vgpr10_vgpr11
	s_andn2_saveexec_b64 s[2:3], s[2:3]
	s_cbranch_execz .LBB301_267
	s_branch .LBB301_266
.LBB301_265:                            ;   in Loop: Header=BB301_177 Depth=1
	s_andn2_saveexec_b64 s[2:3], s[2:3]
	s_cbranch_execz .LBB301_267
.LBB301_266:                            ;   in Loop: Header=BB301_177 Depth=1
	v_add_f64 v[10:11], v[22:23], -v[10:11]
	v_mul_f64 v[10:11], v[10:11], 0.5
	v_cmp_gt_f64_e32 vcc, s[14:15], v[10:11]
	v_cndmask_b32_e32 v18, 0, v31, vcc
	v_ldexp_f64 v[10:11], v[10:11], v18
	v_rsq_f64_e32 v[18:19], v[10:11]
	v_mul_f64 v[20:21], v[10:11], v[18:19]
	v_mul_f64 v[18:19], v[18:19], 0.5
	v_fma_f64 v[22:23], -v[18:19], v[20:21], 0.5
	v_fma_f64 v[20:21], v[20:21], v[22:23], v[20:21]
	v_fma_f64 v[18:19], v[18:19], v[22:23], v[18:19]
	v_fma_f64 v[22:23], -v[20:21], v[20:21], v[10:11]
	v_fma_f64 v[20:21], v[22:23], v[18:19], v[20:21]
	v_fma_f64 v[22:23], -v[20:21], v[20:21], v[10:11]
	v_fma_f64 v[18:19], v[22:23], v[18:19], v[20:21]
	v_cndmask_b32_e32 v20, 0, v32, vcc
	v_cmp_class_f64_e32 vcc, v[10:11], v28
	v_and_b32_e32 v21, 0x7fffffff, v13
	v_ldexp_f64 v[18:19], v[18:19], v20
	v_mov_b32_e32 v20, v12
	v_cndmask_b32_e32 v19, v19, v11, vcc
	v_cndmask_b32_e32 v18, v18, v10, vcc
	v_add_f64 v[10:11], v[18:19], v[18:19]
	v_bfi_b32 v19, s31, v19, v13
	v_div_scale_f64 v[22:23], s[26:27], v[10:11], v[10:11], v[20:21]
	v_div_scale_f64 v[20:21], vcc, v[20:21], v[10:11], v[20:21]
	v_rcp_f64_e32 v[26:27], v[22:23]
	v_fma_f64 v[33:34], -v[22:23], v[26:27], 1.0
	v_fma_f64 v[26:27], v[26:27], v[33:34], v[26:27]
	v_fma_f64 v[33:34], -v[22:23], v[26:27], 1.0
	v_fma_f64 v[26:27], v[26:27], v[33:34], v[26:27]
	v_mul_f64 v[33:34], v[20:21], v[26:27]
	v_fma_f64 v[20:21], -v[22:23], v[33:34], v[20:21]
	v_div_fmas_f64 v[20:21], v[20:21], v[26:27], v[33:34]
	v_div_fixup_f64 v[20:21], v[20:21], v[10:11], |v[12:13]|
.LBB301_267:                            ;   in Loop: Header=BB301_177 Depth=1
	s_or_b64 exec, exec, s[2:3]
                                        ; implicit-def: $vgpr12_vgpr13
                                        ; implicit-def: $vgpr22_vgpr23
	s_and_saveexec_b64 s[2:3], s[0:1]
	s_xor_b64 s[0:1], exec, s[2:3]
	s_cbranch_execz .LBB301_269
; %bb.268:                              ;   in Loop: Header=BB301_177 Depth=1
	v_mul_f64 v[10:11], v[20:21], 0.5
	v_mul_f64 v[12:13], v[18:19], 0.5
	v_cndmask_b32_e64 v23, v21, v11, s[24:25]
	v_cndmask_b32_e64 v22, v20, v10, s[24:25]
	;; [unrolled: 1-line block ×4, first 2 shown]
                                        ; implicit-def: $vgpr20_vgpr21
                                        ; implicit-def: $vgpr18_vgpr19
	s_andn2_saveexec_b64 s[0:1], s[0:1]
	s_cbranch_execnz .LBB301_270
	s_branch .LBB301_271
.LBB301_269:                            ;   in Loop: Header=BB301_177 Depth=1
	s_andn2_saveexec_b64 s[0:1], s[0:1]
	s_cbranch_execz .LBB301_271
.LBB301_270:                            ;   in Loop: Header=BB301_177 Depth=1
	v_add_f64 v[22:23], v[20:21], v[20:21]
	v_add_f64 v[12:13], v[18:19], v[18:19]
.LBB301_271:                            ;   in Loop: Header=BB301_177 Depth=1
	s_or_b64 exec, exec, s[0:1]
.LBB301_272:                            ;   in Loop: Header=BB301_177 Depth=1
	s_andn2_saveexec_b64 s[0:1], s[22:23]
	s_cbranch_execz .LBB301_278
; %bb.273:                              ;   in Loop: Header=BB301_177 Depth=1
	v_add_f64 v[18:19], v[12:13], -v[12:13]
	v_cmp_lt_i64_e32 vcc, -1, v[10:11]
	v_and_b32_e32 v23, 0x7fffffff, v19
	v_mov_b32_e32 v22, v18
	s_and_saveexec_b64 s[2:3], vcc
	s_xor_b64 s[2:3], exec, s[2:3]
; %bb.274:                              ;   in Loop: Header=BB301_177 Depth=1
	v_bfi_b32 v19, s31, v19, v13
	v_mov_b32_e32 v12, v18
	v_mov_b32_e32 v23, v11
	;; [unrolled: 1-line block ×4, first 2 shown]
; %bb.275:                              ;   in Loop: Header=BB301_177 Depth=1
	s_andn2_saveexec_b64 s[2:3], s[2:3]
; %bb.276:                              ;   in Loop: Header=BB301_177 Depth=1
	v_bfi_b32 v11, s31, v11, v13
	v_mov_b32_e32 v13, v11
	v_mov_b32_e32 v12, v10
; %bb.277:                              ;   in Loop: Header=BB301_177 Depth=1
	s_or_b64 exec, exec, s[2:3]
.LBB301_278:                            ;   in Loop: Header=BB301_177 Depth=1
	s_or_b64 exec, exec, s[0:1]
.LBB301_279:                            ;   in Loop: Header=BB301_177 Depth=1
	s_andn2_saveexec_b64 s[0:1], s[20:21]
	s_cbranch_execz .LBB301_281
; %bb.280:                              ;   in Loop: Header=BB301_177 Depth=1
	v_add_f64 v[12:13], v[12:13], -v[12:13]
	v_div_scale_f64 v[18:19], vcc, v[12:13], v[12:13], v[12:13]
	v_rcp_f64_e32 v[20:21], v[18:19]
	v_fma_f64 v[22:23], -v[18:19], v[20:21], 1.0
	v_fma_f64 v[20:21], v[20:21], v[22:23], v[20:21]
	v_fma_f64 v[22:23], -v[18:19], v[20:21], 1.0
	v_fma_f64 v[20:21], v[20:21], v[22:23], v[20:21]
	v_mul_f64 v[22:23], v[18:19], v[20:21]
	v_fma_f64 v[18:19], -v[18:19], v[22:23], v[18:19]
	v_div_fmas_f64 v[18:19], v[18:19], v[20:21], v[22:23]
	v_mov_b32_e32 v23, v11
	v_mov_b32_e32 v22, v10
	v_div_fixup_f64 v[12:13], v[18:19], v[12:13], v[12:13]
.LBB301_281:                            ;   in Loop: Header=BB301_177 Depth=1
	s_or_b64 exec, exec, s[0:1]
.LBB301_282:                            ;   in Loop: Header=BB301_177 Depth=1
	s_or_b64 exec, exec, s[18:19]
.LBB301_283:                            ;   in Loop: Header=BB301_177 Depth=1
	s_or_b64 exec, exec, s[16:17]
	v_cmp_gt_f64_e32 vcc, 0, v[22:23]
	v_xor_b32_e32 v10, 0x80000000, v23
	v_xor_b32_e32 v18, 0x80000000, v13
	v_mov_b32_e32 v26, v12
	v_cndmask_b32_e32 v11, v23, v10, vcc
	v_cmp_gt_f64_e32 vcc, 0, v[12:13]
	v_mov_b32_e32 v10, v22
	v_cndmask_b32_e32 v27, v13, v18, vcc
	v_cmp_ge_f64_e32 vcc, v[10:11], v[26:27]
                                        ; implicit-def: $vgpr20_vgpr21
	s_and_saveexec_b64 s[0:1], vcc
	s_xor_b64 s[2:3], exec, s[0:1]
	s_cbranch_execz .LBB301_289
; %bb.284:                              ;   in Loop: Header=BB301_177 Depth=1
	v_cmp_neq_f64_e32 vcc, 0, v[22:23]
	v_cmp_neq_f64_e64 s[0:1], 0, v[12:13]
                                        ; implicit-def: $vgpr20_vgpr21
	s_or_b64 s[0:1], vcc, s[0:1]
	s_and_saveexec_b64 s[16:17], s[0:1]
	s_xor_b64 s[0:1], exec, s[16:17]
	s_cbranch_execz .LBB301_286
; %bb.285:                              ;   in Loop: Header=BB301_177 Depth=1
	v_div_scale_f64 v[10:11], s[16:17], v[22:23], v[22:23], v[12:13]
	v_rcp_f64_e32 v[18:19], v[10:11]
	v_fma_f64 v[20:21], -v[10:11], v[18:19], 1.0
	v_fma_f64 v[18:19], v[18:19], v[20:21], v[18:19]
	v_div_scale_f64 v[20:21], vcc, v[12:13], v[22:23], v[12:13]
	v_fma_f64 v[26:27], -v[10:11], v[18:19], 1.0
	v_fma_f64 v[18:19], v[18:19], v[26:27], v[18:19]
	v_mul_f64 v[26:27], v[20:21], v[18:19]
	v_fma_f64 v[10:11], -v[10:11], v[26:27], v[20:21]
	v_div_fmas_f64 v[10:11], v[10:11], v[18:19], v[26:27]
	v_div_fixup_f64 v[10:11], v[10:11], v[22:23], v[12:13]
	v_fma_f64 v[12:13], v[12:13], v[10:11], v[22:23]
	v_div_scale_f64 v[18:19], s[16:17], v[12:13], v[12:13], 1.0
	v_rcp_f64_e32 v[20:21], v[18:19]
	v_fma_f64 v[22:23], -v[18:19], v[20:21], 1.0
	v_fma_f64 v[20:21], v[20:21], v[22:23], v[20:21]
	v_div_scale_f64 v[22:23], vcc, 1.0, v[12:13], 1.0
	v_fma_f64 v[26:27], -v[18:19], v[20:21], 1.0
	v_fma_f64 v[20:21], v[20:21], v[26:27], v[20:21]
	v_mul_f64 v[26:27], v[22:23], v[20:21]
	v_fma_f64 v[18:19], -v[18:19], v[26:27], v[22:23]
	v_div_fmas_f64 v[18:19], v[18:19], v[20:21], v[26:27]
	v_fma_f64 v[20:21], v[10:11], 0, 1.0
	v_add_f64 v[10:11], -v[10:11], 0
                                        ; implicit-def: $vgpr26_vgpr27
	v_div_fixup_f64 v[12:13], v[18:19], v[12:13], 1.0
	v_mul_f64 v[18:19], v[20:21], v[12:13]
	v_mul_f64 v[20:21], v[10:11], v[12:13]
                                        ; implicit-def: $vgpr10_vgpr11
.LBB301_286:                            ;   in Loop: Header=BB301_177 Depth=1
	s_andn2_saveexec_b64 s[16:17], s[0:1]
	s_cbranch_execz .LBB301_288
; %bb.287:                              ;   in Loop: Header=BB301_177 Depth=1
	v_div_scale_f64 v[12:13], s[0:1], v[10:11], v[10:11], 1.0
	v_div_scale_f64 v[18:19], s[0:1], v[26:27], v[26:27], 0
	v_div_scale_f64 v[37:38], s[0:1], 0, v[26:27], 0
	v_rcp_f64_e32 v[20:21], v[12:13]
	v_rcp_f64_e32 v[22:23], v[18:19]
	v_fma_f64 v[33:34], -v[12:13], v[20:21], 1.0
	v_fma_f64 v[35:36], -v[18:19], v[22:23], 1.0
	v_fma_f64 v[20:21], v[20:21], v[33:34], v[20:21]
	v_div_scale_f64 v[33:34], vcc, 1.0, v[10:11], 1.0
	v_fma_f64 v[22:23], v[22:23], v[35:36], v[22:23]
	v_fma_f64 v[35:36], -v[12:13], v[20:21], 1.0
	v_fma_f64 v[39:40], -v[18:19], v[22:23], 1.0
	v_fma_f64 v[20:21], v[20:21], v[35:36], v[20:21]
	v_fma_f64 v[22:23], v[22:23], v[39:40], v[22:23]
	v_mul_f64 v[35:36], v[33:34], v[20:21]
	v_mul_f64 v[39:40], v[37:38], v[22:23]
	v_fma_f64 v[12:13], -v[12:13], v[35:36], v[33:34]
	v_fma_f64 v[18:19], -v[18:19], v[39:40], v[37:38]
	v_div_fmas_f64 v[12:13], v[12:13], v[20:21], v[35:36]
	s_mov_b64 vcc, s[0:1]
	v_div_fmas_f64 v[20:21], v[18:19], v[22:23], v[39:40]
	v_div_fixup_f64 v[18:19], v[12:13], v[10:11], 1.0
	v_div_fixup_f64 v[20:21], v[20:21], v[26:27], 0
.LBB301_288:                            ;   in Loop: Header=BB301_177 Depth=1
	s_or_b64 exec, exec, s[16:17]
                                        ; implicit-def: $vgpr12_vgpr13
                                        ; implicit-def: $vgpr22_vgpr23
.LBB301_289:                            ;   in Loop: Header=BB301_177 Depth=1
	s_andn2_saveexec_b64 s[0:1], s[2:3]
	s_cbranch_execz .LBB301_291
; %bb.290:                              ;   in Loop: Header=BB301_177 Depth=1
	v_div_scale_f64 v[10:11], s[2:3], v[12:13], v[12:13], v[22:23]
	v_rcp_f64_e32 v[18:19], v[10:11]
	v_fma_f64 v[20:21], -v[10:11], v[18:19], 1.0
	v_fma_f64 v[18:19], v[18:19], v[20:21], v[18:19]
	v_div_scale_f64 v[20:21], vcc, v[22:23], v[12:13], v[22:23]
	v_fma_f64 v[26:27], -v[10:11], v[18:19], 1.0
	v_fma_f64 v[18:19], v[18:19], v[26:27], v[18:19]
	v_mul_f64 v[26:27], v[20:21], v[18:19]
	v_fma_f64 v[10:11], -v[10:11], v[26:27], v[20:21]
	v_div_fmas_f64 v[10:11], v[10:11], v[18:19], v[26:27]
	v_div_fixup_f64 v[10:11], v[10:11], v[12:13], v[22:23]
	v_fma_f64 v[12:13], v[22:23], v[10:11], v[12:13]
	v_div_scale_f64 v[18:19], s[2:3], v[12:13], v[12:13], 1.0
	v_rcp_f64_e32 v[20:21], v[18:19]
	v_fma_f64 v[22:23], -v[18:19], v[20:21], 1.0
	v_fma_f64 v[20:21], v[20:21], v[22:23], v[20:21]
	v_div_scale_f64 v[22:23], vcc, 1.0, v[12:13], 1.0
	v_fma_f64 v[26:27], -v[18:19], v[20:21], 1.0
	v_fma_f64 v[20:21], v[20:21], v[26:27], v[20:21]
	v_mul_f64 v[26:27], v[22:23], v[20:21]
	v_fma_f64 v[18:19], -v[18:19], v[26:27], v[22:23]
	v_div_fmas_f64 v[18:19], v[18:19], v[20:21], v[26:27]
	v_add_f64 v[20:21], v[10:11], 0
	v_fma_f64 v[10:11], v[10:11], 0, -1.0
	v_div_fixup_f64 v[12:13], v[18:19], v[12:13], 1.0
	v_mul_f64 v[18:19], v[20:21], v[12:13]
	v_mul_f64 v[20:21], v[10:11], v[12:13]
.LBB301_291:                            ;   in Loop: Header=BB301_177 Depth=1
	s_or_b64 exec, exec, s[0:1]
	v_cmp_neq_f64_e32 vcc, 0, v[2:3]
	v_cmp_neq_f64_e64 s[0:1], 0, v[4:5]
	v_mov_b32_e32 v22, 0
	v_mov_b32_e32 v23, 0
	s_or_b64 s[0:1], vcc, s[0:1]
	s_and_saveexec_b64 s[16:17], s[0:1]
	s_cbranch_execz .LBB301_321
; %bb.292:                              ;   in Loop: Header=BB301_177 Depth=1
	v_mov_b32_e32 v22, 0
	v_mov_b32_e32 v23, 0x7ff00000
	v_cmp_neq_f64_e64 s[0:1], |v[4:5]|, v[22:23]
	s_and_saveexec_b64 s[18:19], s[0:1]
	s_cbranch_execz .LBB301_320
; %bb.293:                              ;   in Loop: Header=BB301_177 Depth=1
	v_cmp_o_f64_e32 vcc, v[2:3], v[2:3]
                                        ; implicit-def: $vgpr22_vgpr23
	s_and_saveexec_b64 s[0:1], vcc
	s_xor_b64 s[20:21], exec, s[0:1]
	s_cbranch_execz .LBB301_317
; %bb.294:                              ;   in Loop: Header=BB301_177 Depth=1
	v_cmp_neq_f64_e64 s[0:1], |v[2:3]|, s[8:9]
                                        ; implicit-def: $vgpr22_vgpr23
	s_and_saveexec_b64 s[2:3], s[0:1]
	s_xor_b64 s[22:23], exec, s[2:3]
	s_cbranch_execz .LBB301_310
; %bb.295:                              ;   in Loop: Header=BB301_177 Depth=1
	v_max_f64 v[10:11], |v[4:5]|, |v[4:5]|
	v_max_f64 v[12:13], |v[2:3]|, |v[2:3]|
                                        ; implicit-def: $sgpr24_sgpr25
	v_max_f64 v[10:11], v[12:13], v[10:11]
	v_cmp_nle_f64_e64 s[0:1], s[10:11], v[10:11]
	s_and_saveexec_b64 s[2:3], s[0:1]
	s_xor_b64 s[2:3], exec, s[2:3]
	s_cbranch_execz .LBB301_299
; %bb.296:                              ;   in Loop: Header=BB301_177 Depth=1
	v_cmp_le_f64_e64 s[24:25], |v[2:3]|, s[12:13]
	v_cmp_le_f64_e64 s[26:27], |v[4:5]|, s[12:13]
	s_and_b64 s[34:35], s[24:25], s[26:27]
	s_mov_b64 s[24:25], 0
	s_and_saveexec_b64 s[26:27], s[34:35]
	s_cbranch_execz .LBB301_298
; %bb.297:                              ;   in Loop: Header=BB301_177 Depth=1
	v_mul_f64 v[2:3], v[2:3], 4.0
	v_mul_f64 v[4:5], v[4:5], 4.0
	s_mov_b64 s[24:25], exec
.LBB301_298:                            ;   in Loop: Header=BB301_177 Depth=1
	s_or_b64 exec, exec, s[26:27]
.LBB301_299:                            ;   in Loop: Header=BB301_177 Depth=1
	s_andn2_saveexec_b64 s[2:3], s[2:3]
	s_cbranch_execz .LBB301_301
; %bb.300:                              ;   in Loop: Header=BB301_177 Depth=1
	v_ldexp_f64 v[2:3], v[2:3], -2
	v_ldexp_f64 v[4:5], v[4:5], -2
	s_andn2_b64 s[24:25], s[24:25], exec
.LBB301_301:                            ;   in Loop: Header=BB301_177 Depth=1
	s_or_b64 exec, exec, s[2:3]
	v_max_f64 v[10:11], |v[4:5]|, |v[4:5]|
	v_max_f64 v[12:13], |v[2:3]|, |v[2:3]|
	v_cmp_class_f64_e64 s[26:27], v[2:3], s30
	v_cmp_class_f64_e64 s[34:35], v[4:5], s30
	v_cmp_le_f64_e64 s[2:3], 0, v[2:3]
	v_max_f64 v[10:11], v[12:13], v[10:11]
	v_frexp_exp_i32_f64_e32 v33, v[10:11]
	v_sub_u32_e32 v12, 0, v33
	v_ldexp_f64 v[10:11], |v[4:5]|, v12
	v_ldexp_f64 v[12:13], |v[2:3]|, v12
	v_mul_f64 v[10:11], v[10:11], v[10:11]
	v_fma_f64 v[10:11], v[12:13], v[12:13], v[10:11]
	v_rsq_f64_e32 v[12:13], v[10:11]
	v_cmp_eq_f64_e32 vcc, 0, v[10:11]
	v_mul_f64 v[22:23], v[10:11], v[12:13]
	v_mul_f64 v[12:13], v[12:13], 0.5
	v_fma_f64 v[26:27], -v[12:13], v[22:23], 0.5
	v_fma_f64 v[22:23], v[22:23], v[26:27], v[22:23]
	v_fma_f64 v[12:13], v[12:13], v[26:27], v[12:13]
	v_fma_f64 v[26:27], -v[22:23], v[22:23], v[10:11]
	v_fma_f64 v[12:13], v[26:27], v[12:13], v[22:23]
	v_cndmask_b32_e32 v11, v13, v11, vcc
	v_cndmask_b32_e32 v10, v12, v10, vcc
	v_ldexp_f64 v[10:11], v[10:11], v33
	v_cmp_o_f64_e32 vcc, v[4:5], v[4:5]
                                        ; implicit-def: $vgpr12_vgpr13
	v_cndmask_b32_e32 v10, 0, v10, vcc
	v_cndmask_b32_e32 v11, v29, v11, vcc
	s_or_b64 vcc, s[34:35], s[26:27]
	v_cndmask_b32_e32 v23, v11, v30, vcc
	v_cndmask_b32_e64 v22, v10, 0, vcc
                                        ; implicit-def: $vgpr10_vgpr11
	s_and_saveexec_b64 s[26:27], s[2:3]
	s_xor_b64 s[2:3], exec, s[26:27]
	s_cbranch_execz .LBB301_303
; %bb.302:                              ;   in Loop: Header=BB301_177 Depth=1
	v_add_f64 v[2:3], v[2:3], v[22:23]
	v_mul_f64 v[2:3], v[2:3], 0.5
	v_cmp_gt_f64_e32 vcc, s[14:15], v[2:3]
	v_cndmask_b32_e32 v10, 0, v31, vcc
	v_ldexp_f64 v[2:3], v[2:3], v10
	v_rsq_f64_e32 v[10:11], v[2:3]
	v_mul_f64 v[12:13], v[2:3], v[10:11]
	v_mul_f64 v[10:11], v[10:11], 0.5
	v_fma_f64 v[22:23], -v[10:11], v[12:13], 0.5
	v_fma_f64 v[12:13], v[12:13], v[22:23], v[12:13]
	v_fma_f64 v[10:11], v[10:11], v[22:23], v[10:11]
	v_fma_f64 v[22:23], -v[12:13], v[12:13], v[2:3]
	v_fma_f64 v[12:13], v[22:23], v[10:11], v[12:13]
	v_fma_f64 v[22:23], -v[12:13], v[12:13], v[2:3]
	v_fma_f64 v[10:11], v[22:23], v[10:11], v[12:13]
	v_cndmask_b32_e32 v12, 0, v32, vcc
	v_cmp_class_f64_e32 vcc, v[2:3], v28
	v_ldexp_f64 v[10:11], v[10:11], v12
	v_cndmask_b32_e32 v13, v11, v3, vcc
	v_cndmask_b32_e32 v12, v10, v2, vcc
	v_add_f64 v[2:3], v[12:13], v[12:13]
	v_div_scale_f64 v[10:11], s[26:27], v[2:3], v[2:3], v[4:5]
	v_div_scale_f64 v[33:34], vcc, v[4:5], v[2:3], v[4:5]
	v_rcp_f64_e32 v[22:23], v[10:11]
	v_fma_f64 v[26:27], -v[10:11], v[22:23], 1.0
	v_fma_f64 v[22:23], v[22:23], v[26:27], v[22:23]
	v_fma_f64 v[26:27], -v[10:11], v[22:23], 1.0
	v_fma_f64 v[22:23], v[22:23], v[26:27], v[22:23]
	v_mul_f64 v[26:27], v[33:34], v[22:23]
	v_fma_f64 v[10:11], -v[10:11], v[26:27], v[33:34]
	v_div_fmas_f64 v[10:11], v[10:11], v[22:23], v[26:27]
                                        ; implicit-def: $vgpr22_vgpr23
	v_div_fixup_f64 v[10:11], v[10:11], v[2:3], v[4:5]
                                        ; implicit-def: $vgpr2_vgpr3
	s_andn2_saveexec_b64 s[2:3], s[2:3]
	s_cbranch_execz .LBB301_305
	s_branch .LBB301_304
.LBB301_303:                            ;   in Loop: Header=BB301_177 Depth=1
	s_andn2_saveexec_b64 s[2:3], s[2:3]
	s_cbranch_execz .LBB301_305
.LBB301_304:                            ;   in Loop: Header=BB301_177 Depth=1
	v_add_f64 v[2:3], v[22:23], -v[2:3]
	v_mul_f64 v[2:3], v[2:3], 0.5
	v_cmp_gt_f64_e32 vcc, s[14:15], v[2:3]
	v_cndmask_b32_e32 v10, 0, v31, vcc
	v_ldexp_f64 v[2:3], v[2:3], v10
	v_rsq_f64_e32 v[10:11], v[2:3]
	v_mul_f64 v[12:13], v[2:3], v[10:11]
	v_mul_f64 v[10:11], v[10:11], 0.5
	v_fma_f64 v[22:23], -v[10:11], v[12:13], 0.5
	v_fma_f64 v[12:13], v[12:13], v[22:23], v[12:13]
	v_fma_f64 v[10:11], v[10:11], v[22:23], v[10:11]
	v_fma_f64 v[22:23], -v[12:13], v[12:13], v[2:3]
	v_fma_f64 v[12:13], v[22:23], v[10:11], v[12:13]
	v_fma_f64 v[22:23], -v[12:13], v[12:13], v[2:3]
	v_fma_f64 v[10:11], v[22:23], v[10:11], v[12:13]
	v_cndmask_b32_e32 v12, 0, v32, vcc
	v_cmp_class_f64_e32 vcc, v[2:3], v28
	v_and_b32_e32 v13, 0x7fffffff, v5
	v_ldexp_f64 v[10:11], v[10:11], v12
	v_mov_b32_e32 v12, v4
	v_cndmask_b32_e32 v11, v11, v3, vcc
	v_cndmask_b32_e32 v10, v10, v2, vcc
	v_add_f64 v[2:3], v[10:11], v[10:11]
	v_bfi_b32 v11, s31, v11, v5
	v_div_scale_f64 v[22:23], s[26:27], v[2:3], v[2:3], v[12:13]
	v_div_scale_f64 v[12:13], vcc, v[12:13], v[2:3], v[12:13]
	v_rcp_f64_e32 v[26:27], v[22:23]
	v_fma_f64 v[33:34], -v[22:23], v[26:27], 1.0
	v_fma_f64 v[26:27], v[26:27], v[33:34], v[26:27]
	v_fma_f64 v[33:34], -v[22:23], v[26:27], 1.0
	v_fma_f64 v[26:27], v[26:27], v[33:34], v[26:27]
	v_mul_f64 v[33:34], v[12:13], v[26:27]
	v_fma_f64 v[12:13], -v[22:23], v[33:34], v[12:13]
	v_div_fmas_f64 v[12:13], v[12:13], v[26:27], v[33:34]
	v_div_fixup_f64 v[12:13], v[12:13], v[2:3], |v[4:5]|
.LBB301_305:                            ;   in Loop: Header=BB301_177 Depth=1
	s_or_b64 exec, exec, s[2:3]
                                        ; implicit-def: $vgpr4_vgpr5
                                        ; implicit-def: $vgpr22_vgpr23
	s_and_saveexec_b64 s[2:3], s[0:1]
	s_xor_b64 s[0:1], exec, s[2:3]
	s_cbranch_execz .LBB301_307
; %bb.306:                              ;   in Loop: Header=BB301_177 Depth=1
	v_mul_f64 v[2:3], v[12:13], 0.5
	v_mul_f64 v[4:5], v[10:11], 0.5
	v_cndmask_b32_e64 v23, v13, v3, s[24:25]
	v_cndmask_b32_e64 v22, v12, v2, s[24:25]
	;; [unrolled: 1-line block ×4, first 2 shown]
                                        ; implicit-def: $vgpr12_vgpr13
                                        ; implicit-def: $vgpr10_vgpr11
	s_andn2_saveexec_b64 s[0:1], s[0:1]
	s_cbranch_execnz .LBB301_308
	s_branch .LBB301_309
.LBB301_307:                            ;   in Loop: Header=BB301_177 Depth=1
	s_andn2_saveexec_b64 s[0:1], s[0:1]
	s_cbranch_execz .LBB301_309
.LBB301_308:                            ;   in Loop: Header=BB301_177 Depth=1
	v_add_f64 v[22:23], v[12:13], v[12:13]
	v_add_f64 v[4:5], v[10:11], v[10:11]
.LBB301_309:                            ;   in Loop: Header=BB301_177 Depth=1
	s_or_b64 exec, exec, s[0:1]
.LBB301_310:                            ;   in Loop: Header=BB301_177 Depth=1
	s_andn2_saveexec_b64 s[0:1], s[22:23]
	s_cbranch_execz .LBB301_316
; %bb.311:                              ;   in Loop: Header=BB301_177 Depth=1
	v_add_f64 v[10:11], v[4:5], -v[4:5]
	v_cmp_lt_i64_e32 vcc, -1, v[2:3]
	v_and_b32_e32 v23, 0x7fffffff, v11
	v_mov_b32_e32 v22, v10
	s_and_saveexec_b64 s[2:3], vcc
	s_xor_b64 s[2:3], exec, s[2:3]
; %bb.312:                              ;   in Loop: Header=BB301_177 Depth=1
	v_bfi_b32 v11, s31, v11, v5
	v_mov_b32_e32 v4, v10
	v_mov_b32_e32 v23, v3
	;; [unrolled: 1-line block ×4, first 2 shown]
; %bb.313:                              ;   in Loop: Header=BB301_177 Depth=1
	s_andn2_saveexec_b64 s[2:3], s[2:3]
; %bb.314:                              ;   in Loop: Header=BB301_177 Depth=1
	v_bfi_b32 v3, s31, v3, v5
	v_mov_b32_e32 v5, v3
	v_mov_b32_e32 v4, v2
; %bb.315:                              ;   in Loop: Header=BB301_177 Depth=1
	s_or_b64 exec, exec, s[2:3]
.LBB301_316:                            ;   in Loop: Header=BB301_177 Depth=1
	s_or_b64 exec, exec, s[0:1]
.LBB301_317:                            ;   in Loop: Header=BB301_177 Depth=1
	s_andn2_saveexec_b64 s[0:1], s[20:21]
	s_cbranch_execz .LBB301_319
; %bb.318:                              ;   in Loop: Header=BB301_177 Depth=1
	v_add_f64 v[4:5], v[4:5], -v[4:5]
	v_div_scale_f64 v[10:11], vcc, v[4:5], v[4:5], v[4:5]
	v_rcp_f64_e32 v[12:13], v[10:11]
	v_fma_f64 v[22:23], -v[10:11], v[12:13], 1.0
	v_fma_f64 v[12:13], v[12:13], v[22:23], v[12:13]
	v_fma_f64 v[22:23], -v[10:11], v[12:13], 1.0
	v_fma_f64 v[12:13], v[12:13], v[22:23], v[12:13]
	v_mul_f64 v[22:23], v[10:11], v[12:13]
	v_fma_f64 v[10:11], -v[10:11], v[22:23], v[10:11]
	v_div_fmas_f64 v[10:11], v[10:11], v[12:13], v[22:23]
	v_mov_b32_e32 v23, v3
	v_mov_b32_e32 v22, v2
	v_div_fixup_f64 v[4:5], v[10:11], v[4:5], v[4:5]
.LBB301_319:                            ;   in Loop: Header=BB301_177 Depth=1
	s_or_b64 exec, exec, s[0:1]
.LBB301_320:                            ;   in Loop: Header=BB301_177 Depth=1
	s_or_b64 exec, exec, s[18:19]
.LBB301_321:                            ;   in Loop: Header=BB301_177 Depth=1
	s_or_b64 exec, exec, s[16:17]
	v_cmp_gt_f64_e32 vcc, 0, v[22:23]
	v_xor_b32_e32 v2, 0x80000000, v23
	v_xor_b32_e32 v10, 0x80000000, v5
	v_mov_b32_e32 v26, v4
	v_cndmask_b32_e32 v3, v23, v2, vcc
	v_cmp_gt_f64_e32 vcc, 0, v[4:5]
	v_mov_b32_e32 v2, v22
	v_cndmask_b32_e32 v27, v5, v10, vcc
	v_cmp_ge_f64_e32 vcc, v[2:3], v[26:27]
                                        ; implicit-def: $vgpr12_vgpr13
	s_and_saveexec_b64 s[0:1], vcc
	s_xor_b64 s[2:3], exec, s[0:1]
	s_cbranch_execz .LBB301_327
; %bb.322:                              ;   in Loop: Header=BB301_177 Depth=1
	v_cmp_neq_f64_e32 vcc, 0, v[22:23]
	v_cmp_neq_f64_e64 s[0:1], 0, v[4:5]
                                        ; implicit-def: $vgpr12_vgpr13
	s_or_b64 s[0:1], vcc, s[0:1]
	s_and_saveexec_b64 s[16:17], s[0:1]
	s_xor_b64 s[0:1], exec, s[16:17]
	s_cbranch_execz .LBB301_324
; %bb.323:                              ;   in Loop: Header=BB301_177 Depth=1
	v_div_scale_f64 v[2:3], s[16:17], v[22:23], v[22:23], v[4:5]
	v_rcp_f64_e32 v[10:11], v[2:3]
	v_fma_f64 v[12:13], -v[2:3], v[10:11], 1.0
	v_fma_f64 v[10:11], v[10:11], v[12:13], v[10:11]
	v_div_scale_f64 v[12:13], vcc, v[4:5], v[22:23], v[4:5]
	v_fma_f64 v[26:27], -v[2:3], v[10:11], 1.0
	v_fma_f64 v[10:11], v[10:11], v[26:27], v[10:11]
	v_mul_f64 v[26:27], v[12:13], v[10:11]
	v_fma_f64 v[2:3], -v[2:3], v[26:27], v[12:13]
	v_div_fmas_f64 v[2:3], v[2:3], v[10:11], v[26:27]
	v_div_fixup_f64 v[2:3], v[2:3], v[22:23], v[4:5]
	v_fma_f64 v[4:5], v[4:5], v[2:3], v[22:23]
	v_div_scale_f64 v[10:11], s[16:17], v[4:5], v[4:5], 1.0
	v_rcp_f64_e32 v[12:13], v[10:11]
	v_fma_f64 v[22:23], -v[10:11], v[12:13], 1.0
	v_fma_f64 v[12:13], v[12:13], v[22:23], v[12:13]
	v_div_scale_f64 v[22:23], vcc, 1.0, v[4:5], 1.0
	v_fma_f64 v[26:27], -v[10:11], v[12:13], 1.0
	v_fma_f64 v[12:13], v[12:13], v[26:27], v[12:13]
	v_mul_f64 v[26:27], v[22:23], v[12:13]
	v_fma_f64 v[10:11], -v[10:11], v[26:27], v[22:23]
	v_div_fmas_f64 v[10:11], v[10:11], v[12:13], v[26:27]
	v_fma_f64 v[12:13], v[2:3], 0, 1.0
	v_add_f64 v[2:3], -v[2:3], 0
                                        ; implicit-def: $vgpr26_vgpr27
	v_div_fixup_f64 v[4:5], v[10:11], v[4:5], 1.0
	v_mul_f64 v[10:11], v[12:13], v[4:5]
	v_mul_f64 v[12:13], v[2:3], v[4:5]
                                        ; implicit-def: $vgpr2_vgpr3
.LBB301_324:                            ;   in Loop: Header=BB301_177 Depth=1
	s_andn2_saveexec_b64 s[16:17], s[0:1]
	s_cbranch_execz .LBB301_326
; %bb.325:                              ;   in Loop: Header=BB301_177 Depth=1
	v_div_scale_f64 v[4:5], s[0:1], v[2:3], v[2:3], 1.0
	v_div_scale_f64 v[10:11], s[0:1], v[26:27], v[26:27], 0
	v_div_scale_f64 v[37:38], s[0:1], 0, v[26:27], 0
	v_rcp_f64_e32 v[12:13], v[4:5]
	v_rcp_f64_e32 v[22:23], v[10:11]
	v_fma_f64 v[33:34], -v[4:5], v[12:13], 1.0
	v_fma_f64 v[35:36], -v[10:11], v[22:23], 1.0
	v_fma_f64 v[12:13], v[12:13], v[33:34], v[12:13]
	v_div_scale_f64 v[33:34], vcc, 1.0, v[2:3], 1.0
	v_fma_f64 v[22:23], v[22:23], v[35:36], v[22:23]
	v_fma_f64 v[35:36], -v[4:5], v[12:13], 1.0
	v_fma_f64 v[39:40], -v[10:11], v[22:23], 1.0
	v_fma_f64 v[12:13], v[12:13], v[35:36], v[12:13]
	v_fma_f64 v[22:23], v[22:23], v[39:40], v[22:23]
	v_mul_f64 v[35:36], v[33:34], v[12:13]
	v_mul_f64 v[39:40], v[37:38], v[22:23]
	v_fma_f64 v[4:5], -v[4:5], v[35:36], v[33:34]
	v_fma_f64 v[10:11], -v[10:11], v[39:40], v[37:38]
	v_div_fmas_f64 v[4:5], v[4:5], v[12:13], v[35:36]
	s_mov_b64 vcc, s[0:1]
	v_div_fmas_f64 v[12:13], v[10:11], v[22:23], v[39:40]
	v_div_fixup_f64 v[10:11], v[4:5], v[2:3], 1.0
	v_div_fixup_f64 v[12:13], v[12:13], v[26:27], 0
.LBB301_326:                            ;   in Loop: Header=BB301_177 Depth=1
	s_or_b64 exec, exec, s[16:17]
                                        ; implicit-def: $vgpr4_vgpr5
                                        ; implicit-def: $vgpr22_vgpr23
.LBB301_327:                            ;   in Loop: Header=BB301_177 Depth=1
	s_andn2_saveexec_b64 s[0:1], s[2:3]
	s_cbranch_execz .LBB301_176
; %bb.328:                              ;   in Loop: Header=BB301_177 Depth=1
	v_div_scale_f64 v[2:3], s[2:3], v[4:5], v[4:5], v[22:23]
	v_rcp_f64_e32 v[10:11], v[2:3]
	v_fma_f64 v[12:13], -v[2:3], v[10:11], 1.0
	v_fma_f64 v[10:11], v[10:11], v[12:13], v[10:11]
	v_div_scale_f64 v[12:13], vcc, v[22:23], v[4:5], v[22:23]
	v_fma_f64 v[26:27], -v[2:3], v[10:11], 1.0
	v_fma_f64 v[10:11], v[10:11], v[26:27], v[10:11]
	v_mul_f64 v[26:27], v[12:13], v[10:11]
	v_fma_f64 v[2:3], -v[2:3], v[26:27], v[12:13]
	v_div_fmas_f64 v[2:3], v[2:3], v[10:11], v[26:27]
	v_div_fixup_f64 v[2:3], v[2:3], v[4:5], v[22:23]
	v_fma_f64 v[4:5], v[22:23], v[2:3], v[4:5]
	v_div_scale_f64 v[10:11], s[2:3], v[4:5], v[4:5], 1.0
	v_rcp_f64_e32 v[12:13], v[10:11]
	v_fma_f64 v[22:23], -v[10:11], v[12:13], 1.0
	v_fma_f64 v[12:13], v[12:13], v[22:23], v[12:13]
	v_div_scale_f64 v[22:23], vcc, 1.0, v[4:5], 1.0
	v_fma_f64 v[26:27], -v[10:11], v[12:13], 1.0
	v_fma_f64 v[12:13], v[12:13], v[26:27], v[12:13]
	v_mul_f64 v[26:27], v[22:23], v[12:13]
	v_fma_f64 v[10:11], -v[10:11], v[26:27], v[22:23]
	v_div_fmas_f64 v[10:11], v[10:11], v[12:13], v[26:27]
	v_add_f64 v[12:13], v[2:3], 0
	v_fma_f64 v[2:3], v[2:3], 0, -1.0
	v_div_fixup_f64 v[4:5], v[10:11], v[4:5], 1.0
	v_mul_f64 v[10:11], v[12:13], v[4:5]
	v_mul_f64 v[12:13], v[2:3], v[4:5]
	s_branch .LBB301_176
.LBB301_329:
	s_endpgm
	.section	.rodata,"a",@progbits
	.p2align	6, 0x0
	.amdhsa_kernel _ZN2at6native12_GLOBAL__N_125multi_tensor_apply_kernelINS1_18TensorListMetadataILi1EEENS1_14UnaryOpFunctorIN3c107complexIdEELi1ELi1ELi0EEEJNS0_5RsqrtIS8_EEEEEvT_T0_DpT1_
		.amdhsa_group_segment_fixed_size 0
		.amdhsa_private_segment_fixed_size 0
		.amdhsa_kernarg_size 3632
		.amdhsa_user_sgpr_count 6
		.amdhsa_user_sgpr_private_segment_buffer 1
		.amdhsa_user_sgpr_dispatch_ptr 0
		.amdhsa_user_sgpr_queue_ptr 0
		.amdhsa_user_sgpr_kernarg_segment_ptr 1
		.amdhsa_user_sgpr_dispatch_id 0
		.amdhsa_user_sgpr_flat_scratch_init 0
		.amdhsa_user_sgpr_private_segment_size 0
		.amdhsa_uses_dynamic_stack 0
		.amdhsa_system_sgpr_private_segment_wavefront_offset 0
		.amdhsa_system_sgpr_workgroup_id_x 1
		.amdhsa_system_sgpr_workgroup_id_y 0
		.amdhsa_system_sgpr_workgroup_id_z 0
		.amdhsa_system_sgpr_workgroup_info 0
		.amdhsa_system_vgpr_workitem_id 0
		.amdhsa_next_free_vgpr 50
		.amdhsa_next_free_sgpr 56
		.amdhsa_reserve_vcc 1
		.amdhsa_reserve_flat_scratch 0
		.amdhsa_float_round_mode_32 0
		.amdhsa_float_round_mode_16_64 0
		.amdhsa_float_denorm_mode_32 3
		.amdhsa_float_denorm_mode_16_64 3
		.amdhsa_dx10_clamp 1
		.amdhsa_ieee_mode 1
		.amdhsa_fp16_overflow 0
		.amdhsa_exception_fp_ieee_invalid_op 0
		.amdhsa_exception_fp_denorm_src 0
		.amdhsa_exception_fp_ieee_div_zero 0
		.amdhsa_exception_fp_ieee_overflow 0
		.amdhsa_exception_fp_ieee_underflow 0
		.amdhsa_exception_fp_ieee_inexact 0
		.amdhsa_exception_int_div_zero 0
	.end_amdhsa_kernel
	.section	.text._ZN2at6native12_GLOBAL__N_125multi_tensor_apply_kernelINS1_18TensorListMetadataILi1EEENS1_14UnaryOpFunctorIN3c107complexIdEELi1ELi1ELi0EEEJNS0_5RsqrtIS8_EEEEEvT_T0_DpT1_,"axG",@progbits,_ZN2at6native12_GLOBAL__N_125multi_tensor_apply_kernelINS1_18TensorListMetadataILi1EEENS1_14UnaryOpFunctorIN3c107complexIdEELi1ELi1ELi0EEEJNS0_5RsqrtIS8_EEEEEvT_T0_DpT1_,comdat
.Lfunc_end301:
	.size	_ZN2at6native12_GLOBAL__N_125multi_tensor_apply_kernelINS1_18TensorListMetadataILi1EEENS1_14UnaryOpFunctorIN3c107complexIdEELi1ELi1ELi0EEEJNS0_5RsqrtIS8_EEEEEvT_T0_DpT1_, .Lfunc_end301-_ZN2at6native12_GLOBAL__N_125multi_tensor_apply_kernelINS1_18TensorListMetadataILi1EEENS1_14UnaryOpFunctorIN3c107complexIdEELi1ELi1ELi0EEEJNS0_5RsqrtIS8_EEEEEvT_T0_DpT1_
                                        ; -- End function
	.set _ZN2at6native12_GLOBAL__N_125multi_tensor_apply_kernelINS1_18TensorListMetadataILi1EEENS1_14UnaryOpFunctorIN3c107complexIdEELi1ELi1ELi0EEEJNS0_5RsqrtIS8_EEEEEvT_T0_DpT1_.num_vgpr, 50
	.set _ZN2at6native12_GLOBAL__N_125multi_tensor_apply_kernelINS1_18TensorListMetadataILi1EEENS1_14UnaryOpFunctorIN3c107complexIdEELi1ELi1ELi0EEEJNS0_5RsqrtIS8_EEEEEvT_T0_DpT1_.num_agpr, 0
	.set _ZN2at6native12_GLOBAL__N_125multi_tensor_apply_kernelINS1_18TensorListMetadataILi1EEENS1_14UnaryOpFunctorIN3c107complexIdEELi1ELi1ELi0EEEJNS0_5RsqrtIS8_EEEEEvT_T0_DpT1_.numbered_sgpr, 56
	.set _ZN2at6native12_GLOBAL__N_125multi_tensor_apply_kernelINS1_18TensorListMetadataILi1EEENS1_14UnaryOpFunctorIN3c107complexIdEELi1ELi1ELi0EEEJNS0_5RsqrtIS8_EEEEEvT_T0_DpT1_.num_named_barrier, 0
	.set _ZN2at6native12_GLOBAL__N_125multi_tensor_apply_kernelINS1_18TensorListMetadataILi1EEENS1_14UnaryOpFunctorIN3c107complexIdEELi1ELi1ELi0EEEJNS0_5RsqrtIS8_EEEEEvT_T0_DpT1_.private_seg_size, 0
	.set _ZN2at6native12_GLOBAL__N_125multi_tensor_apply_kernelINS1_18TensorListMetadataILi1EEENS1_14UnaryOpFunctorIN3c107complexIdEELi1ELi1ELi0EEEJNS0_5RsqrtIS8_EEEEEvT_T0_DpT1_.uses_vcc, 1
	.set _ZN2at6native12_GLOBAL__N_125multi_tensor_apply_kernelINS1_18TensorListMetadataILi1EEENS1_14UnaryOpFunctorIN3c107complexIdEELi1ELi1ELi0EEEJNS0_5RsqrtIS8_EEEEEvT_T0_DpT1_.uses_flat_scratch, 0
	.set _ZN2at6native12_GLOBAL__N_125multi_tensor_apply_kernelINS1_18TensorListMetadataILi1EEENS1_14UnaryOpFunctorIN3c107complexIdEELi1ELi1ELi0EEEJNS0_5RsqrtIS8_EEEEEvT_T0_DpT1_.has_dyn_sized_stack, 0
	.set _ZN2at6native12_GLOBAL__N_125multi_tensor_apply_kernelINS1_18TensorListMetadataILi1EEENS1_14UnaryOpFunctorIN3c107complexIdEELi1ELi1ELi0EEEJNS0_5RsqrtIS8_EEEEEvT_T0_DpT1_.has_recursion, 0
	.set _ZN2at6native12_GLOBAL__N_125multi_tensor_apply_kernelINS1_18TensorListMetadataILi1EEENS1_14UnaryOpFunctorIN3c107complexIdEELi1ELi1ELi0EEEJNS0_5RsqrtIS8_EEEEEvT_T0_DpT1_.has_indirect_call, 0
	.section	.AMDGPU.csdata,"",@progbits
; Kernel info:
; codeLenInByte = 16724
; TotalNumSgprs: 60
; NumVgprs: 50
; ScratchSize: 0
; MemoryBound: 1
; FloatMode: 240
; IeeeMode: 1
; LDSByteSize: 0 bytes/workgroup (compile time only)
; SGPRBlocks: 7
; VGPRBlocks: 12
; NumSGPRsForWavesPerEU: 60
; NumVGPRsForWavesPerEU: 50
; Occupancy: 4
; WaveLimiterHint : 0
; COMPUTE_PGM_RSRC2:SCRATCH_EN: 0
; COMPUTE_PGM_RSRC2:USER_SGPR: 6
; COMPUTE_PGM_RSRC2:TRAP_HANDLER: 0
; COMPUTE_PGM_RSRC2:TGID_X_EN: 1
; COMPUTE_PGM_RSRC2:TGID_Y_EN: 0
; COMPUTE_PGM_RSRC2:TGID_Z_EN: 0
; COMPUTE_PGM_RSRC2:TIDIG_COMP_CNT: 0
	.section	.text._ZN2at6native12_GLOBAL__N_125multi_tensor_apply_kernelINS1_18TensorListMetadataILi1EEENS1_14UnaryOpFunctorIN3c107complexIfEELi1ELi1ELi0EEEJNS0_5RsqrtIS8_EEEEEvT_T0_DpT1_,"axG",@progbits,_ZN2at6native12_GLOBAL__N_125multi_tensor_apply_kernelINS1_18TensorListMetadataILi1EEENS1_14UnaryOpFunctorIN3c107complexIfEELi1ELi1ELi0EEEJNS0_5RsqrtIS8_EEEEEvT_T0_DpT1_,comdat
	.globl	_ZN2at6native12_GLOBAL__N_125multi_tensor_apply_kernelINS1_18TensorListMetadataILi1EEENS1_14UnaryOpFunctorIN3c107complexIfEELi1ELi1ELi0EEEJNS0_5RsqrtIS8_EEEEEvT_T0_DpT1_ ; -- Begin function _ZN2at6native12_GLOBAL__N_125multi_tensor_apply_kernelINS1_18TensorListMetadataILi1EEENS1_14UnaryOpFunctorIN3c107complexIfEELi1ELi1ELi0EEEJNS0_5RsqrtIS8_EEEEEvT_T0_DpT1_
	.p2align	8
	.type	_ZN2at6native12_GLOBAL__N_125multi_tensor_apply_kernelINS1_18TensorListMetadataILi1EEENS1_14UnaryOpFunctorIN3c107complexIfEELi1ELi1ELi0EEEJNS0_5RsqrtIS8_EEEEEvT_T0_DpT1_,@function
_ZN2at6native12_GLOBAL__N_125multi_tensor_apply_kernelINS1_18TensorListMetadataILi1EEENS1_14UnaryOpFunctorIN3c107complexIfEELi1ELi1ELi0EEEJNS0_5RsqrtIS8_EEEEEvT_T0_DpT1_: ; @_ZN2at6native12_GLOBAL__N_125multi_tensor_apply_kernelINS1_18TensorListMetadataILi1EEENS1_14UnaryOpFunctorIN3c107complexIfEELi1ELi1ELi0EEEJNS0_5RsqrtIS8_EEEEEvT_T0_DpT1_
; %bb.0:
	v_mov_b32_e32 v1, s6
	global_load_ubyte v1, v1, s[4:5] offset:1760
	s_add_u32 s0, s4, s6
	s_mul_hi_u32 s1, s6, 3
	s_mul_i32 s6, s6, 3
	s_addc_u32 s2, s5, 0
	s_add_u32 s0, s0, s6
	s_addc_u32 s1, s2, s1
	s_load_dword s0, s[0:1], 0x820
	s_mov_b32 s7, 0
	s_waitcnt vmcnt(0)
	v_readfirstlane_b32 s1, v1
	s_lshl_b32 s1, s1, 3
	s_load_dwordx2 s[14:15], s[4:5], s1 offset:0x0
	s_load_dwordx2 s[2:3], s[4:5], s1 offset:0x370
	s_waitcnt lgkmcnt(0)
	s_ashr_i32 s1, s0, 31
	s_lshl_b64 s[16:17], s[0:1], 19
	s_add_u32 s33, s14, s16
	s_addc_u32 s40, s15, s17
	s_lshl_b64 s[0:1], s[0:1], 16
	s_and_b32 s6, s33, 31
	s_sub_u32 s18, s2, s0
	s_subb_u32 s19, s3, s1
	s_and_b32 s0, s2, 3
	s_mov_b32 s1, s7
	s_or_b64 s[0:1], s[6:7], s[0:1]
	s_cmp_eq_u64 s[0:1], 0
	s_cbranch_scc1 .LBB302_173
; %bb.1:
	v_cmp_lt_i64_e64 s[0:1], s[18:19], 1
	s_and_b64 vcc, exec, s[0:1]
	s_cbranch_vccnz .LBB302_172
; %bb.2:
	v_mov_b32_e32 v3, 0x10000
	s_load_dword s2, s[4:5], 0xd3c
	v_mov_b32_e32 v4, 0
	v_cmp_lt_i64_e32 vcc, s[18:19], v[3:4]
	v_mov_b32_e32 v2, 0
	s_and_b64 s[0:1], vcc, exec
	v_cmp_lt_u64_e32 vcc, s[18:19], v[3:4]
	s_cselect_b32 s21, s19, 0
	s_cselect_b32 s20, s18, 0x10000
	s_waitcnt lgkmcnt(0)
	s_and_b32 s2, s2, 0xffff
	s_and_b64 s[0:1], vcc, exec
	s_mul_i32 s6, s2, 3
	v_add_co_u32_e32 v15, vcc, s2, v0
	v_lshlrev_b32_e32 v1, 3, v0
	v_addc_co_u32_e64 v16, s[0:1], 0, 0, vcc
	v_add_co_u32_e32 v17, vcc, s6, v0
	v_mad_u64_u32 v[2:3], s[0:1], s2, 24, v[1:2]
	v_addc_co_u32_e64 v18, s[0:1], 0, 0, vcc
	s_cselect_b32 s23, s19, 0
	s_cselect_b32 s22, s18, 0x10000
	s_lshl_b32 s0, s2, 4
	s_lshl_b32 s3, s2, 1
	v_add_co_u32_e32 v4, vcc, s0, v1
	v_addc_co_u32_e64 v20, s[0:1], 0, 0, vcc
	v_add_co_u32_e32 v22, vcc, s3, v0
	s_lshl_b32 s41, s2, 2
	s_lshl_b32 s42, s2, 5
	v_or_b32_e32 v2, 4, v2
	v_lshlrev_b32_e32 v19, 3, v15
	v_or_b32_e32 v21, 4, v4
	v_addc_co_u32_e64 v23, s[0:1], 0, 0, vcc
	s_mov_b64 s[24:25], 0
	s_mov_b32 s43, 0x7f800000
	s_mov_b32 s44, 0x7ed413cb
	s_mov_b32 s45, 0x1000000
	s_mov_b32 s46, 0xf800000
	v_mov_b32_e32 v24, 0x260
	s_brev_b32 s47, -2
	v_mov_b32_e32 v25, 0x7f800000
	s_branch .LBB302_4
.LBB302_3:                              ;   in Loop: Header=BB302_4 Depth=1
	s_or_b64 exec, exec, s[0:1]
	s_add_u32 s24, s24, s41
	v_mov_b32_e32 v4, s20
	s_addc_u32 s25, s25, 0
	v_mov_b32_e32 v5, s21
	v_cmp_ge_i64_e32 vcc, s[24:25], v[4:5]
	s_add_u32 s33, s33, s42
	s_addc_u32 s40, s40, 0
	s_cbranch_vccnz .LBB302_172
.LBB302_4:                              ; =>This Inner Loop Header: Depth=1
	v_mov_b32_e32 v5, s25
	v_add_co_u32_e32 v4, vcc, s24, v0
	v_addc_co_u32_e32 v5, vcc, 0, v5, vcc
	v_cmp_gt_u64_e64 s[0:1], s[22:23], v[4:5]
	v_mov_b32_e32 v14, 0
	v_mov_b32_e32 v13, 0
	s_and_saveexec_b64 s[2:3], s[0:1]
	s_cbranch_execz .LBB302_6
; %bb.5:                                ;   in Loop: Header=BB302_4 Depth=1
	v_mov_b32_e32 v5, s40
	v_add_co_u32_e32 v4, vcc, s33, v1
	v_addc_co_u32_e32 v5, vcc, 0, v5, vcc
	global_load_dwordx2 v[13:14], v[4:5], off
.LBB302_6:                              ;   in Loop: Header=BB302_4 Depth=1
	s_or_b64 exec, exec, s[2:3]
	v_mov_b32_e32 v5, s25
	v_add_co_u32_e32 v4, vcc, s24, v15
	v_addc_co_u32_e32 v5, vcc, v16, v5, vcc
	v_cmp_gt_u64_e64 s[2:3], s[22:23], v[4:5]
	v_mov_b32_e32 v9, 0
	v_mov_b32_e32 v12, 0
	;; [unrolled: 1-line block ×3, first 2 shown]
	s_and_saveexec_b64 s[6:7], s[2:3]
	s_cbranch_execz .LBB302_8
; %bb.7:                                ;   in Loop: Header=BB302_4 Depth=1
	v_mov_b32_e32 v5, s40
	v_add_co_u32_e32 v4, vcc, s33, v19
	v_addc_co_u32_e32 v5, vcc, 0, v5, vcc
	global_load_dwordx2 v[11:12], v[4:5], off
.LBB302_8:                              ;   in Loop: Header=BB302_4 Depth=1
	s_or_b64 exec, exec, s[6:7]
	v_mov_b32_e32 v5, s25
	v_add_co_u32_e32 v4, vcc, s24, v22
	v_addc_co_u32_e32 v5, vcc, v23, v5, vcc
	v_cmp_gt_u64_e64 s[6:7], s[22:23], v[4:5]
	v_mov_b32_e32 v8, 0
	s_and_saveexec_b64 s[8:9], s[6:7]
	s_cbranch_execz .LBB302_10
; %bb.9:                                ;   in Loop: Header=BB302_4 Depth=1
	v_mov_b32_e32 v5, s40
	v_add_co_u32_e32 v4, vcc, s33, v21
	v_addc_co_u32_e32 v5, vcc, v5, v20, vcc
	global_load_dwordx2 v[8:9], v[4:5], off offset:-4
.LBB302_10:                             ;   in Loop: Header=BB302_4 Depth=1
	s_or_b64 exec, exec, s[8:9]
	v_mov_b32_e32 v5, s25
	v_add_co_u32_e32 v4, vcc, s24, v17
	v_addc_co_u32_e32 v5, vcc, v18, v5, vcc
	v_cmp_gt_u64_e64 s[8:9], s[22:23], v[4:5]
	v_mov_b32_e32 v10, 0
	v_mov_b32_e32 v5, 0
	;; [unrolled: 1-line block ×3, first 2 shown]
	s_and_saveexec_b64 s[10:11], s[8:9]
	s_cbranch_execz .LBB302_12
; %bb.11:                               ;   in Loop: Header=BB302_4 Depth=1
	v_mov_b32_e32 v5, s40
	v_add_co_u32_e32 v4, vcc, s33, v2
	v_addc_co_u32_e32 v5, vcc, v5, v3, vcc
	global_load_dwordx2 v[4:5], v[4:5], off offset:-4
.LBB302_12:                             ;   in Loop: Header=BB302_4 Depth=1
	s_or_b64 exec, exec, s[10:11]
	s_waitcnt vmcnt(0)
	v_cmp_neq_f32_e32 vcc, 0, v13
	v_cmp_neq_f32_e64 s[10:11], 0, v14
	s_or_b64 s[10:11], vcc, s[10:11]
	s_and_saveexec_b64 s[26:27], s[10:11]
	s_cbranch_execz .LBB302_41
; %bb.13:                               ;   in Loop: Header=BB302_4 Depth=1
	v_mov_b32_e32 v10, 0x7f800000
	v_cmp_neq_f32_e64 s[10:11], |v14|, v10
	s_and_saveexec_b64 s[28:29], s[10:11]
	s_cbranch_execz .LBB302_40
; %bb.14:                               ;   in Loop: Header=BB302_4 Depth=1
	v_cmp_o_f32_e32 vcc, v13, v13
                                        ; implicit-def: $vgpr10
	s_and_saveexec_b64 s[10:11], vcc
	s_xor_b64 s[30:31], exec, s[10:11]
	s_cbranch_execz .LBB302_37
; %bb.15:                               ;   in Loop: Header=BB302_4 Depth=1
	v_cmp_neq_f32_e64 s[10:11], |v13|, s43
                                        ; implicit-def: $vgpr10
	s_and_saveexec_b64 s[12:13], s[10:11]
	s_xor_b64 s[34:35], exec, s[12:13]
	s_cbranch_execz .LBB302_31
; %bb.16:                               ;   in Loop: Header=BB302_4 Depth=1
	v_max_f32_e64 v6, |v13|, |v13|
	v_max_f32_e64 v7, |v14|, |v14|
	v_max_f32_e32 v6, v7, v6
	v_cmp_nle_f32_e64 s[10:11], s44, v6
                                        ; implicit-def: $sgpr36_sgpr37
	s_and_saveexec_b64 s[12:13], s[10:11]
	s_xor_b64 s[12:13], exec, s[12:13]
	s_cbranch_execz .LBB302_20
; %bb.17:                               ;   in Loop: Header=BB302_4 Depth=1
	v_cmp_le_f32_e64 s[36:37], |v13|, s45
	v_cmp_le_f32_e64 s[38:39], |v14|, s45
	s_and_b64 s[48:49], s[38:39], s[36:37]
	s_mov_b64 s[36:37], 0
	s_and_saveexec_b64 s[38:39], s[48:49]
; %bb.18:                               ;   in Loop: Header=BB302_4 Depth=1
	s_mov_b64 s[36:37], exec
	v_mul_f32_e32 v13, 4.0, v13
	v_mul_f32_e32 v14, 4.0, v14
; %bb.19:                               ;   in Loop: Header=BB302_4 Depth=1
	s_or_b64 exec, exec, s[38:39]
.LBB302_20:                             ;   in Loop: Header=BB302_4 Depth=1
	s_andn2_saveexec_b64 s[12:13], s[12:13]
; %bb.21:                               ;   in Loop: Header=BB302_4 Depth=1
	v_mul_f32_e32 v13, 0x3e800000, v13
	v_mul_f32_e32 v14, 0x3e800000, v14
	s_andn2_b64 s[36:37], s[36:37], exec
; %bb.22:                               ;   in Loop: Header=BB302_4 Depth=1
	s_or_b64 exec, exec, s[12:13]
	v_max_f32_e64 v6, |v14|, |v14|
	v_max_f32_e64 v7, |v13|, |v13|
	v_max_f32_e32 v10, v7, v6
	v_cvt_f64_f32_e32 v[6:7], v10
	v_cmp_neq_f32_e64 s[12:13], s43, v10
	v_cmp_le_f32_e32 vcc, 0, v13
	v_frexp_exp_i32_f64_e32 v6, v[6:7]
	v_sub_u32_e32 v7, 0, v6
	v_ldexp_f32 v26, |v13|, v7
	v_ldexp_f32 v7, |v14|, v7
	v_mul_f32_e32 v7, v7, v7
	v_fmac_f32_e32 v7, v26, v26
	v_sqrt_f32_e32 v7, v7
	v_ldexp_f32 v6, v7, v6
	v_cndmask_b32_e64 v10, v25, v6, s[12:13]
                                        ; implicit-def: $vgpr7
                                        ; implicit-def: $vgpr6
	s_and_saveexec_b64 s[12:13], vcc
	s_xor_b64 s[38:39], exec, s[12:13]
	s_cbranch_execz .LBB302_24
; %bb.23:                               ;   in Loop: Header=BB302_4 Depth=1
	v_add_f32_e32 v6, v13, v10
	v_mul_f32_e32 v6, 0.5, v6
	v_mul_f32_e32 v7, 0x4f800000, v6
	v_cmp_gt_f32_e32 vcc, s46, v6
	v_cndmask_b32_e32 v6, v6, v7, vcc
	v_sqrt_f32_e32 v7, v6
	v_add_u32_e32 v10, -1, v7
	v_fma_f32 v26, -v10, v7, v6
	v_add_u32_e32 v13, 1, v7
	v_cmp_ge_f32_e64 s[12:13], 0, v26
	v_cndmask_b32_e64 v10, v7, v10, s[12:13]
	v_fma_f32 v7, -v13, v7, v6
	v_cmp_lt_f32_e64 s[12:13], 0, v7
	v_cndmask_b32_e64 v7, v10, v13, s[12:13]
	v_mul_f32_e32 v10, 0x37800000, v7
	v_cndmask_b32_e32 v7, v7, v10, vcc
	v_cmp_class_f32_e32 vcc, v6, v24
	v_cndmask_b32_e32 v6, v7, v6, vcc
	v_add_f32_e32 v7, v6, v6
	v_div_scale_f32 v10, s[12:13], v7, v7, v14
	v_div_scale_f32 v13, vcc, v14, v7, v14
	v_rcp_f32_e32 v26, v10
	v_fma_f32 v27, -v10, v26, 1.0
	v_fmac_f32_e32 v26, v27, v26
	v_mul_f32_e32 v27, v13, v26
	v_fma_f32 v28, -v10, v27, v13
	v_fmac_f32_e32 v27, v28, v26
	v_fma_f32 v10, -v10, v27, v13
	v_div_fmas_f32 v10, v10, v26, v27
	v_div_fixup_f32 v7, v10, v7, v14
                                        ; implicit-def: $vgpr10
                                        ; implicit-def: $vgpr13
	s_andn2_saveexec_b64 s[38:39], s[38:39]
	s_cbranch_execz .LBB302_26
	s_branch .LBB302_25
.LBB302_24:                             ;   in Loop: Header=BB302_4 Depth=1
	s_andn2_saveexec_b64 s[38:39], s[38:39]
	s_cbranch_execz .LBB302_26
.LBB302_25:                             ;   in Loop: Header=BB302_4 Depth=1
	v_sub_f32_e32 v6, v10, v13
	v_mul_f32_e32 v6, 0.5, v6
	v_mul_f32_e32 v7, 0x4f800000, v6
	v_cmp_gt_f32_e32 vcc, s46, v6
	v_cndmask_b32_e32 v6, v6, v7, vcc
	v_sqrt_f32_e32 v7, v6
	v_add_u32_e32 v10, -1, v7
	v_fma_f32 v26, -v10, v7, v6
	v_add_u32_e32 v13, 1, v7
	v_cmp_ge_f32_e64 s[12:13], 0, v26
	v_cndmask_b32_e64 v10, v7, v10, s[12:13]
	v_fma_f32 v7, -v13, v7, v6
	v_cmp_lt_f32_e64 s[12:13], 0, v7
	v_cndmask_b32_e64 v7, v10, v13, s[12:13]
	v_mul_f32_e32 v10, 0x37800000, v7
	v_cndmask_b32_e32 v7, v7, v10, vcc
	v_cmp_class_f32_e32 vcc, v6, v24
	v_cndmask_b32_e32 v7, v7, v6, vcc
	v_add_f32_e32 v6, v7, v7
	v_and_b32_e32 v10, 0x7fffffff, v14
	v_div_scale_f32 v13, s[12:13], v6, v6, v10
	v_div_scale_f32 v10, vcc, v10, v6, v10
	v_bfi_b32 v7, s47, v7, v14
	v_rcp_f32_e32 v26, v13
	v_fma_f32 v27, -v13, v26, 1.0
	v_fmac_f32_e32 v26, v27, v26
	v_mul_f32_e32 v27, v10, v26
	v_fma_f32 v28, -v13, v27, v10
	v_fmac_f32_e32 v27, v28, v26
	v_fma_f32 v10, -v13, v27, v10
	v_div_fmas_f32 v10, v10, v26, v27
	v_div_fixup_f32 v6, v10, v6, |v14|
.LBB302_26:                             ;   in Loop: Header=BB302_4 Depth=1
	s_or_b64 exec, exec, s[38:39]
                                        ; implicit-def: $vgpr14
                                        ; implicit-def: $vgpr10
	s_and_saveexec_b64 s[12:13], s[10:11]
	s_xor_b64 s[10:11], exec, s[12:13]
	s_cbranch_execz .LBB302_28
; %bb.27:                               ;   in Loop: Header=BB302_4 Depth=1
	v_mul_f32_e32 v10, 0.5, v6
	v_mul_f32_e32 v13, 0.5, v7
	v_cndmask_b32_e64 v10, v6, v10, s[36:37]
	v_cndmask_b32_e64 v14, v7, v13, s[36:37]
                                        ; implicit-def: $vgpr6
                                        ; implicit-def: $vgpr7
	s_andn2_saveexec_b64 s[10:11], s[10:11]
	s_cbranch_execnz .LBB302_29
	s_branch .LBB302_30
.LBB302_28:                             ;   in Loop: Header=BB302_4 Depth=1
	s_andn2_saveexec_b64 s[10:11], s[10:11]
.LBB302_29:                             ;   in Loop: Header=BB302_4 Depth=1
	v_add_f32_e32 v10, v6, v6
	v_add_f32_e32 v14, v7, v7
.LBB302_30:                             ;   in Loop: Header=BB302_4 Depth=1
	s_or_b64 exec, exec, s[10:11]
.LBB302_31:                             ;   in Loop: Header=BB302_4 Depth=1
	s_andn2_saveexec_b64 s[10:11], s[34:35]
	s_cbranch_execz .LBB302_61
; %bb.32:                               ;   in Loop: Header=BB302_4 Depth=1
	v_sub_f32_e32 v6, v14, v14
	v_cmp_lt_i32_e32 vcc, -1, v13
	v_and_b32_e32 v10, 0x7fffffff, v6
	s_and_saveexec_b64 s[12:13], vcc
	s_xor_b64 s[12:13], exec, s[12:13]
; %bb.33:                               ;   in Loop: Header=BB302_4 Depth=1
	v_bfi_b32 v14, s47, v6, v14
	v_mov_b32_e32 v10, v13
; %bb.34:                               ;   in Loop: Header=BB302_4 Depth=1
	s_andn2_saveexec_b64 s[12:13], s[12:13]
; %bb.35:                               ;   in Loop: Header=BB302_4 Depth=1
	v_bfi_b32 v14, s47, v13, v14
; %bb.36:                               ;   in Loop: Header=BB302_4 Depth=1
	s_or_b64 exec, exec, s[12:13]
	s_or_b64 exec, exec, s[10:11]
.LBB302_37:                             ;   in Loop: Header=BB302_4 Depth=1
	s_andn2_saveexec_b64 s[10:11], s[30:31]
	s_cbranch_execz .LBB302_39
.LBB302_38:                             ;   in Loop: Header=BB302_4 Depth=1
	v_sub_f32_e32 v6, v14, v14
	v_div_scale_f32 v7, vcc, v6, v6, v6
	v_rcp_f32_e32 v10, v7
	v_fma_f32 v14, -v7, v10, 1.0
	v_fmac_f32_e32 v10, v14, v10
	v_mul_f32_e32 v14, v7, v10
	v_fma_f32 v26, -v7, v14, v7
	v_fmac_f32_e32 v14, v26, v10
	v_fma_f32 v7, -v7, v14, v7
	v_div_fmas_f32 v7, v7, v10, v14
	v_mov_b32_e32 v10, v13
	v_div_fixup_f32 v14, v7, v6, v6
.LBB302_39:                             ;   in Loop: Header=BB302_4 Depth=1
	s_or_b64 exec, exec, s[10:11]
.LBB302_40:                             ;   in Loop: Header=BB302_4 Depth=1
	s_or_b64 exec, exec, s[28:29]
.LBB302_41:                             ;   in Loop: Header=BB302_4 Depth=1
	s_or_b64 exec, exec, s[26:27]
	v_cmp_gt_f32_e32 vcc, 0, v10
	v_cndmask_b32_e64 v13, v10, -v10, vcc
	v_cmp_gt_f32_e32 vcc, 0, v14
	v_cndmask_b32_e64 v26, v14, -v14, vcc
	v_cmp_ge_f32_e32 vcc, v13, v26
                                        ; implicit-def: $vgpr7
	s_and_saveexec_b64 s[10:11], vcc
	s_xor_b64 s[12:13], exec, s[10:11]
	s_cbranch_execz .LBB302_47
; %bb.42:                               ;   in Loop: Header=BB302_4 Depth=1
	v_cmp_neq_f32_e32 vcc, 0, v10
	v_cmp_neq_f32_e64 s[10:11], 0, v14
	s_or_b64 s[10:11], vcc, s[10:11]
                                        ; implicit-def: $vgpr7
	s_and_saveexec_b64 s[26:27], s[10:11]
	s_xor_b64 s[10:11], exec, s[26:27]
	s_cbranch_execz .LBB302_44
; %bb.43:                               ;   in Loop: Header=BB302_4 Depth=1
	v_div_scale_f32 v6, s[26:27], v10, v10, v14
	v_div_scale_f32 v7, vcc, v14, v10, v14
	v_rcp_f32_e32 v13, v6
	v_fma_f32 v26, -v6, v13, 1.0
	v_fmac_f32_e32 v13, v26, v13
	v_mul_f32_e32 v26, v7, v13
	v_fma_f32 v27, -v6, v26, v7
	v_fmac_f32_e32 v26, v27, v13
	v_fma_f32 v6, -v6, v26, v7
	v_div_fmas_f32 v6, v6, v13, v26
	v_div_fixup_f32 v7, v6, v10, v14
	v_fmac_f32_e32 v10, v14, v7
	v_div_scale_f32 v6, s[26:27], v10, v10, 1.0
	v_div_scale_f32 v13, vcc, 1.0, v10, 1.0
	v_rcp_f32_e32 v14, v6
	v_fma_f32 v26, -v6, v14, 1.0
	v_fmac_f32_e32 v14, v26, v14
	v_mul_f32_e32 v26, v13, v14
	v_fma_f32 v27, -v6, v26, v13
	v_fmac_f32_e32 v26, v27, v14
	v_fma_f32 v6, -v6, v26, v13
	v_div_fmas_f32 v6, v6, v14, v26
	v_fma_f32 v13, v7, 0, 1.0
                                        ; implicit-def: $vgpr26
	v_div_fixup_f32 v10, v6, v10, 1.0
	v_mul_f32_e32 v6, v13, v10
	v_mul_f32_e64 v7, -v7, v10
                                        ; implicit-def: $vgpr13
.LBB302_44:                             ;   in Loop: Header=BB302_4 Depth=1
	s_andn2_saveexec_b64 s[26:27], s[10:11]
	s_cbranch_execz .LBB302_46
; %bb.45:                               ;   in Loop: Header=BB302_4 Depth=1
	v_div_scale_f32 v6, s[10:11], v13, v13, 1.0
	v_div_scale_f32 v7, s[10:11], v26, v26, 0
	v_div_scale_f32 v10, vcc, 1.0, v13, 1.0
	v_div_scale_f32 v14, s[10:11], 0, v26, 0
	v_rcp_f32_e32 v27, v6
	v_rcp_f32_e32 v28, v7
	v_fma_f32 v29, -v6, v27, 1.0
	v_fmac_f32_e32 v27, v29, v27
	v_fma_f32 v30, -v7, v28, 1.0
	v_fmac_f32_e32 v28, v30, v28
	v_mul_f32_e32 v29, v10, v27
	v_mul_f32_e32 v30, v14, v28
	v_fma_f32 v31, -v6, v29, v10
	v_fma_f32 v32, -v7, v30, v14
	v_fmac_f32_e32 v29, v31, v27
	v_fmac_f32_e32 v30, v32, v28
	v_fma_f32 v6, -v6, v29, v10
	v_fma_f32 v7, -v7, v30, v14
	v_div_fmas_f32 v6, v6, v27, v29
	s_mov_b64 vcc, s[10:11]
	v_div_fmas_f32 v7, v7, v28, v30
	v_div_fixup_f32 v6, v6, v13, 1.0
	v_div_fixup_f32 v7, v7, v26, 0
.LBB302_46:                             ;   in Loop: Header=BB302_4 Depth=1
	s_or_b64 exec, exec, s[26:27]
                                        ; implicit-def: $vgpr14
                                        ; implicit-def: $vgpr10
.LBB302_47:                             ;   in Loop: Header=BB302_4 Depth=1
	s_andn2_saveexec_b64 s[10:11], s[12:13]
	s_cbranch_execz .LBB302_49
; %bb.48:                               ;   in Loop: Header=BB302_4 Depth=1
	v_div_scale_f32 v6, s[12:13], v14, v14, v10
	v_div_scale_f32 v7, vcc, v10, v14, v10
	v_rcp_f32_e32 v13, v6
	v_fma_f32 v26, -v6, v13, 1.0
	v_fmac_f32_e32 v13, v26, v13
	v_mul_f32_e32 v26, v7, v13
	v_fma_f32 v27, -v6, v26, v7
	v_fmac_f32_e32 v26, v27, v13
	v_fma_f32 v6, -v6, v26, v7
	v_div_fmas_f32 v6, v6, v13, v26
	v_div_fixup_f32 v6, v6, v14, v10
	v_fmac_f32_e32 v14, v10, v6
	v_div_scale_f32 v7, s[12:13], v14, v14, 1.0
	v_div_scale_f32 v10, vcc, 1.0, v14, 1.0
	v_rcp_f32_e32 v13, v7
	v_fma_f32 v26, -v7, v13, 1.0
	v_fmac_f32_e32 v13, v26, v13
	v_mul_f32_e32 v26, v10, v13
	v_fma_f32 v27, -v7, v26, v10
	v_fmac_f32_e32 v26, v27, v13
	v_fma_f32 v7, -v7, v26, v10
	v_div_fmas_f32 v7, v7, v13, v26
	v_add_f32_e32 v10, 0, v6
	v_fma_f32 v13, v6, 0, -1.0
	v_div_fixup_f32 v7, v7, v14, 1.0
	v_mul_f32_e32 v6, v10, v7
	v_mul_f32_e32 v7, v13, v7
.LBB302_49:                             ;   in Loop: Header=BB302_4 Depth=1
	s_or_b64 exec, exec, s[10:11]
	v_cmp_neq_f32_e32 vcc, 0, v11
	v_cmp_neq_f32_e64 s[10:11], 0, v12
	v_mov_b32_e32 v13, 0
	s_or_b64 s[10:11], vcc, s[10:11]
	s_and_saveexec_b64 s[26:27], s[10:11]
	s_cbranch_execz .LBB302_80
; %bb.50:                               ;   in Loop: Header=BB302_4 Depth=1
	v_mov_b32_e32 v13, 0x7f800000
	v_cmp_neq_f32_e64 s[10:11], |v12|, v13
	s_and_saveexec_b64 s[28:29], s[10:11]
	s_cbranch_execz .LBB302_79
; %bb.51:                               ;   in Loop: Header=BB302_4 Depth=1
	v_cmp_o_f32_e32 vcc, v11, v11
                                        ; implicit-def: $vgpr13
	s_and_saveexec_b64 s[10:11], vcc
	s_xor_b64 s[30:31], exec, s[10:11]
	s_cbranch_execz .LBB302_76
; %bb.52:                               ;   in Loop: Header=BB302_4 Depth=1
	v_cmp_neq_f32_e64 s[10:11], |v11|, s43
                                        ; implicit-def: $vgpr13
	s_and_saveexec_b64 s[12:13], s[10:11]
	s_xor_b64 s[34:35], exec, s[12:13]
	s_cbranch_execz .LBB302_69
; %bb.53:                               ;   in Loop: Header=BB302_4 Depth=1
	v_max_f32_e64 v10, |v11|, |v11|
	v_max_f32_e64 v13, |v12|, |v12|
	v_max_f32_e32 v10, v13, v10
	v_cmp_nle_f32_e64 s[10:11], s44, v10
                                        ; implicit-def: $sgpr36_sgpr37
	s_and_saveexec_b64 s[12:13], s[10:11]
	s_xor_b64 s[12:13], exec, s[12:13]
	s_cbranch_execz .LBB302_57
; %bb.54:                               ;   in Loop: Header=BB302_4 Depth=1
	v_cmp_le_f32_e64 s[36:37], |v11|, s45
	v_cmp_le_f32_e64 s[38:39], |v12|, s45
	s_and_b64 s[48:49], s[38:39], s[36:37]
	s_mov_b64 s[36:37], 0
	s_and_saveexec_b64 s[38:39], s[48:49]
; %bb.55:                               ;   in Loop: Header=BB302_4 Depth=1
	s_mov_b64 s[36:37], exec
	v_mul_f32_e32 v11, 4.0, v11
	v_mul_f32_e32 v12, 4.0, v12
; %bb.56:                               ;   in Loop: Header=BB302_4 Depth=1
	s_or_b64 exec, exec, s[38:39]
.LBB302_57:                             ;   in Loop: Header=BB302_4 Depth=1
	s_andn2_saveexec_b64 s[12:13], s[12:13]
; %bb.58:                               ;   in Loop: Header=BB302_4 Depth=1
	v_mul_f32_e32 v11, 0x3e800000, v11
	v_mul_f32_e32 v12, 0x3e800000, v12
	s_andn2_b64 s[36:37], s[36:37], exec
; %bb.59:                               ;   in Loop: Header=BB302_4 Depth=1
	s_or_b64 exec, exec, s[12:13]
	v_max_f32_e64 v10, |v12|, |v12|
	v_max_f32_e64 v13, |v11|, |v11|
	v_max_f32_e32 v10, v13, v10
	v_cvt_f64_f32_e32 v[13:14], v10
	v_cmp_neq_f32_e64 s[12:13], s43, v10
	v_cmp_le_f32_e32 vcc, 0, v11
                                        ; implicit-def: $vgpr10
	v_frexp_exp_i32_f64_e32 v13, v[13:14]
	v_sub_u32_e32 v14, 0, v13
	v_ldexp_f32 v26, |v11|, v14
	v_ldexp_f32 v14, |v12|, v14
	v_mul_f32_e32 v14, v14, v14
	v_fmac_f32_e32 v14, v26, v26
	v_sqrt_f32_e32 v14, v14
	v_ldexp_f32 v13, v14, v13
	v_cndmask_b32_e64 v13, v25, v13, s[12:13]
                                        ; implicit-def: $vgpr14
	s_and_saveexec_b64 s[12:13], vcc
	s_xor_b64 s[38:39], exec, s[12:13]
	s_cbranch_execz .LBB302_62
; %bb.60:                               ;   in Loop: Header=BB302_4 Depth=1
	v_add_f32_e32 v10, v11, v13
	v_mul_f32_e32 v10, 0.5, v10
	v_mul_f32_e32 v11, 0x4f800000, v10
	v_cmp_gt_f32_e32 vcc, s46, v10
	v_cndmask_b32_e32 v10, v10, v11, vcc
	v_sqrt_f32_e32 v11, v10
	v_add_u32_e32 v13, -1, v11
	v_fma_f32 v26, -v13, v11, v10
	v_add_u32_e32 v14, 1, v11
	v_cmp_ge_f32_e64 s[12:13], 0, v26
	v_cndmask_b32_e64 v13, v11, v13, s[12:13]
	v_fma_f32 v11, -v14, v11, v10
	v_cmp_lt_f32_e64 s[12:13], 0, v11
	v_cndmask_b32_e64 v11, v13, v14, s[12:13]
	v_mul_f32_e32 v13, 0x37800000, v11
	v_cndmask_b32_e32 v11, v11, v13, vcc
	v_cmp_class_f32_e32 vcc, v10, v24
	v_cndmask_b32_e32 v10, v11, v10, vcc
	v_add_f32_e32 v11, v10, v10
	v_div_scale_f32 v13, s[12:13], v11, v11, v12
	v_div_scale_f32 v14, vcc, v12, v11, v12
	v_rcp_f32_e32 v26, v13
	v_fma_f32 v27, -v13, v26, 1.0
	v_fmac_f32_e32 v26, v27, v26
	v_mul_f32_e32 v27, v14, v26
	v_fma_f32 v28, -v13, v27, v14
	v_fmac_f32_e32 v27, v28, v26
	v_fma_f32 v13, -v13, v27, v14
	v_div_fmas_f32 v13, v13, v26, v27
	v_div_fixup_f32 v14, v13, v11, v12
                                        ; implicit-def: $vgpr13
                                        ; implicit-def: $vgpr11
	s_andn2_saveexec_b64 s[38:39], s[38:39]
	s_cbranch_execz .LBB302_64
	s_branch .LBB302_63
.LBB302_61:                             ;   in Loop: Header=BB302_4 Depth=1
	s_or_b64 exec, exec, s[10:11]
	s_andn2_saveexec_b64 s[10:11], s[30:31]
	s_cbranch_execnz .LBB302_38
	s_branch .LBB302_39
.LBB302_62:                             ;   in Loop: Header=BB302_4 Depth=1
	s_andn2_saveexec_b64 s[38:39], s[38:39]
	s_cbranch_execz .LBB302_64
.LBB302_63:                             ;   in Loop: Header=BB302_4 Depth=1
	v_sub_f32_e32 v10, v13, v11
	v_mul_f32_e32 v10, 0.5, v10
	v_mul_f32_e32 v11, 0x4f800000, v10
	v_cmp_gt_f32_e32 vcc, s46, v10
	v_cndmask_b32_e32 v10, v10, v11, vcc
	v_sqrt_f32_e32 v11, v10
	v_add_u32_e32 v13, -1, v11
	v_fma_f32 v26, -v13, v11, v10
	v_add_u32_e32 v14, 1, v11
	v_cmp_ge_f32_e64 s[12:13], 0, v26
	v_cndmask_b32_e64 v13, v11, v13, s[12:13]
	v_fma_f32 v11, -v14, v11, v10
	v_cmp_lt_f32_e64 s[12:13], 0, v11
	v_cndmask_b32_e64 v11, v13, v14, s[12:13]
	v_mul_f32_e32 v13, 0x37800000, v11
	v_cndmask_b32_e32 v11, v11, v13, vcc
	v_cmp_class_f32_e32 vcc, v10, v24
	v_cndmask_b32_e32 v11, v11, v10, vcc
	v_add_f32_e32 v10, v11, v11
	v_and_b32_e32 v13, 0x7fffffff, v12
	v_div_scale_f32 v14, s[12:13], v10, v10, v13
	v_div_scale_f32 v13, vcc, v13, v10, v13
	v_rcp_f32_e32 v26, v14
	v_fma_f32 v27, -v14, v26, 1.0
	v_fmac_f32_e32 v26, v27, v26
	v_mul_f32_e32 v27, v13, v26
	v_fma_f32 v28, -v14, v27, v13
	v_fmac_f32_e32 v27, v28, v26
	v_fma_f32 v13, -v14, v27, v13
	v_div_fmas_f32 v13, v13, v26, v27
	v_bfi_b32 v14, s47, v11, v12
	v_div_fixup_f32 v10, v13, v10, |v12|
.LBB302_64:                             ;   in Loop: Header=BB302_4 Depth=1
	s_or_b64 exec, exec, s[38:39]
                                        ; implicit-def: $vgpr12
                                        ; implicit-def: $vgpr13
	s_and_saveexec_b64 s[12:13], s[10:11]
	s_xor_b64 s[10:11], exec, s[12:13]
	s_cbranch_execz .LBB302_66
; %bb.65:                               ;   in Loop: Header=BB302_4 Depth=1
	v_mul_f32_e32 v11, 0.5, v10
	v_mul_f32_e32 v12, 0.5, v14
	v_cndmask_b32_e64 v13, v10, v11, s[36:37]
	v_cndmask_b32_e64 v12, v14, v12, s[36:37]
                                        ; implicit-def: $vgpr10
                                        ; implicit-def: $vgpr14
	s_andn2_saveexec_b64 s[10:11], s[10:11]
	s_cbranch_execnz .LBB302_67
	s_branch .LBB302_68
.LBB302_66:                             ;   in Loop: Header=BB302_4 Depth=1
	s_andn2_saveexec_b64 s[10:11], s[10:11]
.LBB302_67:                             ;   in Loop: Header=BB302_4 Depth=1
	v_add_f32_e32 v13, v10, v10
	v_add_f32_e32 v12, v14, v14
.LBB302_68:                             ;   in Loop: Header=BB302_4 Depth=1
	s_or_b64 exec, exec, s[10:11]
.LBB302_69:                             ;   in Loop: Header=BB302_4 Depth=1
	s_andn2_saveexec_b64 s[10:11], s[34:35]
	s_cbranch_execz .LBB302_75
; %bb.70:                               ;   in Loop: Header=BB302_4 Depth=1
	v_sub_f32_e32 v10, v12, v12
	v_cmp_lt_i32_e32 vcc, -1, v11
	v_and_b32_e32 v13, 0x7fffffff, v10
	s_and_saveexec_b64 s[12:13], vcc
	s_xor_b64 s[12:13], exec, s[12:13]
; %bb.71:                               ;   in Loop: Header=BB302_4 Depth=1
	v_bfi_b32 v12, s47, v10, v12
	v_mov_b32_e32 v13, v11
; %bb.72:                               ;   in Loop: Header=BB302_4 Depth=1
	s_andn2_saveexec_b64 s[12:13], s[12:13]
; %bb.73:                               ;   in Loop: Header=BB302_4 Depth=1
	v_bfi_b32 v12, s47, v11, v12
; %bb.74:                               ;   in Loop: Header=BB302_4 Depth=1
	s_or_b64 exec, exec, s[12:13]
.LBB302_75:                             ;   in Loop: Header=BB302_4 Depth=1
	s_or_b64 exec, exec, s[10:11]
.LBB302_76:                             ;   in Loop: Header=BB302_4 Depth=1
	s_andn2_saveexec_b64 s[10:11], s[30:31]
	s_cbranch_execz .LBB302_78
; %bb.77:                               ;   in Loop: Header=BB302_4 Depth=1
	v_sub_f32_e32 v10, v12, v12
	v_div_scale_f32 v12, vcc, v10, v10, v10
	v_rcp_f32_e32 v13, v12
	v_fma_f32 v14, -v12, v13, 1.0
	v_fmac_f32_e32 v13, v14, v13
	v_mul_f32_e32 v14, v12, v13
	v_fma_f32 v26, -v12, v14, v12
	v_fmac_f32_e32 v14, v26, v13
	v_fma_f32 v12, -v12, v14, v12
	v_div_fmas_f32 v12, v12, v13, v14
	v_mov_b32_e32 v13, v11
	v_div_fixup_f32 v12, v12, v10, v10
.LBB302_78:                             ;   in Loop: Header=BB302_4 Depth=1
	s_or_b64 exec, exec, s[10:11]
.LBB302_79:                             ;   in Loop: Header=BB302_4 Depth=1
	s_or_b64 exec, exec, s[28:29]
.LBB302_80:                             ;   in Loop: Header=BB302_4 Depth=1
	s_or_b64 exec, exec, s[26:27]
	v_cmp_gt_f32_e32 vcc, 0, v13
	v_cndmask_b32_e64 v14, v13, -v13, vcc
	v_cmp_gt_f32_e32 vcc, 0, v12
	v_cndmask_b32_e64 v26, v12, -v12, vcc
	v_cmp_ge_f32_e32 vcc, v14, v26
                                        ; implicit-def: $vgpr11
	s_and_saveexec_b64 s[10:11], vcc
	s_xor_b64 s[12:13], exec, s[10:11]
	s_cbranch_execz .LBB302_86
; %bb.81:                               ;   in Loop: Header=BB302_4 Depth=1
	v_cmp_neq_f32_e32 vcc, 0, v13
	v_cmp_neq_f32_e64 s[10:11], 0, v12
	s_or_b64 s[10:11], vcc, s[10:11]
                                        ; implicit-def: $vgpr11
	s_and_saveexec_b64 s[26:27], s[10:11]
	s_xor_b64 s[10:11], exec, s[26:27]
	s_cbranch_execz .LBB302_83
; %bb.82:                               ;   in Loop: Header=BB302_4 Depth=1
	v_div_scale_f32 v10, s[26:27], v13, v13, v12
	v_div_scale_f32 v11, vcc, v12, v13, v12
	v_rcp_f32_e32 v14, v10
	v_fma_f32 v26, -v10, v14, 1.0
	v_fmac_f32_e32 v14, v26, v14
	v_mul_f32_e32 v26, v11, v14
	v_fma_f32 v27, -v10, v26, v11
	v_fmac_f32_e32 v26, v27, v14
	v_fma_f32 v10, -v10, v26, v11
	v_div_fmas_f32 v10, v10, v14, v26
	v_div_fixup_f32 v11, v10, v13, v12
	v_fmac_f32_e32 v13, v12, v11
	v_div_scale_f32 v10, s[26:27], v13, v13, 1.0
	v_div_scale_f32 v12, vcc, 1.0, v13, 1.0
	v_rcp_f32_e32 v14, v10
	v_fma_f32 v26, -v10, v14, 1.0
	v_fmac_f32_e32 v14, v26, v14
	v_mul_f32_e32 v26, v12, v14
	v_fma_f32 v27, -v10, v26, v12
	v_fmac_f32_e32 v26, v27, v14
	v_fma_f32 v10, -v10, v26, v12
	v_div_fmas_f32 v10, v10, v14, v26
	v_fma_f32 v12, v11, 0, 1.0
                                        ; implicit-def: $vgpr14
                                        ; implicit-def: $vgpr26
	v_div_fixup_f32 v13, v10, v13, 1.0
	v_mul_f32_e32 v10, v12, v13
	v_mul_f32_e64 v11, -v11, v13
.LBB302_83:                             ;   in Loop: Header=BB302_4 Depth=1
	s_andn2_saveexec_b64 s[26:27], s[10:11]
	s_cbranch_execz .LBB302_85
; %bb.84:                               ;   in Loop: Header=BB302_4 Depth=1
	v_div_scale_f32 v10, s[10:11], v14, v14, 1.0
	v_div_scale_f32 v11, s[10:11], v26, v26, 0
	v_div_scale_f32 v12, vcc, 1.0, v14, 1.0
	v_div_scale_f32 v13, s[10:11], 0, v26, 0
	v_rcp_f32_e32 v27, v10
	v_rcp_f32_e32 v28, v11
	v_fma_f32 v29, -v10, v27, 1.0
	v_fmac_f32_e32 v27, v29, v27
	v_fma_f32 v30, -v11, v28, 1.0
	v_fmac_f32_e32 v28, v30, v28
	v_mul_f32_e32 v29, v12, v27
	v_mul_f32_e32 v30, v13, v28
	v_fma_f32 v31, -v10, v29, v12
	v_fma_f32 v32, -v11, v30, v13
	v_fmac_f32_e32 v29, v31, v27
	v_fmac_f32_e32 v30, v32, v28
	v_fma_f32 v10, -v10, v29, v12
	v_fma_f32 v11, -v11, v30, v13
	v_div_fmas_f32 v10, v10, v27, v29
	s_mov_b64 vcc, s[10:11]
	v_div_fmas_f32 v11, v11, v28, v30
	v_div_fixup_f32 v10, v10, v14, 1.0
	v_div_fixup_f32 v11, v11, v26, 0
.LBB302_85:                             ;   in Loop: Header=BB302_4 Depth=1
	s_or_b64 exec, exec, s[26:27]
                                        ; implicit-def: $vgpr12
                                        ; implicit-def: $vgpr13
.LBB302_86:                             ;   in Loop: Header=BB302_4 Depth=1
	s_andn2_saveexec_b64 s[10:11], s[12:13]
	s_cbranch_execz .LBB302_88
; %bb.87:                               ;   in Loop: Header=BB302_4 Depth=1
	v_div_scale_f32 v10, s[12:13], v12, v12, v13
	v_div_scale_f32 v11, vcc, v13, v12, v13
	v_rcp_f32_e32 v14, v10
	v_fma_f32 v26, -v10, v14, 1.0
	v_fmac_f32_e32 v14, v26, v14
	v_mul_f32_e32 v26, v11, v14
	v_fma_f32 v27, -v10, v26, v11
	v_fmac_f32_e32 v26, v27, v14
	v_fma_f32 v10, -v10, v26, v11
	v_div_fmas_f32 v10, v10, v14, v26
	v_div_fixup_f32 v10, v10, v12, v13
	v_fmac_f32_e32 v12, v13, v10
	v_div_scale_f32 v11, s[12:13], v12, v12, 1.0
	v_div_scale_f32 v13, vcc, 1.0, v12, 1.0
	v_rcp_f32_e32 v14, v11
	v_fma_f32 v26, -v11, v14, 1.0
	v_fmac_f32_e32 v14, v26, v14
	v_mul_f32_e32 v26, v13, v14
	v_fma_f32 v27, -v11, v26, v13
	v_fmac_f32_e32 v26, v27, v14
	v_fma_f32 v11, -v11, v26, v13
	v_div_fmas_f32 v11, v11, v14, v26
	v_add_f32_e32 v13, 0, v10
	v_fma_f32 v14, v10, 0, -1.0
	v_div_fixup_f32 v11, v11, v12, 1.0
	v_mul_f32_e32 v10, v13, v11
	v_mul_f32_e32 v11, v14, v11
.LBB302_88:                             ;   in Loop: Header=BB302_4 Depth=1
	s_or_b64 exec, exec, s[10:11]
	v_cmp_neq_f32_e32 vcc, 0, v8
	v_cmp_neq_f32_e64 s[10:11], 0, v9
	v_mov_b32_e32 v14, 0
	s_or_b64 s[10:11], vcc, s[10:11]
	s_and_saveexec_b64 s[26:27], s[10:11]
	s_cbranch_execz .LBB302_118
; %bb.89:                               ;   in Loop: Header=BB302_4 Depth=1
	v_mov_b32_e32 v14, 0x7f800000
	v_cmp_neq_f32_e64 s[10:11], |v9|, v14
	s_and_saveexec_b64 s[28:29], s[10:11]
	s_cbranch_execz .LBB302_117
; %bb.90:                               ;   in Loop: Header=BB302_4 Depth=1
	v_cmp_o_f32_e32 vcc, v8, v8
                                        ; implicit-def: $vgpr14
	s_and_saveexec_b64 s[10:11], vcc
	s_xor_b64 s[30:31], exec, s[10:11]
	s_cbranch_execz .LBB302_114
; %bb.91:                               ;   in Loop: Header=BB302_4 Depth=1
	v_cmp_neq_f32_e64 s[10:11], |v8|, s43
                                        ; implicit-def: $vgpr14
	s_and_saveexec_b64 s[12:13], s[10:11]
	s_xor_b64 s[34:35], exec, s[12:13]
	s_cbranch_execz .LBB302_107
; %bb.92:                               ;   in Loop: Header=BB302_4 Depth=1
	v_max_f32_e64 v12, |v8|, |v8|
	v_max_f32_e64 v13, |v9|, |v9|
	v_max_f32_e32 v12, v13, v12
	v_cmp_nle_f32_e64 s[10:11], s44, v12
                                        ; implicit-def: $sgpr36_sgpr37
	s_and_saveexec_b64 s[12:13], s[10:11]
	s_xor_b64 s[12:13], exec, s[12:13]
	s_cbranch_execz .LBB302_96
; %bb.93:                               ;   in Loop: Header=BB302_4 Depth=1
	v_cmp_le_f32_e64 s[36:37], |v8|, s45
	v_cmp_le_f32_e64 s[38:39], |v9|, s45
	s_and_b64 s[48:49], s[38:39], s[36:37]
	s_mov_b64 s[36:37], 0
	s_and_saveexec_b64 s[38:39], s[48:49]
; %bb.94:                               ;   in Loop: Header=BB302_4 Depth=1
	s_mov_b64 s[36:37], exec
	v_mul_f32_e32 v8, 4.0, v8
	v_mul_f32_e32 v9, 4.0, v9
; %bb.95:                               ;   in Loop: Header=BB302_4 Depth=1
	s_or_b64 exec, exec, s[38:39]
.LBB302_96:                             ;   in Loop: Header=BB302_4 Depth=1
	s_andn2_saveexec_b64 s[12:13], s[12:13]
; %bb.97:                               ;   in Loop: Header=BB302_4 Depth=1
	v_mul_f32_e32 v8, 0x3e800000, v8
	v_mul_f32_e32 v9, 0x3e800000, v9
	s_andn2_b64 s[36:37], s[36:37], exec
; %bb.98:                               ;   in Loop: Header=BB302_4 Depth=1
	s_or_b64 exec, exec, s[12:13]
	v_max_f32_e64 v12, |v9|, |v9|
	v_max_f32_e64 v13, |v8|, |v8|
	v_max_f32_e32 v14, v13, v12
	v_cvt_f64_f32_e32 v[12:13], v14
	v_cmp_neq_f32_e64 s[12:13], s43, v14
	v_cmp_le_f32_e32 vcc, 0, v8
	v_frexp_exp_i32_f64_e32 v12, v[12:13]
	v_sub_u32_e32 v13, 0, v12
	v_ldexp_f32 v26, |v8|, v13
	v_ldexp_f32 v13, |v9|, v13
	v_mul_f32_e32 v13, v13, v13
	v_fmac_f32_e32 v13, v26, v26
	v_sqrt_f32_e32 v13, v13
	v_ldexp_f32 v12, v13, v12
	v_cndmask_b32_e64 v14, v25, v12, s[12:13]
                                        ; implicit-def: $vgpr13
                                        ; implicit-def: $vgpr12
	s_and_saveexec_b64 s[12:13], vcc
	s_xor_b64 s[38:39], exec, s[12:13]
	s_cbranch_execz .LBB302_100
; %bb.99:                               ;   in Loop: Header=BB302_4 Depth=1
	v_add_f32_e32 v8, v8, v14
	v_mul_f32_e32 v8, 0.5, v8
	v_mul_f32_e32 v12, 0x4f800000, v8
	v_cmp_gt_f32_e32 vcc, s46, v8
	v_cndmask_b32_e32 v8, v8, v12, vcc
	v_sqrt_f32_e32 v12, v8
	v_add_u32_e32 v13, -1, v12
	v_fma_f32 v26, -v13, v12, v8
	v_add_u32_e32 v14, 1, v12
	v_cmp_ge_f32_e64 s[12:13], 0, v26
	v_cndmask_b32_e64 v13, v12, v13, s[12:13]
	v_fma_f32 v12, -v14, v12, v8
	v_cmp_lt_f32_e64 s[12:13], 0, v12
	v_cndmask_b32_e64 v12, v13, v14, s[12:13]
	v_mul_f32_e32 v13, 0x37800000, v12
	v_cndmask_b32_e32 v12, v12, v13, vcc
	v_cmp_class_f32_e32 vcc, v8, v24
	v_cndmask_b32_e32 v12, v12, v8, vcc
	v_add_f32_e32 v8, v12, v12
	v_div_scale_f32 v13, s[12:13], v8, v8, v9
	v_div_scale_f32 v14, vcc, v9, v8, v9
	v_rcp_f32_e32 v26, v13
	v_fma_f32 v27, -v13, v26, 1.0
	v_fmac_f32_e32 v26, v27, v26
	v_mul_f32_e32 v27, v14, v26
	v_fma_f32 v28, -v13, v27, v14
	v_fmac_f32_e32 v27, v28, v26
	v_fma_f32 v13, -v13, v27, v14
	v_div_fmas_f32 v13, v13, v26, v27
                                        ; implicit-def: $vgpr14
	v_div_fixup_f32 v13, v13, v8, v9
                                        ; implicit-def: $vgpr8
	s_andn2_saveexec_b64 s[38:39], s[38:39]
	s_cbranch_execz .LBB302_102
	s_branch .LBB302_101
.LBB302_100:                            ;   in Loop: Header=BB302_4 Depth=1
	s_andn2_saveexec_b64 s[38:39], s[38:39]
	s_cbranch_execz .LBB302_102
.LBB302_101:                            ;   in Loop: Header=BB302_4 Depth=1
	v_sub_f32_e32 v8, v14, v8
	v_mul_f32_e32 v8, 0.5, v8
	v_mul_f32_e32 v12, 0x4f800000, v8
	v_cmp_gt_f32_e32 vcc, s46, v8
	v_cndmask_b32_e32 v8, v8, v12, vcc
	v_sqrt_f32_e32 v12, v8
	v_add_u32_e32 v13, -1, v12
	v_fma_f32 v26, -v13, v12, v8
	v_add_u32_e32 v14, 1, v12
	v_cmp_ge_f32_e64 s[12:13], 0, v26
	v_cndmask_b32_e64 v13, v12, v13, s[12:13]
	v_fma_f32 v12, -v14, v12, v8
	v_cmp_lt_f32_e64 s[12:13], 0, v12
	v_cndmask_b32_e64 v12, v13, v14, s[12:13]
	v_mul_f32_e32 v13, 0x37800000, v12
	v_cndmask_b32_e32 v12, v12, v13, vcc
	v_cmp_class_f32_e32 vcc, v8, v24
	v_cndmask_b32_e32 v8, v12, v8, vcc
	v_add_f32_e32 v12, v8, v8
	v_and_b32_e32 v13, 0x7fffffff, v9
	v_div_scale_f32 v14, s[12:13], v12, v12, v13
	v_div_scale_f32 v13, vcc, v13, v12, v13
	v_rcp_f32_e32 v26, v14
	v_fma_f32 v27, -v14, v26, 1.0
	v_fmac_f32_e32 v26, v27, v26
	v_mul_f32_e32 v27, v13, v26
	v_fma_f32 v28, -v14, v27, v13
	v_fmac_f32_e32 v27, v28, v26
	v_fma_f32 v13, -v14, v27, v13
	v_div_fmas_f32 v13, v13, v26, v27
	v_div_fixup_f32 v12, v13, v12, |v9|
	v_bfi_b32 v13, s47, v8, v9
.LBB302_102:                            ;   in Loop: Header=BB302_4 Depth=1
	s_or_b64 exec, exec, s[38:39]
                                        ; implicit-def: $vgpr9
                                        ; implicit-def: $vgpr14
	s_and_saveexec_b64 s[12:13], s[10:11]
	s_xor_b64 s[10:11], exec, s[12:13]
	s_cbranch_execz .LBB302_104
; %bb.103:                              ;   in Loop: Header=BB302_4 Depth=1
	v_mul_f32_e32 v8, 0.5, v12
	v_mul_f32_e32 v9, 0.5, v13
	v_cndmask_b32_e64 v14, v12, v8, s[36:37]
	v_cndmask_b32_e64 v9, v13, v9, s[36:37]
                                        ; implicit-def: $vgpr12
                                        ; implicit-def: $vgpr13
	s_andn2_saveexec_b64 s[10:11], s[10:11]
	s_cbranch_execnz .LBB302_105
	s_branch .LBB302_106
.LBB302_104:                            ;   in Loop: Header=BB302_4 Depth=1
	s_andn2_saveexec_b64 s[10:11], s[10:11]
.LBB302_105:                            ;   in Loop: Header=BB302_4 Depth=1
	v_add_f32_e32 v14, v12, v12
	v_add_f32_e32 v9, v13, v13
.LBB302_106:                            ;   in Loop: Header=BB302_4 Depth=1
	s_or_b64 exec, exec, s[10:11]
.LBB302_107:                            ;   in Loop: Header=BB302_4 Depth=1
	s_andn2_saveexec_b64 s[10:11], s[34:35]
	s_cbranch_execz .LBB302_113
; %bb.108:                              ;   in Loop: Header=BB302_4 Depth=1
	v_sub_f32_e32 v12, v9, v9
	v_cmp_lt_i32_e32 vcc, -1, v8
	v_and_b32_e32 v14, 0x7fffffff, v12
	s_and_saveexec_b64 s[12:13], vcc
	s_xor_b64 s[12:13], exec, s[12:13]
; %bb.109:                              ;   in Loop: Header=BB302_4 Depth=1
	v_bfi_b32 v9, s47, v12, v9
	v_mov_b32_e32 v14, v8
; %bb.110:                              ;   in Loop: Header=BB302_4 Depth=1
	s_andn2_saveexec_b64 s[12:13], s[12:13]
; %bb.111:                              ;   in Loop: Header=BB302_4 Depth=1
	v_bfi_b32 v9, s47, v8, v9
; %bb.112:                              ;   in Loop: Header=BB302_4 Depth=1
	s_or_b64 exec, exec, s[12:13]
.LBB302_113:                            ;   in Loop: Header=BB302_4 Depth=1
	s_or_b64 exec, exec, s[10:11]
.LBB302_114:                            ;   in Loop: Header=BB302_4 Depth=1
	s_andn2_saveexec_b64 s[10:11], s[30:31]
	s_cbranch_execz .LBB302_116
; %bb.115:                              ;   in Loop: Header=BB302_4 Depth=1
	v_sub_f32_e32 v9, v9, v9
	v_div_scale_f32 v12, vcc, v9, v9, v9
	v_rcp_f32_e32 v13, v12
	v_fma_f32 v14, -v12, v13, 1.0
	v_fmac_f32_e32 v13, v14, v13
	v_mul_f32_e32 v14, v12, v13
	v_fma_f32 v26, -v12, v14, v12
	v_fmac_f32_e32 v14, v26, v13
	v_fma_f32 v12, -v12, v14, v12
	v_div_fmas_f32 v12, v12, v13, v14
	v_mov_b32_e32 v14, v8
	v_div_fixup_f32 v9, v12, v9, v9
.LBB302_116:                            ;   in Loop: Header=BB302_4 Depth=1
	s_or_b64 exec, exec, s[10:11]
.LBB302_117:                            ;   in Loop: Header=BB302_4 Depth=1
	s_or_b64 exec, exec, s[28:29]
.LBB302_118:                            ;   in Loop: Header=BB302_4 Depth=1
	s_or_b64 exec, exec, s[26:27]
	v_cmp_gt_f32_e32 vcc, 0, v14
	v_cndmask_b32_e64 v8, v14, -v14, vcc
	v_cmp_gt_f32_e32 vcc, 0, v9
	v_cndmask_b32_e64 v26, v9, -v9, vcc
	v_cmp_ge_f32_e32 vcc, v8, v26
                                        ; implicit-def: $vgpr13
	s_and_saveexec_b64 s[10:11], vcc
	s_xor_b64 s[12:13], exec, s[10:11]
	s_cbranch_execz .LBB302_124
; %bb.119:                              ;   in Loop: Header=BB302_4 Depth=1
	v_cmp_neq_f32_e32 vcc, 0, v14
	v_cmp_neq_f32_e64 s[10:11], 0, v9
	s_or_b64 s[10:11], vcc, s[10:11]
                                        ; implicit-def: $vgpr13
	s_and_saveexec_b64 s[26:27], s[10:11]
	s_xor_b64 s[10:11], exec, s[26:27]
	s_cbranch_execz .LBB302_121
; %bb.120:                              ;   in Loop: Header=BB302_4 Depth=1
	v_div_scale_f32 v8, s[26:27], v14, v14, v9
	v_div_scale_f32 v12, vcc, v9, v14, v9
	v_rcp_f32_e32 v13, v8
	v_fma_f32 v26, -v8, v13, 1.0
	v_fmac_f32_e32 v13, v26, v13
	v_mul_f32_e32 v26, v12, v13
	v_fma_f32 v27, -v8, v26, v12
	v_fmac_f32_e32 v26, v27, v13
	v_fma_f32 v8, -v8, v26, v12
	v_div_fmas_f32 v8, v8, v13, v26
	v_div_fixup_f32 v8, v8, v14, v9
	v_fmac_f32_e32 v14, v9, v8
	v_div_scale_f32 v9, s[26:27], v14, v14, 1.0
	v_div_scale_f32 v12, vcc, 1.0, v14, 1.0
	v_rcp_f32_e32 v13, v9
	v_fma_f32 v26, -v9, v13, 1.0
	v_fmac_f32_e32 v13, v26, v13
	v_mul_f32_e32 v26, v12, v13
	v_fma_f32 v27, -v9, v26, v12
	v_fmac_f32_e32 v26, v27, v13
	v_fma_f32 v9, -v9, v26, v12
	v_div_fmas_f32 v9, v9, v13, v26
	v_fma_f32 v12, v8, 0, 1.0
                                        ; implicit-def: $vgpr26
	v_div_fixup_f32 v9, v9, v14, 1.0
	v_mul_f32_e32 v12, v12, v9
	v_mul_f32_e64 v13, -v8, v9
                                        ; implicit-def: $vgpr8
.LBB302_121:                            ;   in Loop: Header=BB302_4 Depth=1
	s_andn2_saveexec_b64 s[26:27], s[10:11]
	s_cbranch_execz .LBB302_123
; %bb.122:                              ;   in Loop: Header=BB302_4 Depth=1
	v_div_scale_f32 v9, s[10:11], v8, v8, 1.0
	v_div_scale_f32 v12, s[10:11], v26, v26, 0
	v_div_scale_f32 v13, vcc, 1.0, v8, 1.0
	v_div_scale_f32 v14, s[10:11], 0, v26, 0
	v_rcp_f32_e32 v27, v9
	v_rcp_f32_e32 v28, v12
	v_fma_f32 v29, -v9, v27, 1.0
	v_fmac_f32_e32 v27, v29, v27
	v_fma_f32 v30, -v12, v28, 1.0
	v_fmac_f32_e32 v28, v30, v28
	v_mul_f32_e32 v29, v13, v27
	v_mul_f32_e32 v30, v14, v28
	v_fma_f32 v31, -v9, v29, v13
	v_fma_f32 v32, -v12, v30, v14
	v_fmac_f32_e32 v29, v31, v27
	v_fmac_f32_e32 v30, v32, v28
	v_fma_f32 v9, -v9, v29, v13
	v_fma_f32 v12, -v12, v30, v14
	v_div_fmas_f32 v9, v9, v27, v29
	s_mov_b64 vcc, s[10:11]
	v_div_fmas_f32 v13, v12, v28, v30
	v_div_fixup_f32 v12, v9, v8, 1.0
	v_div_fixup_f32 v13, v13, v26, 0
.LBB302_123:                            ;   in Loop: Header=BB302_4 Depth=1
	s_or_b64 exec, exec, s[26:27]
                                        ; implicit-def: $vgpr9
                                        ; implicit-def: $vgpr14
.LBB302_124:                            ;   in Loop: Header=BB302_4 Depth=1
	s_andn2_saveexec_b64 s[10:11], s[12:13]
	s_cbranch_execz .LBB302_126
; %bb.125:                              ;   in Loop: Header=BB302_4 Depth=1
	v_div_scale_f32 v8, s[12:13], v9, v9, v14
	v_div_scale_f32 v12, vcc, v14, v9, v14
	v_rcp_f32_e32 v13, v8
	v_fma_f32 v26, -v8, v13, 1.0
	v_fmac_f32_e32 v13, v26, v13
	v_mul_f32_e32 v26, v12, v13
	v_fma_f32 v27, -v8, v26, v12
	v_fmac_f32_e32 v26, v27, v13
	v_fma_f32 v8, -v8, v26, v12
	v_div_fmas_f32 v8, v8, v13, v26
	v_div_fixup_f32 v8, v8, v9, v14
	v_fmac_f32_e32 v9, v14, v8
	v_div_scale_f32 v12, s[12:13], v9, v9, 1.0
	v_div_scale_f32 v13, vcc, 1.0, v9, 1.0
	v_rcp_f32_e32 v14, v12
	v_fma_f32 v26, -v12, v14, 1.0
	v_fmac_f32_e32 v14, v26, v14
	v_mul_f32_e32 v26, v13, v14
	v_fma_f32 v27, -v12, v26, v13
	v_fmac_f32_e32 v26, v27, v14
	v_fma_f32 v12, -v12, v26, v13
	v_div_fmas_f32 v12, v12, v14, v26
	v_add_f32_e32 v13, 0, v8
	v_fma_f32 v8, v8, 0, -1.0
	v_div_fixup_f32 v9, v12, v9, 1.0
	v_mul_f32_e32 v12, v13, v9
	v_mul_f32_e32 v13, v8, v9
.LBB302_126:                            ;   in Loop: Header=BB302_4 Depth=1
	s_or_b64 exec, exec, s[10:11]
	v_cmp_neq_f32_e32 vcc, 0, v4
	v_cmp_neq_f32_e64 s[10:11], 0, v5
	v_mov_b32_e32 v14, 0
	s_or_b64 s[10:11], vcc, s[10:11]
	s_and_saveexec_b64 s[26:27], s[10:11]
	s_cbranch_execz .LBB302_156
; %bb.127:                              ;   in Loop: Header=BB302_4 Depth=1
	v_mov_b32_e32 v14, 0x7f800000
	v_cmp_neq_f32_e64 s[10:11], |v5|, v14
	s_and_saveexec_b64 s[28:29], s[10:11]
	s_cbranch_execz .LBB302_155
; %bb.128:                              ;   in Loop: Header=BB302_4 Depth=1
	v_cmp_o_f32_e32 vcc, v4, v4
                                        ; implicit-def: $vgpr14
	s_and_saveexec_b64 s[10:11], vcc
	s_xor_b64 s[30:31], exec, s[10:11]
	s_cbranch_execz .LBB302_152
; %bb.129:                              ;   in Loop: Header=BB302_4 Depth=1
	v_cmp_neq_f32_e64 s[10:11], |v4|, s43
                                        ; implicit-def: $vgpr14
	s_and_saveexec_b64 s[12:13], s[10:11]
	s_xor_b64 s[34:35], exec, s[12:13]
	s_cbranch_execz .LBB302_145
; %bb.130:                              ;   in Loop: Header=BB302_4 Depth=1
	v_max_f32_e64 v8, |v4|, |v4|
	v_max_f32_e64 v9, |v5|, |v5|
	v_max_f32_e32 v8, v9, v8
	v_cmp_nle_f32_e64 s[10:11], s44, v8
                                        ; implicit-def: $sgpr36_sgpr37
	s_and_saveexec_b64 s[12:13], s[10:11]
	s_xor_b64 s[12:13], exec, s[12:13]
	s_cbranch_execz .LBB302_134
; %bb.131:                              ;   in Loop: Header=BB302_4 Depth=1
	v_cmp_le_f32_e64 s[36:37], |v4|, s45
	v_cmp_le_f32_e64 s[38:39], |v5|, s45
	s_and_b64 s[48:49], s[38:39], s[36:37]
	s_mov_b64 s[36:37], 0
	s_and_saveexec_b64 s[38:39], s[48:49]
; %bb.132:                              ;   in Loop: Header=BB302_4 Depth=1
	s_mov_b64 s[36:37], exec
	v_mul_f32_e32 v4, 4.0, v4
	v_mul_f32_e32 v5, 4.0, v5
; %bb.133:                              ;   in Loop: Header=BB302_4 Depth=1
	s_or_b64 exec, exec, s[38:39]
.LBB302_134:                            ;   in Loop: Header=BB302_4 Depth=1
	s_andn2_saveexec_b64 s[12:13], s[12:13]
; %bb.135:                              ;   in Loop: Header=BB302_4 Depth=1
	v_mul_f32_e32 v4, 0x3e800000, v4
	v_mul_f32_e32 v5, 0x3e800000, v5
	s_andn2_b64 s[36:37], s[36:37], exec
; %bb.136:                              ;   in Loop: Header=BB302_4 Depth=1
	s_or_b64 exec, exec, s[12:13]
	v_max_f32_e64 v8, |v5|, |v5|
	v_max_f32_e64 v9, |v4|, |v4|
	v_max_f32_e32 v14, v9, v8
	v_cvt_f64_f32_e32 v[8:9], v14
	v_cmp_neq_f32_e64 s[12:13], s43, v14
	v_cmp_le_f32_e32 vcc, 0, v4
	v_frexp_exp_i32_f64_e32 v8, v[8:9]
	v_sub_u32_e32 v9, 0, v8
	v_ldexp_f32 v26, |v4|, v9
	v_ldexp_f32 v9, |v5|, v9
	v_mul_f32_e32 v9, v9, v9
	v_fmac_f32_e32 v9, v26, v26
	v_sqrt_f32_e32 v9, v9
	v_ldexp_f32 v8, v9, v8
	v_cndmask_b32_e64 v14, v25, v8, s[12:13]
                                        ; implicit-def: $vgpr9
                                        ; implicit-def: $vgpr8
	s_and_saveexec_b64 s[12:13], vcc
	s_xor_b64 s[38:39], exec, s[12:13]
	s_cbranch_execz .LBB302_138
; %bb.137:                              ;   in Loop: Header=BB302_4 Depth=1
	v_add_f32_e32 v4, v4, v14
	v_mul_f32_e32 v4, 0.5, v4
	v_mul_f32_e32 v8, 0x4f800000, v4
	v_cmp_gt_f32_e32 vcc, s46, v4
	v_cndmask_b32_e32 v4, v4, v8, vcc
	v_sqrt_f32_e32 v8, v4
	v_add_u32_e32 v9, -1, v8
	v_fma_f32 v26, -v9, v8, v4
	v_add_u32_e32 v14, 1, v8
	v_cmp_ge_f32_e64 s[12:13], 0, v26
	v_cndmask_b32_e64 v9, v8, v9, s[12:13]
	v_fma_f32 v8, -v14, v8, v4
	v_cmp_lt_f32_e64 s[12:13], 0, v8
	v_cndmask_b32_e64 v8, v9, v14, s[12:13]
	v_mul_f32_e32 v9, 0x37800000, v8
	v_cndmask_b32_e32 v8, v8, v9, vcc
	v_cmp_class_f32_e32 vcc, v4, v24
	v_cndmask_b32_e32 v8, v8, v4, vcc
	v_add_f32_e32 v4, v8, v8
	v_div_scale_f32 v9, s[12:13], v4, v4, v5
	v_div_scale_f32 v14, vcc, v5, v4, v5
	v_rcp_f32_e32 v26, v9
	v_fma_f32 v27, -v9, v26, 1.0
	v_fmac_f32_e32 v26, v27, v26
	v_mul_f32_e32 v27, v14, v26
	v_fma_f32 v28, -v9, v27, v14
	v_fmac_f32_e32 v27, v28, v26
	v_fma_f32 v9, -v9, v27, v14
	v_div_fmas_f32 v9, v9, v26, v27
                                        ; implicit-def: $vgpr14
	v_div_fixup_f32 v9, v9, v4, v5
                                        ; implicit-def: $vgpr4
	s_andn2_saveexec_b64 s[38:39], s[38:39]
	s_cbranch_execz .LBB302_140
	s_branch .LBB302_139
.LBB302_138:                            ;   in Loop: Header=BB302_4 Depth=1
	s_andn2_saveexec_b64 s[38:39], s[38:39]
	s_cbranch_execz .LBB302_140
.LBB302_139:                            ;   in Loop: Header=BB302_4 Depth=1
	v_sub_f32_e32 v4, v14, v4
	v_mul_f32_e32 v4, 0.5, v4
	v_mul_f32_e32 v8, 0x4f800000, v4
	v_cmp_gt_f32_e32 vcc, s46, v4
	v_cndmask_b32_e32 v4, v4, v8, vcc
	v_sqrt_f32_e32 v8, v4
	v_add_u32_e32 v9, -1, v8
	v_fma_f32 v26, -v9, v8, v4
	v_add_u32_e32 v14, 1, v8
	v_cmp_ge_f32_e64 s[12:13], 0, v26
	v_cndmask_b32_e64 v9, v8, v9, s[12:13]
	v_fma_f32 v8, -v14, v8, v4
	v_cmp_lt_f32_e64 s[12:13], 0, v8
	v_cndmask_b32_e64 v8, v9, v14, s[12:13]
	v_mul_f32_e32 v9, 0x37800000, v8
	v_cndmask_b32_e32 v8, v8, v9, vcc
	v_cmp_class_f32_e32 vcc, v4, v24
	v_cndmask_b32_e32 v4, v8, v4, vcc
	v_add_f32_e32 v8, v4, v4
	v_and_b32_e32 v9, 0x7fffffff, v5
	v_div_scale_f32 v14, s[12:13], v8, v8, v9
	v_div_scale_f32 v9, vcc, v9, v8, v9
	v_rcp_f32_e32 v26, v14
	v_fma_f32 v27, -v14, v26, 1.0
	v_fmac_f32_e32 v26, v27, v26
	v_mul_f32_e32 v27, v9, v26
	v_fma_f32 v28, -v14, v27, v9
	v_fmac_f32_e32 v27, v28, v26
	v_fma_f32 v9, -v14, v27, v9
	v_div_fmas_f32 v9, v9, v26, v27
	v_div_fixup_f32 v8, v9, v8, |v5|
	v_bfi_b32 v9, s47, v4, v5
.LBB302_140:                            ;   in Loop: Header=BB302_4 Depth=1
	s_or_b64 exec, exec, s[38:39]
                                        ; implicit-def: $vgpr5
                                        ; implicit-def: $vgpr14
	s_and_saveexec_b64 s[12:13], s[10:11]
	s_xor_b64 s[10:11], exec, s[12:13]
	s_cbranch_execz .LBB302_142
; %bb.141:                              ;   in Loop: Header=BB302_4 Depth=1
	v_mul_f32_e32 v4, 0.5, v8
	v_mul_f32_e32 v5, 0.5, v9
	v_cndmask_b32_e64 v14, v8, v4, s[36:37]
	v_cndmask_b32_e64 v5, v9, v5, s[36:37]
                                        ; implicit-def: $vgpr8
                                        ; implicit-def: $vgpr9
	s_andn2_saveexec_b64 s[10:11], s[10:11]
	s_cbranch_execnz .LBB302_143
	s_branch .LBB302_144
.LBB302_142:                            ;   in Loop: Header=BB302_4 Depth=1
	s_andn2_saveexec_b64 s[10:11], s[10:11]
.LBB302_143:                            ;   in Loop: Header=BB302_4 Depth=1
	v_add_f32_e32 v14, v8, v8
	v_add_f32_e32 v5, v9, v9
.LBB302_144:                            ;   in Loop: Header=BB302_4 Depth=1
	s_or_b64 exec, exec, s[10:11]
.LBB302_145:                            ;   in Loop: Header=BB302_4 Depth=1
	s_andn2_saveexec_b64 s[10:11], s[34:35]
	s_cbranch_execz .LBB302_151
; %bb.146:                              ;   in Loop: Header=BB302_4 Depth=1
	v_sub_f32_e32 v8, v5, v5
	v_cmp_lt_i32_e32 vcc, -1, v4
	v_and_b32_e32 v14, 0x7fffffff, v8
	s_and_saveexec_b64 s[12:13], vcc
	s_xor_b64 s[12:13], exec, s[12:13]
; %bb.147:                              ;   in Loop: Header=BB302_4 Depth=1
	v_bfi_b32 v5, s47, v8, v5
	v_mov_b32_e32 v14, v4
; %bb.148:                              ;   in Loop: Header=BB302_4 Depth=1
	s_andn2_saveexec_b64 s[12:13], s[12:13]
; %bb.149:                              ;   in Loop: Header=BB302_4 Depth=1
	v_bfi_b32 v5, s47, v4, v5
; %bb.150:                              ;   in Loop: Header=BB302_4 Depth=1
	s_or_b64 exec, exec, s[12:13]
.LBB302_151:                            ;   in Loop: Header=BB302_4 Depth=1
	s_or_b64 exec, exec, s[10:11]
.LBB302_152:                            ;   in Loop: Header=BB302_4 Depth=1
	s_andn2_saveexec_b64 s[10:11], s[30:31]
	s_cbranch_execz .LBB302_154
; %bb.153:                              ;   in Loop: Header=BB302_4 Depth=1
	v_sub_f32_e32 v5, v5, v5
	v_div_scale_f32 v8, vcc, v5, v5, v5
	v_rcp_f32_e32 v9, v8
	v_fma_f32 v14, -v8, v9, 1.0
	v_fmac_f32_e32 v9, v14, v9
	v_mul_f32_e32 v14, v8, v9
	v_fma_f32 v26, -v8, v14, v8
	v_fmac_f32_e32 v14, v26, v9
	v_fma_f32 v8, -v8, v14, v8
	v_div_fmas_f32 v8, v8, v9, v14
	v_mov_b32_e32 v14, v4
	v_div_fixup_f32 v5, v8, v5, v5
.LBB302_154:                            ;   in Loop: Header=BB302_4 Depth=1
	s_or_b64 exec, exec, s[10:11]
.LBB302_155:                            ;   in Loop: Header=BB302_4 Depth=1
	s_or_b64 exec, exec, s[28:29]
.LBB302_156:                            ;   in Loop: Header=BB302_4 Depth=1
	s_or_b64 exec, exec, s[26:27]
	v_cmp_gt_f32_e32 vcc, 0, v14
	v_cndmask_b32_e64 v4, v14, -v14, vcc
	v_cmp_gt_f32_e32 vcc, 0, v5
	v_cndmask_b32_e64 v26, v5, -v5, vcc
	v_cmp_ge_f32_e32 vcc, v4, v26
                                        ; implicit-def: $vgpr9
	s_and_saveexec_b64 s[10:11], vcc
	s_xor_b64 s[12:13], exec, s[10:11]
	s_cbranch_execz .LBB302_166
; %bb.157:                              ;   in Loop: Header=BB302_4 Depth=1
	v_cmp_neq_f32_e32 vcc, 0, v14
	v_cmp_neq_f32_e64 s[10:11], 0, v5
	s_or_b64 s[10:11], vcc, s[10:11]
                                        ; implicit-def: $vgpr9
	s_and_saveexec_b64 s[26:27], s[10:11]
	s_xor_b64 s[10:11], exec, s[26:27]
	s_cbranch_execz .LBB302_159
; %bb.158:                              ;   in Loop: Header=BB302_4 Depth=1
	v_div_scale_f32 v4, s[26:27], v14, v14, v5
	v_div_scale_f32 v8, vcc, v5, v14, v5
	v_rcp_f32_e32 v9, v4
	v_fma_f32 v26, -v4, v9, 1.0
	v_fmac_f32_e32 v9, v26, v9
	v_mul_f32_e32 v26, v8, v9
	v_fma_f32 v27, -v4, v26, v8
	v_fmac_f32_e32 v26, v27, v9
	v_fma_f32 v4, -v4, v26, v8
	v_div_fmas_f32 v4, v4, v9, v26
	v_div_fixup_f32 v4, v4, v14, v5
	v_fmac_f32_e32 v14, v5, v4
	v_div_scale_f32 v5, s[26:27], v14, v14, 1.0
	v_div_scale_f32 v8, vcc, 1.0, v14, 1.0
	v_rcp_f32_e32 v9, v5
	v_fma_f32 v26, -v5, v9, 1.0
	v_fmac_f32_e32 v9, v26, v9
	v_mul_f32_e32 v26, v8, v9
	v_fma_f32 v27, -v5, v26, v8
	v_fmac_f32_e32 v26, v27, v9
	v_fma_f32 v5, -v5, v26, v8
	v_div_fmas_f32 v5, v5, v9, v26
	v_fma_f32 v8, v4, 0, 1.0
                                        ; implicit-def: $vgpr26
	v_div_fixup_f32 v5, v5, v14, 1.0
	v_mul_f32_e32 v8, v8, v5
	v_mul_f32_e64 v9, -v4, v5
                                        ; implicit-def: $vgpr4
.LBB302_159:                            ;   in Loop: Header=BB302_4 Depth=1
	s_andn2_saveexec_b64 s[26:27], s[10:11]
	s_cbranch_execz .LBB302_161
; %bb.160:                              ;   in Loop: Header=BB302_4 Depth=1
	v_div_scale_f32 v5, s[10:11], v4, v4, 1.0
	v_div_scale_f32 v8, s[10:11], v26, v26, 0
	v_div_scale_f32 v9, vcc, 1.0, v4, 1.0
	v_div_scale_f32 v14, s[10:11], 0, v26, 0
	v_rcp_f32_e32 v27, v5
	v_rcp_f32_e32 v28, v8
	v_fma_f32 v29, -v5, v27, 1.0
	v_fmac_f32_e32 v27, v29, v27
	v_fma_f32 v30, -v8, v28, 1.0
	v_fmac_f32_e32 v28, v30, v28
	v_mul_f32_e32 v29, v9, v27
	v_mul_f32_e32 v30, v14, v28
	v_fma_f32 v31, -v5, v29, v9
	v_fma_f32 v32, -v8, v30, v14
	v_fmac_f32_e32 v29, v31, v27
	v_fmac_f32_e32 v30, v32, v28
	v_fma_f32 v5, -v5, v29, v9
	v_fma_f32 v8, -v8, v30, v14
	v_div_fmas_f32 v5, v5, v27, v29
	s_mov_b64 vcc, s[10:11]
	v_div_fmas_f32 v9, v8, v28, v30
	v_div_fixup_f32 v8, v5, v4, 1.0
	v_div_fixup_f32 v9, v9, v26, 0
.LBB302_161:                            ;   in Loop: Header=BB302_4 Depth=1
	s_or_b64 exec, exec, s[26:27]
                                        ; implicit-def: $vgpr5
                                        ; implicit-def: $vgpr14
	s_andn2_saveexec_b64 s[10:11], s[12:13]
	s_cbranch_execnz .LBB302_167
.LBB302_162:                            ;   in Loop: Header=BB302_4 Depth=1
	s_or_b64 exec, exec, s[10:11]
	s_and_saveexec_b64 s[10:11], s[0:1]
	s_xor_b64 s[0:1], exec, s[10:11]
	s_cbranch_execz .LBB302_168
.LBB302_163:                            ;   in Loop: Header=BB302_4 Depth=1
	v_mov_b32_e32 v5, s40
	v_add_co_u32_e32 v4, vcc, s33, v1
	v_addc_co_u32_e32 v5, vcc, 0, v5, vcc
	global_store_dwordx2 v[4:5], v[6:7], off
	s_or_b64 exec, exec, s[0:1]
	s_and_saveexec_b64 s[0:1], s[2:3]
	s_cbranch_execnz .LBB302_169
.LBB302_164:                            ;   in Loop: Header=BB302_4 Depth=1
	s_or_b64 exec, exec, s[0:1]
	s_and_saveexec_b64 s[0:1], s[6:7]
	s_cbranch_execz .LBB302_170
.LBB302_165:                            ;   in Loop: Header=BB302_4 Depth=1
	v_mov_b32_e32 v5, s40
	v_add_co_u32_e32 v4, vcc, s33, v21
	v_addc_co_u32_e32 v5, vcc, v5, v20, vcc
	global_store_dwordx2 v[4:5], v[12:13], off offset:-4
	s_or_b64 exec, exec, s[0:1]
	s_and_saveexec_b64 s[0:1], s[8:9]
	s_cbranch_execz .LBB302_3
	s_branch .LBB302_171
.LBB302_166:                            ;   in Loop: Header=BB302_4 Depth=1
	s_andn2_saveexec_b64 s[10:11], s[12:13]
	s_cbranch_execz .LBB302_162
.LBB302_167:                            ;   in Loop: Header=BB302_4 Depth=1
	v_div_scale_f32 v4, s[12:13], v5, v5, v14
	v_div_scale_f32 v8, vcc, v14, v5, v14
	v_rcp_f32_e32 v9, v4
	v_fma_f32 v26, -v4, v9, 1.0
	v_fmac_f32_e32 v9, v26, v9
	v_mul_f32_e32 v26, v8, v9
	v_fma_f32 v27, -v4, v26, v8
	v_fmac_f32_e32 v26, v27, v9
	v_fma_f32 v4, -v4, v26, v8
	v_div_fmas_f32 v4, v4, v9, v26
	v_div_fixup_f32 v4, v4, v5, v14
	v_fmac_f32_e32 v5, v14, v4
	v_div_scale_f32 v8, s[12:13], v5, v5, 1.0
	v_div_scale_f32 v9, vcc, 1.0, v5, 1.0
	v_rcp_f32_e32 v14, v8
	v_fma_f32 v26, -v8, v14, 1.0
	v_fmac_f32_e32 v14, v26, v14
	v_mul_f32_e32 v26, v9, v14
	v_fma_f32 v27, -v8, v26, v9
	v_fmac_f32_e32 v26, v27, v14
	v_fma_f32 v8, -v8, v26, v9
	v_div_fmas_f32 v8, v8, v14, v26
	v_add_f32_e32 v9, 0, v4
	v_fma_f32 v4, v4, 0, -1.0
	v_div_fixup_f32 v5, v8, v5, 1.0
	v_mul_f32_e32 v8, v9, v5
	v_mul_f32_e32 v9, v4, v5
	s_or_b64 exec, exec, s[10:11]
	s_and_saveexec_b64 s[10:11], s[0:1]
	s_xor_b64 s[0:1], exec, s[10:11]
	s_cbranch_execnz .LBB302_163
.LBB302_168:                            ;   in Loop: Header=BB302_4 Depth=1
	s_or_b64 exec, exec, s[0:1]
	s_and_saveexec_b64 s[0:1], s[2:3]
	s_cbranch_execz .LBB302_164
.LBB302_169:                            ;   in Loop: Header=BB302_4 Depth=1
	v_mov_b32_e32 v5, s40
	v_add_co_u32_e32 v4, vcc, s33, v19
	v_addc_co_u32_e32 v5, vcc, 0, v5, vcc
	global_store_dwordx2 v[4:5], v[10:11], off
	s_or_b64 exec, exec, s[0:1]
	s_and_saveexec_b64 s[0:1], s[6:7]
	s_cbranch_execnz .LBB302_165
.LBB302_170:                            ;   in Loop: Header=BB302_4 Depth=1
	s_or_b64 exec, exec, s[0:1]
	s_and_saveexec_b64 s[0:1], s[8:9]
	s_cbranch_execz .LBB302_3
.LBB302_171:                            ;   in Loop: Header=BB302_4 Depth=1
	v_mov_b32_e32 v5, s40
	v_add_co_u32_e32 v4, vcc, s33, v2
	v_addc_co_u32_e32 v5, vcc, v5, v3, vcc
	global_store_dwordx2 v[4:5], v[8:9], off offset:-4
	s_branch .LBB302_3
.LBB302_172:
	s_cbranch_execz .LBB302_174
	s_branch .LBB302_329
.LBB302_173:
.LBB302_174:
	v_mov_b32_e32 v1, 0x10000
	v_mov_b32_e32 v2, 0
	v_cmp_lt_i64_e32 vcc, s[18:19], v[1:2]
	v_mov_b32_e32 v2, 0
	s_and_b64 s[0:1], vcc, exec
	s_cselect_b32 s7, s19, 0
	s_cselect_b32 s6, s18, 0x10000
	v_lshlrev_b32_e32 v1, 2, v0
	v_cmp_gt_i64_e32 vcc, s[6:7], v[1:2]
	s_and_saveexec_b64 s[0:1], vcc
	s_cbranch_execz .LBB302_329
; %bb.175:
	s_load_dword s0, s[4:5], 0xd3c
	v_mov_b32_e32 v1, v2
	v_lshlrev_b32_e32 v2, 5, v0
	s_mov_b64 s[4:5], 0
	s_mov_b32 s22, 0x7f800000
	s_waitcnt lgkmcnt(0)
	s_and_b32 s20, s0, 0xffff
	s_add_u32 s0, s14, s16
	s_addc_u32 s1, s15, s17
	v_mov_b32_e32 v3, s1
	v_add_co_u32_e32 v14, vcc, s0, v2
	v_addc_co_u32_e32 v15, vcc, 0, v3, vcc
	s_lshl_b32 s21, s20, 5
	s_mov_b32 s23, 0x7ed413cb
	s_mov_b32 s24, 0x1000000
	;; [unrolled: 1-line block ×3, first 2 shown]
	v_mov_b32_e32 v16, 0x260
	s_brev_b32 s26, -2
	v_mov_b32_e32 v17, 0x7f800000
	s_branch .LBB302_177
.LBB302_176:                            ;   in Loop: Header=BB302_177 Depth=1
	s_or_b64 exec, exec, s[0:1]
	v_add_co_u32_e32 v0, vcc, s20, v0
	v_addc_co_u32_e32 v1, vcc, 0, v1, vcc
	v_lshlrev_b64 v[2:3], 2, v[0:1]
	global_store_dwordx4 v[14:15], v[6:9], off
	v_cmp_le_i64_e32 vcc, s[6:7], v[2:3]
	global_store_dwordx4 v[14:15], v[10:13], off offset:16
	s_or_b64 s[4:5], vcc, s[4:5]
	v_add_co_u32_e32 v14, vcc, s21, v14
	v_addc_co_u32_e32 v15, vcc, 0, v15, vcc
	s_andn2_b64 exec, exec, s[4:5]
	s_cbranch_execz .LBB302_329
.LBB302_177:                            ; =>This Inner Loop Header: Depth=1
	global_load_dwordx4 v[7:10], v[14:15], off
	global_load_dwordx4 v[2:5], v[14:15], off offset:16
	v_mov_b32_e32 v11, 0
	s_waitcnt vmcnt(1)
	v_cmp_neq_f32_e32 vcc, 0, v7
	v_cmp_neq_f32_e64 s[0:1], 0, v8
	s_or_b64 s[0:1], vcc, s[0:1]
	v_mov_b32_e32 v12, v8
	s_and_saveexec_b64 s[8:9], s[0:1]
	s_cbranch_execz .LBB302_206
; %bb.178:                              ;   in Loop: Header=BB302_177 Depth=1
	v_mov_b32_e32 v11, 0x7f800000
	v_cmp_neq_f32_e64 s[0:1], |v8|, v11
	v_mov_b32_e32 v12, v8
	s_and_saveexec_b64 s[10:11], s[0:1]
	s_cbranch_execz .LBB302_205
; %bb.179:                              ;   in Loop: Header=BB302_177 Depth=1
	v_cmp_o_f32_e32 vcc, v7, v7
                                        ; implicit-def: $vgpr12
                                        ; implicit-def: $vgpr11
	s_and_saveexec_b64 s[0:1], vcc
	s_xor_b64 s[12:13], exec, s[0:1]
	s_cbranch_execz .LBB302_202
; %bb.180:                              ;   in Loop: Header=BB302_177 Depth=1
	v_cmp_neq_f32_e64 s[0:1], |v7|, s22
                                        ; implicit-def: $vgpr12
                                        ; implicit-def: $vgpr11
	s_and_saveexec_b64 s[2:3], s[0:1]
	s_xor_b64 s[14:15], exec, s[2:3]
	s_cbranch_execz .LBB302_196
; %bb.181:                              ;   in Loop: Header=BB302_177 Depth=1
	v_max_f32_e64 v6, |v8|, |v8|
	v_max_f32_e64 v11, |v7|, |v7|
	v_max_f32_e32 v6, v11, v6
	v_cmp_nle_f32_e64 s[0:1], s23, v6
                                        ; implicit-def: $sgpr16_sgpr17
                                        ; implicit-def: $vgpr11
                                        ; implicit-def: $vgpr6
	s_and_saveexec_b64 s[2:3], s[0:1]
	s_xor_b64 s[2:3], exec, s[2:3]
	s_cbranch_execz .LBB302_185
; %bb.182:                              ;   in Loop: Header=BB302_177 Depth=1
	v_cmp_le_f32_e64 s[16:17], |v7|, s24
	v_cmp_le_f32_e64 s[18:19], |v8|, s24
	s_and_b64 s[28:29], s[16:17], s[18:19]
	s_mov_b64 s[16:17], 0
	v_mov_b32_e32 v11, v7
	v_mov_b32_e32 v6, v8
	s_and_saveexec_b64 s[18:19], s[28:29]
; %bb.183:                              ;   in Loop: Header=BB302_177 Depth=1
	s_mov_b64 s[16:17], exec
	v_mul_f32_e32 v11, 4.0, v7
	v_mul_f32_e32 v6, 4.0, v8
; %bb.184:                              ;   in Loop: Header=BB302_177 Depth=1
	s_or_b64 exec, exec, s[18:19]
.LBB302_185:                            ;   in Loop: Header=BB302_177 Depth=1
	s_andn2_saveexec_b64 s[2:3], s[2:3]
; %bb.186:                              ;   in Loop: Header=BB302_177 Depth=1
	v_mul_f32_e32 v11, 0x3e800000, v7
	v_mul_f32_e32 v6, 0x3e800000, v8
	s_andn2_b64 s[16:17], s[16:17], exec
; %bb.187:                              ;   in Loop: Header=BB302_177 Depth=1
	s_or_b64 exec, exec, s[2:3]
	v_max_f32_e64 v12, |v6|, |v6|
	v_max_f32_e64 v13, |v11|, |v11|
	v_max_f32_e32 v18, v13, v12
	v_cvt_f64_f32_e32 v[12:13], v18
	v_cmp_neq_f32_e64 s[2:3], s22, v18
	v_cmp_le_f32_e32 vcc, 0, v11
                                        ; implicit-def: $vgpr18
	v_frexp_exp_i32_f64_e32 v12, v[12:13]
	v_sub_u32_e32 v13, 0, v12
	v_ldexp_f32 v19, |v11|, v13
	v_ldexp_f32 v13, |v6|, v13
	v_mul_f32_e32 v13, v13, v13
	v_fmac_f32_e32 v13, v19, v19
	v_sqrt_f32_e32 v13, v13
	v_ldexp_f32 v12, v13, v12
	v_cndmask_b32_e64 v12, v17, v12, s[2:3]
                                        ; implicit-def: $vgpr13
	s_and_saveexec_b64 s[2:3], vcc
	s_xor_b64 s[18:19], exec, s[2:3]
	s_cbranch_execz .LBB302_189
; %bb.188:                              ;   in Loop: Header=BB302_177 Depth=1
	v_add_f32_e32 v11, v11, v12
	v_mul_f32_e32 v11, 0.5, v11
	v_mul_f32_e32 v12, 0x4f800000, v11
	v_cmp_gt_f32_e32 vcc, s25, v11
	v_cndmask_b32_e32 v11, v11, v12, vcc
	v_sqrt_f32_e32 v12, v11
	v_add_u32_e32 v13, -1, v12
	v_fma_f32 v19, -v13, v12, v11
	v_add_u32_e32 v18, 1, v12
	v_cmp_ge_f32_e64 s[2:3], 0, v19
	v_cndmask_b32_e64 v13, v12, v13, s[2:3]
	v_fma_f32 v12, -v18, v12, v11
	v_cmp_lt_f32_e64 s[2:3], 0, v12
	v_cndmask_b32_e64 v12, v13, v18, s[2:3]
	v_mul_f32_e32 v13, 0x37800000, v12
	v_cndmask_b32_e32 v12, v12, v13, vcc
	v_cmp_class_f32_e32 vcc, v11, v16
	v_cndmask_b32_e32 v13, v12, v11, vcc
	v_add_f32_e32 v11, v13, v13
	v_div_scale_f32 v12, s[2:3], v11, v11, v6
	v_div_scale_f32 v18, vcc, v6, v11, v6
	v_rcp_f32_e32 v19, v12
	v_fma_f32 v20, -v12, v19, 1.0
	v_fmac_f32_e32 v19, v20, v19
	v_mul_f32_e32 v20, v18, v19
	v_fma_f32 v21, -v12, v20, v18
	v_fmac_f32_e32 v20, v21, v19
	v_fma_f32 v12, -v12, v20, v18
	v_div_fmas_f32 v12, v12, v19, v20
	v_div_fixup_f32 v18, v12, v11, v6
                                        ; implicit-def: $vgpr12
                                        ; implicit-def: $vgpr11
                                        ; implicit-def: $vgpr6
	s_andn2_saveexec_b64 s[18:19], s[18:19]
	s_cbranch_execz .LBB302_191
	s_branch .LBB302_190
.LBB302_189:                            ;   in Loop: Header=BB302_177 Depth=1
	s_andn2_saveexec_b64 s[18:19], s[18:19]
	s_cbranch_execz .LBB302_191
.LBB302_190:                            ;   in Loop: Header=BB302_177 Depth=1
	v_sub_f32_e32 v11, v12, v11
	v_mul_f32_e32 v11, 0.5, v11
	v_mul_f32_e32 v12, 0x4f800000, v11
	v_cmp_gt_f32_e32 vcc, s25, v11
	v_cndmask_b32_e32 v11, v11, v12, vcc
	v_sqrt_f32_e32 v12, v11
	v_add_u32_e32 v13, -1, v12
	v_fma_f32 v19, -v13, v12, v11
	v_add_u32_e32 v18, 1, v12
	v_cmp_ge_f32_e64 s[2:3], 0, v19
	v_cndmask_b32_e64 v13, v12, v13, s[2:3]
	v_fma_f32 v12, -v18, v12, v11
	v_cmp_lt_f32_e64 s[2:3], 0, v12
	v_cndmask_b32_e64 v12, v13, v18, s[2:3]
	v_mul_f32_e32 v13, 0x37800000, v12
	v_cndmask_b32_e32 v12, v12, v13, vcc
	v_cmp_class_f32_e32 vcc, v11, v16
	v_cndmask_b32_e32 v11, v12, v11, vcc
	v_add_f32_e32 v12, v11, v11
	v_and_b32_e32 v13, 0x7fffffff, v6
	v_div_scale_f32 v18, s[2:3], v12, v12, v13
	v_div_scale_f32 v13, vcc, v13, v12, v13
	v_rcp_f32_e32 v19, v18
	v_fma_f32 v20, -v18, v19, 1.0
	v_fmac_f32_e32 v19, v20, v19
	v_mul_f32_e32 v20, v13, v19
	v_fma_f32 v21, -v18, v20, v13
	v_fmac_f32_e32 v20, v21, v19
	v_fma_f32 v13, -v18, v20, v13
	v_div_fmas_f32 v13, v13, v19, v20
	v_bfi_b32 v18, s26, v11, v6
	v_div_fixup_f32 v13, v13, v12, |v6|
.LBB302_191:                            ;   in Loop: Header=BB302_177 Depth=1
	s_or_b64 exec, exec, s[18:19]
                                        ; implicit-def: $vgpr12
                                        ; implicit-def: $vgpr11
	s_and_saveexec_b64 s[2:3], s[0:1]
	s_xor_b64 s[0:1], exec, s[2:3]
	s_cbranch_execz .LBB302_193
; %bb.192:                              ;   in Loop: Header=BB302_177 Depth=1
	v_mul_f32_e32 v6, 0.5, v13
	v_mul_f32_e32 v12, 0.5, v18
	v_cndmask_b32_e64 v11, v13, v6, s[16:17]
	v_cndmask_b32_e64 v12, v18, v12, s[16:17]
                                        ; implicit-def: $vgpr13
                                        ; implicit-def: $vgpr18
	s_andn2_saveexec_b64 s[0:1], s[0:1]
	s_cbranch_execnz .LBB302_194
	s_branch .LBB302_195
.LBB302_193:                            ;   in Loop: Header=BB302_177 Depth=1
	s_andn2_saveexec_b64 s[0:1], s[0:1]
.LBB302_194:                            ;   in Loop: Header=BB302_177 Depth=1
	v_add_f32_e32 v11, v13, v13
	v_add_f32_e32 v12, v18, v18
.LBB302_195:                            ;   in Loop: Header=BB302_177 Depth=1
	s_or_b64 exec, exec, s[0:1]
.LBB302_196:                            ;   in Loop: Header=BB302_177 Depth=1
	s_andn2_saveexec_b64 s[0:1], s[14:15]
	s_cbranch_execz .LBB302_226
; %bb.197:                              ;   in Loop: Header=BB302_177 Depth=1
	v_sub_f32_e32 v6, v8, v8
	v_cmp_lt_i32_e32 vcc, -1, v7
	v_and_b32_e32 v11, 0x7fffffff, v6
                                        ; implicit-def: $vgpr12
	s_and_saveexec_b64 s[2:3], vcc
	s_xor_b64 s[2:3], exec, s[2:3]
; %bb.198:                              ;   in Loop: Header=BB302_177 Depth=1
	v_bfi_b32 v12, s26, v6, v8
	v_mov_b32_e32 v11, v7
; %bb.199:                              ;   in Loop: Header=BB302_177 Depth=1
	s_andn2_saveexec_b64 s[2:3], s[2:3]
; %bb.200:                              ;   in Loop: Header=BB302_177 Depth=1
	v_bfi_b32 v12, s26, v7, v8
; %bb.201:                              ;   in Loop: Header=BB302_177 Depth=1
	s_or_b64 exec, exec, s[2:3]
	s_or_b64 exec, exec, s[0:1]
.LBB302_202:                            ;   in Loop: Header=BB302_177 Depth=1
	s_andn2_saveexec_b64 s[0:1], s[12:13]
	s_cbranch_execz .LBB302_204
.LBB302_203:                            ;   in Loop: Header=BB302_177 Depth=1
	v_sub_f32_e32 v6, v8, v8
	v_div_scale_f32 v8, vcc, v6, v6, v6
	v_rcp_f32_e32 v11, v8
	v_fma_f32 v12, -v8, v11, 1.0
	v_fmac_f32_e32 v11, v12, v11
	v_mul_f32_e32 v12, v8, v11
	v_fma_f32 v13, -v8, v12, v8
	v_fmac_f32_e32 v12, v13, v11
	v_fma_f32 v8, -v8, v12, v8
	v_div_fmas_f32 v8, v8, v11, v12
	v_mov_b32_e32 v11, v7
	v_div_fixup_f32 v12, v8, v6, v6
.LBB302_204:                            ;   in Loop: Header=BB302_177 Depth=1
	s_or_b64 exec, exec, s[0:1]
.LBB302_205:                            ;   in Loop: Header=BB302_177 Depth=1
	s_or_b64 exec, exec, s[10:11]
.LBB302_206:                            ;   in Loop: Header=BB302_177 Depth=1
	s_or_b64 exec, exec, s[8:9]
	v_cmp_gt_f32_e32 vcc, 0, v11
	v_cndmask_b32_e64 v8, v11, -v11, vcc
	v_cmp_gt_f32_e32 vcc, 0, v12
	v_cndmask_b32_e64 v13, v12, -v12, vcc
	v_cmp_ge_f32_e32 vcc, v8, v13
                                        ; implicit-def: $vgpr7
	s_and_saveexec_b64 s[0:1], vcc
	s_xor_b64 s[2:3], exec, s[0:1]
	s_cbranch_execz .LBB302_212
; %bb.207:                              ;   in Loop: Header=BB302_177 Depth=1
	v_cmp_neq_f32_e32 vcc, 0, v11
	v_cmp_neq_f32_e64 s[0:1], 0, v12
	s_or_b64 s[0:1], vcc, s[0:1]
                                        ; implicit-def: $vgpr7
	s_and_saveexec_b64 s[8:9], s[0:1]
	s_xor_b64 s[0:1], exec, s[8:9]
	s_cbranch_execz .LBB302_209
; %bb.208:                              ;   in Loop: Header=BB302_177 Depth=1
	v_div_scale_f32 v6, s[8:9], v11, v11, v12
	v_div_scale_f32 v7, vcc, v12, v11, v12
	v_rcp_f32_e32 v8, v6
	v_fma_f32 v13, -v6, v8, 1.0
	v_fmac_f32_e32 v8, v13, v8
	v_mul_f32_e32 v13, v7, v8
	v_fma_f32 v18, -v6, v13, v7
	v_fmac_f32_e32 v13, v18, v8
	v_fma_f32 v6, -v6, v13, v7
	v_div_fmas_f32 v6, v6, v8, v13
	v_div_fixup_f32 v7, v6, v11, v12
	v_fmac_f32_e32 v11, v12, v7
	v_div_scale_f32 v6, s[8:9], v11, v11, 1.0
	v_div_scale_f32 v8, vcc, 1.0, v11, 1.0
	v_rcp_f32_e32 v12, v6
	v_fma_f32 v13, -v6, v12, 1.0
	v_fmac_f32_e32 v12, v13, v12
	v_mul_f32_e32 v13, v8, v12
	v_fma_f32 v18, -v6, v13, v8
	v_fmac_f32_e32 v13, v18, v12
	v_fma_f32 v6, -v6, v13, v8
	v_div_fmas_f32 v6, v6, v12, v13
	v_fma_f32 v8, v7, 0, 1.0
                                        ; implicit-def: $vgpr13
	v_div_fixup_f32 v11, v6, v11, 1.0
	v_mul_f32_e32 v6, v8, v11
	v_mul_f32_e64 v7, -v7, v11
                                        ; implicit-def: $vgpr8
.LBB302_209:                            ;   in Loop: Header=BB302_177 Depth=1
	s_andn2_saveexec_b64 s[8:9], s[0:1]
	s_cbranch_execz .LBB302_211
; %bb.210:                              ;   in Loop: Header=BB302_177 Depth=1
	v_div_scale_f32 v6, s[0:1], v8, v8, 1.0
	v_div_scale_f32 v7, s[0:1], v13, v13, 0
	v_div_scale_f32 v11, vcc, 1.0, v8, 1.0
	v_div_scale_f32 v12, s[0:1], 0, v13, 0
	v_rcp_f32_e32 v18, v6
	v_rcp_f32_e32 v19, v7
	v_fma_f32 v20, -v6, v18, 1.0
	v_fmac_f32_e32 v18, v20, v18
	v_fma_f32 v21, -v7, v19, 1.0
	v_fmac_f32_e32 v19, v21, v19
	v_mul_f32_e32 v20, v11, v18
	v_mul_f32_e32 v21, v12, v19
	v_fma_f32 v22, -v6, v20, v11
	v_fma_f32 v23, -v7, v21, v12
	v_fmac_f32_e32 v20, v22, v18
	v_fmac_f32_e32 v21, v23, v19
	v_fma_f32 v6, -v6, v20, v11
	v_fma_f32 v7, -v7, v21, v12
	v_div_fmas_f32 v6, v6, v18, v20
	s_mov_b64 vcc, s[0:1]
	v_div_fmas_f32 v7, v7, v19, v21
	v_div_fixup_f32 v6, v6, v8, 1.0
	v_div_fixup_f32 v7, v7, v13, 0
.LBB302_211:                            ;   in Loop: Header=BB302_177 Depth=1
	s_or_b64 exec, exec, s[8:9]
                                        ; implicit-def: $vgpr12
                                        ; implicit-def: $vgpr11
.LBB302_212:                            ;   in Loop: Header=BB302_177 Depth=1
	s_andn2_saveexec_b64 s[0:1], s[2:3]
	s_cbranch_execz .LBB302_214
; %bb.213:                              ;   in Loop: Header=BB302_177 Depth=1
	v_div_scale_f32 v6, s[2:3], v12, v12, v11
	v_div_scale_f32 v7, vcc, v11, v12, v11
	v_rcp_f32_e32 v8, v6
	v_fma_f32 v13, -v6, v8, 1.0
	v_fmac_f32_e32 v8, v13, v8
	v_mul_f32_e32 v13, v7, v8
	v_fma_f32 v18, -v6, v13, v7
	v_fmac_f32_e32 v13, v18, v8
	v_fma_f32 v6, -v6, v13, v7
	v_div_fmas_f32 v6, v6, v8, v13
	v_div_fixup_f32 v6, v6, v12, v11
	v_fmac_f32_e32 v12, v11, v6
	v_div_scale_f32 v7, s[2:3], v12, v12, 1.0
	v_div_scale_f32 v8, vcc, 1.0, v12, 1.0
	v_rcp_f32_e32 v11, v7
	v_fma_f32 v13, -v7, v11, 1.0
	v_fmac_f32_e32 v11, v13, v11
	v_mul_f32_e32 v13, v8, v11
	v_fma_f32 v18, -v7, v13, v8
	v_fmac_f32_e32 v13, v18, v11
	v_fma_f32 v7, -v7, v13, v8
	v_div_fmas_f32 v7, v7, v11, v13
	v_add_f32_e32 v8, 0, v6
	v_fma_f32 v11, v6, 0, -1.0
	v_div_fixup_f32 v7, v7, v12, 1.0
	v_mul_f32_e32 v6, v8, v7
	v_mul_f32_e32 v7, v11, v7
.LBB302_214:                            ;   in Loop: Header=BB302_177 Depth=1
	s_or_b64 exec, exec, s[0:1]
	v_cmp_neq_f32_e32 vcc, 0, v9
	v_cmp_neq_f32_e64 s[0:1], 0, v10
	v_mov_b32_e32 v11, 0
	s_or_b64 s[0:1], vcc, s[0:1]
	s_and_saveexec_b64 s[8:9], s[0:1]
	s_cbranch_execz .LBB302_245
; %bb.215:                              ;   in Loop: Header=BB302_177 Depth=1
	v_mov_b32_e32 v11, 0x7f800000
	v_cmp_neq_f32_e64 s[0:1], |v10|, v11
	s_and_saveexec_b64 s[10:11], s[0:1]
	s_cbranch_execz .LBB302_244
; %bb.216:                              ;   in Loop: Header=BB302_177 Depth=1
	v_cmp_o_f32_e32 vcc, v9, v9
                                        ; implicit-def: $vgpr11
	s_and_saveexec_b64 s[0:1], vcc
	s_xor_b64 s[12:13], exec, s[0:1]
	s_cbranch_execz .LBB302_241
; %bb.217:                              ;   in Loop: Header=BB302_177 Depth=1
	v_cmp_neq_f32_e64 s[0:1], |v9|, s22
                                        ; implicit-def: $vgpr11
	s_and_saveexec_b64 s[2:3], s[0:1]
	s_xor_b64 s[14:15], exec, s[2:3]
	s_cbranch_execz .LBB302_234
; %bb.218:                              ;   in Loop: Header=BB302_177 Depth=1
	v_max_f32_e64 v8, |v10|, |v10|
	v_max_f32_e64 v11, |v9|, |v9|
	v_max_f32_e32 v8, v11, v8
	v_cmp_nle_f32_e64 s[0:1], s23, v8
                                        ; implicit-def: $sgpr16_sgpr17
	s_and_saveexec_b64 s[2:3], s[0:1]
	s_xor_b64 s[2:3], exec, s[2:3]
	s_cbranch_execz .LBB302_222
; %bb.219:                              ;   in Loop: Header=BB302_177 Depth=1
	v_cmp_le_f32_e64 s[16:17], |v9|, s24
	v_cmp_le_f32_e64 s[18:19], |v10|, s24
	s_and_b64 s[28:29], s[16:17], s[18:19]
	s_mov_b64 s[16:17], 0
	s_and_saveexec_b64 s[18:19], s[28:29]
; %bb.220:                              ;   in Loop: Header=BB302_177 Depth=1
	s_mov_b64 s[16:17], exec
	v_mul_f32_e32 v9, 4.0, v9
	v_mul_f32_e32 v10, 4.0, v10
; %bb.221:                              ;   in Loop: Header=BB302_177 Depth=1
	s_or_b64 exec, exec, s[18:19]
.LBB302_222:                            ;   in Loop: Header=BB302_177 Depth=1
	s_andn2_saveexec_b64 s[2:3], s[2:3]
; %bb.223:                              ;   in Loop: Header=BB302_177 Depth=1
	v_mul_f32_e32 v9, 0x3e800000, v9
	v_mul_f32_e32 v10, 0x3e800000, v10
	s_andn2_b64 s[16:17], s[16:17], exec
; %bb.224:                              ;   in Loop: Header=BB302_177 Depth=1
	s_or_b64 exec, exec, s[2:3]
	v_max_f32_e64 v8, |v10|, |v10|
	v_max_f32_e64 v11, |v9|, |v9|
	v_max_f32_e32 v8, v11, v8
	v_cvt_f64_f32_e32 v[11:12], v8
	v_cmp_neq_f32_e64 s[2:3], s22, v8
	v_cmp_le_f32_e32 vcc, 0, v9
                                        ; implicit-def: $vgpr8
	v_frexp_exp_i32_f64_e32 v11, v[11:12]
	v_sub_u32_e32 v12, 0, v11
	v_ldexp_f32 v13, |v9|, v12
	v_ldexp_f32 v12, |v10|, v12
	v_mul_f32_e32 v12, v12, v12
	v_fmac_f32_e32 v12, v13, v13
	v_sqrt_f32_e32 v12, v12
	v_ldexp_f32 v11, v12, v11
	v_cndmask_b32_e64 v11, v17, v11, s[2:3]
                                        ; implicit-def: $vgpr12
	s_and_saveexec_b64 s[2:3], vcc
	s_xor_b64 s[18:19], exec, s[2:3]
	s_cbranch_execz .LBB302_227
; %bb.225:                              ;   in Loop: Header=BB302_177 Depth=1
	v_add_f32_e32 v8, v9, v11
	v_mul_f32_e32 v8, 0.5, v8
	v_mul_f32_e32 v9, 0x4f800000, v8
	v_cmp_gt_f32_e32 vcc, s25, v8
	v_cndmask_b32_e32 v8, v8, v9, vcc
	v_sqrt_f32_e32 v9, v8
	v_add_u32_e32 v11, -1, v9
	v_fma_f32 v13, -v11, v9, v8
	v_add_u32_e32 v12, 1, v9
	v_cmp_ge_f32_e64 s[2:3], 0, v13
	v_cndmask_b32_e64 v11, v9, v11, s[2:3]
	v_fma_f32 v9, -v12, v9, v8
	v_cmp_lt_f32_e64 s[2:3], 0, v9
	v_cndmask_b32_e64 v9, v11, v12, s[2:3]
	v_mul_f32_e32 v11, 0x37800000, v9
	v_cndmask_b32_e32 v9, v9, v11, vcc
	v_cmp_class_f32_e32 vcc, v8, v16
	v_cndmask_b32_e32 v8, v9, v8, vcc
	v_add_f32_e32 v9, v8, v8
	v_div_scale_f32 v11, s[2:3], v9, v9, v10
	v_div_scale_f32 v12, vcc, v10, v9, v10
	v_rcp_f32_e32 v13, v11
	v_fma_f32 v18, -v11, v13, 1.0
	v_fmac_f32_e32 v13, v18, v13
	v_mul_f32_e32 v18, v12, v13
	v_fma_f32 v19, -v11, v18, v12
	v_fmac_f32_e32 v18, v19, v13
	v_fma_f32 v11, -v11, v18, v12
	v_div_fmas_f32 v11, v11, v13, v18
	v_div_fixup_f32 v12, v11, v9, v10
                                        ; implicit-def: $vgpr11
                                        ; implicit-def: $vgpr9
	s_andn2_saveexec_b64 s[18:19], s[18:19]
	s_cbranch_execz .LBB302_229
	s_branch .LBB302_228
.LBB302_226:                            ;   in Loop: Header=BB302_177 Depth=1
	s_or_b64 exec, exec, s[0:1]
	s_andn2_saveexec_b64 s[0:1], s[12:13]
	s_cbranch_execnz .LBB302_203
	s_branch .LBB302_204
.LBB302_227:                            ;   in Loop: Header=BB302_177 Depth=1
	s_andn2_saveexec_b64 s[18:19], s[18:19]
	s_cbranch_execz .LBB302_229
.LBB302_228:                            ;   in Loop: Header=BB302_177 Depth=1
	v_sub_f32_e32 v8, v11, v9
	v_mul_f32_e32 v8, 0.5, v8
	v_mul_f32_e32 v9, 0x4f800000, v8
	v_cmp_gt_f32_e32 vcc, s25, v8
	v_cndmask_b32_e32 v8, v8, v9, vcc
	v_sqrt_f32_e32 v9, v8
	v_add_u32_e32 v11, -1, v9
	v_fma_f32 v13, -v11, v9, v8
	v_add_u32_e32 v12, 1, v9
	v_cmp_ge_f32_e64 s[2:3], 0, v13
	v_cndmask_b32_e64 v11, v9, v11, s[2:3]
	v_fma_f32 v9, -v12, v9, v8
	v_cmp_lt_f32_e64 s[2:3], 0, v9
	v_cndmask_b32_e64 v9, v11, v12, s[2:3]
	v_mul_f32_e32 v11, 0x37800000, v9
	v_cndmask_b32_e32 v9, v9, v11, vcc
	v_cmp_class_f32_e32 vcc, v8, v16
	v_cndmask_b32_e32 v9, v9, v8, vcc
	v_add_f32_e32 v8, v9, v9
	v_and_b32_e32 v11, 0x7fffffff, v10
	v_div_scale_f32 v12, s[2:3], v8, v8, v11
	v_div_scale_f32 v11, vcc, v11, v8, v11
	v_rcp_f32_e32 v13, v12
	v_fma_f32 v18, -v12, v13, 1.0
	v_fmac_f32_e32 v13, v18, v13
	v_mul_f32_e32 v18, v11, v13
	v_fma_f32 v19, -v12, v18, v11
	v_fmac_f32_e32 v18, v19, v13
	v_fma_f32 v11, -v12, v18, v11
	v_div_fmas_f32 v11, v11, v13, v18
	v_bfi_b32 v12, s26, v9, v10
	v_div_fixup_f32 v8, v11, v8, |v10|
.LBB302_229:                            ;   in Loop: Header=BB302_177 Depth=1
	s_or_b64 exec, exec, s[18:19]
                                        ; implicit-def: $vgpr10
                                        ; implicit-def: $vgpr11
	s_and_saveexec_b64 s[2:3], s[0:1]
	s_xor_b64 s[0:1], exec, s[2:3]
	s_cbranch_execz .LBB302_231
; %bb.230:                              ;   in Loop: Header=BB302_177 Depth=1
	v_mul_f32_e32 v9, 0.5, v8
	v_mul_f32_e32 v10, 0.5, v12
	v_cndmask_b32_e64 v11, v8, v9, s[16:17]
	v_cndmask_b32_e64 v10, v12, v10, s[16:17]
                                        ; implicit-def: $vgpr8
                                        ; implicit-def: $vgpr12
	s_andn2_saveexec_b64 s[0:1], s[0:1]
	s_cbranch_execnz .LBB302_232
	s_branch .LBB302_233
.LBB302_231:                            ;   in Loop: Header=BB302_177 Depth=1
	s_andn2_saveexec_b64 s[0:1], s[0:1]
.LBB302_232:                            ;   in Loop: Header=BB302_177 Depth=1
	v_add_f32_e32 v11, v8, v8
	v_add_f32_e32 v10, v12, v12
.LBB302_233:                            ;   in Loop: Header=BB302_177 Depth=1
	s_or_b64 exec, exec, s[0:1]
.LBB302_234:                            ;   in Loop: Header=BB302_177 Depth=1
	s_andn2_saveexec_b64 s[0:1], s[14:15]
	s_cbranch_execz .LBB302_240
; %bb.235:                              ;   in Loop: Header=BB302_177 Depth=1
	v_sub_f32_e32 v8, v10, v10
	v_cmp_lt_i32_e32 vcc, -1, v9
	v_and_b32_e32 v11, 0x7fffffff, v8
	s_and_saveexec_b64 s[2:3], vcc
	s_xor_b64 s[2:3], exec, s[2:3]
; %bb.236:                              ;   in Loop: Header=BB302_177 Depth=1
	v_bfi_b32 v10, s26, v8, v10
	v_mov_b32_e32 v11, v9
; %bb.237:                              ;   in Loop: Header=BB302_177 Depth=1
	s_andn2_saveexec_b64 s[2:3], s[2:3]
; %bb.238:                              ;   in Loop: Header=BB302_177 Depth=1
	v_bfi_b32 v10, s26, v9, v10
; %bb.239:                              ;   in Loop: Header=BB302_177 Depth=1
	s_or_b64 exec, exec, s[2:3]
.LBB302_240:                            ;   in Loop: Header=BB302_177 Depth=1
	s_or_b64 exec, exec, s[0:1]
.LBB302_241:                            ;   in Loop: Header=BB302_177 Depth=1
	s_andn2_saveexec_b64 s[0:1], s[12:13]
	s_cbranch_execz .LBB302_243
; %bb.242:                              ;   in Loop: Header=BB302_177 Depth=1
	v_sub_f32_e32 v8, v10, v10
	v_div_scale_f32 v10, vcc, v8, v8, v8
	v_rcp_f32_e32 v11, v10
	v_fma_f32 v12, -v10, v11, 1.0
	v_fmac_f32_e32 v11, v12, v11
	v_mul_f32_e32 v12, v10, v11
	v_fma_f32 v13, -v10, v12, v10
	v_fmac_f32_e32 v12, v13, v11
	v_fma_f32 v10, -v10, v12, v10
	v_div_fmas_f32 v10, v10, v11, v12
	v_mov_b32_e32 v11, v9
	v_div_fixup_f32 v10, v10, v8, v8
.LBB302_243:                            ;   in Loop: Header=BB302_177 Depth=1
	s_or_b64 exec, exec, s[0:1]
.LBB302_244:                            ;   in Loop: Header=BB302_177 Depth=1
	s_or_b64 exec, exec, s[10:11]
.LBB302_245:                            ;   in Loop: Header=BB302_177 Depth=1
	s_or_b64 exec, exec, s[8:9]
	v_cmp_gt_f32_e32 vcc, 0, v11
	v_cndmask_b32_e64 v12, v11, -v11, vcc
	v_cmp_gt_f32_e32 vcc, 0, v10
	v_cndmask_b32_e64 v13, v10, -v10, vcc
	v_cmp_ge_f32_e32 vcc, v12, v13
	s_and_saveexec_b64 s[0:1], vcc
	s_xor_b64 s[2:3], exec, s[0:1]
	s_cbranch_execz .LBB302_251
; %bb.246:                              ;   in Loop: Header=BB302_177 Depth=1
	v_cmp_neq_f32_e32 vcc, 0, v11
	v_cmp_neq_f32_e64 s[0:1], 0, v10
	s_or_b64 s[0:1], vcc, s[0:1]
	s_and_saveexec_b64 s[8:9], s[0:1]
	s_xor_b64 s[0:1], exec, s[8:9]
	s_cbranch_execz .LBB302_248
; %bb.247:                              ;   in Loop: Header=BB302_177 Depth=1
	v_div_scale_f32 v8, s[8:9], v11, v11, v10
	v_div_scale_f32 v9, vcc, v10, v11, v10
	v_rcp_f32_e32 v12, v8
	v_fma_f32 v13, -v8, v12, 1.0
	v_fmac_f32_e32 v12, v13, v12
	v_mul_f32_e32 v13, v9, v12
	v_fma_f32 v18, -v8, v13, v9
	v_fmac_f32_e32 v13, v18, v12
	v_fma_f32 v8, -v8, v13, v9
	v_div_fmas_f32 v8, v8, v12, v13
	v_div_fixup_f32 v9, v8, v11, v10
	v_fmac_f32_e32 v11, v10, v9
	v_div_scale_f32 v8, s[8:9], v11, v11, 1.0
	v_div_scale_f32 v10, vcc, 1.0, v11, 1.0
	v_rcp_f32_e32 v12, v8
	v_fma_f32 v13, -v8, v12, 1.0
	v_fmac_f32_e32 v12, v13, v12
	v_mul_f32_e32 v13, v10, v12
	v_fma_f32 v18, -v8, v13, v10
	v_fmac_f32_e32 v13, v18, v12
	v_fma_f32 v8, -v8, v13, v10
	v_div_fmas_f32 v8, v8, v12, v13
	v_fma_f32 v10, v9, 0, 1.0
                                        ; implicit-def: $vgpr12
                                        ; implicit-def: $vgpr13
	v_div_fixup_f32 v11, v8, v11, 1.0
	v_mul_f32_e32 v8, v10, v11
	v_mul_f32_e64 v9, -v9, v11
.LBB302_248:                            ;   in Loop: Header=BB302_177 Depth=1
	s_andn2_saveexec_b64 s[8:9], s[0:1]
	s_cbranch_execz .LBB302_250
; %bb.249:                              ;   in Loop: Header=BB302_177 Depth=1
	v_div_scale_f32 v8, s[0:1], v12, v12, 1.0
	v_div_scale_f32 v9, s[0:1], v13, v13, 0
	v_div_scale_f32 v10, vcc, 1.0, v12, 1.0
	v_div_scale_f32 v11, s[0:1], 0, v13, 0
	v_rcp_f32_e32 v18, v8
	v_rcp_f32_e32 v19, v9
	v_fma_f32 v20, -v8, v18, 1.0
	v_fmac_f32_e32 v18, v20, v18
	v_fma_f32 v21, -v9, v19, 1.0
	v_fmac_f32_e32 v19, v21, v19
	v_mul_f32_e32 v20, v10, v18
	v_mul_f32_e32 v21, v11, v19
	v_fma_f32 v22, -v8, v20, v10
	v_fma_f32 v23, -v9, v21, v11
	v_fmac_f32_e32 v20, v22, v18
	v_fmac_f32_e32 v21, v23, v19
	v_fma_f32 v8, -v8, v20, v10
	v_fma_f32 v9, -v9, v21, v11
	v_div_fmas_f32 v8, v8, v18, v20
	s_mov_b64 vcc, s[0:1]
	v_div_fmas_f32 v9, v9, v19, v21
	v_div_fixup_f32 v8, v8, v12, 1.0
	v_div_fixup_f32 v9, v9, v13, 0
.LBB302_250:                            ;   in Loop: Header=BB302_177 Depth=1
	s_or_b64 exec, exec, s[8:9]
                                        ; implicit-def: $vgpr10
                                        ; implicit-def: $vgpr11
.LBB302_251:                            ;   in Loop: Header=BB302_177 Depth=1
	s_andn2_saveexec_b64 s[0:1], s[2:3]
	s_cbranch_execz .LBB302_253
; %bb.252:                              ;   in Loop: Header=BB302_177 Depth=1
	v_div_scale_f32 v8, s[2:3], v10, v10, v11
	v_div_scale_f32 v9, vcc, v11, v10, v11
	v_rcp_f32_e32 v12, v8
	v_fma_f32 v13, -v8, v12, 1.0
	v_fmac_f32_e32 v12, v13, v12
	v_mul_f32_e32 v13, v9, v12
	v_fma_f32 v18, -v8, v13, v9
	v_fmac_f32_e32 v13, v18, v12
	v_fma_f32 v8, -v8, v13, v9
	v_div_fmas_f32 v8, v8, v12, v13
	v_div_fixup_f32 v8, v8, v10, v11
	v_fmac_f32_e32 v10, v11, v8
	v_div_scale_f32 v9, s[2:3], v10, v10, 1.0
	v_div_scale_f32 v11, vcc, 1.0, v10, 1.0
	v_rcp_f32_e32 v12, v9
	v_fma_f32 v13, -v9, v12, 1.0
	v_fmac_f32_e32 v12, v13, v12
	v_mul_f32_e32 v13, v11, v12
	v_fma_f32 v18, -v9, v13, v11
	v_fmac_f32_e32 v13, v18, v12
	v_fma_f32 v9, -v9, v13, v11
	v_div_fmas_f32 v9, v9, v12, v13
	v_add_f32_e32 v11, 0, v8
	v_fma_f32 v12, v8, 0, -1.0
	v_div_fixup_f32 v9, v9, v10, 1.0
	v_mul_f32_e32 v8, v11, v9
	v_mul_f32_e32 v9, v12, v9
.LBB302_253:                            ;   in Loop: Header=BB302_177 Depth=1
	s_or_b64 exec, exec, s[0:1]
	s_waitcnt vmcnt(0)
	v_cmp_neq_f32_e32 vcc, 0, v2
	v_cmp_neq_f32_e64 s[0:1], 0, v3
	v_mov_b32_e32 v12, 0
	s_or_b64 s[0:1], vcc, s[0:1]
	v_mov_b32_e32 v13, v3
	s_and_saveexec_b64 s[8:9], s[0:1]
	s_cbranch_execz .LBB302_283
; %bb.254:                              ;   in Loop: Header=BB302_177 Depth=1
	v_mov_b32_e32 v12, 0x7f800000
	v_cmp_neq_f32_e64 s[0:1], |v3|, v12
	v_mov_b32_e32 v13, v3
	s_and_saveexec_b64 s[10:11], s[0:1]
	s_cbranch_execz .LBB302_282
; %bb.255:                              ;   in Loop: Header=BB302_177 Depth=1
	v_cmp_o_f32_e32 vcc, v2, v2
                                        ; implicit-def: $vgpr13
                                        ; implicit-def: $vgpr12
	s_and_saveexec_b64 s[0:1], vcc
	s_xor_b64 s[12:13], exec, s[0:1]
	s_cbranch_execz .LBB302_279
; %bb.256:                              ;   in Loop: Header=BB302_177 Depth=1
	v_cmp_neq_f32_e64 s[0:1], |v2|, s22
                                        ; implicit-def: $vgpr13
                                        ; implicit-def: $vgpr12
	s_and_saveexec_b64 s[2:3], s[0:1]
	s_xor_b64 s[14:15], exec, s[2:3]
	s_cbranch_execz .LBB302_272
; %bb.257:                              ;   in Loop: Header=BB302_177 Depth=1
	v_max_f32_e64 v10, |v3|, |v3|
	v_max_f32_e64 v11, |v2|, |v2|
	v_max_f32_e32 v10, v11, v10
	v_cmp_nle_f32_e64 s[0:1], s23, v10
                                        ; implicit-def: $sgpr16_sgpr17
                                        ; implicit-def: $vgpr11
                                        ; implicit-def: $vgpr10
	s_and_saveexec_b64 s[2:3], s[0:1]
	s_xor_b64 s[2:3], exec, s[2:3]
	s_cbranch_execz .LBB302_261
; %bb.258:                              ;   in Loop: Header=BB302_177 Depth=1
	v_cmp_le_f32_e64 s[16:17], |v2|, s24
	v_cmp_le_f32_e64 s[18:19], |v3|, s24
	s_and_b64 s[28:29], s[16:17], s[18:19]
	s_mov_b64 s[16:17], 0
	v_mov_b32_e32 v11, v2
	v_mov_b32_e32 v10, v3
	s_and_saveexec_b64 s[18:19], s[28:29]
; %bb.259:                              ;   in Loop: Header=BB302_177 Depth=1
	s_mov_b64 s[16:17], exec
	v_mul_f32_e32 v11, 4.0, v2
	v_mul_f32_e32 v10, 4.0, v3
; %bb.260:                              ;   in Loop: Header=BB302_177 Depth=1
	s_or_b64 exec, exec, s[18:19]
.LBB302_261:                            ;   in Loop: Header=BB302_177 Depth=1
	s_andn2_saveexec_b64 s[2:3], s[2:3]
; %bb.262:                              ;   in Loop: Header=BB302_177 Depth=1
	v_mul_f32_e32 v11, 0x3e800000, v2
	v_mul_f32_e32 v10, 0x3e800000, v3
	s_andn2_b64 s[16:17], s[16:17], exec
; %bb.263:                              ;   in Loop: Header=BB302_177 Depth=1
	s_or_b64 exec, exec, s[2:3]
	v_max_f32_e64 v12, |v10|, |v10|
	v_max_f32_e64 v13, |v11|, |v11|
	v_max_f32_e32 v18, v13, v12
	v_cvt_f64_f32_e32 v[12:13], v18
	v_cmp_neq_f32_e64 s[2:3], s22, v18
	v_cmp_le_f32_e32 vcc, 0, v11
                                        ; implicit-def: $vgpr18
	v_frexp_exp_i32_f64_e32 v12, v[12:13]
	v_sub_u32_e32 v13, 0, v12
	v_ldexp_f32 v19, |v11|, v13
	v_ldexp_f32 v13, |v10|, v13
	v_mul_f32_e32 v13, v13, v13
	v_fmac_f32_e32 v13, v19, v19
	v_sqrt_f32_e32 v13, v13
                                        ; implicit-def: $vgpr19
	v_ldexp_f32 v12, v13, v12
	v_cndmask_b32_e64 v12, v17, v12, s[2:3]
	s_and_saveexec_b64 s[2:3], vcc
	s_xor_b64 s[18:19], exec, s[2:3]
	s_cbranch_execz .LBB302_265
; %bb.264:                              ;   in Loop: Header=BB302_177 Depth=1
	v_add_f32_e32 v11, v11, v12
	v_mul_f32_e32 v11, 0.5, v11
	v_mul_f32_e32 v12, 0x4f800000, v11
	v_cmp_gt_f32_e32 vcc, s25, v11
	v_cndmask_b32_e32 v11, v11, v12, vcc
	v_sqrt_f32_e32 v12, v11
	v_add_u32_e32 v13, -1, v12
	v_fma_f32 v19, -v13, v12, v11
	v_add_u32_e32 v18, 1, v12
	v_cmp_ge_f32_e64 s[2:3], 0, v19
	v_cndmask_b32_e64 v13, v12, v13, s[2:3]
	v_fma_f32 v12, -v18, v12, v11
	v_cmp_lt_f32_e64 s[2:3], 0, v12
	v_cndmask_b32_e64 v12, v13, v18, s[2:3]
	v_mul_f32_e32 v13, 0x37800000, v12
	v_cndmask_b32_e32 v12, v12, v13, vcc
	v_cmp_class_f32_e32 vcc, v11, v16
	v_cndmask_b32_e32 v18, v12, v11, vcc
	v_add_f32_e32 v11, v18, v18
	v_div_scale_f32 v12, s[2:3], v11, v11, v10
	v_div_scale_f32 v13, vcc, v10, v11, v10
	v_rcp_f32_e32 v19, v12
	v_fma_f32 v20, -v12, v19, 1.0
	v_fmac_f32_e32 v19, v20, v19
	v_mul_f32_e32 v20, v13, v19
	v_fma_f32 v21, -v12, v20, v13
	v_fmac_f32_e32 v20, v21, v19
	v_fma_f32 v12, -v12, v20, v13
	v_div_fmas_f32 v12, v12, v19, v20
	v_div_fixup_f32 v19, v12, v11, v10
                                        ; implicit-def: $vgpr12
                                        ; implicit-def: $vgpr11
                                        ; implicit-def: $vgpr10
	s_andn2_saveexec_b64 s[18:19], s[18:19]
	s_cbranch_execz .LBB302_267
	s_branch .LBB302_266
.LBB302_265:                            ;   in Loop: Header=BB302_177 Depth=1
	s_andn2_saveexec_b64 s[18:19], s[18:19]
	s_cbranch_execz .LBB302_267
.LBB302_266:                            ;   in Loop: Header=BB302_177 Depth=1
	v_sub_f32_e32 v11, v12, v11
	v_mul_f32_e32 v11, 0.5, v11
	v_mul_f32_e32 v12, 0x4f800000, v11
	v_cmp_gt_f32_e32 vcc, s25, v11
	v_cndmask_b32_e32 v11, v11, v12, vcc
	v_sqrt_f32_e32 v12, v11
	v_add_u32_e32 v13, -1, v12
	v_fma_f32 v19, -v13, v12, v11
	v_add_u32_e32 v18, 1, v12
	v_cmp_ge_f32_e64 s[2:3], 0, v19
	v_cndmask_b32_e64 v13, v12, v13, s[2:3]
	v_fma_f32 v12, -v18, v12, v11
	v_cmp_lt_f32_e64 s[2:3], 0, v12
	v_cndmask_b32_e64 v12, v13, v18, s[2:3]
	v_mul_f32_e32 v13, 0x37800000, v12
	v_cndmask_b32_e32 v12, v12, v13, vcc
	v_cmp_class_f32_e32 vcc, v11, v16
	v_cndmask_b32_e32 v11, v12, v11, vcc
	v_add_f32_e32 v12, v11, v11
	v_and_b32_e32 v13, 0x7fffffff, v10
	v_div_scale_f32 v18, s[2:3], v12, v12, v13
	v_div_scale_f32 v13, vcc, v13, v12, v13
	v_rcp_f32_e32 v19, v18
	v_fma_f32 v20, -v18, v19, 1.0
	v_fmac_f32_e32 v19, v20, v19
	v_mul_f32_e32 v20, v13, v19
	v_fma_f32 v21, -v18, v20, v13
	v_fmac_f32_e32 v20, v21, v19
	v_fma_f32 v13, -v18, v20, v13
	v_div_fmas_f32 v13, v13, v19, v20
	v_bfi_b32 v19, s26, v11, v10
	v_div_fixup_f32 v18, v13, v12, |v10|
.LBB302_267:                            ;   in Loop: Header=BB302_177 Depth=1
	s_or_b64 exec, exec, s[18:19]
                                        ; implicit-def: $vgpr13
                                        ; implicit-def: $vgpr12
	s_and_saveexec_b64 s[2:3], s[0:1]
	s_xor_b64 s[0:1], exec, s[2:3]
	s_cbranch_execz .LBB302_269
; %bb.268:                              ;   in Loop: Header=BB302_177 Depth=1
	v_mul_f32_e32 v10, 0.5, v18
	v_mul_f32_e32 v11, 0.5, v19
	v_cndmask_b32_e64 v12, v18, v10, s[16:17]
	v_cndmask_b32_e64 v13, v19, v11, s[16:17]
                                        ; implicit-def: $vgpr18
                                        ; implicit-def: $vgpr19
	s_andn2_saveexec_b64 s[0:1], s[0:1]
	s_cbranch_execnz .LBB302_270
	s_branch .LBB302_271
.LBB302_269:                            ;   in Loop: Header=BB302_177 Depth=1
	s_andn2_saveexec_b64 s[0:1], s[0:1]
.LBB302_270:                            ;   in Loop: Header=BB302_177 Depth=1
	v_add_f32_e32 v12, v18, v18
	v_add_f32_e32 v13, v19, v19
.LBB302_271:                            ;   in Loop: Header=BB302_177 Depth=1
	s_or_b64 exec, exec, s[0:1]
.LBB302_272:                            ;   in Loop: Header=BB302_177 Depth=1
	s_andn2_saveexec_b64 s[0:1], s[14:15]
	s_cbranch_execz .LBB302_278
; %bb.273:                              ;   in Loop: Header=BB302_177 Depth=1
	v_sub_f32_e32 v10, v3, v3
	v_cmp_lt_i32_e32 vcc, -1, v2
	v_and_b32_e32 v12, 0x7fffffff, v10
                                        ; implicit-def: $vgpr13
	s_and_saveexec_b64 s[2:3], vcc
	s_xor_b64 s[2:3], exec, s[2:3]
; %bb.274:                              ;   in Loop: Header=BB302_177 Depth=1
	v_bfi_b32 v13, s26, v10, v3
	v_mov_b32_e32 v12, v2
; %bb.275:                              ;   in Loop: Header=BB302_177 Depth=1
	s_andn2_saveexec_b64 s[2:3], s[2:3]
; %bb.276:                              ;   in Loop: Header=BB302_177 Depth=1
	v_bfi_b32 v13, s26, v2, v3
; %bb.277:                              ;   in Loop: Header=BB302_177 Depth=1
	s_or_b64 exec, exec, s[2:3]
.LBB302_278:                            ;   in Loop: Header=BB302_177 Depth=1
	s_or_b64 exec, exec, s[0:1]
.LBB302_279:                            ;   in Loop: Header=BB302_177 Depth=1
	s_andn2_saveexec_b64 s[0:1], s[12:13]
	s_cbranch_execz .LBB302_281
; %bb.280:                              ;   in Loop: Header=BB302_177 Depth=1
	v_sub_f32_e32 v3, v3, v3
	v_div_scale_f32 v10, vcc, v3, v3, v3
	v_rcp_f32_e32 v11, v10
	v_fma_f32 v12, -v10, v11, 1.0
	v_fmac_f32_e32 v11, v12, v11
	v_mul_f32_e32 v12, v10, v11
	v_fma_f32 v13, -v10, v12, v10
	v_fmac_f32_e32 v12, v13, v11
	v_fma_f32 v10, -v10, v12, v10
	v_div_fmas_f32 v10, v10, v11, v12
	v_mov_b32_e32 v12, v2
	v_div_fixup_f32 v13, v10, v3, v3
.LBB302_281:                            ;   in Loop: Header=BB302_177 Depth=1
	s_or_b64 exec, exec, s[0:1]
.LBB302_282:                            ;   in Loop: Header=BB302_177 Depth=1
	s_or_b64 exec, exec, s[10:11]
.LBB302_283:                            ;   in Loop: Header=BB302_177 Depth=1
	s_or_b64 exec, exec, s[8:9]
	v_cmp_gt_f32_e32 vcc, 0, v12
	v_cndmask_b32_e64 v2, v12, -v12, vcc
	v_cmp_gt_f32_e32 vcc, 0, v13
	v_cndmask_b32_e64 v3, v13, -v13, vcc
	v_cmp_ge_f32_e32 vcc, v2, v3
                                        ; implicit-def: $vgpr11
	s_and_saveexec_b64 s[0:1], vcc
	s_xor_b64 s[2:3], exec, s[0:1]
	s_cbranch_execz .LBB302_289
; %bb.284:                              ;   in Loop: Header=BB302_177 Depth=1
	v_cmp_neq_f32_e32 vcc, 0, v12
	v_cmp_neq_f32_e64 s[0:1], 0, v13
	s_or_b64 s[0:1], vcc, s[0:1]
                                        ; implicit-def: $vgpr11
	s_and_saveexec_b64 s[8:9], s[0:1]
	s_xor_b64 s[0:1], exec, s[8:9]
	s_cbranch_execz .LBB302_286
; %bb.285:                              ;   in Loop: Header=BB302_177 Depth=1
	v_div_scale_f32 v2, s[8:9], v12, v12, v13
	v_div_scale_f32 v3, vcc, v13, v12, v13
	v_rcp_f32_e32 v10, v2
	v_fma_f32 v11, -v2, v10, 1.0
	v_fmac_f32_e32 v10, v11, v10
	v_mul_f32_e32 v11, v3, v10
	v_fma_f32 v18, -v2, v11, v3
	v_fmac_f32_e32 v11, v18, v10
	v_fma_f32 v2, -v2, v11, v3
	v_div_fmas_f32 v2, v2, v10, v11
	v_div_fixup_f32 v2, v2, v12, v13
	v_fmac_f32_e32 v12, v13, v2
	v_div_scale_f32 v3, s[8:9], v12, v12, 1.0
	v_div_scale_f32 v10, vcc, 1.0, v12, 1.0
	v_rcp_f32_e32 v11, v3
	v_fma_f32 v13, -v3, v11, 1.0
	v_fmac_f32_e32 v11, v13, v11
	v_mul_f32_e32 v13, v10, v11
	v_fma_f32 v18, -v3, v13, v10
	v_fmac_f32_e32 v13, v18, v11
	v_fma_f32 v3, -v3, v13, v10
	v_div_fmas_f32 v3, v3, v11, v13
	v_fma_f32 v10, v2, 0, 1.0
	v_div_fixup_f32 v3, v3, v12, 1.0
	v_mul_f32_e32 v10, v10, v3
	v_mul_f32_e64 v11, -v2, v3
                                        ; implicit-def: $vgpr2
                                        ; implicit-def: $vgpr3
.LBB302_286:                            ;   in Loop: Header=BB302_177 Depth=1
	s_andn2_saveexec_b64 s[8:9], s[0:1]
	s_cbranch_execz .LBB302_288
; %bb.287:                              ;   in Loop: Header=BB302_177 Depth=1
	v_div_scale_f32 v10, s[0:1], v2, v2, 1.0
	v_div_scale_f32 v11, s[0:1], v3, v3, 0
	v_div_scale_f32 v12, vcc, 1.0, v2, 1.0
	v_div_scale_f32 v13, s[0:1], 0, v3, 0
	v_rcp_f32_e32 v18, v10
	v_rcp_f32_e32 v19, v11
	v_fma_f32 v20, -v10, v18, 1.0
	v_fmac_f32_e32 v18, v20, v18
	v_fma_f32 v21, -v11, v19, 1.0
	v_fmac_f32_e32 v19, v21, v19
	v_mul_f32_e32 v20, v12, v18
	v_mul_f32_e32 v21, v13, v19
	v_fma_f32 v22, -v10, v20, v12
	v_fma_f32 v23, -v11, v21, v13
	v_fmac_f32_e32 v20, v22, v18
	v_fmac_f32_e32 v21, v23, v19
	v_fma_f32 v10, -v10, v20, v12
	v_fma_f32 v11, -v11, v21, v13
	v_div_fmas_f32 v10, v10, v18, v20
	s_mov_b64 vcc, s[0:1]
	v_div_fmas_f32 v11, v11, v19, v21
	v_div_fixup_f32 v10, v10, v2, 1.0
	v_div_fixup_f32 v11, v11, v3, 0
.LBB302_288:                            ;   in Loop: Header=BB302_177 Depth=1
	s_or_b64 exec, exec, s[8:9]
                                        ; implicit-def: $vgpr13
                                        ; implicit-def: $vgpr12
.LBB302_289:                            ;   in Loop: Header=BB302_177 Depth=1
	s_andn2_saveexec_b64 s[0:1], s[2:3]
	s_cbranch_execz .LBB302_291
; %bb.290:                              ;   in Loop: Header=BB302_177 Depth=1
	v_div_scale_f32 v2, s[2:3], v13, v13, v12
	v_div_scale_f32 v3, vcc, v12, v13, v12
	v_rcp_f32_e32 v10, v2
	v_fma_f32 v11, -v2, v10, 1.0
	v_fmac_f32_e32 v10, v11, v10
	v_mul_f32_e32 v11, v3, v10
	v_fma_f32 v18, -v2, v11, v3
	v_fmac_f32_e32 v11, v18, v10
	v_fma_f32 v2, -v2, v11, v3
	v_div_fmas_f32 v2, v2, v10, v11
	v_div_fixup_f32 v2, v2, v13, v12
	v_fmac_f32_e32 v13, v12, v2
	v_div_scale_f32 v3, s[2:3], v13, v13, 1.0
	v_div_scale_f32 v10, vcc, 1.0, v13, 1.0
	v_rcp_f32_e32 v11, v3
	v_fma_f32 v12, -v3, v11, 1.0
	v_fmac_f32_e32 v11, v12, v11
	v_mul_f32_e32 v12, v10, v11
	v_fma_f32 v18, -v3, v12, v10
	v_fmac_f32_e32 v12, v18, v11
	v_fma_f32 v3, -v3, v12, v10
	v_div_fmas_f32 v3, v3, v11, v12
	v_add_f32_e32 v10, 0, v2
	v_fma_f32 v2, v2, 0, -1.0
	v_div_fixup_f32 v3, v3, v13, 1.0
	v_mul_f32_e32 v10, v10, v3
	v_mul_f32_e32 v11, v2, v3
.LBB302_291:                            ;   in Loop: Header=BB302_177 Depth=1
	s_or_b64 exec, exec, s[0:1]
	v_cmp_neq_f32_e32 vcc, 0, v4
	v_cmp_neq_f32_e64 s[0:1], 0, v5
	v_mov_b32_e32 v2, 0
	s_or_b64 s[0:1], vcc, s[0:1]
	s_and_saveexec_b64 s[8:9], s[0:1]
	s_cbranch_execz .LBB302_321
; %bb.292:                              ;   in Loop: Header=BB302_177 Depth=1
	v_mov_b32_e32 v2, 0x7f800000
	v_cmp_neq_f32_e64 s[0:1], |v5|, v2
	s_and_saveexec_b64 s[10:11], s[0:1]
	s_cbranch_execz .LBB302_320
; %bb.293:                              ;   in Loop: Header=BB302_177 Depth=1
	v_cmp_o_f32_e32 vcc, v4, v4
                                        ; implicit-def: $vgpr2
	s_and_saveexec_b64 s[0:1], vcc
	s_xor_b64 s[12:13], exec, s[0:1]
	s_cbranch_execz .LBB302_317
; %bb.294:                              ;   in Loop: Header=BB302_177 Depth=1
	v_cmp_neq_f32_e64 s[0:1], |v4|, s22
                                        ; implicit-def: $vgpr2
	s_and_saveexec_b64 s[2:3], s[0:1]
	s_xor_b64 s[14:15], exec, s[2:3]
	s_cbranch_execz .LBB302_310
; %bb.295:                              ;   in Loop: Header=BB302_177 Depth=1
	v_max_f32_e64 v2, |v5|, |v5|
	v_max_f32_e64 v3, |v4|, |v4|
	v_max_f32_e32 v2, v3, v2
	v_cmp_nle_f32_e64 s[0:1], s23, v2
                                        ; implicit-def: $sgpr16_sgpr17
	s_and_saveexec_b64 s[2:3], s[0:1]
	s_xor_b64 s[2:3], exec, s[2:3]
	s_cbranch_execz .LBB302_299
; %bb.296:                              ;   in Loop: Header=BB302_177 Depth=1
	v_cmp_le_f32_e64 s[16:17], |v4|, s24
	v_cmp_le_f32_e64 s[18:19], |v5|, s24
	s_and_b64 s[28:29], s[16:17], s[18:19]
	s_mov_b64 s[16:17], 0
	s_and_saveexec_b64 s[18:19], s[28:29]
; %bb.297:                              ;   in Loop: Header=BB302_177 Depth=1
	s_mov_b64 s[16:17], exec
	v_mul_f32_e32 v4, 4.0, v4
	v_mul_f32_e32 v5, 4.0, v5
; %bb.298:                              ;   in Loop: Header=BB302_177 Depth=1
	s_or_b64 exec, exec, s[18:19]
.LBB302_299:                            ;   in Loop: Header=BB302_177 Depth=1
	s_andn2_saveexec_b64 s[2:3], s[2:3]
; %bb.300:                              ;   in Loop: Header=BB302_177 Depth=1
	v_mul_f32_e32 v4, 0x3e800000, v4
	v_mul_f32_e32 v5, 0x3e800000, v5
	s_andn2_b64 s[16:17], s[16:17], exec
; %bb.301:                              ;   in Loop: Header=BB302_177 Depth=1
	s_or_b64 exec, exec, s[2:3]
	v_max_f32_e64 v2, |v5|, |v5|
	v_max_f32_e64 v3, |v4|, |v4|
	v_max_f32_e32 v12, v3, v2
	v_cvt_f64_f32_e32 v[2:3], v12
	v_cmp_neq_f32_e64 s[2:3], s22, v12
	v_cmp_le_f32_e32 vcc, 0, v4
                                        ; implicit-def: $vgpr12
	v_frexp_exp_i32_f64_e32 v2, v[2:3]
	v_sub_u32_e32 v3, 0, v2
	v_ldexp_f32 v13, |v4|, v3
	v_ldexp_f32 v3, |v5|, v3
	v_mul_f32_e32 v3, v3, v3
	v_fmac_f32_e32 v3, v13, v13
	v_sqrt_f32_e32 v3, v3
	v_ldexp_f32 v2, v3, v2
	v_cndmask_b32_e64 v2, v17, v2, s[2:3]
                                        ; implicit-def: $vgpr3
	s_and_saveexec_b64 s[2:3], vcc
	s_xor_b64 s[18:19], exec, s[2:3]
	s_cbranch_execz .LBB302_303
; %bb.302:                              ;   in Loop: Header=BB302_177 Depth=1
	v_add_f32_e32 v2, v4, v2
	v_mul_f32_e32 v2, 0.5, v2
	v_mul_f32_e32 v3, 0x4f800000, v2
	v_cmp_gt_f32_e32 vcc, s25, v2
	v_cndmask_b32_e32 v2, v2, v3, vcc
	v_sqrt_f32_e32 v3, v2
	v_add_u32_e32 v4, -1, v3
	v_fma_f32 v13, -v4, v3, v2
	v_add_u32_e32 v12, 1, v3
	v_cmp_ge_f32_e64 s[2:3], 0, v13
	v_cndmask_b32_e64 v4, v3, v4, s[2:3]
	v_fma_f32 v3, -v12, v3, v2
	v_cmp_lt_f32_e64 s[2:3], 0, v3
	v_cndmask_b32_e64 v3, v4, v12, s[2:3]
	v_mul_f32_e32 v4, 0x37800000, v3
	v_cndmask_b32_e32 v3, v3, v4, vcc
	v_cmp_class_f32_e32 vcc, v2, v16
	v_cndmask_b32_e32 v3, v3, v2, vcc
	v_add_f32_e32 v2, v3, v3
	v_div_scale_f32 v4, s[2:3], v2, v2, v5
	v_div_scale_f32 v12, vcc, v5, v2, v5
	v_rcp_f32_e32 v13, v4
	v_fma_f32 v18, -v4, v13, 1.0
	v_fmac_f32_e32 v13, v18, v13
	v_mul_f32_e32 v18, v12, v13
	v_fma_f32 v19, -v4, v18, v12
	v_fmac_f32_e32 v18, v19, v13
	v_fma_f32 v4, -v4, v18, v12
	v_div_fmas_f32 v4, v4, v13, v18
	v_div_fixup_f32 v12, v4, v2, v5
                                        ; implicit-def: $vgpr2
                                        ; implicit-def: $vgpr4
	s_andn2_saveexec_b64 s[18:19], s[18:19]
	s_cbranch_execz .LBB302_305
	s_branch .LBB302_304
.LBB302_303:                            ;   in Loop: Header=BB302_177 Depth=1
	s_andn2_saveexec_b64 s[18:19], s[18:19]
	s_cbranch_execz .LBB302_305
.LBB302_304:                            ;   in Loop: Header=BB302_177 Depth=1
	v_sub_f32_e32 v2, v2, v4
	v_mul_f32_e32 v2, 0.5, v2
	v_mul_f32_e32 v3, 0x4f800000, v2
	v_cmp_gt_f32_e32 vcc, s25, v2
	v_cndmask_b32_e32 v2, v2, v3, vcc
	v_sqrt_f32_e32 v3, v2
	v_add_u32_e32 v4, -1, v3
	v_fma_f32 v13, -v4, v3, v2
	v_add_u32_e32 v12, 1, v3
	v_cmp_ge_f32_e64 s[2:3], 0, v13
	v_cndmask_b32_e64 v4, v3, v4, s[2:3]
	v_fma_f32 v3, -v12, v3, v2
	v_cmp_lt_f32_e64 s[2:3], 0, v3
	v_cndmask_b32_e64 v3, v4, v12, s[2:3]
	v_mul_f32_e32 v4, 0x37800000, v3
	v_cndmask_b32_e32 v3, v3, v4, vcc
	v_cmp_class_f32_e32 vcc, v2, v16
	v_cndmask_b32_e32 v2, v3, v2, vcc
	v_add_f32_e32 v3, v2, v2
	v_and_b32_e32 v4, 0x7fffffff, v5
	v_div_scale_f32 v12, s[2:3], v3, v3, v4
	v_div_scale_f32 v4, vcc, v4, v3, v4
	v_rcp_f32_e32 v13, v12
	v_fma_f32 v18, -v12, v13, 1.0
	v_fmac_f32_e32 v13, v18, v13
	v_mul_f32_e32 v18, v4, v13
	v_fma_f32 v19, -v12, v18, v4
	v_fmac_f32_e32 v18, v19, v13
	v_fma_f32 v4, -v12, v18, v4
	v_div_fmas_f32 v4, v4, v13, v18
	v_bfi_b32 v12, s26, v2, v5
	v_div_fixup_f32 v3, v4, v3, |v5|
.LBB302_305:                            ;   in Loop: Header=BB302_177 Depth=1
	s_or_b64 exec, exec, s[18:19]
                                        ; implicit-def: $vgpr5
                                        ; implicit-def: $vgpr2
	s_and_saveexec_b64 s[2:3], s[0:1]
	s_xor_b64 s[0:1], exec, s[2:3]
	s_cbranch_execz .LBB302_307
; %bb.306:                              ;   in Loop: Header=BB302_177 Depth=1
	v_mul_f32_e32 v2, 0.5, v3
	v_mul_f32_e32 v4, 0.5, v12
	v_cndmask_b32_e64 v2, v3, v2, s[16:17]
	v_cndmask_b32_e64 v5, v12, v4, s[16:17]
                                        ; implicit-def: $vgpr3
                                        ; implicit-def: $vgpr12
	s_andn2_saveexec_b64 s[0:1], s[0:1]
	s_cbranch_execnz .LBB302_308
	s_branch .LBB302_309
.LBB302_307:                            ;   in Loop: Header=BB302_177 Depth=1
	s_andn2_saveexec_b64 s[0:1], s[0:1]
.LBB302_308:                            ;   in Loop: Header=BB302_177 Depth=1
	v_add_f32_e32 v2, v3, v3
	v_add_f32_e32 v5, v12, v12
.LBB302_309:                            ;   in Loop: Header=BB302_177 Depth=1
	s_or_b64 exec, exec, s[0:1]
.LBB302_310:                            ;   in Loop: Header=BB302_177 Depth=1
	s_andn2_saveexec_b64 s[0:1], s[14:15]
	s_cbranch_execz .LBB302_316
; %bb.311:                              ;   in Loop: Header=BB302_177 Depth=1
	v_sub_f32_e32 v3, v5, v5
	v_cmp_lt_i32_e32 vcc, -1, v4
	v_and_b32_e32 v2, 0x7fffffff, v3
	s_and_saveexec_b64 s[2:3], vcc
	s_xor_b64 s[2:3], exec, s[2:3]
; %bb.312:                              ;   in Loop: Header=BB302_177 Depth=1
	v_bfi_b32 v5, s26, v3, v5
	v_mov_b32_e32 v2, v4
; %bb.313:                              ;   in Loop: Header=BB302_177 Depth=1
	s_andn2_saveexec_b64 s[2:3], s[2:3]
; %bb.314:                              ;   in Loop: Header=BB302_177 Depth=1
	v_bfi_b32 v5, s26, v4, v5
; %bb.315:                              ;   in Loop: Header=BB302_177 Depth=1
	s_or_b64 exec, exec, s[2:3]
.LBB302_316:                            ;   in Loop: Header=BB302_177 Depth=1
	s_or_b64 exec, exec, s[0:1]
.LBB302_317:                            ;   in Loop: Header=BB302_177 Depth=1
	s_andn2_saveexec_b64 s[0:1], s[12:13]
	s_cbranch_execz .LBB302_319
; %bb.318:                              ;   in Loop: Header=BB302_177 Depth=1
	v_sub_f32_e32 v2, v5, v5
	v_div_scale_f32 v3, vcc, v2, v2, v2
	v_rcp_f32_e32 v5, v3
	v_fma_f32 v12, -v3, v5, 1.0
	v_fmac_f32_e32 v5, v12, v5
	v_mul_f32_e32 v12, v3, v5
	v_fma_f32 v13, -v3, v12, v3
	v_fmac_f32_e32 v12, v13, v5
	v_fma_f32 v3, -v3, v12, v3
	v_div_fmas_f32 v3, v3, v5, v12
	v_div_fixup_f32 v5, v3, v2, v2
	v_mov_b32_e32 v2, v4
.LBB302_319:                            ;   in Loop: Header=BB302_177 Depth=1
	s_or_b64 exec, exec, s[0:1]
.LBB302_320:                            ;   in Loop: Header=BB302_177 Depth=1
	s_or_b64 exec, exec, s[10:11]
.LBB302_321:                            ;   in Loop: Header=BB302_177 Depth=1
	s_or_b64 exec, exec, s[8:9]
	v_cmp_gt_f32_e32 vcc, 0, v2
	v_cndmask_b32_e64 v3, v2, -v2, vcc
	v_cmp_gt_f32_e32 vcc, 0, v5
	v_cndmask_b32_e64 v4, v5, -v5, vcc
	v_cmp_ge_f32_e32 vcc, v3, v4
	s_and_saveexec_b64 s[0:1], vcc
	s_xor_b64 s[2:3], exec, s[0:1]
	s_cbranch_execz .LBB302_327
; %bb.322:                              ;   in Loop: Header=BB302_177 Depth=1
	v_cmp_neq_f32_e32 vcc, 0, v2
	v_cmp_neq_f32_e64 s[0:1], 0, v5
	s_or_b64 s[0:1], vcc, s[0:1]
	s_and_saveexec_b64 s[8:9], s[0:1]
	s_xor_b64 s[0:1], exec, s[8:9]
	s_cbranch_execz .LBB302_324
; %bb.323:                              ;   in Loop: Header=BB302_177 Depth=1
	v_div_scale_f32 v3, s[8:9], v2, v2, v5
	v_div_scale_f32 v4, vcc, v5, v2, v5
	v_rcp_f32_e32 v12, v3
	v_fma_f32 v13, -v3, v12, 1.0
	v_fmac_f32_e32 v12, v13, v12
	v_mul_f32_e32 v13, v4, v12
	v_fma_f32 v18, -v3, v13, v4
	v_fmac_f32_e32 v13, v18, v12
	v_fma_f32 v3, -v3, v13, v4
	v_div_fmas_f32 v3, v3, v12, v13
	v_div_fixup_f32 v3, v3, v2, v5
	v_fmac_f32_e32 v2, v5, v3
	v_div_scale_f32 v4, s[8:9], v2, v2, 1.0
	v_div_scale_f32 v5, vcc, 1.0, v2, 1.0
	v_rcp_f32_e32 v12, v4
	v_fma_f32 v13, -v4, v12, 1.0
	v_fmac_f32_e32 v12, v13, v12
	v_mul_f32_e32 v13, v5, v12
	v_fma_f32 v18, -v4, v13, v5
	v_fmac_f32_e32 v13, v18, v12
	v_fma_f32 v4, -v4, v13, v5
	v_div_fmas_f32 v4, v4, v12, v13
	v_fma_f32 v5, v3, 0, 1.0
	v_div_fixup_f32 v2, v4, v2, 1.0
	v_mul_f32_e32 v12, v5, v2
	v_mul_f32_e64 v13, -v3, v2
                                        ; implicit-def: $vgpr3
                                        ; implicit-def: $vgpr4
.LBB302_324:                            ;   in Loop: Header=BB302_177 Depth=1
	s_andn2_saveexec_b64 s[8:9], s[0:1]
	s_cbranch_execz .LBB302_326
; %bb.325:                              ;   in Loop: Header=BB302_177 Depth=1
	v_div_scale_f32 v2, s[0:1], v3, v3, 1.0
	v_div_scale_f32 v5, s[0:1], v4, v4, 0
	v_div_scale_f32 v12, vcc, 1.0, v3, 1.0
	v_div_scale_f32 v13, s[0:1], 0, v4, 0
	v_rcp_f32_e32 v18, v2
	v_rcp_f32_e32 v19, v5
	v_fma_f32 v20, -v2, v18, 1.0
	v_fmac_f32_e32 v18, v20, v18
	v_fma_f32 v21, -v5, v19, 1.0
	v_fmac_f32_e32 v19, v21, v19
	v_mul_f32_e32 v20, v12, v18
	v_mul_f32_e32 v21, v13, v19
	v_fma_f32 v22, -v2, v20, v12
	v_fma_f32 v23, -v5, v21, v13
	v_fmac_f32_e32 v20, v22, v18
	v_fmac_f32_e32 v21, v23, v19
	v_fma_f32 v2, -v2, v20, v12
	v_fma_f32 v5, -v5, v21, v13
	v_div_fmas_f32 v2, v2, v18, v20
	s_mov_b64 vcc, s[0:1]
	v_div_fmas_f32 v5, v5, v19, v21
	v_div_fixup_f32 v12, v2, v3, 1.0
	v_div_fixup_f32 v13, v5, v4, 0
.LBB302_326:                            ;   in Loop: Header=BB302_177 Depth=1
	s_or_b64 exec, exec, s[8:9]
                                        ; implicit-def: $vgpr5
                                        ; implicit-def: $vgpr2
.LBB302_327:                            ;   in Loop: Header=BB302_177 Depth=1
	s_andn2_saveexec_b64 s[0:1], s[2:3]
	s_cbranch_execz .LBB302_176
; %bb.328:                              ;   in Loop: Header=BB302_177 Depth=1
	v_div_scale_f32 v3, s[2:3], v5, v5, v2
	v_div_scale_f32 v4, vcc, v2, v5, v2
	v_rcp_f32_e32 v12, v3
	v_fma_f32 v13, -v3, v12, 1.0
	v_fmac_f32_e32 v12, v13, v12
	v_mul_f32_e32 v13, v4, v12
	v_fma_f32 v18, -v3, v13, v4
	v_fmac_f32_e32 v13, v18, v12
	v_fma_f32 v3, -v3, v13, v4
	v_div_fmas_f32 v3, v3, v12, v13
	v_div_fixup_f32 v3, v3, v5, v2
	v_fmac_f32_e32 v5, v2, v3
	v_div_scale_f32 v2, s[2:3], v5, v5, 1.0
	v_div_scale_f32 v4, vcc, 1.0, v5, 1.0
	v_rcp_f32_e32 v12, v2
	v_fma_f32 v13, -v2, v12, 1.0
	v_fmac_f32_e32 v12, v13, v12
	v_mul_f32_e32 v13, v4, v12
	v_fma_f32 v18, -v2, v13, v4
	v_fmac_f32_e32 v13, v18, v12
	v_fma_f32 v2, -v2, v13, v4
	v_div_fmas_f32 v2, v2, v12, v13
	v_add_f32_e32 v4, 0, v3
	v_fma_f32 v3, v3, 0, -1.0
	v_div_fixup_f32 v2, v2, v5, 1.0
	v_mul_f32_e32 v12, v4, v2
	v_mul_f32_e32 v13, v3, v2
	s_branch .LBB302_176
.LBB302_329:
	s_endpgm
	.section	.rodata,"a",@progbits
	.p2align	6, 0x0
	.amdhsa_kernel _ZN2at6native12_GLOBAL__N_125multi_tensor_apply_kernelINS1_18TensorListMetadataILi1EEENS1_14UnaryOpFunctorIN3c107complexIfEELi1ELi1ELi0EEEJNS0_5RsqrtIS8_EEEEEvT_T0_DpT1_
		.amdhsa_group_segment_fixed_size 0
		.amdhsa_private_segment_fixed_size 0
		.amdhsa_kernarg_size 3632
		.amdhsa_user_sgpr_count 6
		.amdhsa_user_sgpr_private_segment_buffer 1
		.amdhsa_user_sgpr_dispatch_ptr 0
		.amdhsa_user_sgpr_queue_ptr 0
		.amdhsa_user_sgpr_kernarg_segment_ptr 1
		.amdhsa_user_sgpr_dispatch_id 0
		.amdhsa_user_sgpr_flat_scratch_init 0
		.amdhsa_user_sgpr_private_segment_size 0
		.amdhsa_uses_dynamic_stack 0
		.amdhsa_system_sgpr_private_segment_wavefront_offset 0
		.amdhsa_system_sgpr_workgroup_id_x 1
		.amdhsa_system_sgpr_workgroup_id_y 0
		.amdhsa_system_sgpr_workgroup_id_z 0
		.amdhsa_system_sgpr_workgroup_info 0
		.amdhsa_system_vgpr_workitem_id 0
		.amdhsa_next_free_vgpr 33
		.amdhsa_next_free_sgpr 50
		.amdhsa_reserve_vcc 1
		.amdhsa_reserve_flat_scratch 0
		.amdhsa_float_round_mode_32 0
		.amdhsa_float_round_mode_16_64 0
		.amdhsa_float_denorm_mode_32 3
		.amdhsa_float_denorm_mode_16_64 3
		.amdhsa_dx10_clamp 1
		.amdhsa_ieee_mode 1
		.amdhsa_fp16_overflow 0
		.amdhsa_exception_fp_ieee_invalid_op 0
		.amdhsa_exception_fp_denorm_src 0
		.amdhsa_exception_fp_ieee_div_zero 0
		.amdhsa_exception_fp_ieee_overflow 0
		.amdhsa_exception_fp_ieee_underflow 0
		.amdhsa_exception_fp_ieee_inexact 0
		.amdhsa_exception_int_div_zero 0
	.end_amdhsa_kernel
	.section	.text._ZN2at6native12_GLOBAL__N_125multi_tensor_apply_kernelINS1_18TensorListMetadataILi1EEENS1_14UnaryOpFunctorIN3c107complexIfEELi1ELi1ELi0EEEJNS0_5RsqrtIS8_EEEEEvT_T0_DpT1_,"axG",@progbits,_ZN2at6native12_GLOBAL__N_125multi_tensor_apply_kernelINS1_18TensorListMetadataILi1EEENS1_14UnaryOpFunctorIN3c107complexIfEELi1ELi1ELi0EEEJNS0_5RsqrtIS8_EEEEEvT_T0_DpT1_,comdat
.Lfunc_end302:
	.size	_ZN2at6native12_GLOBAL__N_125multi_tensor_apply_kernelINS1_18TensorListMetadataILi1EEENS1_14UnaryOpFunctorIN3c107complexIfEELi1ELi1ELi0EEEJNS0_5RsqrtIS8_EEEEEvT_T0_DpT1_, .Lfunc_end302-_ZN2at6native12_GLOBAL__N_125multi_tensor_apply_kernelINS1_18TensorListMetadataILi1EEENS1_14UnaryOpFunctorIN3c107complexIfEELi1ELi1ELi0EEEJNS0_5RsqrtIS8_EEEEEvT_T0_DpT1_
                                        ; -- End function
	.set _ZN2at6native12_GLOBAL__N_125multi_tensor_apply_kernelINS1_18TensorListMetadataILi1EEENS1_14UnaryOpFunctorIN3c107complexIfEELi1ELi1ELi0EEEJNS0_5RsqrtIS8_EEEEEvT_T0_DpT1_.num_vgpr, 33
	.set _ZN2at6native12_GLOBAL__N_125multi_tensor_apply_kernelINS1_18TensorListMetadataILi1EEENS1_14UnaryOpFunctorIN3c107complexIfEELi1ELi1ELi0EEEJNS0_5RsqrtIS8_EEEEEvT_T0_DpT1_.num_agpr, 0
	.set _ZN2at6native12_GLOBAL__N_125multi_tensor_apply_kernelINS1_18TensorListMetadataILi1EEENS1_14UnaryOpFunctorIN3c107complexIfEELi1ELi1ELi0EEEJNS0_5RsqrtIS8_EEEEEvT_T0_DpT1_.numbered_sgpr, 50
	.set _ZN2at6native12_GLOBAL__N_125multi_tensor_apply_kernelINS1_18TensorListMetadataILi1EEENS1_14UnaryOpFunctorIN3c107complexIfEELi1ELi1ELi0EEEJNS0_5RsqrtIS8_EEEEEvT_T0_DpT1_.num_named_barrier, 0
	.set _ZN2at6native12_GLOBAL__N_125multi_tensor_apply_kernelINS1_18TensorListMetadataILi1EEENS1_14UnaryOpFunctorIN3c107complexIfEELi1ELi1ELi0EEEJNS0_5RsqrtIS8_EEEEEvT_T0_DpT1_.private_seg_size, 0
	.set _ZN2at6native12_GLOBAL__N_125multi_tensor_apply_kernelINS1_18TensorListMetadataILi1EEENS1_14UnaryOpFunctorIN3c107complexIfEELi1ELi1ELi0EEEJNS0_5RsqrtIS8_EEEEEvT_T0_DpT1_.uses_vcc, 1
	.set _ZN2at6native12_GLOBAL__N_125multi_tensor_apply_kernelINS1_18TensorListMetadataILi1EEENS1_14UnaryOpFunctorIN3c107complexIfEELi1ELi1ELi0EEEJNS0_5RsqrtIS8_EEEEEvT_T0_DpT1_.uses_flat_scratch, 0
	.set _ZN2at6native12_GLOBAL__N_125multi_tensor_apply_kernelINS1_18TensorListMetadataILi1EEENS1_14UnaryOpFunctorIN3c107complexIfEELi1ELi1ELi0EEEJNS0_5RsqrtIS8_EEEEEvT_T0_DpT1_.has_dyn_sized_stack, 0
	.set _ZN2at6native12_GLOBAL__N_125multi_tensor_apply_kernelINS1_18TensorListMetadataILi1EEENS1_14UnaryOpFunctorIN3c107complexIfEELi1ELi1ELi0EEEJNS0_5RsqrtIS8_EEEEEvT_T0_DpT1_.has_recursion, 0
	.set _ZN2at6native12_GLOBAL__N_125multi_tensor_apply_kernelINS1_18TensorListMetadataILi1EEENS1_14UnaryOpFunctorIN3c107complexIfEELi1ELi1ELi0EEEJNS0_5RsqrtIS8_EEEEEvT_T0_DpT1_.has_indirect_call, 0
	.section	.AMDGPU.csdata,"",@progbits
; Kernel info:
; codeLenInByte = 13144
; TotalNumSgprs: 54
; NumVgprs: 33
; ScratchSize: 0
; MemoryBound: 1
; FloatMode: 240
; IeeeMode: 1
; LDSByteSize: 0 bytes/workgroup (compile time only)
; SGPRBlocks: 6
; VGPRBlocks: 8
; NumSGPRsForWavesPerEU: 54
; NumVGPRsForWavesPerEU: 33
; Occupancy: 7
; WaveLimiterHint : 0
; COMPUTE_PGM_RSRC2:SCRATCH_EN: 0
; COMPUTE_PGM_RSRC2:USER_SGPR: 6
; COMPUTE_PGM_RSRC2:TRAP_HANDLER: 0
; COMPUTE_PGM_RSRC2:TGID_X_EN: 1
; COMPUTE_PGM_RSRC2:TGID_Y_EN: 0
; COMPUTE_PGM_RSRC2:TGID_Z_EN: 0
; COMPUTE_PGM_RSRC2:TIDIG_COMP_CNT: 0
	.section	.text._ZN2at6native12_GLOBAL__N_125multi_tensor_apply_kernelINS1_18TensorListMetadataILi1EEENS1_14UnaryOpFunctorIN3c104HalfELi1ELi1ELi0EEEJNS0_5RsqrtIfEEEEEvT_T0_DpT1_,"axG",@progbits,_ZN2at6native12_GLOBAL__N_125multi_tensor_apply_kernelINS1_18TensorListMetadataILi1EEENS1_14UnaryOpFunctorIN3c104HalfELi1ELi1ELi0EEEJNS0_5RsqrtIfEEEEEvT_T0_DpT1_,comdat
	.globl	_ZN2at6native12_GLOBAL__N_125multi_tensor_apply_kernelINS1_18TensorListMetadataILi1EEENS1_14UnaryOpFunctorIN3c104HalfELi1ELi1ELi0EEEJNS0_5RsqrtIfEEEEEvT_T0_DpT1_ ; -- Begin function _ZN2at6native12_GLOBAL__N_125multi_tensor_apply_kernelINS1_18TensorListMetadataILi1EEENS1_14UnaryOpFunctorIN3c104HalfELi1ELi1ELi0EEEJNS0_5RsqrtIfEEEEEvT_T0_DpT1_
	.p2align	8
	.type	_ZN2at6native12_GLOBAL__N_125multi_tensor_apply_kernelINS1_18TensorListMetadataILi1EEENS1_14UnaryOpFunctorIN3c104HalfELi1ELi1ELi0EEEJNS0_5RsqrtIfEEEEEvT_T0_DpT1_,@function
_ZN2at6native12_GLOBAL__N_125multi_tensor_apply_kernelINS1_18TensorListMetadataILi1EEENS1_14UnaryOpFunctorIN3c104HalfELi1ELi1ELi0EEEJNS0_5RsqrtIfEEEEEvT_T0_DpT1_: ; @_ZN2at6native12_GLOBAL__N_125multi_tensor_apply_kernelINS1_18TensorListMetadataILi1EEENS1_14UnaryOpFunctorIN3c104HalfELi1ELi1ELi0EEEJNS0_5RsqrtIfEEEEEvT_T0_DpT1_
; %bb.0:
	v_mov_b32_e32 v1, s6
	global_load_ubyte v1, v1, s[4:5] offset:1760
	s_add_u32 s0, s4, s6
	s_mul_hi_u32 s1, s6, 3
	s_mul_i32 s6, s6, 3
	s_addc_u32 s2, s5, 0
	s_add_u32 s0, s0, s6
	s_addc_u32 s1, s2, s1
	s_load_dword s0, s[0:1], 0x820
	s_mov_b32 s7, 0
	s_waitcnt vmcnt(0)
	v_readfirstlane_b32 s1, v1
	s_lshl_b32 s1, s1, 3
	s_load_dwordx2 s[2:3], s[4:5], s1 offset:0x370
	s_load_dwordx2 s[10:11], s[4:5], s1 offset:0x0
	s_waitcnt lgkmcnt(0)
	s_ashr_i32 s1, s0, 31
	s_lshl_b64 s[12:13], s[0:1], 17
	s_lshl_b64 s[0:1], s[0:1], 16
	s_and_b32 s6, s10, 7
	s_sub_u32 s14, s2, s0
	s_subb_u32 s15, s3, s1
	s_and_b32 s0, s2, 3
	s_mov_b32 s1, s7
	s_or_b64 s[0:1], s[6:7], s[0:1]
	s_cmp_eq_u64 s[0:1], 0
	s_cbranch_scc1 .LBB303_21
; %bb.1:
	v_cmp_lt_i64_e64 s[0:1], s[14:15], 1
	s_and_b64 vcc, exec, s[0:1]
	s_cbranch_vccnz .LBB303_20
; %bb.2:
	v_mov_b32_e32 v1, 0x10000
	s_load_dword s2, s[4:5], 0xd3c
	v_mov_b32_e32 v2, 0
	v_cmp_lt_i64_e32 vcc, s[14:15], v[1:2]
	s_mov_b64 s[20:21], 0
	s_and_b64 s[0:1], vcc, exec
	v_cmp_lt_u64_e32 vcc, s[14:15], v[1:2]
	s_cselect_b32 s17, s15, 0
	s_cselect_b32 s16, s14, 0x10000
	s_waitcnt lgkmcnt(0)
	s_and_b32 s2, s2, 0xffff
	s_and_b64 s[0:1], vcc, exec
	s_cselect_b32 s19, s15, 0
	s_cselect_b32 s18, s14, 0x10000
	s_lshl_b32 s3, s2, 1
	s_lshl_b32 s24, s2, 2
	s_add_u32 s6, s10, s12
	v_lshlrev_b32_e32 v1, 1, v0
	s_addc_u32 s7, s11, s13
	v_mov_b32_e32 v2, s7
	v_add_co_u32_e32 v1, vcc, s6, v1
	s_mul_i32 s0, s2, 3
	v_addc_co_u32_e32 v2, vcc, 0, v2, vcc
	v_add_co_u32_e32 v5, vcc, s0, v0
	v_addc_co_u32_e64 v6, s[0:1], 0, 0, vcc
	v_add_co_u32_e32 v7, vcc, s3, v0
	v_addc_co_u32_e64 v8, s[0:1], 0, 0, vcc
	v_add_co_u32_e32 v9, vcc, s2, v0
	v_lshlrev_b32_e32 v3, 1, v9
	v_addc_co_u32_e64 v10, s[0:1], 0, 0, vcc
	v_mov_b32_e32 v4, s7
	v_add_co_u32_e32 v3, vcc, s6, v3
	s_lshl_b32 s25, s2, 3
	s_mul_i32 s26, s2, 6
	v_addc_co_u32_e32 v4, vcc, 0, v4, vcc
	s_mov_b32 s27, 0x800000
	s_branch .LBB303_4
.LBB303_3:                              ;   in Loop: Header=BB303_4 Depth=1
	s_or_b64 exec, exec, s[0:1]
	s_add_u32 s20, s20, s24
	v_add_co_u32_e32 v1, vcc, s25, v1
	v_mov_b32_e32 v11, s16
	s_addc_u32 s21, s21, 0
	v_addc_co_u32_e32 v2, vcc, 0, v2, vcc
	v_mov_b32_e32 v12, s17
	v_cmp_lt_i64_e32 vcc, s[20:21], v[11:12]
	v_add_co_u32_e64 v3, s[0:1], s25, v3
	v_addc_co_u32_e64 v4, s[0:1], 0, v4, s[0:1]
	s_cbranch_vccz .LBB303_20
.LBB303_4:                              ; =>This Inner Loop Header: Depth=1
	v_mov_b32_e32 v12, s21
	v_add_co_u32_e32 v11, vcc, s20, v0
	v_addc_co_u32_e32 v12, vcc, 0, v12, vcc
	v_cmp_gt_u64_e32 vcc, s[18:19], v[11:12]
	v_mov_b32_e32 v12, 0
	s_and_saveexec_b64 s[0:1], vcc
	s_cbranch_execz .LBB303_6
; %bb.5:                                ;   in Loop: Header=BB303_4 Depth=1
	global_load_ushort v11, v[1:2], off
	s_waitcnt vmcnt(0)
	v_cvt_f32_f16_e32 v12, v11
.LBB303_6:                              ;   in Loop: Header=BB303_4 Depth=1
	s_or_b64 exec, exec, s[0:1]
	v_mov_b32_e32 v11, s21
	v_add_co_u32_e64 v13, s[0:1], s20, v9
	v_addc_co_u32_e64 v14, s[0:1], v10, v11, s[0:1]
	v_cmp_gt_u64_e64 s[0:1], s[18:19], v[13:14]
	v_mov_b32_e32 v11, 0
	v_mov_b32_e32 v13, 0
	s_and_saveexec_b64 s[2:3], s[0:1]
	s_cbranch_execz .LBB303_8
; %bb.7:                                ;   in Loop: Header=BB303_4 Depth=1
	global_load_ushort v13, v[3:4], off
	s_waitcnt vmcnt(0)
	v_cvt_f32_f16_e32 v13, v13
.LBB303_8:                              ;   in Loop: Header=BB303_4 Depth=1
	s_or_b64 exec, exec, s[2:3]
	v_mov_b32_e32 v15, s21
	v_add_co_u32_e64 v14, s[2:3], s20, v7
	v_addc_co_u32_e64 v15, s[2:3], v8, v15, s[2:3]
	v_cmp_gt_u64_e64 s[2:3], s[18:19], v[14:15]
	s_and_saveexec_b64 s[8:9], s[2:3]
	s_cbranch_execz .LBB303_10
; %bb.9:                                ;   in Loop: Header=BB303_4 Depth=1
	v_add_co_u32_e64 v14, s[6:7], s24, v1
	v_addc_co_u32_e64 v15, s[6:7], 0, v2, s[6:7]
	global_load_ushort v11, v[14:15], off
	s_waitcnt vmcnt(0)
	v_cvt_f32_f16_e32 v11, v11
.LBB303_10:                             ;   in Loop: Header=BB303_4 Depth=1
	s_or_b64 exec, exec, s[8:9]
	v_mov_b32_e32 v15, s21
	v_add_co_u32_e64 v14, s[6:7], s20, v5
	v_addc_co_u32_e64 v15, s[6:7], v6, v15, s[6:7]
	v_cmp_gt_u64_e64 s[6:7], s[18:19], v[14:15]
	v_mov_b32_e32 v14, 0
	s_and_saveexec_b64 s[22:23], s[6:7]
	s_cbranch_execnz .LBB303_15
; %bb.11:                               ;   in Loop: Header=BB303_4 Depth=1
	s_or_b64 exec, exec, s[22:23]
	s_and_saveexec_b64 s[8:9], vcc
	s_cbranch_execnz .LBB303_16
.LBB303_12:                             ;   in Loop: Header=BB303_4 Depth=1
	s_or_b64 exec, exec, s[8:9]
	s_and_saveexec_b64 s[8:9], s[0:1]
	s_cbranch_execnz .LBB303_17
.LBB303_13:                             ;   in Loop: Header=BB303_4 Depth=1
	s_or_b64 exec, exec, s[8:9]
	s_and_saveexec_b64 s[0:1], s[2:3]
	s_cbranch_execnz .LBB303_18
.LBB303_14:                             ;   in Loop: Header=BB303_4 Depth=1
	s_or_b64 exec, exec, s[0:1]
	s_and_saveexec_b64 s[0:1], s[6:7]
	s_cbranch_execz .LBB303_3
	s_branch .LBB303_19
.LBB303_15:                             ;   in Loop: Header=BB303_4 Depth=1
	v_add_co_u32_e64 v14, s[8:9], s26, v1
	v_addc_co_u32_e64 v15, s[8:9], 0, v2, s[8:9]
	global_load_ushort v14, v[14:15], off
	s_waitcnt vmcnt(0)
	v_cvt_f32_f16_e32 v14, v14
	s_or_b64 exec, exec, s[22:23]
	s_and_saveexec_b64 s[8:9], vcc
	s_cbranch_execz .LBB303_12
.LBB303_16:                             ;   in Loop: Header=BB303_4 Depth=1
	v_mul_f32_e32 v15, 0x4b800000, v12
	v_cmp_gt_f32_e32 vcc, s27, v12
	v_cndmask_b32_e32 v12, v12, v15, vcc
	v_rsq_f32_e32 v12, v12
	v_mul_f32_e32 v15, 0x45800000, v12
	v_cndmask_b32_e32 v12, v12, v15, vcc
	v_cvt_f16_f32_e32 v12, v12
	global_store_short v[1:2], v12, off
	s_or_b64 exec, exec, s[8:9]
	s_and_saveexec_b64 s[8:9], s[0:1]
	s_cbranch_execz .LBB303_13
.LBB303_17:                             ;   in Loop: Header=BB303_4 Depth=1
	v_mul_f32_e32 v12, 0x4b800000, v13
	v_cmp_gt_f32_e32 vcc, s27, v13
	v_cndmask_b32_e32 v12, v13, v12, vcc
	v_rsq_f32_e32 v12, v12
	v_mul_f32_e32 v13, 0x45800000, v12
	v_cndmask_b32_e32 v12, v12, v13, vcc
	v_cvt_f16_f32_e32 v12, v12
	global_store_short v[3:4], v12, off
	s_or_b64 exec, exec, s[8:9]
	s_and_saveexec_b64 s[0:1], s[2:3]
	s_cbranch_execz .LBB303_14
.LBB303_18:                             ;   in Loop: Header=BB303_4 Depth=1
	v_mul_f32_e32 v12, 0x4b800000, v11
	v_cmp_gt_f32_e32 vcc, s27, v11
	v_cndmask_b32_e32 v11, v11, v12, vcc
	v_rsq_f32_e32 v11, v11
	v_mul_f32_e32 v12, 0x45800000, v11
	v_cndmask_b32_e32 v11, v11, v12, vcc
	v_cvt_f16_f32_e32 v13, v11
	v_add_co_u32_e32 v11, vcc, s24, v1
	v_addc_co_u32_e32 v12, vcc, 0, v2, vcc
	global_store_short v[11:12], v13, off
	s_or_b64 exec, exec, s[0:1]
	s_and_saveexec_b64 s[0:1], s[6:7]
	s_cbranch_execz .LBB303_3
.LBB303_19:                             ;   in Loop: Header=BB303_4 Depth=1
	v_mul_f32_e32 v11, 0x4b800000, v14
	v_cmp_gt_f32_e32 vcc, s27, v14
	v_cndmask_b32_e32 v11, v14, v11, vcc
	v_rsq_f32_e32 v11, v11
	v_mul_f32_e32 v12, 0x45800000, v11
	v_cndmask_b32_e32 v11, v11, v12, vcc
	v_cvt_f16_f32_e32 v13, v11
	v_add_co_u32_e32 v11, vcc, s26, v1
	v_addc_co_u32_e32 v12, vcc, 0, v2, vcc
	global_store_short v[11:12], v13, off
	s_branch .LBB303_3
.LBB303_20:
	s_cbranch_execz .LBB303_22
	s_branch .LBB303_25
.LBB303_21:
.LBB303_22:
	v_mov_b32_e32 v1, 0x10000
	v_mov_b32_e32 v2, 0
	v_cmp_lt_i64_e32 vcc, s[14:15], v[1:2]
	v_mov_b32_e32 v2, 0
	s_and_b64 s[0:1], vcc, exec
	s_cselect_b32 s9, s15, 0
	s_cselect_b32 s8, s14, 0x10000
	v_lshlrev_b32_e32 v1, 2, v0
	v_cmp_gt_i64_e32 vcc, s[8:9], v[1:2]
	s_and_saveexec_b64 s[0:1], vcc
	s_cbranch_execz .LBB303_25
; %bb.23:
	s_load_dword s0, s[4:5], 0xd3c
	v_mov_b32_e32 v1, v2
	v_lshlrev_b32_e32 v2, 3, v0
	s_waitcnt lgkmcnt(0)
	s_and_b32 s14, s0, 0xffff
	s_add_u32 s0, s10, s12
	s_addc_u32 s1, s11, s13
	v_mov_b32_e32 v3, s1
	v_add_co_u32_e32 v2, vcc, s0, v2
	v_addc_co_u32_e32 v3, vcc, 0, v3, vcc
	v_add_co_u32_e32 v2, vcc, 4, v2
	v_addc_co_u32_e32 v3, vcc, 0, v3, vcc
	s_lshl_b32 s12, s14, 3
	s_mov_b64 s[10:11], 0
	s_mov_b32 s13, 0x800000
.LBB303_24:                             ; =>This Inner Loop Header: Depth=1
	global_load_dwordx2 v[4:5], v[2:3], off offset:-4
	v_add_co_u32_e32 v0, vcc, s14, v0
	v_addc_co_u32_e32 v1, vcc, 0, v1, vcc
	v_lshlrev_b64 v[6:7], 2, v[0:1]
	v_cmp_le_i64_e32 vcc, s[8:9], v[6:7]
	s_or_b64 s[10:11], vcc, s[10:11]
	s_waitcnt vmcnt(0)
	v_cvt_f32_f16_e32 v6, v4
	v_cvt_f32_f16_sdwa v4, v4 dst_sel:DWORD dst_unused:UNUSED_PAD src0_sel:WORD_1
	v_cvt_f32_f16_e32 v7, v5
	v_cvt_f32_f16_sdwa v5, v5 dst_sel:DWORD dst_unused:UNUSED_PAD src0_sel:WORD_1
	v_mul_f32_e32 v8, 0x4b800000, v6
	v_mul_f32_e32 v9, 0x4b800000, v4
	;; [unrolled: 1-line block ×4, first 2 shown]
	v_cmp_gt_f32_e64 s[0:1], s13, v6
	v_cmp_gt_f32_e64 s[2:3], s13, v4
	;; [unrolled: 1-line block ×4, first 2 shown]
	v_cndmask_b32_e64 v6, v6, v8, s[0:1]
	v_cndmask_b32_e64 v4, v4, v9, s[2:3]
	;; [unrolled: 1-line block ×4, first 2 shown]
	v_rsq_f32_e32 v6, v6
	v_rsq_f32_e32 v4, v4
	;; [unrolled: 1-line block ×4, first 2 shown]
	v_mul_f32_e32 v8, 0x45800000, v6
	v_mul_f32_e32 v9, 0x45800000, v4
	v_mul_f32_e32 v10, 0x45800000, v7
	v_mul_f32_e32 v11, 0x45800000, v5
	v_cndmask_b32_e64 v6, v6, v8, s[0:1]
	v_cndmask_b32_e64 v4, v4, v9, s[2:3]
	;; [unrolled: 1-line block ×4, first 2 shown]
	v_cvt_f16_f32_e32 v6, v6
	v_cvt_f16_f32_e32 v7, v7
	v_cvt_f16_f32_e32 v5, v5
	v_cvt_f16_f32_e32 v4, v4
	v_pack_b32_f16 v5, v7, v5
	v_pack_b32_f16 v4, v6, v4
	global_store_dwordx2 v[2:3], v[4:5], off offset:-4
	v_add_co_u32_e32 v2, vcc, s12, v2
	v_addc_co_u32_e32 v3, vcc, 0, v3, vcc
	s_andn2_b64 exec, exec, s[10:11]
	s_cbranch_execnz .LBB303_24
.LBB303_25:
	s_endpgm
	.section	.rodata,"a",@progbits
	.p2align	6, 0x0
	.amdhsa_kernel _ZN2at6native12_GLOBAL__N_125multi_tensor_apply_kernelINS1_18TensorListMetadataILi1EEENS1_14UnaryOpFunctorIN3c104HalfELi1ELi1ELi0EEEJNS0_5RsqrtIfEEEEEvT_T0_DpT1_
		.amdhsa_group_segment_fixed_size 0
		.amdhsa_private_segment_fixed_size 0
		.amdhsa_kernarg_size 3632
		.amdhsa_user_sgpr_count 6
		.amdhsa_user_sgpr_private_segment_buffer 1
		.amdhsa_user_sgpr_dispatch_ptr 0
		.amdhsa_user_sgpr_queue_ptr 0
		.amdhsa_user_sgpr_kernarg_segment_ptr 1
		.amdhsa_user_sgpr_dispatch_id 0
		.amdhsa_user_sgpr_flat_scratch_init 0
		.amdhsa_user_sgpr_private_segment_size 0
		.amdhsa_uses_dynamic_stack 0
		.amdhsa_system_sgpr_private_segment_wavefront_offset 0
		.amdhsa_system_sgpr_workgroup_id_x 1
		.amdhsa_system_sgpr_workgroup_id_y 0
		.amdhsa_system_sgpr_workgroup_id_z 0
		.amdhsa_system_sgpr_workgroup_info 0
		.amdhsa_system_vgpr_workitem_id 0
		.amdhsa_next_free_vgpr 16
		.amdhsa_next_free_sgpr 28
		.amdhsa_reserve_vcc 1
		.amdhsa_reserve_flat_scratch 0
		.amdhsa_float_round_mode_32 0
		.amdhsa_float_round_mode_16_64 0
		.amdhsa_float_denorm_mode_32 3
		.amdhsa_float_denorm_mode_16_64 3
		.amdhsa_dx10_clamp 1
		.amdhsa_ieee_mode 1
		.amdhsa_fp16_overflow 0
		.amdhsa_exception_fp_ieee_invalid_op 0
		.amdhsa_exception_fp_denorm_src 0
		.amdhsa_exception_fp_ieee_div_zero 0
		.amdhsa_exception_fp_ieee_overflow 0
		.amdhsa_exception_fp_ieee_underflow 0
		.amdhsa_exception_fp_ieee_inexact 0
		.amdhsa_exception_int_div_zero 0
	.end_amdhsa_kernel
	.section	.text._ZN2at6native12_GLOBAL__N_125multi_tensor_apply_kernelINS1_18TensorListMetadataILi1EEENS1_14UnaryOpFunctorIN3c104HalfELi1ELi1ELi0EEEJNS0_5RsqrtIfEEEEEvT_T0_DpT1_,"axG",@progbits,_ZN2at6native12_GLOBAL__N_125multi_tensor_apply_kernelINS1_18TensorListMetadataILi1EEENS1_14UnaryOpFunctorIN3c104HalfELi1ELi1ELi0EEEJNS0_5RsqrtIfEEEEEvT_T0_DpT1_,comdat
.Lfunc_end303:
	.size	_ZN2at6native12_GLOBAL__N_125multi_tensor_apply_kernelINS1_18TensorListMetadataILi1EEENS1_14UnaryOpFunctorIN3c104HalfELi1ELi1ELi0EEEJNS0_5RsqrtIfEEEEEvT_T0_DpT1_, .Lfunc_end303-_ZN2at6native12_GLOBAL__N_125multi_tensor_apply_kernelINS1_18TensorListMetadataILi1EEENS1_14UnaryOpFunctorIN3c104HalfELi1ELi1ELi0EEEJNS0_5RsqrtIfEEEEEvT_T0_DpT1_
                                        ; -- End function
	.set _ZN2at6native12_GLOBAL__N_125multi_tensor_apply_kernelINS1_18TensorListMetadataILi1EEENS1_14UnaryOpFunctorIN3c104HalfELi1ELi1ELi0EEEJNS0_5RsqrtIfEEEEEvT_T0_DpT1_.num_vgpr, 16
	.set _ZN2at6native12_GLOBAL__N_125multi_tensor_apply_kernelINS1_18TensorListMetadataILi1EEENS1_14UnaryOpFunctorIN3c104HalfELi1ELi1ELi0EEEJNS0_5RsqrtIfEEEEEvT_T0_DpT1_.num_agpr, 0
	.set _ZN2at6native12_GLOBAL__N_125multi_tensor_apply_kernelINS1_18TensorListMetadataILi1EEENS1_14UnaryOpFunctorIN3c104HalfELi1ELi1ELi0EEEJNS0_5RsqrtIfEEEEEvT_T0_DpT1_.numbered_sgpr, 28
	.set _ZN2at6native12_GLOBAL__N_125multi_tensor_apply_kernelINS1_18TensorListMetadataILi1EEENS1_14UnaryOpFunctorIN3c104HalfELi1ELi1ELi0EEEJNS0_5RsqrtIfEEEEEvT_T0_DpT1_.num_named_barrier, 0
	.set _ZN2at6native12_GLOBAL__N_125multi_tensor_apply_kernelINS1_18TensorListMetadataILi1EEENS1_14UnaryOpFunctorIN3c104HalfELi1ELi1ELi0EEEJNS0_5RsqrtIfEEEEEvT_T0_DpT1_.private_seg_size, 0
	.set _ZN2at6native12_GLOBAL__N_125multi_tensor_apply_kernelINS1_18TensorListMetadataILi1EEENS1_14UnaryOpFunctorIN3c104HalfELi1ELi1ELi0EEEJNS0_5RsqrtIfEEEEEvT_T0_DpT1_.uses_vcc, 1
	.set _ZN2at6native12_GLOBAL__N_125multi_tensor_apply_kernelINS1_18TensorListMetadataILi1EEENS1_14UnaryOpFunctorIN3c104HalfELi1ELi1ELi0EEEJNS0_5RsqrtIfEEEEEvT_T0_DpT1_.uses_flat_scratch, 0
	.set _ZN2at6native12_GLOBAL__N_125multi_tensor_apply_kernelINS1_18TensorListMetadataILi1EEENS1_14UnaryOpFunctorIN3c104HalfELi1ELi1ELi0EEEJNS0_5RsqrtIfEEEEEvT_T0_DpT1_.has_dyn_sized_stack, 0
	.set _ZN2at6native12_GLOBAL__N_125multi_tensor_apply_kernelINS1_18TensorListMetadataILi1EEENS1_14UnaryOpFunctorIN3c104HalfELi1ELi1ELi0EEEJNS0_5RsqrtIfEEEEEvT_T0_DpT1_.has_recursion, 0
	.set _ZN2at6native12_GLOBAL__N_125multi_tensor_apply_kernelINS1_18TensorListMetadataILi1EEENS1_14UnaryOpFunctorIN3c104HalfELi1ELi1ELi0EEEJNS0_5RsqrtIfEEEEEvT_T0_DpT1_.has_indirect_call, 0
	.section	.AMDGPU.csdata,"",@progbits
; Kernel info:
; codeLenInByte = 1356
; TotalNumSgprs: 32
; NumVgprs: 16
; ScratchSize: 0
; MemoryBound: 0
; FloatMode: 240
; IeeeMode: 1
; LDSByteSize: 0 bytes/workgroup (compile time only)
; SGPRBlocks: 3
; VGPRBlocks: 3
; NumSGPRsForWavesPerEU: 32
; NumVGPRsForWavesPerEU: 16
; Occupancy: 10
; WaveLimiterHint : 0
; COMPUTE_PGM_RSRC2:SCRATCH_EN: 0
; COMPUTE_PGM_RSRC2:USER_SGPR: 6
; COMPUTE_PGM_RSRC2:TRAP_HANDLER: 0
; COMPUTE_PGM_RSRC2:TGID_X_EN: 1
; COMPUTE_PGM_RSRC2:TGID_Y_EN: 0
; COMPUTE_PGM_RSRC2:TGID_Z_EN: 0
; COMPUTE_PGM_RSRC2:TIDIG_COMP_CNT: 0
	.section	.text._ZN2at6native12_GLOBAL__N_125multi_tensor_apply_kernelINS1_18TensorListMetadataILi1EEENS1_14UnaryOpFunctorIN3c108BFloat16ELi1ELi1ELi0EEEJNS0_5RsqrtIfEEEEEvT_T0_DpT1_,"axG",@progbits,_ZN2at6native12_GLOBAL__N_125multi_tensor_apply_kernelINS1_18TensorListMetadataILi1EEENS1_14UnaryOpFunctorIN3c108BFloat16ELi1ELi1ELi0EEEJNS0_5RsqrtIfEEEEEvT_T0_DpT1_,comdat
	.globl	_ZN2at6native12_GLOBAL__N_125multi_tensor_apply_kernelINS1_18TensorListMetadataILi1EEENS1_14UnaryOpFunctorIN3c108BFloat16ELi1ELi1ELi0EEEJNS0_5RsqrtIfEEEEEvT_T0_DpT1_ ; -- Begin function _ZN2at6native12_GLOBAL__N_125multi_tensor_apply_kernelINS1_18TensorListMetadataILi1EEENS1_14UnaryOpFunctorIN3c108BFloat16ELi1ELi1ELi0EEEJNS0_5RsqrtIfEEEEEvT_T0_DpT1_
	.p2align	8
	.type	_ZN2at6native12_GLOBAL__N_125multi_tensor_apply_kernelINS1_18TensorListMetadataILi1EEENS1_14UnaryOpFunctorIN3c108BFloat16ELi1ELi1ELi0EEEJNS0_5RsqrtIfEEEEEvT_T0_DpT1_,@function
_ZN2at6native12_GLOBAL__N_125multi_tensor_apply_kernelINS1_18TensorListMetadataILi1EEENS1_14UnaryOpFunctorIN3c108BFloat16ELi1ELi1ELi0EEEJNS0_5RsqrtIfEEEEEvT_T0_DpT1_: ; @_ZN2at6native12_GLOBAL__N_125multi_tensor_apply_kernelINS1_18TensorListMetadataILi1EEENS1_14UnaryOpFunctorIN3c108BFloat16ELi1ELi1ELi0EEEJNS0_5RsqrtIfEEEEEvT_T0_DpT1_
; %bb.0:
	v_mov_b32_e32 v1, s6
	global_load_ubyte v1, v1, s[4:5] offset:1760
	s_add_u32 s0, s4, s6
	s_mul_hi_u32 s1, s6, 3
	s_mul_i32 s6, s6, 3
	s_addc_u32 s2, s5, 0
	s_add_u32 s0, s0, s6
	s_addc_u32 s1, s2, s1
	s_load_dword s0, s[0:1], 0x820
	s_mov_b32 s7, 0
	s_waitcnt vmcnt(0)
	v_readfirstlane_b32 s1, v1
	s_lshl_b32 s1, s1, 3
	s_load_dwordx2 s[2:3], s[4:5], s1 offset:0x370
	s_load_dwordx2 s[10:11], s[4:5], s1 offset:0x0
	s_waitcnt lgkmcnt(0)
	s_ashr_i32 s1, s0, 31
	s_lshl_b64 s[12:13], s[0:1], 17
	s_lshl_b64 s[0:1], s[0:1], 16
	s_and_b32 s6, s10, 7
	s_sub_u32 s14, s2, s0
	s_subb_u32 s15, s3, s1
	s_and_b32 s0, s2, 3
	s_mov_b32 s1, s7
	s_or_b64 s[0:1], s[6:7], s[0:1]
	s_cmp_eq_u64 s[0:1], 0
	s_cbranch_scc1 .LBB304_21
; %bb.1:
	v_cmp_lt_i64_e64 s[0:1], s[14:15], 1
	s_and_b64 vcc, exec, s[0:1]
	s_cbranch_vccnz .LBB304_20
; %bb.2:
	v_mov_b32_e32 v1, 0x10000
	s_load_dword s2, s[4:5], 0xd3c
	v_mov_b32_e32 v2, 0
	v_cmp_lt_i64_e32 vcc, s[14:15], v[1:2]
	s_mov_b64 s[20:21], 0
	s_and_b64 s[0:1], vcc, exec
	v_cmp_lt_u64_e32 vcc, s[14:15], v[1:2]
	s_cselect_b32 s17, s15, 0
	s_cselect_b32 s16, s14, 0x10000
	s_waitcnt lgkmcnt(0)
	s_and_b32 s2, s2, 0xffff
	s_and_b64 s[0:1], vcc, exec
	s_cselect_b32 s19, s15, 0
	s_cselect_b32 s18, s14, 0x10000
	s_lshl_b32 s3, s2, 1
	s_lshl_b32 s24, s2, 2
	s_add_u32 s6, s10, s12
	v_lshlrev_b32_e32 v1, 1, v0
	s_addc_u32 s7, s11, s13
	v_mov_b32_e32 v2, s7
	v_add_co_u32_e32 v1, vcc, s6, v1
	s_mul_i32 s0, s2, 3
	v_addc_co_u32_e32 v2, vcc, 0, v2, vcc
	v_add_co_u32_e32 v5, vcc, s0, v0
	v_addc_co_u32_e64 v6, s[0:1], 0, 0, vcc
	v_add_co_u32_e32 v7, vcc, s3, v0
	v_addc_co_u32_e64 v8, s[0:1], 0, 0, vcc
	v_add_co_u32_e32 v9, vcc, s2, v0
	v_lshlrev_b32_e32 v3, 1, v9
	v_addc_co_u32_e64 v10, s[0:1], 0, 0, vcc
	v_mov_b32_e32 v4, s7
	v_add_co_u32_e32 v3, vcc, s6, v3
	s_lshl_b32 s25, s2, 3
	s_mul_i32 s26, s2, 6
	v_addc_co_u32_e32 v4, vcc, 0, v4, vcc
	s_mov_b32 s27, 0x800000
	s_movk_i32 s28, 0x7fff
	v_mov_b32_e32 v11, 0x7fc0
	s_branch .LBB304_4
.LBB304_3:                              ;   in Loop: Header=BB304_4 Depth=1
	s_or_b64 exec, exec, s[2:3]
	s_add_u32 s20, s20, s24
	v_add_co_u32_e32 v1, vcc, s25, v1
	v_mov_b32_e32 v12, s16
	s_addc_u32 s21, s21, 0
	v_addc_co_u32_e32 v2, vcc, 0, v2, vcc
	v_mov_b32_e32 v13, s17
	v_cmp_lt_i64_e32 vcc, s[20:21], v[12:13]
	v_add_co_u32_e64 v3, s[0:1], s25, v3
	v_addc_co_u32_e64 v4, s[0:1], 0, v4, s[0:1]
	s_cbranch_vccz .LBB304_20
.LBB304_4:                              ; =>This Inner Loop Header: Depth=1
	v_mov_b32_e32 v13, s21
	v_add_co_u32_e32 v12, vcc, s20, v0
	v_addc_co_u32_e32 v13, vcc, 0, v13, vcc
	v_cmp_gt_u64_e32 vcc, s[18:19], v[12:13]
	v_mov_b32_e32 v15, 0
	s_and_saveexec_b64 s[0:1], vcc
	s_cbranch_execz .LBB304_6
; %bb.5:                                ;   in Loop: Header=BB304_4 Depth=1
	global_load_ushort v12, v[1:2], off
	s_waitcnt vmcnt(0)
	v_lshlrev_b32_e32 v15, 16, v12
.LBB304_6:                              ;   in Loop: Header=BB304_4 Depth=1
	s_or_b64 exec, exec, s[0:1]
	v_mov_b32_e32 v13, s21
	v_add_co_u32_e64 v12, s[0:1], s20, v9
	v_addc_co_u32_e64 v13, s[0:1], v10, v13, s[0:1]
	v_cmp_gt_u64_e64 s[6:7], s[18:19], v[12:13]
	v_mov_b32_e32 v12, 0
	v_mov_b32_e32 v13, 0
	s_and_saveexec_b64 s[0:1], s[6:7]
	s_cbranch_execz .LBB304_8
; %bb.7:                                ;   in Loop: Header=BB304_4 Depth=1
	global_load_ushort v13, v[3:4], off
	s_waitcnt vmcnt(0)
	v_lshlrev_b32_e32 v13, 16, v13
.LBB304_8:                              ;   in Loop: Header=BB304_4 Depth=1
	s_or_b64 exec, exec, s[0:1]
	v_mov_b32_e32 v14, s21
	v_add_co_u32_e64 v16, s[0:1], s20, v7
	v_addc_co_u32_e64 v17, s[0:1], v8, v14, s[0:1]
	v_cmp_gt_u64_e64 s[2:3], s[18:19], v[16:17]
	s_and_saveexec_b64 s[8:9], s[2:3]
	s_cbranch_execz .LBB304_10
; %bb.9:                                ;   in Loop: Header=BB304_4 Depth=1
	v_add_co_u32_e64 v16, s[0:1], s24, v1
	v_addc_co_u32_e64 v17, s[0:1], 0, v2, s[0:1]
	global_load_ushort v12, v[16:17], off
	s_waitcnt vmcnt(0)
	v_lshlrev_b32_e32 v12, 16, v12
.LBB304_10:                             ;   in Loop: Header=BB304_4 Depth=1
	s_or_b64 exec, exec, s[8:9]
	v_mov_b32_e32 v14, s21
	v_add_co_u32_e64 v16, s[0:1], s20, v5
	v_addc_co_u32_e64 v17, s[0:1], v6, v14, s[0:1]
	v_cmp_gt_u64_e64 s[0:1], s[18:19], v[16:17]
	v_mov_b32_e32 v14, 0
	s_and_saveexec_b64 s[22:23], s[0:1]
	s_cbranch_execnz .LBB304_15
; %bb.11:                               ;   in Loop: Header=BB304_4 Depth=1
	s_or_b64 exec, exec, s[22:23]
	s_and_saveexec_b64 s[8:9], vcc
	s_cbranch_execnz .LBB304_16
.LBB304_12:                             ;   in Loop: Header=BB304_4 Depth=1
	s_or_b64 exec, exec, s[8:9]
	s_and_saveexec_b64 s[8:9], s[6:7]
	s_cbranch_execnz .LBB304_17
.LBB304_13:                             ;   in Loop: Header=BB304_4 Depth=1
	s_or_b64 exec, exec, s[8:9]
	s_and_saveexec_b64 s[6:7], s[2:3]
	s_cbranch_execnz .LBB304_18
.LBB304_14:                             ;   in Loop: Header=BB304_4 Depth=1
	s_or_b64 exec, exec, s[6:7]
	s_and_saveexec_b64 s[2:3], s[0:1]
	s_cbranch_execz .LBB304_3
	s_branch .LBB304_19
.LBB304_15:                             ;   in Loop: Header=BB304_4 Depth=1
	v_add_co_u32_e64 v16, s[8:9], s26, v1
	v_addc_co_u32_e64 v17, s[8:9], 0, v2, s[8:9]
	global_load_ushort v14, v[16:17], off
	s_waitcnt vmcnt(0)
	v_lshlrev_b32_e32 v14, 16, v14
	s_or_b64 exec, exec, s[22:23]
	s_and_saveexec_b64 s[8:9], vcc
	s_cbranch_execz .LBB304_12
.LBB304_16:                             ;   in Loop: Header=BB304_4 Depth=1
	v_mul_f32_e32 v16, 0x4b800000, v15
	v_cmp_gt_f32_e32 vcc, s27, v15
	v_cndmask_b32_e32 v15, v15, v16, vcc
	v_rsq_f32_e32 v15, v15
	v_mul_f32_e32 v16, 0x45800000, v15
	v_cndmask_b32_e32 v15, v15, v16, vcc
	v_bfe_u32 v16, v15, 16, 1
	v_cmp_o_f32_e32 vcc, v15, v15
	v_add3_u32 v15, v15, v16, s28
	v_cndmask_b32_sdwa v15, v11, v15, vcc dst_sel:DWORD dst_unused:UNUSED_PAD src0_sel:DWORD src1_sel:WORD_1
	global_store_short v[1:2], v15, off
	s_or_b64 exec, exec, s[8:9]
	s_and_saveexec_b64 s[8:9], s[6:7]
	s_cbranch_execz .LBB304_13
.LBB304_17:                             ;   in Loop: Header=BB304_4 Depth=1
	v_mul_f32_e32 v15, 0x4b800000, v13
	v_cmp_gt_f32_e32 vcc, s27, v13
	v_cndmask_b32_e32 v13, v13, v15, vcc
	v_rsq_f32_e32 v13, v13
	v_mul_f32_e32 v15, 0x45800000, v13
	v_cndmask_b32_e32 v13, v13, v15, vcc
	v_bfe_u32 v15, v13, 16, 1
	v_cmp_o_f32_e32 vcc, v13, v13
	v_add3_u32 v13, v13, v15, s28
	v_cndmask_b32_sdwa v13, v11, v13, vcc dst_sel:DWORD dst_unused:UNUSED_PAD src0_sel:DWORD src1_sel:WORD_1
	global_store_short v[3:4], v13, off
	s_or_b64 exec, exec, s[8:9]
	s_and_saveexec_b64 s[6:7], s[2:3]
	s_cbranch_execz .LBB304_14
.LBB304_18:                             ;   in Loop: Header=BB304_4 Depth=1
	v_mul_f32_e32 v13, 0x4b800000, v12
	v_cmp_gt_f32_e32 vcc, s27, v12
	v_cndmask_b32_e32 v12, v12, v13, vcc
	v_rsq_f32_e32 v12, v12
	v_mul_f32_e32 v13, 0x45800000, v12
	v_cndmask_b32_e32 v12, v12, v13, vcc
	v_bfe_u32 v13, v12, 16, 1
	v_cmp_o_f32_e32 vcc, v12, v12
	v_add3_u32 v12, v12, v13, s28
	v_cndmask_b32_sdwa v15, v11, v12, vcc dst_sel:DWORD dst_unused:UNUSED_PAD src0_sel:DWORD src1_sel:WORD_1
	v_add_co_u32_e32 v12, vcc, s24, v1
	v_addc_co_u32_e32 v13, vcc, 0, v2, vcc
	global_store_short v[12:13], v15, off
	s_or_b64 exec, exec, s[6:7]
	s_and_saveexec_b64 s[2:3], s[0:1]
	s_cbranch_execz .LBB304_3
.LBB304_19:                             ;   in Loop: Header=BB304_4 Depth=1
	v_mul_f32_e32 v12, 0x4b800000, v14
	v_cmp_gt_f32_e32 vcc, s27, v14
	v_cndmask_b32_e32 v12, v14, v12, vcc
	v_rsq_f32_e32 v12, v12
	v_mul_f32_e32 v13, 0x45800000, v12
	v_cndmask_b32_e32 v12, v12, v13, vcc
	v_bfe_u32 v13, v12, 16, 1
	v_cmp_o_f32_e32 vcc, v12, v12
	v_add3_u32 v12, v12, v13, s28
	v_cndmask_b32_sdwa v14, v11, v12, vcc dst_sel:DWORD dst_unused:UNUSED_PAD src0_sel:DWORD src1_sel:WORD_1
	v_add_co_u32_e32 v12, vcc, s26, v1
	v_addc_co_u32_e32 v13, vcc, 0, v2, vcc
	global_store_short v[12:13], v14, off
	s_branch .LBB304_3
.LBB304_20:
	s_cbranch_execz .LBB304_22
	s_branch .LBB304_25
.LBB304_21:
.LBB304_22:
	v_mov_b32_e32 v1, 0x10000
	v_mov_b32_e32 v2, 0
	v_cmp_lt_i64_e32 vcc, s[14:15], v[1:2]
	v_mov_b32_e32 v2, 0
	s_and_b64 s[0:1], vcc, exec
	s_cselect_b32 s7, s15, 0
	s_cselect_b32 s6, s14, 0x10000
	v_lshlrev_b32_e32 v1, 2, v0
	v_cmp_gt_i64_e32 vcc, s[6:7], v[1:2]
	s_and_saveexec_b64 s[0:1], vcc
	s_cbranch_execz .LBB304_25
; %bb.23:
	s_load_dword s0, s[4:5], 0xd3c
	v_mov_b32_e32 v1, v2
	v_lshlrev_b32_e32 v2, 3, v0
	s_mov_b64 s[8:9], 0
	v_mov_b32_e32 v4, 0x7fc00000
	s_waitcnt lgkmcnt(0)
	s_and_b32 s14, s0, 0xffff
	s_add_u32 s0, s10, s12
	s_addc_u32 s1, s11, s13
	v_mov_b32_e32 v3, s1
	v_add_co_u32_e32 v2, vcc, s0, v2
	v_addc_co_u32_e32 v3, vcc, 0, v3, vcc
	s_lshl_b32 s10, s14, 3
	s_mov_b32 s11, 0x800000
	s_movk_i32 s12, 0x7fff
	v_mov_b32_e32 v5, 0x7fc0
.LBB304_24:                             ; =>This Inner Loop Header: Depth=1
	global_load_dwordx2 v[6:7], v[2:3], off
	v_add_co_u32_e32 v0, vcc, s14, v0
	v_addc_co_u32_e32 v1, vcc, 0, v1, vcc
	v_lshlrev_b64 v[8:9], 2, v[0:1]
	v_cmp_le_i64_e32 vcc, s[6:7], v[8:9]
	s_or_b64 s[8:9], vcc, s[8:9]
	s_waitcnt vmcnt(0)
	v_and_b32_e32 v8, 0xffff0000, v6
	v_lshlrev_b32_e32 v9, 16, v6
	v_alignbit_b32 v6, v7, v6, 16
	v_and_b32_e32 v7, 0xffff0000, v7
	v_mul_f32_e32 v10, 0x4b800000, v9
	v_and_b32_e32 v6, 0xffff0000, v6
	v_mul_f32_e32 v12, 0x4b800000, v7
	v_cmp_gt_f32_e32 vcc, s11, v9
	v_cmp_gt_f32_e64 s[2:3], s11, v7
	v_mul_f32_e32 v11, 0x4b800000, v8
	v_cndmask_b32_e32 v9, v9, v10, vcc
	v_cmp_gt_f32_e64 s[0:1], s11, v8
	v_mul_f32_e32 v10, 0x4b800000, v6
	v_cndmask_b32_e64 v7, v7, v12, s[2:3]
	v_cmp_gt_f32_e64 s[4:5], s11, v6
	v_cndmask_b32_e64 v8, v8, v11, s[0:1]
	v_rsq_f32_e32 v9, v9
	v_cndmask_b32_e64 v6, v6, v10, s[4:5]
	v_rsq_f32_e32 v7, v7
	v_rsq_f32_e32 v8, v8
	;; [unrolled: 1-line block ×3, first 2 shown]
	v_mul_f32_e32 v10, 0x45800000, v9
	v_mul_f32_e32 v12, 0x45800000, v7
	;; [unrolled: 1-line block ×3, first 2 shown]
	v_cndmask_b32_e32 v9, v9, v10, vcc
	v_mul_f32_e32 v10, 0x45800000, v6
	v_cndmask_b32_e64 v7, v7, v12, s[2:3]
	v_cndmask_b32_e64 v8, v8, v11, s[0:1]
	;; [unrolled: 1-line block ×3, first 2 shown]
	v_bfe_u32 v10, v7, 16, 1
	v_bfe_u32 v12, v8, 16, 1
	v_add3_u32 v10, v7, v10, s12
	v_bfe_u32 v11, v9, 16, 1
	v_add3_u32 v12, v8, v12, s12
	v_and_b32_e32 v10, 0xffff0000, v10
	v_cmp_o_f32_e32 vcc, v7, v7
	v_add3_u32 v11, v9, v11, s12
	v_bfe_u32 v13, v6, 16, 1
	v_and_b32_e32 v12, 0xffff0000, v12
	v_cndmask_b32_e32 v7, v4, v10, vcc
	v_cmp_o_f32_e32 vcc, v8, v8
	v_lshrrev_b32_e32 v11, 16, v11
	v_add3_u32 v13, v6, v13, s12
	v_cndmask_b32_e32 v8, v4, v12, vcc
	v_cmp_o_f32_e32 vcc, v9, v9
	v_lshrrev_b32_e32 v13, 16, v13
	v_cndmask_b32_e32 v9, v5, v11, vcc
	v_cmp_o_f32_e32 vcc, v6, v6
	v_cndmask_b32_e32 v6, v5, v13, vcc
	v_or_b32_e32 v8, v9, v8
	v_or3_b32 v7, 0, v6, v7
	v_or3_b32 v6, v8, 0, 0
	global_store_dwordx2 v[2:3], v[6:7], off
	v_add_co_u32_e32 v2, vcc, s10, v2
	v_addc_co_u32_e32 v3, vcc, 0, v3, vcc
	s_andn2_b64 exec, exec, s[8:9]
	s_cbranch_execnz .LBB304_24
.LBB304_25:
	s_endpgm
	.section	.rodata,"a",@progbits
	.p2align	6, 0x0
	.amdhsa_kernel _ZN2at6native12_GLOBAL__N_125multi_tensor_apply_kernelINS1_18TensorListMetadataILi1EEENS1_14UnaryOpFunctorIN3c108BFloat16ELi1ELi1ELi0EEEJNS0_5RsqrtIfEEEEEvT_T0_DpT1_
		.amdhsa_group_segment_fixed_size 0
		.amdhsa_private_segment_fixed_size 0
		.amdhsa_kernarg_size 3632
		.amdhsa_user_sgpr_count 6
		.amdhsa_user_sgpr_private_segment_buffer 1
		.amdhsa_user_sgpr_dispatch_ptr 0
		.amdhsa_user_sgpr_queue_ptr 0
		.amdhsa_user_sgpr_kernarg_segment_ptr 1
		.amdhsa_user_sgpr_dispatch_id 0
		.amdhsa_user_sgpr_flat_scratch_init 0
		.amdhsa_user_sgpr_private_segment_size 0
		.amdhsa_uses_dynamic_stack 0
		.amdhsa_system_sgpr_private_segment_wavefront_offset 0
		.amdhsa_system_sgpr_workgroup_id_x 1
		.amdhsa_system_sgpr_workgroup_id_y 0
		.amdhsa_system_sgpr_workgroup_id_z 0
		.amdhsa_system_sgpr_workgroup_info 0
		.amdhsa_system_vgpr_workitem_id 0
		.amdhsa_next_free_vgpr 18
		.amdhsa_next_free_sgpr 29
		.amdhsa_reserve_vcc 1
		.amdhsa_reserve_flat_scratch 0
		.amdhsa_float_round_mode_32 0
		.amdhsa_float_round_mode_16_64 0
		.amdhsa_float_denorm_mode_32 3
		.amdhsa_float_denorm_mode_16_64 3
		.amdhsa_dx10_clamp 1
		.amdhsa_ieee_mode 1
		.amdhsa_fp16_overflow 0
		.amdhsa_exception_fp_ieee_invalid_op 0
		.amdhsa_exception_fp_denorm_src 0
		.amdhsa_exception_fp_ieee_div_zero 0
		.amdhsa_exception_fp_ieee_overflow 0
		.amdhsa_exception_fp_ieee_underflow 0
		.amdhsa_exception_fp_ieee_inexact 0
		.amdhsa_exception_int_div_zero 0
	.end_amdhsa_kernel
	.section	.text._ZN2at6native12_GLOBAL__N_125multi_tensor_apply_kernelINS1_18TensorListMetadataILi1EEENS1_14UnaryOpFunctorIN3c108BFloat16ELi1ELi1ELi0EEEJNS0_5RsqrtIfEEEEEvT_T0_DpT1_,"axG",@progbits,_ZN2at6native12_GLOBAL__N_125multi_tensor_apply_kernelINS1_18TensorListMetadataILi1EEENS1_14UnaryOpFunctorIN3c108BFloat16ELi1ELi1ELi0EEEJNS0_5RsqrtIfEEEEEvT_T0_DpT1_,comdat
.Lfunc_end304:
	.size	_ZN2at6native12_GLOBAL__N_125multi_tensor_apply_kernelINS1_18TensorListMetadataILi1EEENS1_14UnaryOpFunctorIN3c108BFloat16ELi1ELi1ELi0EEEJNS0_5RsqrtIfEEEEEvT_T0_DpT1_, .Lfunc_end304-_ZN2at6native12_GLOBAL__N_125multi_tensor_apply_kernelINS1_18TensorListMetadataILi1EEENS1_14UnaryOpFunctorIN3c108BFloat16ELi1ELi1ELi0EEEJNS0_5RsqrtIfEEEEEvT_T0_DpT1_
                                        ; -- End function
	.set _ZN2at6native12_GLOBAL__N_125multi_tensor_apply_kernelINS1_18TensorListMetadataILi1EEENS1_14UnaryOpFunctorIN3c108BFloat16ELi1ELi1ELi0EEEJNS0_5RsqrtIfEEEEEvT_T0_DpT1_.num_vgpr, 18
	.set _ZN2at6native12_GLOBAL__N_125multi_tensor_apply_kernelINS1_18TensorListMetadataILi1EEENS1_14UnaryOpFunctorIN3c108BFloat16ELi1ELi1ELi0EEEJNS0_5RsqrtIfEEEEEvT_T0_DpT1_.num_agpr, 0
	.set _ZN2at6native12_GLOBAL__N_125multi_tensor_apply_kernelINS1_18TensorListMetadataILi1EEENS1_14UnaryOpFunctorIN3c108BFloat16ELi1ELi1ELi0EEEJNS0_5RsqrtIfEEEEEvT_T0_DpT1_.numbered_sgpr, 29
	.set _ZN2at6native12_GLOBAL__N_125multi_tensor_apply_kernelINS1_18TensorListMetadataILi1EEENS1_14UnaryOpFunctorIN3c108BFloat16ELi1ELi1ELi0EEEJNS0_5RsqrtIfEEEEEvT_T0_DpT1_.num_named_barrier, 0
	.set _ZN2at6native12_GLOBAL__N_125multi_tensor_apply_kernelINS1_18TensorListMetadataILi1EEENS1_14UnaryOpFunctorIN3c108BFloat16ELi1ELi1ELi0EEEJNS0_5RsqrtIfEEEEEvT_T0_DpT1_.private_seg_size, 0
	.set _ZN2at6native12_GLOBAL__N_125multi_tensor_apply_kernelINS1_18TensorListMetadataILi1EEENS1_14UnaryOpFunctorIN3c108BFloat16ELi1ELi1ELi0EEEJNS0_5RsqrtIfEEEEEvT_T0_DpT1_.uses_vcc, 1
	.set _ZN2at6native12_GLOBAL__N_125multi_tensor_apply_kernelINS1_18TensorListMetadataILi1EEENS1_14UnaryOpFunctorIN3c108BFloat16ELi1ELi1ELi0EEEJNS0_5RsqrtIfEEEEEvT_T0_DpT1_.uses_flat_scratch, 0
	.set _ZN2at6native12_GLOBAL__N_125multi_tensor_apply_kernelINS1_18TensorListMetadataILi1EEENS1_14UnaryOpFunctorIN3c108BFloat16ELi1ELi1ELi0EEEJNS0_5RsqrtIfEEEEEvT_T0_DpT1_.has_dyn_sized_stack, 0
	.set _ZN2at6native12_GLOBAL__N_125multi_tensor_apply_kernelINS1_18TensorListMetadataILi1EEENS1_14UnaryOpFunctorIN3c108BFloat16ELi1ELi1ELi0EEEJNS0_5RsqrtIfEEEEEvT_T0_DpT1_.has_recursion, 0
	.set _ZN2at6native12_GLOBAL__N_125multi_tensor_apply_kernelINS1_18TensorListMetadataILi1EEENS1_14UnaryOpFunctorIN3c108BFloat16ELi1ELi1ELi0EEEJNS0_5RsqrtIfEEEEEvT_T0_DpT1_.has_indirect_call, 0
	.section	.AMDGPU.csdata,"",@progbits
; Kernel info:
; codeLenInByte = 1584
; TotalNumSgprs: 33
; NumVgprs: 18
; ScratchSize: 0
; MemoryBound: 0
; FloatMode: 240
; IeeeMode: 1
; LDSByteSize: 0 bytes/workgroup (compile time only)
; SGPRBlocks: 4
; VGPRBlocks: 4
; NumSGPRsForWavesPerEU: 33
; NumVGPRsForWavesPerEU: 18
; Occupancy: 10
; WaveLimiterHint : 0
; COMPUTE_PGM_RSRC2:SCRATCH_EN: 0
; COMPUTE_PGM_RSRC2:USER_SGPR: 6
; COMPUTE_PGM_RSRC2:TRAP_HANDLER: 0
; COMPUTE_PGM_RSRC2:TGID_X_EN: 1
; COMPUTE_PGM_RSRC2:TGID_Y_EN: 0
; COMPUTE_PGM_RSRC2:TGID_Z_EN: 0
; COMPUTE_PGM_RSRC2:TIDIG_COMP_CNT: 0
	.section	.text._ZN2at6native12_GLOBAL__N_125multi_tensor_apply_kernelINS1_18TensorListMetadataILi2EEENS1_14UnaryOpFunctorIhLi2ELi1ELi1EEEJSt6negateIhEEEEvT_T0_DpT1_,"axG",@progbits,_ZN2at6native12_GLOBAL__N_125multi_tensor_apply_kernelINS1_18TensorListMetadataILi2EEENS1_14UnaryOpFunctorIhLi2ELi1ELi1EEEJSt6negateIhEEEEvT_T0_DpT1_,comdat
	.globl	_ZN2at6native12_GLOBAL__N_125multi_tensor_apply_kernelINS1_18TensorListMetadataILi2EEENS1_14UnaryOpFunctorIhLi2ELi1ELi1EEEJSt6negateIhEEEEvT_T0_DpT1_ ; -- Begin function _ZN2at6native12_GLOBAL__N_125multi_tensor_apply_kernelINS1_18TensorListMetadataILi2EEENS1_14UnaryOpFunctorIhLi2ELi1ELi1EEEJSt6negateIhEEEEvT_T0_DpT1_
	.p2align	8
	.type	_ZN2at6native12_GLOBAL__N_125multi_tensor_apply_kernelINS1_18TensorListMetadataILi2EEENS1_14UnaryOpFunctorIhLi2ELi1ELi1EEEJSt6negateIhEEEEvT_T0_DpT1_,@function
_ZN2at6native12_GLOBAL__N_125multi_tensor_apply_kernelINS1_18TensorListMetadataILi2EEENS1_14UnaryOpFunctorIhLi2ELi1ELi1EEEJSt6negateIhEEEEvT_T0_DpT1_: ; @_ZN2at6native12_GLOBAL__N_125multi_tensor_apply_kernelINS1_18TensorListMetadataILi2EEENS1_14UnaryOpFunctorIhLi2ELi1ELi1EEEJSt6negateIhEEEEvT_T0_DpT1_
; %bb.0:
	v_mov_b32_e32 v1, s6
	global_load_ubyte v1, v1, s[4:5] offset:1536
	s_add_u32 s0, s4, s6
	s_mul_hi_u32 s1, s6, 3
	s_mul_i32 s6, s6, 3
	s_addc_u32 s2, s5, 0
	s_add_u32 s0, s0, s6
	s_addc_u32 s1, s2, s1
	s_load_dword s6, s[0:1], 0x740
	s_waitcnt lgkmcnt(0)
	s_ashr_i32 s7, s6, 31
	s_lshl_b64 s[6:7], s[6:7], 16
	s_waitcnt vmcnt(0)
	v_readfirstlane_b32 s0, v1
	s_lshl_b32 s2, s0, 3
	s_load_dwordx2 s[0:1], s[4:5], s2 offset:0x0
	s_load_dwordx2 s[8:9], s[4:5], s2 offset:0x400
	s_waitcnt lgkmcnt(0)
	s_add_u32 s12, s0, s6
	s_load_dwordx2 s[2:3], s[4:5], s2 offset:0x200
	s_sub_u32 s10, s8, s6
	s_subb_u32 s11, s9, s7
	s_waitcnt lgkmcnt(0)
	s_or_b32 s8, s8, s2
	s_or_b32 s8, s8, s12
	s_and_b32 s8, s8, 3
	s_cmp_eq_u32 s8, 0
	s_mov_b64 s[8:9], -1
	s_cbranch_scc0 .LBB305_5
; %bb.1:
	v_mov_b32_e32 v1, 0x10000
	v_mov_b32_e32 v2, 0
	v_cmp_lt_i64_e32 vcc, s[10:11], v[1:2]
	v_mov_b32_e32 v3, 0
	s_and_b64 s[8:9], vcc, exec
	s_cselect_b32 s9, s11, 0
	s_cselect_b32 s8, s10, 0x10000
	v_lshlrev_b32_e32 v2, 2, v0
	v_cmp_gt_i64_e32 vcc, s[8:9], v[2:3]
	s_and_saveexec_b64 s[12:13], vcc
	s_cbranch_execz .LBB305_4
; %bb.2:
	s_load_dword s14, s[4:5], 0xc5c
	v_mov_b32_e32 v1, v3
	v_mov_b32_e32 v5, s7
	v_add_co_u32_e32 v4, vcc, s6, v2
	s_waitcnt lgkmcnt(0)
	s_and_b32 s16, s14, 0xffff
	v_mov_b32_e32 v2, v1
	v_addc_co_u32_e32 v5, vcc, 0, v5, vcc
	s_lshl_b32 s17, s16, 2
	s_mov_b64 s[14:15], 0
	v_mov_b32_e32 v6, s1
	s_movk_i32 s18, 0xff00
	v_mov_b32_e32 v7, s3
	v_mov_b32_e32 v1, v0
.LBB305_3:                              ; =>This Inner Loop Header: Depth=1
	v_add_co_u32_e32 v8, vcc, s0, v4
	v_addc_co_u32_e32 v9, vcc, v6, v5, vcc
	global_load_dword v12, v[8:9], off
	v_add_co_u32_e32 v8, vcc, s2, v4
	v_addc_co_u32_e32 v9, vcc, v7, v5, vcc
	v_add_co_u32_e32 v1, vcc, s16, v1
	v_addc_co_u32_e32 v2, vcc, 0, v2, vcc
	v_add_co_u32_e32 v4, vcc, s17, v4
	v_lshlrev_b64 v[10:11], 2, v[1:2]
	v_addc_co_u32_e32 v5, vcc, 0, v5, vcc
	v_cmp_le_i64_e32 vcc, s[8:9], v[10:11]
	s_or_b64 s[14:15], vcc, s[14:15]
	s_waitcnt vmcnt(0)
	v_and_b32_e32 v10, 0xffffff00, v12
	v_sub_u16_e32 v11, 0, v12
	v_and_b32_sdwa v13, v12, s18 dst_sel:DWORD dst_unused:UNUSED_PAD src0_sel:WORD_1 src1_sel:DWORD
	v_sub_u16_sdwa v12, v3, v12 dst_sel:DWORD dst_unused:UNUSED_PAD src0_sel:DWORD src1_sel:WORD_1
	v_sub_u16_sdwa v10, v11, v10 dst_sel:DWORD dst_unused:UNUSED_PAD src0_sel:BYTE_0 src1_sel:DWORD
	v_sub_u16_sdwa v11, v12, v13 dst_sel:WORD_1 dst_unused:UNUSED_PAD src0_sel:BYTE_0 src1_sel:DWORD
	v_or_b32_e32 v10, v10, v11
	global_store_dword v[8:9], v10, off
	s_andn2_b64 exec, exec, s[14:15]
	s_cbranch_execnz .LBB305_3
.LBB305_4:
	s_or_b64 exec, exec, s[12:13]
	s_mov_b64 s[8:9], 0
.LBB305_5:
	s_andn2_b64 vcc, exec, s[8:9]
	s_cbranch_vccnz .LBB305_25
; %bb.6:
	v_cmp_lt_i64_e64 s[8:9], s[10:11], 1
	s_and_b64 vcc, exec, s[8:9]
	s_cbranch_vccnz .LBB305_25
; %bb.7:
	v_mov_b32_e32 v1, 0x10000
	s_load_dword s12, s[4:5], 0xc5c
	v_mov_b32_e32 v2, 0
	v_cmp_lt_i64_e32 vcc, s[10:11], v[1:2]
	v_mov_b32_e32 v4, s3
	s_and_b64 s[4:5], vcc, exec
	v_cmp_lt_u64_e32 vcc, s[10:11], v[1:2]
	s_cselect_b32 s9, s11, 0
	s_cselect_b32 s8, s10, 0x10000
	s_waitcnt lgkmcnt(0)
	s_and_b32 s14, s12, 0xffff
	s_and_b64 s[4:5], vcc, exec
	v_mov_b32_e32 v1, s7
	v_add_co_u32_e32 v13, vcc, s6, v0
	v_addc_co_u32_e32 v14, vcc, 0, v1, vcc
	v_mov_b32_e32 v2, s1
	v_add_co_u32_e32 v1, vcc, s0, v13
	s_cselect_b32 s11, s11, 0
	s_cselect_b32 s10, s10, 0x10000
	s_lshl_b32 s4, s14, 1
	s_mul_i32 s5, s14, 3
	s_lshl_b32 s16, s14, 2
	v_addc_co_u32_e32 v2, vcc, v2, v14, vcc
	v_add_co_u32_e32 v3, vcc, s2, v13
	s_add_u32 s12, s6, s5
	v_addc_co_u32_e32 v4, vcc, v4, v14, vcc
	s_addc_u32 s13, s7, 0
	v_mov_b32_e32 v5, s13
	v_add_co_u32_e32 v7, vcc, s12, v0
	v_addc_co_u32_e32 v8, vcc, 0, v5, vcc
	v_mov_b32_e32 v6, s1
	v_add_co_u32_e32 v5, vcc, s0, v7
	v_addc_co_u32_e32 v6, vcc, v6, v8, vcc
	v_mov_b32_e32 v9, s3
	v_add_co_u32_e32 v7, vcc, s2, v7
	s_add_u32 s6, s6, s4
	v_addc_co_u32_e32 v8, vcc, v9, v8, vcc
	s_addc_u32 s7, s7, 0
	v_mov_b32_e32 v9, s7
	v_add_co_u32_e32 v11, vcc, s6, v0
	v_addc_co_u32_e32 v12, vcc, 0, v9, vcc
	v_mov_b32_e32 v10, s1
	v_add_co_u32_e32 v9, vcc, s0, v11
	v_addc_co_u32_e32 v10, vcc, v10, v12, vcc
	;; [unrolled: 3-line block ×3, first 2 shown]
	v_add_co_u32_e32 v15, vcc, s14, v13
	v_addc_co_u32_e32 v16, vcc, 0, v14, vcc
	v_mov_b32_e32 v14, s1
	v_add_co_u32_e32 v13, vcc, s0, v15
	v_addc_co_u32_e32 v14, vcc, v14, v16, vcc
	v_mov_b32_e32 v17, s3
	v_add_co_u32_e32 v15, vcc, s2, v15
	v_addc_co_u32_e32 v16, vcc, v17, v16, vcc
	v_add_co_u32_e32 v17, vcc, s5, v0
	v_addc_co_u32_e64 v18, s[0:1], 0, 0, vcc
	v_add_co_u32_e32 v19, vcc, s4, v0
	v_addc_co_u32_e64 v20, s[0:1], 0, 0, vcc
	v_add_co_u32_e32 v21, vcc, s14, v0
	s_mov_b64 s[12:13], 0
	v_addc_co_u32_e64 v22, s[0:1], 0, 0, vcc
	s_branch .LBB305_9
.LBB305_8:                              ;   in Loop: Header=BB305_9 Depth=1
	s_or_b64 exec, exec, s[0:1]
	s_add_u32 s12, s12, s16
	v_mov_b32_e32 v24, s9
	s_addc_u32 s13, s13, 0
	v_mov_b32_e32 v23, s8
	v_cmp_ge_i64_e32 vcc, s[12:13], v[23:24]
	s_cbranch_vccnz .LBB305_25
.LBB305_9:                              ; =>This Inner Loop Header: Depth=1
	v_mov_b32_e32 v24, s13
	v_add_co_u32_e32 v23, vcc, s12, v0
	v_addc_co_u32_e32 v24, vcc, 0, v24, vcc
	v_cmp_gt_u64_e32 vcc, s[10:11], v[23:24]
	v_mov_b32_e32 v23, 0
	s_and_saveexec_b64 s[2:3], vcc
	s_cbranch_execz .LBB305_11
; %bb.10:                               ;   in Loop: Header=BB305_9 Depth=1
	v_mov_b32_e32 v24, s13
	v_add_co_u32_e64 v23, s[0:1], s12, v1
	v_addc_co_u32_e64 v24, s[0:1], v2, v24, s[0:1]
	global_load_ubyte v23, v[23:24], off
.LBB305_11:                             ;   in Loop: Header=BB305_9 Depth=1
	s_or_b64 exec, exec, s[2:3]
	v_mov_b32_e32 v25, s13
	v_add_co_u32_e64 v24, s[0:1], s12, v21
	v_addc_co_u32_e64 v25, s[0:1], v22, v25, s[0:1]
	v_cmp_gt_u64_e64 s[0:1], s[10:11], v[24:25]
	v_mov_b32_e32 v24, 0
	v_mov_b32_e32 v25, 0
	s_and_saveexec_b64 s[4:5], s[0:1]
	s_cbranch_execz .LBB305_13
; %bb.12:                               ;   in Loop: Header=BB305_9 Depth=1
	v_mov_b32_e32 v26, s13
	v_add_co_u32_e64 v25, s[2:3], s12, v13
	v_addc_co_u32_e64 v26, s[2:3], v14, v26, s[2:3]
	global_load_ubyte v25, v[25:26], off
.LBB305_13:                             ;   in Loop: Header=BB305_9 Depth=1
	s_or_b64 exec, exec, s[4:5]
	v_mov_b32_e32 v27, s13
	v_add_co_u32_e64 v26, s[2:3], s12, v19
	v_addc_co_u32_e64 v27, s[2:3], v20, v27, s[2:3]
	v_cmp_gt_u64_e64 s[2:3], s[10:11], v[26:27]
	s_and_saveexec_b64 s[6:7], s[2:3]
	s_cbranch_execz .LBB305_15
; %bb.14:                               ;   in Loop: Header=BB305_9 Depth=1
	v_mov_b32_e32 v24, s13
	v_add_co_u32_e64 v26, s[4:5], s12, v9
	v_addc_co_u32_e64 v27, s[4:5], v10, v24, s[4:5]
	global_load_ubyte v24, v[26:27], off
.LBB305_15:                             ;   in Loop: Header=BB305_9 Depth=1
	s_or_b64 exec, exec, s[6:7]
	v_mov_b32_e32 v27, s13
	v_add_co_u32_e64 v26, s[4:5], s12, v17
	v_addc_co_u32_e64 v27, s[4:5], v18, v27, s[4:5]
	v_cmp_gt_u64_e64 s[4:5], s[10:11], v[26:27]
	v_mov_b32_e32 v26, 0
	s_and_saveexec_b64 s[14:15], s[4:5]
	s_cbranch_execz .LBB305_17
; %bb.16:                               ;   in Loop: Header=BB305_9 Depth=1
	v_mov_b32_e32 v27, s13
	v_add_co_u32_e64 v26, s[6:7], s12, v5
	v_addc_co_u32_e64 v27, s[6:7], v6, v27, s[6:7]
	global_load_ubyte v26, v[26:27], off
.LBB305_17:                             ;   in Loop: Header=BB305_9 Depth=1
	s_or_b64 exec, exec, s[14:15]
	s_waitcnt vmcnt(0)
	v_lshlrev_b16_e32 v25, 8, v25
	v_sub_u16_e32 v23, 0, v23
	v_sub_u16_sdwa v23, v23, v25 dst_sel:DWORD dst_unused:UNUSED_PAD src0_sel:BYTE_0 src1_sel:DWORD
	v_lshlrev_b16_e32 v25, 8, v26
	v_sub_u16_e32 v24, 0, v24
	v_sub_u16_sdwa v24, v24, v25 dst_sel:WORD_1 dst_unused:UNUSED_PAD src0_sel:BYTE_0 src1_sel:DWORD
	v_or_b32_e32 v23, v23, v24
	s_and_saveexec_b64 s[6:7], vcc
	s_cbranch_execnz .LBB305_21
; %bb.18:                               ;   in Loop: Header=BB305_9 Depth=1
	s_or_b64 exec, exec, s[6:7]
	s_and_saveexec_b64 s[6:7], s[0:1]
	s_cbranch_execnz .LBB305_22
.LBB305_19:                             ;   in Loop: Header=BB305_9 Depth=1
	s_or_b64 exec, exec, s[6:7]
	s_and_saveexec_b64 s[0:1], s[2:3]
	s_cbranch_execnz .LBB305_23
.LBB305_20:                             ;   in Loop: Header=BB305_9 Depth=1
	s_or_b64 exec, exec, s[0:1]
	s_and_saveexec_b64 s[0:1], s[4:5]
	s_cbranch_execz .LBB305_8
	s_branch .LBB305_24
.LBB305_21:                             ;   in Loop: Header=BB305_9 Depth=1
	v_mov_b32_e32 v25, s13
	v_add_co_u32_e32 v24, vcc, s12, v3
	v_addc_co_u32_e32 v25, vcc, v4, v25, vcc
	global_store_byte v[24:25], v23, off
	s_or_b64 exec, exec, s[6:7]
	s_and_saveexec_b64 s[6:7], s[0:1]
	s_cbranch_execz .LBB305_19
.LBB305_22:                             ;   in Loop: Header=BB305_9 Depth=1
	v_mov_b32_e32 v25, s13
	v_add_co_u32_e32 v24, vcc, s12, v15
	v_addc_co_u32_e32 v25, vcc, v16, v25, vcc
	v_lshrrev_b32_e32 v26, 8, v23
	global_store_byte v[24:25], v26, off
	s_or_b64 exec, exec, s[6:7]
	s_and_saveexec_b64 s[0:1], s[2:3]
	s_cbranch_execz .LBB305_20
.LBB305_23:                             ;   in Loop: Header=BB305_9 Depth=1
	v_mov_b32_e32 v25, s13
	v_add_co_u32_e32 v24, vcc, s12, v11
	v_addc_co_u32_e32 v25, vcc, v12, v25, vcc
	global_store_byte_d16_hi v[24:25], v23, off
	s_or_b64 exec, exec, s[0:1]
	s_and_saveexec_b64 s[0:1], s[4:5]
	s_cbranch_execz .LBB305_8
.LBB305_24:                             ;   in Loop: Header=BB305_9 Depth=1
	v_mov_b32_e32 v25, s13
	v_add_co_u32_e32 v24, vcc, s12, v7
	v_addc_co_u32_e32 v25, vcc, v8, v25, vcc
	v_lshrrev_b32_e32 v23, 24, v23
	global_store_byte v[24:25], v23, off
	s_branch .LBB305_8
.LBB305_25:
	s_endpgm
	.section	.rodata,"a",@progbits
	.p2align	6, 0x0
	.amdhsa_kernel _ZN2at6native12_GLOBAL__N_125multi_tensor_apply_kernelINS1_18TensorListMetadataILi2EEENS1_14UnaryOpFunctorIhLi2ELi1ELi1EEEJSt6negateIhEEEEvT_T0_DpT1_
		.amdhsa_group_segment_fixed_size 0
		.amdhsa_private_segment_fixed_size 0
		.amdhsa_kernarg_size 3408
		.amdhsa_user_sgpr_count 6
		.amdhsa_user_sgpr_private_segment_buffer 1
		.amdhsa_user_sgpr_dispatch_ptr 0
		.amdhsa_user_sgpr_queue_ptr 0
		.amdhsa_user_sgpr_kernarg_segment_ptr 1
		.amdhsa_user_sgpr_dispatch_id 0
		.amdhsa_user_sgpr_flat_scratch_init 0
		.amdhsa_user_sgpr_private_segment_size 0
		.amdhsa_uses_dynamic_stack 0
		.amdhsa_system_sgpr_private_segment_wavefront_offset 0
		.amdhsa_system_sgpr_workgroup_id_x 1
		.amdhsa_system_sgpr_workgroup_id_y 0
		.amdhsa_system_sgpr_workgroup_id_z 0
		.amdhsa_system_sgpr_workgroup_info 0
		.amdhsa_system_vgpr_workitem_id 0
		.amdhsa_next_free_vgpr 28
		.amdhsa_next_free_sgpr 19
		.amdhsa_reserve_vcc 1
		.amdhsa_reserve_flat_scratch 0
		.amdhsa_float_round_mode_32 0
		.amdhsa_float_round_mode_16_64 0
		.amdhsa_float_denorm_mode_32 3
		.amdhsa_float_denorm_mode_16_64 3
		.amdhsa_dx10_clamp 1
		.amdhsa_ieee_mode 1
		.amdhsa_fp16_overflow 0
		.amdhsa_exception_fp_ieee_invalid_op 0
		.amdhsa_exception_fp_denorm_src 0
		.amdhsa_exception_fp_ieee_div_zero 0
		.amdhsa_exception_fp_ieee_overflow 0
		.amdhsa_exception_fp_ieee_underflow 0
		.amdhsa_exception_fp_ieee_inexact 0
		.amdhsa_exception_int_div_zero 0
	.end_amdhsa_kernel
	.section	.text._ZN2at6native12_GLOBAL__N_125multi_tensor_apply_kernelINS1_18TensorListMetadataILi2EEENS1_14UnaryOpFunctorIhLi2ELi1ELi1EEEJSt6negateIhEEEEvT_T0_DpT1_,"axG",@progbits,_ZN2at6native12_GLOBAL__N_125multi_tensor_apply_kernelINS1_18TensorListMetadataILi2EEENS1_14UnaryOpFunctorIhLi2ELi1ELi1EEEJSt6negateIhEEEEvT_T0_DpT1_,comdat
.Lfunc_end305:
	.size	_ZN2at6native12_GLOBAL__N_125multi_tensor_apply_kernelINS1_18TensorListMetadataILi2EEENS1_14UnaryOpFunctorIhLi2ELi1ELi1EEEJSt6negateIhEEEEvT_T0_DpT1_, .Lfunc_end305-_ZN2at6native12_GLOBAL__N_125multi_tensor_apply_kernelINS1_18TensorListMetadataILi2EEENS1_14UnaryOpFunctorIhLi2ELi1ELi1EEEJSt6negateIhEEEEvT_T0_DpT1_
                                        ; -- End function
	.set _ZN2at6native12_GLOBAL__N_125multi_tensor_apply_kernelINS1_18TensorListMetadataILi2EEENS1_14UnaryOpFunctorIhLi2ELi1ELi1EEEJSt6negateIhEEEEvT_T0_DpT1_.num_vgpr, 28
	.set _ZN2at6native12_GLOBAL__N_125multi_tensor_apply_kernelINS1_18TensorListMetadataILi2EEENS1_14UnaryOpFunctorIhLi2ELi1ELi1EEEJSt6negateIhEEEEvT_T0_DpT1_.num_agpr, 0
	.set _ZN2at6native12_GLOBAL__N_125multi_tensor_apply_kernelINS1_18TensorListMetadataILi2EEENS1_14UnaryOpFunctorIhLi2ELi1ELi1EEEJSt6negateIhEEEEvT_T0_DpT1_.numbered_sgpr, 19
	.set _ZN2at6native12_GLOBAL__N_125multi_tensor_apply_kernelINS1_18TensorListMetadataILi2EEENS1_14UnaryOpFunctorIhLi2ELi1ELi1EEEJSt6negateIhEEEEvT_T0_DpT1_.num_named_barrier, 0
	.set _ZN2at6native12_GLOBAL__N_125multi_tensor_apply_kernelINS1_18TensorListMetadataILi2EEENS1_14UnaryOpFunctorIhLi2ELi1ELi1EEEJSt6negateIhEEEEvT_T0_DpT1_.private_seg_size, 0
	.set _ZN2at6native12_GLOBAL__N_125multi_tensor_apply_kernelINS1_18TensorListMetadataILi2EEENS1_14UnaryOpFunctorIhLi2ELi1ELi1EEEJSt6negateIhEEEEvT_T0_DpT1_.uses_vcc, 1
	.set _ZN2at6native12_GLOBAL__N_125multi_tensor_apply_kernelINS1_18TensorListMetadataILi2EEENS1_14UnaryOpFunctorIhLi2ELi1ELi1EEEJSt6negateIhEEEEvT_T0_DpT1_.uses_flat_scratch, 0
	.set _ZN2at6native12_GLOBAL__N_125multi_tensor_apply_kernelINS1_18TensorListMetadataILi2EEENS1_14UnaryOpFunctorIhLi2ELi1ELi1EEEJSt6negateIhEEEEvT_T0_DpT1_.has_dyn_sized_stack, 0
	.set _ZN2at6native12_GLOBAL__N_125multi_tensor_apply_kernelINS1_18TensorListMetadataILi2EEENS1_14UnaryOpFunctorIhLi2ELi1ELi1EEEJSt6negateIhEEEEvT_T0_DpT1_.has_recursion, 0
	.set _ZN2at6native12_GLOBAL__N_125multi_tensor_apply_kernelINS1_18TensorListMetadataILi2EEENS1_14UnaryOpFunctorIhLi2ELi1ELi1EEEJSt6negateIhEEEEvT_T0_DpT1_.has_indirect_call, 0
	.section	.AMDGPU.csdata,"",@progbits
; Kernel info:
; codeLenInByte = 1216
; TotalNumSgprs: 23
; NumVgprs: 28
; ScratchSize: 0
; MemoryBound: 0
; FloatMode: 240
; IeeeMode: 1
; LDSByteSize: 0 bytes/workgroup (compile time only)
; SGPRBlocks: 2
; VGPRBlocks: 6
; NumSGPRsForWavesPerEU: 23
; NumVGPRsForWavesPerEU: 28
; Occupancy: 9
; WaveLimiterHint : 0
; COMPUTE_PGM_RSRC2:SCRATCH_EN: 0
; COMPUTE_PGM_RSRC2:USER_SGPR: 6
; COMPUTE_PGM_RSRC2:TRAP_HANDLER: 0
; COMPUTE_PGM_RSRC2:TGID_X_EN: 1
; COMPUTE_PGM_RSRC2:TGID_Y_EN: 0
; COMPUTE_PGM_RSRC2:TGID_Z_EN: 0
; COMPUTE_PGM_RSRC2:TIDIG_COMP_CNT: 0
	.section	.text._ZN2at6native12_GLOBAL__N_125multi_tensor_apply_kernelINS1_18TensorListMetadataILi2EEENS1_14UnaryOpFunctorIaLi2ELi1ELi1EEEJSt6negateIaEEEEvT_T0_DpT1_,"axG",@progbits,_ZN2at6native12_GLOBAL__N_125multi_tensor_apply_kernelINS1_18TensorListMetadataILi2EEENS1_14UnaryOpFunctorIaLi2ELi1ELi1EEEJSt6negateIaEEEEvT_T0_DpT1_,comdat
	.globl	_ZN2at6native12_GLOBAL__N_125multi_tensor_apply_kernelINS1_18TensorListMetadataILi2EEENS1_14UnaryOpFunctorIaLi2ELi1ELi1EEEJSt6negateIaEEEEvT_T0_DpT1_ ; -- Begin function _ZN2at6native12_GLOBAL__N_125multi_tensor_apply_kernelINS1_18TensorListMetadataILi2EEENS1_14UnaryOpFunctorIaLi2ELi1ELi1EEEJSt6negateIaEEEEvT_T0_DpT1_
	.p2align	8
	.type	_ZN2at6native12_GLOBAL__N_125multi_tensor_apply_kernelINS1_18TensorListMetadataILi2EEENS1_14UnaryOpFunctorIaLi2ELi1ELi1EEEJSt6negateIaEEEEvT_T0_DpT1_,@function
_ZN2at6native12_GLOBAL__N_125multi_tensor_apply_kernelINS1_18TensorListMetadataILi2EEENS1_14UnaryOpFunctorIaLi2ELi1ELi1EEEJSt6negateIaEEEEvT_T0_DpT1_: ; @_ZN2at6native12_GLOBAL__N_125multi_tensor_apply_kernelINS1_18TensorListMetadataILi2EEENS1_14UnaryOpFunctorIaLi2ELi1ELi1EEEJSt6negateIaEEEEvT_T0_DpT1_
; %bb.0:
	v_mov_b32_e32 v1, s6
	global_load_ubyte v1, v1, s[4:5] offset:1536
	s_add_u32 s0, s4, s6
	s_mul_hi_u32 s1, s6, 3
	s_mul_i32 s6, s6, 3
	s_addc_u32 s2, s5, 0
	s_add_u32 s0, s0, s6
	s_addc_u32 s1, s2, s1
	s_load_dword s6, s[0:1], 0x740
	s_waitcnt lgkmcnt(0)
	s_ashr_i32 s7, s6, 31
	s_lshl_b64 s[6:7], s[6:7], 16
	s_waitcnt vmcnt(0)
	v_readfirstlane_b32 s0, v1
	s_lshl_b32 s2, s0, 3
	s_load_dwordx2 s[0:1], s[4:5], s2 offset:0x0
	s_load_dwordx2 s[8:9], s[4:5], s2 offset:0x400
	s_waitcnt lgkmcnt(0)
	s_add_u32 s12, s0, s6
	s_load_dwordx2 s[2:3], s[4:5], s2 offset:0x200
	s_sub_u32 s10, s8, s6
	s_subb_u32 s11, s9, s7
	s_waitcnt lgkmcnt(0)
	s_or_b32 s8, s8, s2
	s_or_b32 s8, s8, s12
	s_and_b32 s8, s8, 3
	s_cmp_eq_u32 s8, 0
	s_mov_b64 s[8:9], -1
	s_cbranch_scc0 .LBB306_5
; %bb.1:
	v_mov_b32_e32 v1, 0x10000
	v_mov_b32_e32 v2, 0
	v_cmp_lt_i64_e32 vcc, s[10:11], v[1:2]
	v_mov_b32_e32 v3, 0
	s_and_b64 s[8:9], vcc, exec
	s_cselect_b32 s9, s11, 0
	s_cselect_b32 s8, s10, 0x10000
	v_lshlrev_b32_e32 v2, 2, v0
	v_cmp_gt_i64_e32 vcc, s[8:9], v[2:3]
	s_and_saveexec_b64 s[12:13], vcc
	s_cbranch_execz .LBB306_4
; %bb.2:
	s_load_dword s14, s[4:5], 0xc5c
	v_mov_b32_e32 v1, v3
	v_mov_b32_e32 v5, s7
	v_add_co_u32_e32 v4, vcc, s6, v2
	s_waitcnt lgkmcnt(0)
	s_and_b32 s16, s14, 0xffff
	v_mov_b32_e32 v2, v1
	v_addc_co_u32_e32 v5, vcc, 0, v5, vcc
	s_lshl_b32 s17, s16, 2
	s_mov_b64 s[14:15], 0
	v_mov_b32_e32 v6, s1
	s_movk_i32 s18, 0xff00
	v_mov_b32_e32 v7, s3
	v_mov_b32_e32 v1, v0
.LBB306_3:                              ; =>This Inner Loop Header: Depth=1
	v_add_co_u32_e32 v8, vcc, s0, v4
	v_addc_co_u32_e32 v9, vcc, v6, v5, vcc
	global_load_dword v12, v[8:9], off
	v_add_co_u32_e32 v8, vcc, s2, v4
	v_addc_co_u32_e32 v9, vcc, v7, v5, vcc
	v_add_co_u32_e32 v1, vcc, s16, v1
	v_addc_co_u32_e32 v2, vcc, 0, v2, vcc
	v_add_co_u32_e32 v4, vcc, s17, v4
	v_lshlrev_b64 v[10:11], 2, v[1:2]
	v_addc_co_u32_e32 v5, vcc, 0, v5, vcc
	v_cmp_le_i64_e32 vcc, s[8:9], v[10:11]
	s_or_b64 s[14:15], vcc, s[14:15]
	s_waitcnt vmcnt(0)
	v_and_b32_e32 v10, 0xffffff00, v12
	v_sub_u16_e32 v11, 0, v12
	v_and_b32_sdwa v13, v12, s18 dst_sel:DWORD dst_unused:UNUSED_PAD src0_sel:WORD_1 src1_sel:DWORD
	v_sub_u16_sdwa v12, v3, v12 dst_sel:DWORD dst_unused:UNUSED_PAD src0_sel:DWORD src1_sel:WORD_1
	v_sub_u16_sdwa v10, v11, v10 dst_sel:DWORD dst_unused:UNUSED_PAD src0_sel:BYTE_0 src1_sel:DWORD
	v_sub_u16_sdwa v11, v12, v13 dst_sel:WORD_1 dst_unused:UNUSED_PAD src0_sel:BYTE_0 src1_sel:DWORD
	v_or_b32_e32 v10, v10, v11
	global_store_dword v[8:9], v10, off
	s_andn2_b64 exec, exec, s[14:15]
	s_cbranch_execnz .LBB306_3
.LBB306_4:
	s_or_b64 exec, exec, s[12:13]
	s_mov_b64 s[8:9], 0
.LBB306_5:
	s_andn2_b64 vcc, exec, s[8:9]
	s_cbranch_vccnz .LBB306_25
; %bb.6:
	v_cmp_lt_i64_e64 s[8:9], s[10:11], 1
	s_and_b64 vcc, exec, s[8:9]
	s_cbranch_vccnz .LBB306_25
; %bb.7:
	v_mov_b32_e32 v1, 0x10000
	s_load_dword s12, s[4:5], 0xc5c
	v_mov_b32_e32 v2, 0
	v_cmp_lt_i64_e32 vcc, s[10:11], v[1:2]
	v_mov_b32_e32 v4, s3
	s_and_b64 s[4:5], vcc, exec
	v_cmp_lt_u64_e32 vcc, s[10:11], v[1:2]
	s_cselect_b32 s9, s11, 0
	s_cselect_b32 s8, s10, 0x10000
	s_waitcnt lgkmcnt(0)
	s_and_b32 s14, s12, 0xffff
	s_and_b64 s[4:5], vcc, exec
	v_mov_b32_e32 v1, s7
	v_add_co_u32_e32 v13, vcc, s6, v0
	v_addc_co_u32_e32 v14, vcc, 0, v1, vcc
	v_mov_b32_e32 v2, s1
	v_add_co_u32_e32 v1, vcc, s0, v13
	s_cselect_b32 s11, s11, 0
	s_cselect_b32 s10, s10, 0x10000
	s_lshl_b32 s4, s14, 1
	s_mul_i32 s5, s14, 3
	s_lshl_b32 s16, s14, 2
	v_addc_co_u32_e32 v2, vcc, v2, v14, vcc
	v_add_co_u32_e32 v3, vcc, s2, v13
	s_add_u32 s12, s6, s5
	v_addc_co_u32_e32 v4, vcc, v4, v14, vcc
	s_addc_u32 s13, s7, 0
	v_mov_b32_e32 v5, s13
	v_add_co_u32_e32 v7, vcc, s12, v0
	v_addc_co_u32_e32 v8, vcc, 0, v5, vcc
	v_mov_b32_e32 v6, s1
	v_add_co_u32_e32 v5, vcc, s0, v7
	v_addc_co_u32_e32 v6, vcc, v6, v8, vcc
	v_mov_b32_e32 v9, s3
	v_add_co_u32_e32 v7, vcc, s2, v7
	s_add_u32 s6, s6, s4
	v_addc_co_u32_e32 v8, vcc, v9, v8, vcc
	s_addc_u32 s7, s7, 0
	v_mov_b32_e32 v9, s7
	v_add_co_u32_e32 v11, vcc, s6, v0
	v_addc_co_u32_e32 v12, vcc, 0, v9, vcc
	v_mov_b32_e32 v10, s1
	v_add_co_u32_e32 v9, vcc, s0, v11
	v_addc_co_u32_e32 v10, vcc, v10, v12, vcc
	;; [unrolled: 3-line block ×3, first 2 shown]
	v_add_co_u32_e32 v15, vcc, s14, v13
	v_addc_co_u32_e32 v16, vcc, 0, v14, vcc
	v_mov_b32_e32 v14, s1
	v_add_co_u32_e32 v13, vcc, s0, v15
	v_addc_co_u32_e32 v14, vcc, v14, v16, vcc
	v_mov_b32_e32 v17, s3
	v_add_co_u32_e32 v15, vcc, s2, v15
	v_addc_co_u32_e32 v16, vcc, v17, v16, vcc
	v_add_co_u32_e32 v17, vcc, s5, v0
	v_addc_co_u32_e64 v18, s[0:1], 0, 0, vcc
	v_add_co_u32_e32 v19, vcc, s4, v0
	v_addc_co_u32_e64 v20, s[0:1], 0, 0, vcc
	v_add_co_u32_e32 v21, vcc, s14, v0
	s_mov_b64 s[12:13], 0
	v_addc_co_u32_e64 v22, s[0:1], 0, 0, vcc
	s_branch .LBB306_9
.LBB306_8:                              ;   in Loop: Header=BB306_9 Depth=1
	s_or_b64 exec, exec, s[0:1]
	s_add_u32 s12, s12, s16
	v_mov_b32_e32 v24, s9
	s_addc_u32 s13, s13, 0
	v_mov_b32_e32 v23, s8
	v_cmp_ge_i64_e32 vcc, s[12:13], v[23:24]
	s_cbranch_vccnz .LBB306_25
.LBB306_9:                              ; =>This Inner Loop Header: Depth=1
	v_mov_b32_e32 v24, s13
	v_add_co_u32_e32 v23, vcc, s12, v0
	v_addc_co_u32_e32 v24, vcc, 0, v24, vcc
	v_cmp_gt_u64_e32 vcc, s[10:11], v[23:24]
	v_mov_b32_e32 v23, 0
	s_and_saveexec_b64 s[2:3], vcc
	s_cbranch_execz .LBB306_11
; %bb.10:                               ;   in Loop: Header=BB306_9 Depth=1
	v_mov_b32_e32 v24, s13
	v_add_co_u32_e64 v23, s[0:1], s12, v1
	v_addc_co_u32_e64 v24, s[0:1], v2, v24, s[0:1]
	global_load_ubyte v23, v[23:24], off
.LBB306_11:                             ;   in Loop: Header=BB306_9 Depth=1
	s_or_b64 exec, exec, s[2:3]
	v_mov_b32_e32 v25, s13
	v_add_co_u32_e64 v24, s[0:1], s12, v21
	v_addc_co_u32_e64 v25, s[0:1], v22, v25, s[0:1]
	v_cmp_gt_u64_e64 s[0:1], s[10:11], v[24:25]
	v_mov_b32_e32 v24, 0
	v_mov_b32_e32 v25, 0
	s_and_saveexec_b64 s[4:5], s[0:1]
	s_cbranch_execz .LBB306_13
; %bb.12:                               ;   in Loop: Header=BB306_9 Depth=1
	v_mov_b32_e32 v26, s13
	v_add_co_u32_e64 v25, s[2:3], s12, v13
	v_addc_co_u32_e64 v26, s[2:3], v14, v26, s[2:3]
	global_load_ubyte v25, v[25:26], off
.LBB306_13:                             ;   in Loop: Header=BB306_9 Depth=1
	s_or_b64 exec, exec, s[4:5]
	v_mov_b32_e32 v27, s13
	v_add_co_u32_e64 v26, s[2:3], s12, v19
	v_addc_co_u32_e64 v27, s[2:3], v20, v27, s[2:3]
	v_cmp_gt_u64_e64 s[2:3], s[10:11], v[26:27]
	s_and_saveexec_b64 s[6:7], s[2:3]
	s_cbranch_execz .LBB306_15
; %bb.14:                               ;   in Loop: Header=BB306_9 Depth=1
	v_mov_b32_e32 v24, s13
	v_add_co_u32_e64 v26, s[4:5], s12, v9
	v_addc_co_u32_e64 v27, s[4:5], v10, v24, s[4:5]
	global_load_ubyte v24, v[26:27], off
.LBB306_15:                             ;   in Loop: Header=BB306_9 Depth=1
	s_or_b64 exec, exec, s[6:7]
	v_mov_b32_e32 v27, s13
	v_add_co_u32_e64 v26, s[4:5], s12, v17
	v_addc_co_u32_e64 v27, s[4:5], v18, v27, s[4:5]
	v_cmp_gt_u64_e64 s[4:5], s[10:11], v[26:27]
	v_mov_b32_e32 v26, 0
	s_and_saveexec_b64 s[14:15], s[4:5]
	s_cbranch_execz .LBB306_17
; %bb.16:                               ;   in Loop: Header=BB306_9 Depth=1
	v_mov_b32_e32 v27, s13
	v_add_co_u32_e64 v26, s[6:7], s12, v5
	v_addc_co_u32_e64 v27, s[6:7], v6, v27, s[6:7]
	global_load_ubyte v26, v[26:27], off
.LBB306_17:                             ;   in Loop: Header=BB306_9 Depth=1
	s_or_b64 exec, exec, s[14:15]
	s_waitcnt vmcnt(0)
	v_lshlrev_b16_e32 v25, 8, v25
	v_sub_u16_e32 v23, 0, v23
	v_sub_u16_sdwa v23, v23, v25 dst_sel:DWORD dst_unused:UNUSED_PAD src0_sel:BYTE_0 src1_sel:DWORD
	v_lshlrev_b16_e32 v25, 8, v26
	v_sub_u16_e32 v24, 0, v24
	v_sub_u16_sdwa v24, v24, v25 dst_sel:WORD_1 dst_unused:UNUSED_PAD src0_sel:BYTE_0 src1_sel:DWORD
	v_or_b32_e32 v23, v23, v24
	s_and_saveexec_b64 s[6:7], vcc
	s_cbranch_execnz .LBB306_21
; %bb.18:                               ;   in Loop: Header=BB306_9 Depth=1
	s_or_b64 exec, exec, s[6:7]
	s_and_saveexec_b64 s[6:7], s[0:1]
	s_cbranch_execnz .LBB306_22
.LBB306_19:                             ;   in Loop: Header=BB306_9 Depth=1
	s_or_b64 exec, exec, s[6:7]
	s_and_saveexec_b64 s[0:1], s[2:3]
	s_cbranch_execnz .LBB306_23
.LBB306_20:                             ;   in Loop: Header=BB306_9 Depth=1
	s_or_b64 exec, exec, s[0:1]
	s_and_saveexec_b64 s[0:1], s[4:5]
	s_cbranch_execz .LBB306_8
	s_branch .LBB306_24
.LBB306_21:                             ;   in Loop: Header=BB306_9 Depth=1
	v_mov_b32_e32 v25, s13
	v_add_co_u32_e32 v24, vcc, s12, v3
	v_addc_co_u32_e32 v25, vcc, v4, v25, vcc
	global_store_byte v[24:25], v23, off
	s_or_b64 exec, exec, s[6:7]
	s_and_saveexec_b64 s[6:7], s[0:1]
	s_cbranch_execz .LBB306_19
.LBB306_22:                             ;   in Loop: Header=BB306_9 Depth=1
	v_mov_b32_e32 v25, s13
	v_add_co_u32_e32 v24, vcc, s12, v15
	v_addc_co_u32_e32 v25, vcc, v16, v25, vcc
	v_lshrrev_b32_e32 v26, 8, v23
	global_store_byte v[24:25], v26, off
	s_or_b64 exec, exec, s[6:7]
	s_and_saveexec_b64 s[0:1], s[2:3]
	s_cbranch_execz .LBB306_20
.LBB306_23:                             ;   in Loop: Header=BB306_9 Depth=1
	v_mov_b32_e32 v25, s13
	v_add_co_u32_e32 v24, vcc, s12, v11
	v_addc_co_u32_e32 v25, vcc, v12, v25, vcc
	global_store_byte_d16_hi v[24:25], v23, off
	s_or_b64 exec, exec, s[0:1]
	s_and_saveexec_b64 s[0:1], s[4:5]
	s_cbranch_execz .LBB306_8
.LBB306_24:                             ;   in Loop: Header=BB306_9 Depth=1
	v_mov_b32_e32 v25, s13
	v_add_co_u32_e32 v24, vcc, s12, v7
	v_addc_co_u32_e32 v25, vcc, v8, v25, vcc
	v_lshrrev_b32_e32 v23, 24, v23
	global_store_byte v[24:25], v23, off
	s_branch .LBB306_8
.LBB306_25:
	s_endpgm
	.section	.rodata,"a",@progbits
	.p2align	6, 0x0
	.amdhsa_kernel _ZN2at6native12_GLOBAL__N_125multi_tensor_apply_kernelINS1_18TensorListMetadataILi2EEENS1_14UnaryOpFunctorIaLi2ELi1ELi1EEEJSt6negateIaEEEEvT_T0_DpT1_
		.amdhsa_group_segment_fixed_size 0
		.amdhsa_private_segment_fixed_size 0
		.amdhsa_kernarg_size 3408
		.amdhsa_user_sgpr_count 6
		.amdhsa_user_sgpr_private_segment_buffer 1
		.amdhsa_user_sgpr_dispatch_ptr 0
		.amdhsa_user_sgpr_queue_ptr 0
		.amdhsa_user_sgpr_kernarg_segment_ptr 1
		.amdhsa_user_sgpr_dispatch_id 0
		.amdhsa_user_sgpr_flat_scratch_init 0
		.amdhsa_user_sgpr_private_segment_size 0
		.amdhsa_uses_dynamic_stack 0
		.amdhsa_system_sgpr_private_segment_wavefront_offset 0
		.amdhsa_system_sgpr_workgroup_id_x 1
		.amdhsa_system_sgpr_workgroup_id_y 0
		.amdhsa_system_sgpr_workgroup_id_z 0
		.amdhsa_system_sgpr_workgroup_info 0
		.amdhsa_system_vgpr_workitem_id 0
		.amdhsa_next_free_vgpr 28
		.amdhsa_next_free_sgpr 19
		.amdhsa_reserve_vcc 1
		.amdhsa_reserve_flat_scratch 0
		.amdhsa_float_round_mode_32 0
		.amdhsa_float_round_mode_16_64 0
		.amdhsa_float_denorm_mode_32 3
		.amdhsa_float_denorm_mode_16_64 3
		.amdhsa_dx10_clamp 1
		.amdhsa_ieee_mode 1
		.amdhsa_fp16_overflow 0
		.amdhsa_exception_fp_ieee_invalid_op 0
		.amdhsa_exception_fp_denorm_src 0
		.amdhsa_exception_fp_ieee_div_zero 0
		.amdhsa_exception_fp_ieee_overflow 0
		.amdhsa_exception_fp_ieee_underflow 0
		.amdhsa_exception_fp_ieee_inexact 0
		.amdhsa_exception_int_div_zero 0
	.end_amdhsa_kernel
	.section	.text._ZN2at6native12_GLOBAL__N_125multi_tensor_apply_kernelINS1_18TensorListMetadataILi2EEENS1_14UnaryOpFunctorIaLi2ELi1ELi1EEEJSt6negateIaEEEEvT_T0_DpT1_,"axG",@progbits,_ZN2at6native12_GLOBAL__N_125multi_tensor_apply_kernelINS1_18TensorListMetadataILi2EEENS1_14UnaryOpFunctorIaLi2ELi1ELi1EEEJSt6negateIaEEEEvT_T0_DpT1_,comdat
.Lfunc_end306:
	.size	_ZN2at6native12_GLOBAL__N_125multi_tensor_apply_kernelINS1_18TensorListMetadataILi2EEENS1_14UnaryOpFunctorIaLi2ELi1ELi1EEEJSt6negateIaEEEEvT_T0_DpT1_, .Lfunc_end306-_ZN2at6native12_GLOBAL__N_125multi_tensor_apply_kernelINS1_18TensorListMetadataILi2EEENS1_14UnaryOpFunctorIaLi2ELi1ELi1EEEJSt6negateIaEEEEvT_T0_DpT1_
                                        ; -- End function
	.set _ZN2at6native12_GLOBAL__N_125multi_tensor_apply_kernelINS1_18TensorListMetadataILi2EEENS1_14UnaryOpFunctorIaLi2ELi1ELi1EEEJSt6negateIaEEEEvT_T0_DpT1_.num_vgpr, 28
	.set _ZN2at6native12_GLOBAL__N_125multi_tensor_apply_kernelINS1_18TensorListMetadataILi2EEENS1_14UnaryOpFunctorIaLi2ELi1ELi1EEEJSt6negateIaEEEEvT_T0_DpT1_.num_agpr, 0
	.set _ZN2at6native12_GLOBAL__N_125multi_tensor_apply_kernelINS1_18TensorListMetadataILi2EEENS1_14UnaryOpFunctorIaLi2ELi1ELi1EEEJSt6negateIaEEEEvT_T0_DpT1_.numbered_sgpr, 19
	.set _ZN2at6native12_GLOBAL__N_125multi_tensor_apply_kernelINS1_18TensorListMetadataILi2EEENS1_14UnaryOpFunctorIaLi2ELi1ELi1EEEJSt6negateIaEEEEvT_T0_DpT1_.num_named_barrier, 0
	.set _ZN2at6native12_GLOBAL__N_125multi_tensor_apply_kernelINS1_18TensorListMetadataILi2EEENS1_14UnaryOpFunctorIaLi2ELi1ELi1EEEJSt6negateIaEEEEvT_T0_DpT1_.private_seg_size, 0
	.set _ZN2at6native12_GLOBAL__N_125multi_tensor_apply_kernelINS1_18TensorListMetadataILi2EEENS1_14UnaryOpFunctorIaLi2ELi1ELi1EEEJSt6negateIaEEEEvT_T0_DpT1_.uses_vcc, 1
	.set _ZN2at6native12_GLOBAL__N_125multi_tensor_apply_kernelINS1_18TensorListMetadataILi2EEENS1_14UnaryOpFunctorIaLi2ELi1ELi1EEEJSt6negateIaEEEEvT_T0_DpT1_.uses_flat_scratch, 0
	.set _ZN2at6native12_GLOBAL__N_125multi_tensor_apply_kernelINS1_18TensorListMetadataILi2EEENS1_14UnaryOpFunctorIaLi2ELi1ELi1EEEJSt6negateIaEEEEvT_T0_DpT1_.has_dyn_sized_stack, 0
	.set _ZN2at6native12_GLOBAL__N_125multi_tensor_apply_kernelINS1_18TensorListMetadataILi2EEENS1_14UnaryOpFunctorIaLi2ELi1ELi1EEEJSt6negateIaEEEEvT_T0_DpT1_.has_recursion, 0
	.set _ZN2at6native12_GLOBAL__N_125multi_tensor_apply_kernelINS1_18TensorListMetadataILi2EEENS1_14UnaryOpFunctorIaLi2ELi1ELi1EEEJSt6negateIaEEEEvT_T0_DpT1_.has_indirect_call, 0
	.section	.AMDGPU.csdata,"",@progbits
; Kernel info:
; codeLenInByte = 1216
; TotalNumSgprs: 23
; NumVgprs: 28
; ScratchSize: 0
; MemoryBound: 0
; FloatMode: 240
; IeeeMode: 1
; LDSByteSize: 0 bytes/workgroup (compile time only)
; SGPRBlocks: 2
; VGPRBlocks: 6
; NumSGPRsForWavesPerEU: 23
; NumVGPRsForWavesPerEU: 28
; Occupancy: 9
; WaveLimiterHint : 0
; COMPUTE_PGM_RSRC2:SCRATCH_EN: 0
; COMPUTE_PGM_RSRC2:USER_SGPR: 6
; COMPUTE_PGM_RSRC2:TRAP_HANDLER: 0
; COMPUTE_PGM_RSRC2:TGID_X_EN: 1
; COMPUTE_PGM_RSRC2:TGID_Y_EN: 0
; COMPUTE_PGM_RSRC2:TGID_Z_EN: 0
; COMPUTE_PGM_RSRC2:TIDIG_COMP_CNT: 0
	.section	.text._ZN2at6native12_GLOBAL__N_125multi_tensor_apply_kernelINS1_18TensorListMetadataILi2EEENS1_14UnaryOpFunctorIiLi2ELi1ELi1EEEJSt6negateIiEEEEvT_T0_DpT1_,"axG",@progbits,_ZN2at6native12_GLOBAL__N_125multi_tensor_apply_kernelINS1_18TensorListMetadataILi2EEENS1_14UnaryOpFunctorIiLi2ELi1ELi1EEEJSt6negateIiEEEEvT_T0_DpT1_,comdat
	.globl	_ZN2at6native12_GLOBAL__N_125multi_tensor_apply_kernelINS1_18TensorListMetadataILi2EEENS1_14UnaryOpFunctorIiLi2ELi1ELi1EEEJSt6negateIiEEEEvT_T0_DpT1_ ; -- Begin function _ZN2at6native12_GLOBAL__N_125multi_tensor_apply_kernelINS1_18TensorListMetadataILi2EEENS1_14UnaryOpFunctorIiLi2ELi1ELi1EEEJSt6negateIiEEEEvT_T0_DpT1_
	.p2align	8
	.type	_ZN2at6native12_GLOBAL__N_125multi_tensor_apply_kernelINS1_18TensorListMetadataILi2EEENS1_14UnaryOpFunctorIiLi2ELi1ELi1EEEJSt6negateIiEEEEvT_T0_DpT1_,@function
_ZN2at6native12_GLOBAL__N_125multi_tensor_apply_kernelINS1_18TensorListMetadataILi2EEENS1_14UnaryOpFunctorIiLi2ELi1ELi1EEEJSt6negateIiEEEEvT_T0_DpT1_: ; @_ZN2at6native12_GLOBAL__N_125multi_tensor_apply_kernelINS1_18TensorListMetadataILi2EEENS1_14UnaryOpFunctorIiLi2ELi1ELi1EEEJSt6negateIiEEEEvT_T0_DpT1_
; %bb.0:
	v_mov_b32_e32 v1, s6
	global_load_ubyte v1, v1, s[4:5] offset:1536
	s_add_u32 s0, s4, s6
	s_mul_hi_u32 s1, s6, 3
	s_mul_i32 s6, s6, 3
	s_addc_u32 s2, s5, 0
	s_add_u32 s0, s0, s6
	s_addc_u32 s1, s2, s1
	s_load_dword s6, s[0:1], 0x740
	s_mov_b32 s11, 0
	s_mov_b32 s13, s11
	s_waitcnt vmcnt(0)
	v_readfirstlane_b32 s0, v1
	s_lshl_b32 s7, s0, 3
	s_load_dwordx2 s[14:15], s[4:5], s7 offset:0x400
	s_load_dwordx2 s[2:3], s[4:5], s7 offset:0x0
	;; [unrolled: 1-line block ×3, first 2 shown]
	s_waitcnt lgkmcnt(0)
	s_ashr_i32 s7, s6, 31
	s_lshl_b64 s[8:9], s[6:7], 18
	s_lshl_b64 s[6:7], s[6:7], 16
	s_add_u32 s10, s2, s8
	s_and_b32 s12, s0, 15
	s_and_b32 s10, s10, 15
	s_sub_u32 s6, s14, s6
	s_subb_u32 s7, s15, s7
	s_and_b32 s14, s14, 3
	s_mov_b32 s15, s11
	s_or_b64 s[12:13], s[12:13], s[14:15]
	s_or_b64 s[10:11], s[12:13], s[10:11]
	s_cmp_eq_u64 s[10:11], 0
	s_mov_b64 s[10:11], -1
	s_cbranch_scc0 .LBB307_5
; %bb.1:
	v_mov_b32_e32 v1, 0x10000
	v_mov_b32_e32 v2, 0
	v_cmp_lt_i64_e32 vcc, s[6:7], v[1:2]
	v_mov_b32_e32 v2, 0
	s_and_b64 s[10:11], vcc, exec
	s_cselect_b32 s11, s7, 0
	s_cselect_b32 s10, s6, 0x10000
	v_lshlrev_b32_e32 v1, 2, v0
	v_cmp_gt_i64_e32 vcc, s[10:11], v[1:2]
	s_and_saveexec_b64 s[12:13], vcc
	s_cbranch_execz .LBB307_4
; %bb.2:
	s_load_dword s14, s[4:5], 0xc5c
	v_mov_b32_e32 v1, v2
	v_lshlrev_b32_e32 v2, 4, v0
	v_mov_b32_e32 v4, s9
	v_add_co_u32_e32 v3, vcc, s8, v2
	s_waitcnt lgkmcnt(0)
	s_and_b32 s16, s14, 0xffff
	v_mov_b32_e32 v2, v1
	v_addc_co_u32_e32 v4, vcc, 0, v4, vcc
	s_lshl_b32 s17, s16, 4
	s_mov_b64 s[14:15], 0
	v_mov_b32_e32 v5, s3
	v_mov_b32_e32 v6, s1
	;; [unrolled: 1-line block ×3, first 2 shown]
.LBB307_3:                              ; =>This Inner Loop Header: Depth=1
	v_add_co_u32_e32 v7, vcc, s2, v3
	v_addc_co_u32_e32 v8, vcc, v5, v4, vcc
	global_load_dwordx4 v[7:10], v[7:8], off
	v_add_co_u32_e32 v11, vcc, s0, v3
	v_addc_co_u32_e32 v12, vcc, v6, v4, vcc
	v_add_co_u32_e32 v1, vcc, s16, v1
	v_addc_co_u32_e32 v2, vcc, 0, v2, vcc
	v_add_co_u32_e32 v3, vcc, s17, v3
	v_lshlrev_b64 v[13:14], 2, v[1:2]
	v_addc_co_u32_e32 v4, vcc, 0, v4, vcc
	v_cmp_le_i64_e32 vcc, s[10:11], v[13:14]
	s_or_b64 s[14:15], vcc, s[14:15]
	s_waitcnt vmcnt(0)
	v_sub_u32_e32 v7, 0, v7
	v_sub_u32_e32 v8, 0, v8
	;; [unrolled: 1-line block ×4, first 2 shown]
	global_store_dwordx4 v[11:12], v[7:10], off
	s_andn2_b64 exec, exec, s[14:15]
	s_cbranch_execnz .LBB307_3
.LBB307_4:
	s_or_b64 exec, exec, s[12:13]
	s_mov_b64 s[10:11], 0
.LBB307_5:
	s_andn2_b64 vcc, exec, s[10:11]
	s_cbranch_vccnz .LBB307_25
; %bb.6:
	v_cmp_lt_i64_e64 s[10:11], s[6:7], 1
	s_and_b64 vcc, exec, s[10:11]
	s_cbranch_vccnz .LBB307_25
; %bb.7:
	v_mov_b32_e32 v1, 0x10000
	s_load_dword s12, s[4:5], 0xc5c
	v_mov_b32_e32 v2, 0
	v_cmp_lt_i64_e32 vcc, s[6:7], v[1:2]
	v_mov_b32_e32 v10, 0
	s_and_b64 s[4:5], vcc, exec
	v_cmp_lt_u64_e32 vcc, s[6:7], v[1:2]
	s_cselect_b32 s11, s7, 0
	s_cselect_b32 s10, s6, 0x10000
	s_waitcnt lgkmcnt(0)
	s_and_b32 s14, s12, 0xffff
	v_lshlrev_b32_e32 v9, 2, v0
	s_and_b64 s[4:5], vcc, exec
	v_mov_b32_e32 v2, s3
	v_add_co_u32_e32 v1, vcc, s2, v9
	v_mad_u64_u32 v[7:8], s[4:5], s14, 12, v[9:10]
	v_addc_co_u32_e32 v2, vcc, 0, v2, vcc
	v_mov_b32_e32 v4, s1
	v_add_co_u32_e32 v3, vcc, s0, v9
	v_addc_co_u32_e32 v4, vcc, 0, v4, vcc
	v_mov_b32_e32 v6, s3
	v_add_co_u32_e32 v5, vcc, s2, v7
	;; [unrolled: 3-line block ×3, first 2 shown]
	s_cselect_b32 s13, s7, 0
	s_cselect_b32 s12, s6, 0x10000
	v_addc_co_u32_e32 v8, vcc, v10, v8, vcc
	s_lshl_b32 s4, s14, 3
	v_add_co_u32_e32 v11, vcc, s4, v9
	v_addc_co_u32_e64 v12, s[4:5], 0, 0, vcc
	v_mov_b32_e32 v10, s3
	v_add_co_u32_e32 v9, vcc, s2, v11
	v_addc_co_u32_e32 v10, vcc, v10, v12, vcc
	v_mov_b32_e32 v13, s1
	v_add_co_u32_e32 v11, vcc, s0, v11
	v_addc_co_u32_e32 v12, vcc, v13, v12, vcc
	v_add_co_u32_e32 v13, vcc, s14, v0
	v_lshlrev_b32_e32 v17, 2, v13
	v_addc_co_u32_e64 v14, s[4:5], 0, 0, vcc
	v_mov_b32_e32 v16, s3
	v_add_co_u32_e32 v15, vcc, s2, v17
	v_addc_co_u32_e32 v16, vcc, 0, v16, vcc
	v_mov_b32_e32 v18, s1
	v_add_co_u32_e32 v17, vcc, s0, v17
	s_mul_i32 s7, s14, 3
	v_addc_co_u32_e32 v18, vcc, 0, v18, vcc
	s_lshl_b32 s6, s14, 1
	v_add_co_u32_e32 v19, vcc, s7, v0
	v_addc_co_u32_e64 v20, s[0:1], 0, 0, vcc
	v_add_co_u32_e32 v21, vcc, s6, v0
	s_lshl_b32 s18, s14, 2
	s_lshl_b32 s19, s14, 4
	s_mov_b64 s[14:15], 0
	v_addc_co_u32_e64 v22, s[0:1], 0, 0, vcc
	s_branch .LBB307_9
.LBB307_8:                              ;   in Loop: Header=BB307_9 Depth=1
	s_or_b64 exec, exec, s[0:1]
	v_add_co_u32_e32 v1, vcc, s19, v1
	v_addc_co_u32_e32 v2, vcc, 0, v2, vcc
	v_add_co_u32_e32 v3, vcc, s19, v3
	v_addc_co_u32_e32 v4, vcc, 0, v4, vcc
	;; [unrolled: 2-line block ×6, first 2 shown]
	s_add_u32 s14, s14, s18
	v_add_co_u32_e32 v15, vcc, s19, v15
	s_waitcnt vmcnt(0)
	v_mov_b32_e32 v24, s11
	s_addc_u32 s15, s15, 0
	v_addc_co_u32_e32 v16, vcc, 0, v16, vcc
	v_mov_b32_e32 v23, s10
	v_cmp_ge_i64_e32 vcc, s[14:15], v[23:24]
	v_add_co_u32_e64 v17, s[0:1], s19, v17
	v_addc_co_u32_e64 v18, s[0:1], 0, v18, s[0:1]
	s_cbranch_vccnz .LBB307_25
.LBB307_9:                              ; =>This Inner Loop Header: Depth=1
	v_mov_b32_e32 v24, s15
	v_add_co_u32_e32 v23, vcc, s14, v0
	v_addc_co_u32_e32 v24, vcc, 0, v24, vcc
	v_cmp_gt_u64_e32 vcc, s[12:13], v[23:24]
	v_mov_b32_e32 v24, 0
	s_and_saveexec_b64 s[2:3], vcc
	s_cbranch_execz .LBB307_11
; %bb.10:                               ;   in Loop: Header=BB307_9 Depth=1
	v_mov_b32_e32 v24, s9
	v_add_co_u32_e64 v23, s[0:1], s8, v1
	v_addc_co_u32_e64 v24, s[0:1], v2, v24, s[0:1]
	global_load_dword v24, v[23:24], off
.LBB307_11:                             ;   in Loop: Header=BB307_9 Depth=1
	s_or_b64 exec, exec, s[2:3]
	v_mov_b32_e32 v23, s15
	v_add_co_u32_e64 v25, s[0:1], s14, v13
	v_addc_co_u32_e64 v26, s[0:1], v14, v23, s[0:1]
	v_cmp_gt_u64_e64 s[0:1], s[12:13], v[25:26]
	v_mov_b32_e32 v23, 0
	v_mov_b32_e32 v25, 0
	s_and_saveexec_b64 s[4:5], s[0:1]
	s_cbranch_execz .LBB307_13
; %bb.12:                               ;   in Loop: Header=BB307_9 Depth=1
	v_mov_b32_e32 v26, s9
	v_add_co_u32_e64 v25, s[2:3], s8, v15
	v_addc_co_u32_e64 v26, s[2:3], v16, v26, s[2:3]
	global_load_dword v25, v[25:26], off
.LBB307_13:                             ;   in Loop: Header=BB307_9 Depth=1
	s_or_b64 exec, exec, s[4:5]
	v_mov_b32_e32 v27, s15
	v_add_co_u32_e64 v26, s[2:3], s14, v21
	v_addc_co_u32_e64 v27, s[2:3], v22, v27, s[2:3]
	v_cmp_gt_u64_e64 s[2:3], s[12:13], v[26:27]
	s_and_saveexec_b64 s[6:7], s[2:3]
	s_cbranch_execz .LBB307_15
; %bb.14:                               ;   in Loop: Header=BB307_9 Depth=1
	v_mov_b32_e32 v23, s9
	v_add_co_u32_e64 v26, s[4:5], s8, v9
	v_addc_co_u32_e64 v27, s[4:5], v10, v23, s[4:5]
	global_load_dword v23, v[26:27], off
.LBB307_15:                             ;   in Loop: Header=BB307_9 Depth=1
	s_or_b64 exec, exec, s[6:7]
	v_mov_b32_e32 v27, s15
	v_add_co_u32_e64 v26, s[4:5], s14, v19
	v_addc_co_u32_e64 v27, s[4:5], v20, v27, s[4:5]
	v_cmp_gt_u64_e64 s[4:5], s[12:13], v[26:27]
	v_mov_b32_e32 v26, 0
	s_and_saveexec_b64 s[16:17], s[4:5]
	s_cbranch_execnz .LBB307_20
; %bb.16:                               ;   in Loop: Header=BB307_9 Depth=1
	s_or_b64 exec, exec, s[16:17]
	s_and_saveexec_b64 s[6:7], vcc
	s_cbranch_execnz .LBB307_21
.LBB307_17:                             ;   in Loop: Header=BB307_9 Depth=1
	s_or_b64 exec, exec, s[6:7]
	s_and_saveexec_b64 s[6:7], s[0:1]
	s_cbranch_execnz .LBB307_22
.LBB307_18:                             ;   in Loop: Header=BB307_9 Depth=1
	s_or_b64 exec, exec, s[6:7]
	s_and_saveexec_b64 s[0:1], s[2:3]
	s_cbranch_execnz .LBB307_23
.LBB307_19:                             ;   in Loop: Header=BB307_9 Depth=1
	s_or_b64 exec, exec, s[0:1]
	s_and_saveexec_b64 s[0:1], s[4:5]
	s_cbranch_execz .LBB307_8
	s_branch .LBB307_24
.LBB307_20:                             ;   in Loop: Header=BB307_9 Depth=1
	v_mov_b32_e32 v27, s9
	v_add_co_u32_e64 v26, s[6:7], s8, v5
	v_addc_co_u32_e64 v27, s[6:7], v6, v27, s[6:7]
	global_load_dword v26, v[26:27], off
	s_or_b64 exec, exec, s[16:17]
	s_and_saveexec_b64 s[6:7], vcc
	s_cbranch_execz .LBB307_17
.LBB307_21:                             ;   in Loop: Header=BB307_9 Depth=1
	v_mov_b32_e32 v28, s9
	v_add_co_u32_e32 v27, vcc, s8, v3
	v_addc_co_u32_e32 v28, vcc, v4, v28, vcc
	s_waitcnt vmcnt(0)
	v_sub_u32_e32 v24, 0, v24
	global_store_dword v[27:28], v24, off
	s_or_b64 exec, exec, s[6:7]
	s_and_saveexec_b64 s[6:7], s[0:1]
	s_cbranch_execz .LBB307_18
.LBB307_22:                             ;   in Loop: Header=BB307_9 Depth=1
	s_waitcnt vmcnt(0)
	v_sub_u32_e32 v27, 0, v25
	v_mov_b32_e32 v25, s9
	v_add_co_u32_e32 v24, vcc, s8, v17
	v_addc_co_u32_e32 v25, vcc, v18, v25, vcc
	global_store_dword v[24:25], v27, off
	s_or_b64 exec, exec, s[6:7]
	s_and_saveexec_b64 s[0:1], s[2:3]
	s_cbranch_execz .LBB307_19
.LBB307_23:                             ;   in Loop: Header=BB307_9 Depth=1
	s_waitcnt vmcnt(0)
	v_sub_u32_e32 v25, 0, v23
	v_mov_b32_e32 v24, s9
	v_add_co_u32_e32 v23, vcc, s8, v11
	v_addc_co_u32_e32 v24, vcc, v12, v24, vcc
	global_store_dword v[23:24], v25, off
	s_or_b64 exec, exec, s[0:1]
	s_and_saveexec_b64 s[0:1], s[4:5]
	s_cbranch_execz .LBB307_8
.LBB307_24:                             ;   in Loop: Header=BB307_9 Depth=1
	s_waitcnt vmcnt(0)
	v_mov_b32_e32 v24, s9
	v_add_co_u32_e32 v23, vcc, s8, v7
	v_sub_u32_e32 v25, 0, v26
	v_addc_co_u32_e32 v24, vcc, v8, v24, vcc
	global_store_dword v[23:24], v25, off
	s_branch .LBB307_8
.LBB307_25:
	s_endpgm
	.section	.rodata,"a",@progbits
	.p2align	6, 0x0
	.amdhsa_kernel _ZN2at6native12_GLOBAL__N_125multi_tensor_apply_kernelINS1_18TensorListMetadataILi2EEENS1_14UnaryOpFunctorIiLi2ELi1ELi1EEEJSt6negateIiEEEEvT_T0_DpT1_
		.amdhsa_group_segment_fixed_size 0
		.amdhsa_private_segment_fixed_size 0
		.amdhsa_kernarg_size 3408
		.amdhsa_user_sgpr_count 6
		.amdhsa_user_sgpr_private_segment_buffer 1
		.amdhsa_user_sgpr_dispatch_ptr 0
		.amdhsa_user_sgpr_queue_ptr 0
		.amdhsa_user_sgpr_kernarg_segment_ptr 1
		.amdhsa_user_sgpr_dispatch_id 0
		.amdhsa_user_sgpr_flat_scratch_init 0
		.amdhsa_user_sgpr_private_segment_size 0
		.amdhsa_uses_dynamic_stack 0
		.amdhsa_system_sgpr_private_segment_wavefront_offset 0
		.amdhsa_system_sgpr_workgroup_id_x 1
		.amdhsa_system_sgpr_workgroup_id_y 0
		.amdhsa_system_sgpr_workgroup_id_z 0
		.amdhsa_system_sgpr_workgroup_info 0
		.amdhsa_system_vgpr_workitem_id 0
		.amdhsa_next_free_vgpr 29
		.amdhsa_next_free_sgpr 20
		.amdhsa_reserve_vcc 1
		.amdhsa_reserve_flat_scratch 0
		.amdhsa_float_round_mode_32 0
		.amdhsa_float_round_mode_16_64 0
		.amdhsa_float_denorm_mode_32 3
		.amdhsa_float_denorm_mode_16_64 3
		.amdhsa_dx10_clamp 1
		.amdhsa_ieee_mode 1
		.amdhsa_fp16_overflow 0
		.amdhsa_exception_fp_ieee_invalid_op 0
		.amdhsa_exception_fp_denorm_src 0
		.amdhsa_exception_fp_ieee_div_zero 0
		.amdhsa_exception_fp_ieee_overflow 0
		.amdhsa_exception_fp_ieee_underflow 0
		.amdhsa_exception_fp_ieee_inexact 0
		.amdhsa_exception_int_div_zero 0
	.end_amdhsa_kernel
	.section	.text._ZN2at6native12_GLOBAL__N_125multi_tensor_apply_kernelINS1_18TensorListMetadataILi2EEENS1_14UnaryOpFunctorIiLi2ELi1ELi1EEEJSt6negateIiEEEEvT_T0_DpT1_,"axG",@progbits,_ZN2at6native12_GLOBAL__N_125multi_tensor_apply_kernelINS1_18TensorListMetadataILi2EEENS1_14UnaryOpFunctorIiLi2ELi1ELi1EEEJSt6negateIiEEEEvT_T0_DpT1_,comdat
.Lfunc_end307:
	.size	_ZN2at6native12_GLOBAL__N_125multi_tensor_apply_kernelINS1_18TensorListMetadataILi2EEENS1_14UnaryOpFunctorIiLi2ELi1ELi1EEEJSt6negateIiEEEEvT_T0_DpT1_, .Lfunc_end307-_ZN2at6native12_GLOBAL__N_125multi_tensor_apply_kernelINS1_18TensorListMetadataILi2EEENS1_14UnaryOpFunctorIiLi2ELi1ELi1EEEJSt6negateIiEEEEvT_T0_DpT1_
                                        ; -- End function
	.set _ZN2at6native12_GLOBAL__N_125multi_tensor_apply_kernelINS1_18TensorListMetadataILi2EEENS1_14UnaryOpFunctorIiLi2ELi1ELi1EEEJSt6negateIiEEEEvT_T0_DpT1_.num_vgpr, 29
	.set _ZN2at6native12_GLOBAL__N_125multi_tensor_apply_kernelINS1_18TensorListMetadataILi2EEENS1_14UnaryOpFunctorIiLi2ELi1ELi1EEEJSt6negateIiEEEEvT_T0_DpT1_.num_agpr, 0
	.set _ZN2at6native12_GLOBAL__N_125multi_tensor_apply_kernelINS1_18TensorListMetadataILi2EEENS1_14UnaryOpFunctorIiLi2ELi1ELi1EEEJSt6negateIiEEEEvT_T0_DpT1_.numbered_sgpr, 20
	.set _ZN2at6native12_GLOBAL__N_125multi_tensor_apply_kernelINS1_18TensorListMetadataILi2EEENS1_14UnaryOpFunctorIiLi2ELi1ELi1EEEJSt6negateIiEEEEvT_T0_DpT1_.num_named_barrier, 0
	.set _ZN2at6native12_GLOBAL__N_125multi_tensor_apply_kernelINS1_18TensorListMetadataILi2EEENS1_14UnaryOpFunctorIiLi2ELi1ELi1EEEJSt6negateIiEEEEvT_T0_DpT1_.private_seg_size, 0
	.set _ZN2at6native12_GLOBAL__N_125multi_tensor_apply_kernelINS1_18TensorListMetadataILi2EEENS1_14UnaryOpFunctorIiLi2ELi1ELi1EEEJSt6negateIiEEEEvT_T0_DpT1_.uses_vcc, 1
	.set _ZN2at6native12_GLOBAL__N_125multi_tensor_apply_kernelINS1_18TensorListMetadataILi2EEENS1_14UnaryOpFunctorIiLi2ELi1ELi1EEEJSt6negateIiEEEEvT_T0_DpT1_.uses_flat_scratch, 0
	.set _ZN2at6native12_GLOBAL__N_125multi_tensor_apply_kernelINS1_18TensorListMetadataILi2EEENS1_14UnaryOpFunctorIiLi2ELi1ELi1EEEJSt6negateIiEEEEvT_T0_DpT1_.has_dyn_sized_stack, 0
	.set _ZN2at6native12_GLOBAL__N_125multi_tensor_apply_kernelINS1_18TensorListMetadataILi2EEENS1_14UnaryOpFunctorIiLi2ELi1ELi1EEEJSt6negateIiEEEEvT_T0_DpT1_.has_recursion, 0
	.set _ZN2at6native12_GLOBAL__N_125multi_tensor_apply_kernelINS1_18TensorListMetadataILi2EEENS1_14UnaryOpFunctorIiLi2ELi1ELi1EEEJSt6negateIiEEEEvT_T0_DpT1_.has_indirect_call, 0
	.section	.AMDGPU.csdata,"",@progbits
; Kernel info:
; codeLenInByte = 1252
; TotalNumSgprs: 24
; NumVgprs: 29
; ScratchSize: 0
; MemoryBound: 0
; FloatMode: 240
; IeeeMode: 1
; LDSByteSize: 0 bytes/workgroup (compile time only)
; SGPRBlocks: 2
; VGPRBlocks: 7
; NumSGPRsForWavesPerEU: 24
; NumVGPRsForWavesPerEU: 29
; Occupancy: 8
; WaveLimiterHint : 0
; COMPUTE_PGM_RSRC2:SCRATCH_EN: 0
; COMPUTE_PGM_RSRC2:USER_SGPR: 6
; COMPUTE_PGM_RSRC2:TRAP_HANDLER: 0
; COMPUTE_PGM_RSRC2:TGID_X_EN: 1
; COMPUTE_PGM_RSRC2:TGID_Y_EN: 0
; COMPUTE_PGM_RSRC2:TGID_Z_EN: 0
; COMPUTE_PGM_RSRC2:TIDIG_COMP_CNT: 0
	.section	.text._ZN2at6native12_GLOBAL__N_125multi_tensor_apply_kernelINS1_18TensorListMetadataILi2EEENS1_14UnaryOpFunctorIlLi2ELi1ELi1EEEJSt6negateIlEEEEvT_T0_DpT1_,"axG",@progbits,_ZN2at6native12_GLOBAL__N_125multi_tensor_apply_kernelINS1_18TensorListMetadataILi2EEENS1_14UnaryOpFunctorIlLi2ELi1ELi1EEEJSt6negateIlEEEEvT_T0_DpT1_,comdat
	.globl	_ZN2at6native12_GLOBAL__N_125multi_tensor_apply_kernelINS1_18TensorListMetadataILi2EEENS1_14UnaryOpFunctorIlLi2ELi1ELi1EEEJSt6negateIlEEEEvT_T0_DpT1_ ; -- Begin function _ZN2at6native12_GLOBAL__N_125multi_tensor_apply_kernelINS1_18TensorListMetadataILi2EEENS1_14UnaryOpFunctorIlLi2ELi1ELi1EEEJSt6negateIlEEEEvT_T0_DpT1_
	.p2align	8
	.type	_ZN2at6native12_GLOBAL__N_125multi_tensor_apply_kernelINS1_18TensorListMetadataILi2EEENS1_14UnaryOpFunctorIlLi2ELi1ELi1EEEJSt6negateIlEEEEvT_T0_DpT1_,@function
_ZN2at6native12_GLOBAL__N_125multi_tensor_apply_kernelINS1_18TensorListMetadataILi2EEENS1_14UnaryOpFunctorIlLi2ELi1ELi1EEEJSt6negateIlEEEEvT_T0_DpT1_: ; @_ZN2at6native12_GLOBAL__N_125multi_tensor_apply_kernelINS1_18TensorListMetadataILi2EEENS1_14UnaryOpFunctorIlLi2ELi1ELi1EEEJSt6negateIlEEEEvT_T0_DpT1_
; %bb.0:
	v_mov_b32_e32 v1, s6
	global_load_ubyte v1, v1, s[4:5] offset:1536
	s_add_u32 s0, s4, s6
	s_mul_hi_u32 s1, s6, 3
	s_mul_i32 s6, s6, 3
	s_addc_u32 s2, s5, 0
	s_add_u32 s0, s0, s6
	s_addc_u32 s1, s2, s1
	s_load_dword s6, s[0:1], 0x740
	s_mov_b32 s11, 0
	s_mov_b32 s13, s11
	s_waitcnt vmcnt(0)
	v_readfirstlane_b32 s0, v1
	s_lshl_b32 s7, s0, 3
	s_load_dwordx2 s[14:15], s[4:5], s7 offset:0x400
	s_load_dwordx2 s[2:3], s[4:5], s7 offset:0x0
	;; [unrolled: 1-line block ×3, first 2 shown]
	s_waitcnt lgkmcnt(0)
	s_ashr_i32 s7, s6, 31
	s_lshl_b64 s[8:9], s[6:7], 19
	s_lshl_b64 s[6:7], s[6:7], 16
	s_add_u32 s10, s2, s8
	s_and_b32 s12, s0, 31
	s_and_b32 s10, s10, 31
	s_sub_u32 s6, s14, s6
	s_subb_u32 s7, s15, s7
	s_and_b32 s14, s14, 3
	s_mov_b32 s15, s11
	s_or_b64 s[12:13], s[12:13], s[14:15]
	s_or_b64 s[10:11], s[12:13], s[10:11]
	s_cmp_eq_u64 s[10:11], 0
	s_mov_b64 s[10:11], -1
	s_cbranch_scc0 .LBB308_5
; %bb.1:
	v_mov_b32_e32 v1, 0x10000
	v_mov_b32_e32 v2, 0
	v_cmp_lt_i64_e32 vcc, s[6:7], v[1:2]
	v_mov_b32_e32 v2, 0
	s_and_b64 s[10:11], vcc, exec
	s_cselect_b32 s11, s7, 0
	s_cselect_b32 s10, s6, 0x10000
	v_lshlrev_b32_e32 v1, 2, v0
	v_cmp_gt_i64_e32 vcc, s[10:11], v[1:2]
	s_and_saveexec_b64 s[12:13], vcc
	s_cbranch_execz .LBB308_4
; %bb.2:
	s_load_dword s14, s[4:5], 0xc5c
	v_mov_b32_e32 v1, v2
	v_lshlrev_b32_e32 v2, 5, v0
	v_mov_b32_e32 v4, s9
	v_add_co_u32_e32 v3, vcc, s8, v2
	s_waitcnt lgkmcnt(0)
	s_and_b32 s16, s14, 0xffff
	v_mov_b32_e32 v2, v1
	v_addc_co_u32_e32 v4, vcc, 0, v4, vcc
	s_lshl_b32 s17, s16, 5
	s_mov_b64 s[14:15], 0
	v_mov_b32_e32 v5, s3
	v_mov_b32_e32 v6, s1
	v_mov_b32_e32 v1, v0
.LBB308_3:                              ; =>This Inner Loop Header: Depth=1
	v_add_co_u32_e32 v15, vcc, s2, v3
	v_addc_co_u32_e32 v16, vcc, v5, v4, vcc
	global_load_dwordx4 v[7:10], v[15:16], off
	global_load_dwordx4 v[11:14], v[15:16], off offset:16
	v_add_co_u32_e32 v15, vcc, s0, v3
	v_addc_co_u32_e32 v16, vcc, v6, v4, vcc
	v_add_co_u32_e32 v1, vcc, s16, v1
	v_addc_co_u32_e32 v2, vcc, 0, v2, vcc
	v_add_co_u32_e32 v3, vcc, s17, v3
	v_lshlrev_b64 v[17:18], 2, v[1:2]
	v_addc_co_u32_e32 v4, vcc, 0, v4, vcc
	v_cmp_le_i64_e32 vcc, s[10:11], v[17:18]
	s_or_b64 s[14:15], vcc, s[14:15]
	s_waitcnt vmcnt(1)
	v_sub_co_u32_e32 v7, vcc, 0, v7
	v_subb_co_u32_e32 v8, vcc, 0, v8, vcc
	v_sub_co_u32_e32 v9, vcc, 0, v9
	v_subb_co_u32_e32 v10, vcc, 0, v10, vcc
	s_waitcnt vmcnt(0)
	v_sub_co_u32_e32 v11, vcc, 0, v11
	v_subb_co_u32_e32 v12, vcc, 0, v12, vcc
	v_sub_co_u32_e32 v13, vcc, 0, v13
	v_subb_co_u32_e32 v14, vcc, 0, v14, vcc
	global_store_dwordx4 v[15:16], v[7:10], off
	global_store_dwordx4 v[15:16], v[11:14], off offset:16
	s_andn2_b64 exec, exec, s[14:15]
	s_cbranch_execnz .LBB308_3
.LBB308_4:
	s_or_b64 exec, exec, s[12:13]
	s_mov_b64 s[10:11], 0
.LBB308_5:
	s_andn2_b64 vcc, exec, s[10:11]
	s_cbranch_vccnz .LBB308_25
; %bb.6:
	v_cmp_lt_i64_e64 s[10:11], s[6:7], 1
	s_and_b64 vcc, exec, s[10:11]
	s_cbranch_vccnz .LBB308_25
; %bb.7:
	v_mov_b32_e32 v1, 0x10000
	s_load_dword s12, s[4:5], 0xc5c
	v_mov_b32_e32 v2, 0
	v_cmp_lt_i64_e32 vcc, s[6:7], v[1:2]
	v_mov_b32_e32 v3, 0
	s_and_b64 s[4:5], vcc, exec
	v_cmp_lt_u64_e32 vcc, s[6:7], v[1:2]
	s_cselect_b32 s11, s7, 0
	s_cselect_b32 s10, s6, 0x10000
	s_waitcnt lgkmcnt(0)
	s_and_b32 s14, s12, 0xffff
	v_lshlrev_b32_e32 v2, 3, v0
	s_and_b64 s[4:5], vcc, exec
	v_mov_b32_e32 v1, s3
	v_add_co_u32_e32 v9, vcc, s2, v2
	v_mad_u64_u32 v[3:4], s[4:5], s14, 24, v[2:3]
	v_addc_co_u32_e32 v10, vcc, 0, v1, vcc
	v_mov_b32_e32 v1, s1
	v_add_co_u32_e32 v11, vcc, s0, v2
	v_addc_co_u32_e32 v12, vcc, 0, v1, vcc
	v_mov_b32_e32 v1, s3
	v_add_co_u32_e32 v13, vcc, s2, v3
	;; [unrolled: 3-line block ×3, first 2 shown]
	s_cselect_b32 s13, s7, 0
	s_cselect_b32 s12, s6, 0x10000
	v_addc_co_u32_e32 v16, vcc, v1, v4, vcc
	s_lshl_b32 s4, s14, 4
	v_add_co_u32_e32 v1, vcc, s4, v2
	v_addc_co_u32_e64 v2, s[4:5], 0, 0, vcc
	v_mov_b32_e32 v3, s3
	v_add_co_u32_e32 v17, vcc, s2, v1
	v_addc_co_u32_e32 v18, vcc, v3, v2, vcc
	v_mov_b32_e32 v3, s1
	v_add_co_u32_e32 v19, vcc, s0, v1
	v_addc_co_u32_e32 v20, vcc, v3, v2, vcc
	v_add_co_u32_e32 v21, vcc, s14, v0
	v_lshlrev_b32_e32 v1, 3, v21
	v_addc_co_u32_e64 v22, s[4:5], 0, 0, vcc
	v_mov_b32_e32 v2, s3
	v_add_co_u32_e32 v23, vcc, s2, v1
	v_addc_co_u32_e32 v24, vcc, 0, v2, vcc
	v_mov_b32_e32 v2, s1
	v_add_co_u32_e32 v25, vcc, s0, v1
	s_mul_i32 s7, s14, 3
	v_addc_co_u32_e32 v26, vcc, 0, v2, vcc
	s_lshl_b32 s6, s14, 1
	v_add_co_u32_e32 v27, vcc, s7, v0
	v_addc_co_u32_e64 v28, s[0:1], 0, 0, vcc
	v_add_co_u32_e32 v29, vcc, s6, v0
	s_lshl_b32 s18, s14, 2
	s_lshl_b32 s19, s14, 5
	s_mov_b64 s[14:15], 0
	v_addc_co_u32_e64 v30, s[0:1], 0, 0, vcc
	s_branch .LBB308_9
.LBB308_8:                              ;   in Loop: Header=BB308_9 Depth=1
	s_or_b64 exec, exec, s[0:1]
	v_add_co_u32_e32 v9, vcc, s19, v9
	v_addc_co_u32_e32 v10, vcc, 0, v10, vcc
	v_add_co_u32_e32 v11, vcc, s19, v11
	v_addc_co_u32_e32 v12, vcc, 0, v12, vcc
	;; [unrolled: 2-line block ×6, first 2 shown]
	s_add_u32 s14, s14, s18
	v_add_co_u32_e32 v23, vcc, s19, v23
	s_waitcnt vmcnt(0)
	v_mov_b32_e32 v1, s10
	s_addc_u32 s15, s15, 0
	v_addc_co_u32_e32 v24, vcc, 0, v24, vcc
	v_mov_b32_e32 v2, s11
	v_cmp_ge_i64_e32 vcc, s[14:15], v[1:2]
	v_add_co_u32_e64 v25, s[0:1], s19, v25
	v_addc_co_u32_e64 v26, s[0:1], 0, v26, s[0:1]
	s_cbranch_vccnz .LBB308_25
.LBB308_9:                              ; =>This Inner Loop Header: Depth=1
	v_mov_b32_e32 v2, s15
	v_add_co_u32_e32 v1, vcc, s14, v0
	v_addc_co_u32_e32 v2, vcc, 0, v2, vcc
	v_cmp_gt_u64_e32 vcc, s[12:13], v[1:2]
	v_mov_b32_e32 v1, 0
	v_mov_b32_e32 v5, 0
	;; [unrolled: 1-line block ×4, first 2 shown]
	s_and_saveexec_b64 s[2:3], vcc
	s_cbranch_execz .LBB308_11
; %bb.10:                               ;   in Loop: Header=BB308_9 Depth=1
	v_mov_b32_e32 v4, s9
	v_add_co_u32_e64 v3, s[0:1], s8, v9
	v_addc_co_u32_e64 v4, s[0:1], v10, v4, s[0:1]
	global_load_dwordx2 v[5:6], v[3:4], off
.LBB308_11:                             ;   in Loop: Header=BB308_9 Depth=1
	s_or_b64 exec, exec, s[2:3]
	v_mov_b32_e32 v4, s15
	v_add_co_u32_e64 v3, s[0:1], s14, v21
	v_addc_co_u32_e64 v4, s[0:1], v22, v4, s[0:1]
	v_cmp_gt_u64_e64 s[0:1], s[12:13], v[3:4]
	s_and_saveexec_b64 s[4:5], s[0:1]
	s_cbranch_execz .LBB308_13
; %bb.12:                               ;   in Loop: Header=BB308_9 Depth=1
	v_mov_b32_e32 v2, s9
	v_add_co_u32_e64 v1, s[2:3], s8, v23
	v_addc_co_u32_e64 v2, s[2:3], v24, v2, s[2:3]
	global_load_dwordx2 v[1:2], v[1:2], off
.LBB308_13:                             ;   in Loop: Header=BB308_9 Depth=1
	s_or_b64 exec, exec, s[4:5]
	v_mov_b32_e32 v4, s15
	v_add_co_u32_e64 v3, s[2:3], s14, v29
	v_addc_co_u32_e64 v4, s[2:3], v30, v4, s[2:3]
	v_cmp_gt_u64_e64 s[2:3], s[12:13], v[3:4]
	v_mov_b32_e32 v3, 0
	v_mov_b32_e32 v7, 0
	;; [unrolled: 1-line block ×4, first 2 shown]
	s_and_saveexec_b64 s[6:7], s[2:3]
	s_cbranch_execz .LBB308_15
; %bb.14:                               ;   in Loop: Header=BB308_9 Depth=1
	v_mov_b32_e32 v8, s9
	v_add_co_u32_e64 v7, s[4:5], s8, v17
	v_addc_co_u32_e64 v8, s[4:5], v18, v8, s[4:5]
	global_load_dwordx2 v[7:8], v[7:8], off
.LBB308_15:                             ;   in Loop: Header=BB308_9 Depth=1
	s_or_b64 exec, exec, s[6:7]
	v_mov_b32_e32 v32, s15
	v_add_co_u32_e64 v31, s[4:5], s14, v27
	v_addc_co_u32_e64 v32, s[4:5], v28, v32, s[4:5]
	v_cmp_gt_u64_e64 s[4:5], s[12:13], v[31:32]
	s_and_saveexec_b64 s[16:17], s[4:5]
	s_cbranch_execnz .LBB308_20
; %bb.16:                               ;   in Loop: Header=BB308_9 Depth=1
	s_or_b64 exec, exec, s[16:17]
	s_and_saveexec_b64 s[6:7], vcc
	s_cbranch_execnz .LBB308_21
.LBB308_17:                             ;   in Loop: Header=BB308_9 Depth=1
	s_or_b64 exec, exec, s[6:7]
	s_and_saveexec_b64 s[6:7], s[0:1]
	s_cbranch_execnz .LBB308_22
.LBB308_18:                             ;   in Loop: Header=BB308_9 Depth=1
	s_or_b64 exec, exec, s[6:7]
	s_and_saveexec_b64 s[0:1], s[2:3]
	s_cbranch_execnz .LBB308_23
.LBB308_19:                             ;   in Loop: Header=BB308_9 Depth=1
	s_or_b64 exec, exec, s[0:1]
	s_and_saveexec_b64 s[0:1], s[4:5]
	s_cbranch_execz .LBB308_8
	s_branch .LBB308_24
.LBB308_20:                             ;   in Loop: Header=BB308_9 Depth=1
	v_mov_b32_e32 v4, s9
	v_add_co_u32_e64 v3, s[6:7], s8, v13
	v_addc_co_u32_e64 v4, s[6:7], v14, v4, s[6:7]
	global_load_dwordx2 v[3:4], v[3:4], off
	s_or_b64 exec, exec, s[16:17]
	s_and_saveexec_b64 s[6:7], vcc
	s_cbranch_execz .LBB308_17
.LBB308_21:                             ;   in Loop: Header=BB308_9 Depth=1
	v_mov_b32_e32 v32, s9
	v_add_co_u32_e32 v31, vcc, s8, v11
	v_addc_co_u32_e32 v32, vcc, v12, v32, vcc
	s_waitcnt vmcnt(0)
	v_sub_co_u32_e32 v5, vcc, 0, v5
	v_subb_co_u32_e32 v6, vcc, 0, v6, vcc
	global_store_dwordx2 v[31:32], v[5:6], off
	s_or_b64 exec, exec, s[6:7]
	s_and_saveexec_b64 s[6:7], s[0:1]
	s_cbranch_execz .LBB308_18
.LBB308_22:                             ;   in Loop: Header=BB308_9 Depth=1
	s_waitcnt vmcnt(0)
	v_sub_co_u32_e32 v1, vcc, 0, v1
	v_subb_co_u32_e32 v2, vcc, 0, v2, vcc
	v_mov_b32_e32 v6, s9
	v_add_co_u32_e32 v5, vcc, s8, v25
	v_addc_co_u32_e32 v6, vcc, v26, v6, vcc
	global_store_dwordx2 v[5:6], v[1:2], off
	s_or_b64 exec, exec, s[6:7]
	s_and_saveexec_b64 s[0:1], s[2:3]
	s_cbranch_execz .LBB308_19
.LBB308_23:                             ;   in Loop: Header=BB308_9 Depth=1
	s_waitcnt vmcnt(0)
	v_sub_co_u32_e32 v1, vcc, 0, v7
	v_subb_co_u32_e32 v2, vcc, 0, v8, vcc
	v_mov_b32_e32 v6, s9
	v_add_co_u32_e32 v5, vcc, s8, v19
	v_addc_co_u32_e32 v6, vcc, v20, v6, vcc
	global_store_dwordx2 v[5:6], v[1:2], off
	s_or_b64 exec, exec, s[0:1]
	s_and_saveexec_b64 s[0:1], s[4:5]
	s_cbranch_execz .LBB308_8
.LBB308_24:                             ;   in Loop: Header=BB308_9 Depth=1
	s_waitcnt vmcnt(0)
	v_sub_co_u32_e32 v1, vcc, 0, v3
	v_subb_co_u32_e32 v2, vcc, 0, v4, vcc
	v_mov_b32_e32 v4, s9
	v_add_co_u32_e32 v3, vcc, s8, v15
	v_addc_co_u32_e32 v4, vcc, v16, v4, vcc
	global_store_dwordx2 v[3:4], v[1:2], off
	s_branch .LBB308_8
.LBB308_25:
	s_endpgm
	.section	.rodata,"a",@progbits
	.p2align	6, 0x0
	.amdhsa_kernel _ZN2at6native12_GLOBAL__N_125multi_tensor_apply_kernelINS1_18TensorListMetadataILi2EEENS1_14UnaryOpFunctorIlLi2ELi1ELi1EEEJSt6negateIlEEEEvT_T0_DpT1_
		.amdhsa_group_segment_fixed_size 0
		.amdhsa_private_segment_fixed_size 0
		.amdhsa_kernarg_size 3408
		.amdhsa_user_sgpr_count 6
		.amdhsa_user_sgpr_private_segment_buffer 1
		.amdhsa_user_sgpr_dispatch_ptr 0
		.amdhsa_user_sgpr_queue_ptr 0
		.amdhsa_user_sgpr_kernarg_segment_ptr 1
		.amdhsa_user_sgpr_dispatch_id 0
		.amdhsa_user_sgpr_flat_scratch_init 0
		.amdhsa_user_sgpr_private_segment_size 0
		.amdhsa_uses_dynamic_stack 0
		.amdhsa_system_sgpr_private_segment_wavefront_offset 0
		.amdhsa_system_sgpr_workgroup_id_x 1
		.amdhsa_system_sgpr_workgroup_id_y 0
		.amdhsa_system_sgpr_workgroup_id_z 0
		.amdhsa_system_sgpr_workgroup_info 0
		.amdhsa_system_vgpr_workitem_id 0
		.amdhsa_next_free_vgpr 33
		.amdhsa_next_free_sgpr 20
		.amdhsa_reserve_vcc 1
		.amdhsa_reserve_flat_scratch 0
		.amdhsa_float_round_mode_32 0
		.amdhsa_float_round_mode_16_64 0
		.amdhsa_float_denorm_mode_32 3
		.amdhsa_float_denorm_mode_16_64 3
		.amdhsa_dx10_clamp 1
		.amdhsa_ieee_mode 1
		.amdhsa_fp16_overflow 0
		.amdhsa_exception_fp_ieee_invalid_op 0
		.amdhsa_exception_fp_denorm_src 0
		.amdhsa_exception_fp_ieee_div_zero 0
		.amdhsa_exception_fp_ieee_overflow 0
		.amdhsa_exception_fp_ieee_underflow 0
		.amdhsa_exception_fp_ieee_inexact 0
		.amdhsa_exception_int_div_zero 0
	.end_amdhsa_kernel
	.section	.text._ZN2at6native12_GLOBAL__N_125multi_tensor_apply_kernelINS1_18TensorListMetadataILi2EEENS1_14UnaryOpFunctorIlLi2ELi1ELi1EEEJSt6negateIlEEEEvT_T0_DpT1_,"axG",@progbits,_ZN2at6native12_GLOBAL__N_125multi_tensor_apply_kernelINS1_18TensorListMetadataILi2EEENS1_14UnaryOpFunctorIlLi2ELi1ELi1EEEJSt6negateIlEEEEvT_T0_DpT1_,comdat
.Lfunc_end308:
	.size	_ZN2at6native12_GLOBAL__N_125multi_tensor_apply_kernelINS1_18TensorListMetadataILi2EEENS1_14UnaryOpFunctorIlLi2ELi1ELi1EEEJSt6negateIlEEEEvT_T0_DpT1_, .Lfunc_end308-_ZN2at6native12_GLOBAL__N_125multi_tensor_apply_kernelINS1_18TensorListMetadataILi2EEENS1_14UnaryOpFunctorIlLi2ELi1ELi1EEEJSt6negateIlEEEEvT_T0_DpT1_
                                        ; -- End function
	.set _ZN2at6native12_GLOBAL__N_125multi_tensor_apply_kernelINS1_18TensorListMetadataILi2EEENS1_14UnaryOpFunctorIlLi2ELi1ELi1EEEJSt6negateIlEEEEvT_T0_DpT1_.num_vgpr, 33
	.set _ZN2at6native12_GLOBAL__N_125multi_tensor_apply_kernelINS1_18TensorListMetadataILi2EEENS1_14UnaryOpFunctorIlLi2ELi1ELi1EEEJSt6negateIlEEEEvT_T0_DpT1_.num_agpr, 0
	.set _ZN2at6native12_GLOBAL__N_125multi_tensor_apply_kernelINS1_18TensorListMetadataILi2EEENS1_14UnaryOpFunctorIlLi2ELi1ELi1EEEJSt6negateIlEEEEvT_T0_DpT1_.numbered_sgpr, 20
	.set _ZN2at6native12_GLOBAL__N_125multi_tensor_apply_kernelINS1_18TensorListMetadataILi2EEENS1_14UnaryOpFunctorIlLi2ELi1ELi1EEEJSt6negateIlEEEEvT_T0_DpT1_.num_named_barrier, 0
	.set _ZN2at6native12_GLOBAL__N_125multi_tensor_apply_kernelINS1_18TensorListMetadataILi2EEENS1_14UnaryOpFunctorIlLi2ELi1ELi1EEEJSt6negateIlEEEEvT_T0_DpT1_.private_seg_size, 0
	.set _ZN2at6native12_GLOBAL__N_125multi_tensor_apply_kernelINS1_18TensorListMetadataILi2EEENS1_14UnaryOpFunctorIlLi2ELi1ELi1EEEJSt6negateIlEEEEvT_T0_DpT1_.uses_vcc, 1
	.set _ZN2at6native12_GLOBAL__N_125multi_tensor_apply_kernelINS1_18TensorListMetadataILi2EEENS1_14UnaryOpFunctorIlLi2ELi1ELi1EEEJSt6negateIlEEEEvT_T0_DpT1_.uses_flat_scratch, 0
	.set _ZN2at6native12_GLOBAL__N_125multi_tensor_apply_kernelINS1_18TensorListMetadataILi2EEENS1_14UnaryOpFunctorIlLi2ELi1ELi1EEEJSt6negateIlEEEEvT_T0_DpT1_.has_dyn_sized_stack, 0
	.set _ZN2at6native12_GLOBAL__N_125multi_tensor_apply_kernelINS1_18TensorListMetadataILi2EEENS1_14UnaryOpFunctorIlLi2ELi1ELi1EEEJSt6negateIlEEEEvT_T0_DpT1_.has_recursion, 0
	.set _ZN2at6native12_GLOBAL__N_125multi_tensor_apply_kernelINS1_18TensorListMetadataILi2EEENS1_14UnaryOpFunctorIlLi2ELi1ELi1EEEJSt6negateIlEEEEvT_T0_DpT1_.has_indirect_call, 0
	.section	.AMDGPU.csdata,"",@progbits
; Kernel info:
; codeLenInByte = 1320
; TotalNumSgprs: 24
; NumVgprs: 33
; ScratchSize: 0
; MemoryBound: 0
; FloatMode: 240
; IeeeMode: 1
; LDSByteSize: 0 bytes/workgroup (compile time only)
; SGPRBlocks: 2
; VGPRBlocks: 8
; NumSGPRsForWavesPerEU: 24
; NumVGPRsForWavesPerEU: 33
; Occupancy: 7
; WaveLimiterHint : 0
; COMPUTE_PGM_RSRC2:SCRATCH_EN: 0
; COMPUTE_PGM_RSRC2:USER_SGPR: 6
; COMPUTE_PGM_RSRC2:TRAP_HANDLER: 0
; COMPUTE_PGM_RSRC2:TGID_X_EN: 1
; COMPUTE_PGM_RSRC2:TGID_Y_EN: 0
; COMPUTE_PGM_RSRC2:TGID_Z_EN: 0
; COMPUTE_PGM_RSRC2:TIDIG_COMP_CNT: 0
	.section	.text._ZN2at6native12_GLOBAL__N_125multi_tensor_apply_kernelINS1_18TensorListMetadataILi2EEENS1_14UnaryOpFunctorIsLi2ELi1ELi1EEEJSt6negateIsEEEEvT_T0_DpT1_,"axG",@progbits,_ZN2at6native12_GLOBAL__N_125multi_tensor_apply_kernelINS1_18TensorListMetadataILi2EEENS1_14UnaryOpFunctorIsLi2ELi1ELi1EEEJSt6negateIsEEEEvT_T0_DpT1_,comdat
	.globl	_ZN2at6native12_GLOBAL__N_125multi_tensor_apply_kernelINS1_18TensorListMetadataILi2EEENS1_14UnaryOpFunctorIsLi2ELi1ELi1EEEJSt6negateIsEEEEvT_T0_DpT1_ ; -- Begin function _ZN2at6native12_GLOBAL__N_125multi_tensor_apply_kernelINS1_18TensorListMetadataILi2EEENS1_14UnaryOpFunctorIsLi2ELi1ELi1EEEJSt6negateIsEEEEvT_T0_DpT1_
	.p2align	8
	.type	_ZN2at6native12_GLOBAL__N_125multi_tensor_apply_kernelINS1_18TensorListMetadataILi2EEENS1_14UnaryOpFunctorIsLi2ELi1ELi1EEEJSt6negateIsEEEEvT_T0_DpT1_,@function
_ZN2at6native12_GLOBAL__N_125multi_tensor_apply_kernelINS1_18TensorListMetadataILi2EEENS1_14UnaryOpFunctorIsLi2ELi1ELi1EEEJSt6negateIsEEEEvT_T0_DpT1_: ; @_ZN2at6native12_GLOBAL__N_125multi_tensor_apply_kernelINS1_18TensorListMetadataILi2EEENS1_14UnaryOpFunctorIsLi2ELi1ELi1EEEJSt6negateIsEEEEvT_T0_DpT1_
; %bb.0:
	v_mov_b32_e32 v1, s6
	global_load_ubyte v1, v1, s[4:5] offset:1536
	s_add_u32 s0, s4, s6
	s_mul_hi_u32 s1, s6, 3
	s_mul_i32 s6, s6, 3
	s_addc_u32 s2, s5, 0
	s_add_u32 s0, s0, s6
	s_addc_u32 s1, s2, s1
	s_load_dword s6, s[0:1], 0x740
	s_mov_b32 s11, 0
	s_mov_b32 s13, s11
	s_waitcnt vmcnt(0)
	v_readfirstlane_b32 s0, v1
	s_lshl_b32 s7, s0, 3
	s_load_dwordx2 s[14:15], s[4:5], s7 offset:0x400
	s_load_dwordx2 s[2:3], s[4:5], s7 offset:0x0
	;; [unrolled: 1-line block ×3, first 2 shown]
	s_waitcnt lgkmcnt(0)
	s_ashr_i32 s7, s6, 31
	s_lshl_b64 s[8:9], s[6:7], 17
	s_lshl_b64 s[6:7], s[6:7], 16
	s_add_u32 s10, s2, s8
	s_and_b32 s12, s0, 7
	s_and_b32 s10, s10, 7
	s_sub_u32 s6, s14, s6
	s_subb_u32 s7, s15, s7
	s_and_b32 s14, s14, 3
	s_mov_b32 s15, s11
	s_or_b64 s[12:13], s[12:13], s[14:15]
	s_or_b64 s[10:11], s[12:13], s[10:11]
	s_cmp_eq_u64 s[10:11], 0
	s_mov_b64 s[10:11], -1
	s_cbranch_scc0 .LBB309_5
; %bb.1:
	v_mov_b32_e32 v1, 0x10000
	v_mov_b32_e32 v2, 0
	v_cmp_lt_i64_e32 vcc, s[6:7], v[1:2]
	v_mov_b32_e32 v2, 0
	s_and_b64 s[10:11], vcc, exec
	s_cselect_b32 s11, s7, 0
	s_cselect_b32 s10, s6, 0x10000
	v_lshlrev_b32_e32 v1, 2, v0
	v_cmp_gt_i64_e32 vcc, s[10:11], v[1:2]
	s_and_saveexec_b64 s[12:13], vcc
	s_cbranch_execz .LBB309_4
; %bb.2:
	s_load_dword s14, s[4:5], 0xc5c
	v_mov_b32_e32 v1, v2
	v_lshlrev_b32_e32 v2, 3, v0
	v_mov_b32_e32 v4, s9
	v_add_co_u32_e32 v3, vcc, s8, v2
	s_waitcnt lgkmcnt(0)
	s_and_b32 s16, s14, 0xffff
	v_mov_b32_e32 v2, v1
	v_addc_co_u32_e32 v4, vcc, 0, v4, vcc
	s_lshl_b32 s17, s16, 3
	s_mov_b64 s[14:15], 0
	v_mov_b32_e32 v5, s3
	v_mov_b32_e32 v6, s1
	;; [unrolled: 1-line block ×3, first 2 shown]
.LBB309_3:                              ; =>This Inner Loop Header: Depth=1
	v_add_co_u32_e32 v7, vcc, s2, v3
	v_addc_co_u32_e32 v8, vcc, v5, v4, vcc
	global_load_dwordx2 v[7:8], v[7:8], off
	v_add_co_u32_e32 v9, vcc, s0, v3
	v_addc_co_u32_e32 v10, vcc, v6, v4, vcc
	v_add_co_u32_e32 v1, vcc, s16, v1
	v_addc_co_u32_e32 v2, vcc, 0, v2, vcc
	v_add_co_u32_e32 v3, vcc, s17, v3
	v_lshlrev_b64 v[11:12], 2, v[1:2]
	v_addc_co_u32_e32 v4, vcc, 0, v4, vcc
	v_cmp_le_i64_e32 vcc, s[10:11], v[11:12]
	s_or_b64 s[14:15], vcc, s[14:15]
	s_waitcnt vmcnt(0)
	v_pk_sub_i16 v8, 0, v8
	v_pk_sub_i16 v7, 0, v7
	global_store_dwordx2 v[9:10], v[7:8], off
	s_andn2_b64 exec, exec, s[14:15]
	s_cbranch_execnz .LBB309_3
.LBB309_4:
	s_or_b64 exec, exec, s[12:13]
	s_mov_b64 s[10:11], 0
.LBB309_5:
	s_andn2_b64 vcc, exec, s[10:11]
	s_cbranch_vccnz .LBB309_25
; %bb.6:
	v_cmp_lt_i64_e64 s[10:11], s[6:7], 1
	s_and_b64 vcc, exec, s[10:11]
	s_cbranch_vccnz .LBB309_25
; %bb.7:
	v_mov_b32_e32 v3, 0x10000
	s_load_dword s12, s[4:5], 0xc5c
	v_mov_b32_e32 v4, 0
	v_cmp_lt_i64_e32 vcc, s[6:7], v[3:4]
	v_mov_b32_e32 v2, 0
	s_and_b64 s[4:5], vcc, exec
	s_cselect_b32 s11, s7, 0
	s_cselect_b32 s10, s6, 0x10000
	s_waitcnt lgkmcnt(0)
	s_and_b32 s14, s12, 0xffff
	v_lshlrev_b32_e32 v1, 1, v0
	v_mad_u64_u32 v[5:6], s[4:5], s14, 6, v[1:2]
	v_cmp_lt_u64_e32 vcc, s[6:7], v[3:4]
	v_mov_b32_e32 v4, s3
	s_and_b64 s[4:5], vcc, exec
	v_add_co_u32_e32 v3, vcc, s2, v5
	v_addc_co_u32_e32 v4, vcc, v4, v6, vcc
	v_mov_b32_e32 v7, s1
	v_add_co_u32_e32 v5, vcc, s0, v5
	s_cselect_b32 s13, s7, 0
	s_cselect_b32 s12, s6, 0x10000
	s_lshl_b32 s19, s14, 2
	v_addc_co_u32_e32 v6, vcc, v7, v6, vcc
	v_add_co_u32_e32 v9, vcc, s19, v1
	v_addc_co_u32_e64 v10, s[4:5], 0, 0, vcc
	v_mov_b32_e32 v8, s3
	v_add_co_u32_e32 v7, vcc, s2, v9
	v_addc_co_u32_e32 v8, vcc, v8, v10, vcc
	v_mov_b32_e32 v11, s1
	v_add_co_u32_e32 v9, vcc, s0, v9
	v_addc_co_u32_e32 v10, vcc, v11, v10, vcc
	;; [unrolled: 3-line block ×4, first 2 shown]
	v_add_co_u32_e32 v14, vcc, s14, v0
	v_lshlrev_b32_e32 v18, 1, v14
	v_addc_co_u32_e64 v15, s[4:5], 0, 0, vcc
	v_mov_b32_e32 v17, s3
	v_add_co_u32_e32 v16, vcc, s2, v18
	v_addc_co_u32_e32 v17, vcc, 0, v17, vcc
	v_mov_b32_e32 v19, s1
	v_add_co_u32_e32 v18, vcc, s0, v18
	s_mul_i32 s7, s14, 3
	v_addc_co_u32_e32 v19, vcc, 0, v19, vcc
	s_lshl_b32 s6, s14, 1
	v_add_co_u32_e32 v20, vcc, s7, v0
	v_addc_co_u32_e64 v21, s[0:1], 0, 0, vcc
	v_add_co_u32_e32 v22, vcc, s6, v0
	s_mov_b32 s18, 0xffff
	s_lshl_b32 s20, s14, 3
	s_mov_b64 s[14:15], 0
	s_mov_b32 s21, 0x5040100
	v_addc_co_u32_e64 v23, s[0:1], 0, 0, vcc
	v_mov_b32_e32 v24, v2
	s_branch .LBB309_9
.LBB309_8:                              ;   in Loop: Header=BB309_9 Depth=1
	s_or_b64 exec, exec, s[0:1]
	v_add_co_u32_e32 v11, vcc, s20, v11
	v_addc_co_u32_e32 v12, vcc, 0, v12, vcc
	v_add_co_u32_e32 v1, vcc, s20, v1
	v_addc_co_u32_e32 v13, vcc, 0, v13, vcc
	;; [unrolled: 2-line block ×6, first 2 shown]
	s_add_u32 s14, s14, s19
	v_add_co_u32_e32 v16, vcc, s20, v16
	v_mov_b32_e32 v26, s11
	s_addc_u32 s15, s15, 0
	v_addc_co_u32_e32 v17, vcc, 0, v17, vcc
	v_mov_b32_e32 v25, s10
	v_cmp_ge_i64_e32 vcc, s[14:15], v[25:26]
	v_add_co_u32_e64 v18, s[0:1], s20, v18
	v_addc_co_u32_e64 v19, s[0:1], 0, v19, s[0:1]
	s_cbranch_vccnz .LBB309_25
.LBB309_9:                              ; =>This Inner Loop Header: Depth=1
	v_mov_b32_e32 v26, s15
	v_add_co_u32_e32 v25, vcc, s14, v0
	v_addc_co_u32_e32 v26, vcc, 0, v26, vcc
	v_cmp_gt_u64_e32 vcc, s[12:13], v[25:26]
	v_and_b32_e32 v2, 0xffff0000, v2
	s_and_saveexec_b64 s[2:3], vcc
	s_cbranch_execz .LBB309_11
; %bb.10:                               ;   in Loop: Header=BB309_9 Depth=1
	v_mov_b32_e32 v26, s9
	v_add_co_u32_e64 v25, s[0:1], s8, v11
	v_addc_co_u32_e64 v26, s[0:1], v12, v26, s[0:1]
	global_load_ushort v25, v[25:26], off
	s_waitcnt vmcnt(0)
	v_bfi_b32 v2, s18, v25, v2
.LBB309_11:                             ;   in Loop: Header=BB309_9 Depth=1
	s_or_b64 exec, exec, s[2:3]
	v_mov_b32_e32 v26, s15
	v_add_co_u32_e64 v25, s[0:1], s14, v14
	v_addc_co_u32_e64 v26, s[0:1], v15, v26, s[0:1]
	v_cmp_gt_u64_e64 s[0:1], s[12:13], v[25:26]
	v_and_b32_e32 v2, 0xffff, v2
	s_and_saveexec_b64 s[4:5], s[0:1]
	s_cbranch_execz .LBB309_13
; %bb.12:                               ;   in Loop: Header=BB309_9 Depth=1
	v_mov_b32_e32 v26, s9
	v_add_co_u32_e64 v25, s[2:3], s8, v16
	v_addc_co_u32_e64 v26, s[2:3], v17, v26, s[2:3]
	global_load_ushort v25, v[25:26], off
	s_waitcnt vmcnt(0)
	v_perm_b32 v2, v25, v2, s21
.LBB309_13:                             ;   in Loop: Header=BB309_9 Depth=1
	s_or_b64 exec, exec, s[4:5]
	v_mov_b32_e32 v26, s15
	v_add_co_u32_e64 v25, s[2:3], s14, v22
	v_addc_co_u32_e64 v26, s[2:3], v23, v26, s[2:3]
	v_cmp_gt_u64_e64 s[2:3], s[12:13], v[25:26]
	v_and_b32_e32 v24, 0xffff0000, v24
	s_and_saveexec_b64 s[6:7], s[2:3]
	s_cbranch_execz .LBB309_15
; %bb.14:                               ;   in Loop: Header=BB309_9 Depth=1
	v_mov_b32_e32 v26, s9
	v_add_co_u32_e64 v25, s[4:5], s8, v7
	v_addc_co_u32_e64 v26, s[4:5], v8, v26, s[4:5]
	global_load_ushort v25, v[25:26], off
	s_waitcnt vmcnt(0)
	v_bfi_b32 v24, s18, v25, v24
.LBB309_15:                             ;   in Loop: Header=BB309_9 Depth=1
	s_or_b64 exec, exec, s[6:7]
	v_mov_b32_e32 v26, s15
	v_add_co_u32_e64 v25, s[4:5], s14, v20
	v_addc_co_u32_e64 v26, s[4:5], v21, v26, s[4:5]
	v_cmp_gt_u64_e64 s[4:5], s[12:13], v[25:26]
	v_and_b32_e32 v24, 0xffff, v24
	s_and_saveexec_b64 s[16:17], s[4:5]
	s_cbranch_execnz .LBB309_20
; %bb.16:                               ;   in Loop: Header=BB309_9 Depth=1
	s_or_b64 exec, exec, s[16:17]
	v_pk_sub_i16 v2, 0, v2
	s_and_saveexec_b64 s[6:7], vcc
	s_cbranch_execnz .LBB309_21
.LBB309_17:                             ;   in Loop: Header=BB309_9 Depth=1
	s_or_b64 exec, exec, s[6:7]
	s_and_saveexec_b64 s[6:7], s[0:1]
	s_cbranch_execnz .LBB309_22
.LBB309_18:                             ;   in Loop: Header=BB309_9 Depth=1
	s_or_b64 exec, exec, s[6:7]
	v_pk_sub_i16 v24, 0, v24
	s_and_saveexec_b64 s[0:1], s[2:3]
	s_cbranch_execnz .LBB309_23
.LBB309_19:                             ;   in Loop: Header=BB309_9 Depth=1
	s_or_b64 exec, exec, s[0:1]
	s_and_saveexec_b64 s[0:1], s[4:5]
	s_cbranch_execz .LBB309_8
	s_branch .LBB309_24
.LBB309_20:                             ;   in Loop: Header=BB309_9 Depth=1
	v_mov_b32_e32 v26, s9
	v_add_co_u32_e64 v25, s[6:7], s8, v3
	v_addc_co_u32_e64 v26, s[6:7], v4, v26, s[6:7]
	global_load_ushort v25, v[25:26], off
	s_waitcnt vmcnt(0)
	v_perm_b32 v24, v25, v24, s21
	s_or_b64 exec, exec, s[16:17]
	v_pk_sub_i16 v2, 0, v2
	s_and_saveexec_b64 s[6:7], vcc
	s_cbranch_execz .LBB309_17
.LBB309_21:                             ;   in Loop: Header=BB309_9 Depth=1
	v_mov_b32_e32 v26, s9
	v_add_co_u32_e32 v25, vcc, s8, v1
	v_addc_co_u32_e32 v26, vcc, v13, v26, vcc
	global_store_short v[25:26], v2, off
	s_or_b64 exec, exec, s[6:7]
	s_and_saveexec_b64 s[6:7], s[0:1]
	s_cbranch_execz .LBB309_18
.LBB309_22:                             ;   in Loop: Header=BB309_9 Depth=1
	v_mov_b32_e32 v26, s9
	v_add_co_u32_e32 v25, vcc, s8, v18
	v_addc_co_u32_e32 v26, vcc, v19, v26, vcc
	global_store_short_d16_hi v[25:26], v2, off
	s_or_b64 exec, exec, s[6:7]
	v_pk_sub_i16 v24, 0, v24
	s_and_saveexec_b64 s[0:1], s[2:3]
	s_cbranch_execz .LBB309_19
.LBB309_23:                             ;   in Loop: Header=BB309_9 Depth=1
	v_mov_b32_e32 v26, s9
	v_add_co_u32_e32 v25, vcc, s8, v9
	v_addc_co_u32_e32 v26, vcc, v10, v26, vcc
	global_store_short v[25:26], v24, off
	s_or_b64 exec, exec, s[0:1]
	s_and_saveexec_b64 s[0:1], s[4:5]
	s_cbranch_execz .LBB309_8
.LBB309_24:                             ;   in Loop: Header=BB309_9 Depth=1
	v_mov_b32_e32 v26, s9
	v_add_co_u32_e32 v25, vcc, s8, v5
	v_addc_co_u32_e32 v26, vcc, v6, v26, vcc
	global_store_short_d16_hi v[25:26], v24, off
	s_branch .LBB309_8
.LBB309_25:
	s_endpgm
	.section	.rodata,"a",@progbits
	.p2align	6, 0x0
	.amdhsa_kernel _ZN2at6native12_GLOBAL__N_125multi_tensor_apply_kernelINS1_18TensorListMetadataILi2EEENS1_14UnaryOpFunctorIsLi2ELi1ELi1EEEJSt6negateIsEEEEvT_T0_DpT1_
		.amdhsa_group_segment_fixed_size 0
		.amdhsa_private_segment_fixed_size 0
		.amdhsa_kernarg_size 3408
		.amdhsa_user_sgpr_count 6
		.amdhsa_user_sgpr_private_segment_buffer 1
		.amdhsa_user_sgpr_dispatch_ptr 0
		.amdhsa_user_sgpr_queue_ptr 0
		.amdhsa_user_sgpr_kernarg_segment_ptr 1
		.amdhsa_user_sgpr_dispatch_id 0
		.amdhsa_user_sgpr_flat_scratch_init 0
		.amdhsa_user_sgpr_private_segment_size 0
		.amdhsa_uses_dynamic_stack 0
		.amdhsa_system_sgpr_private_segment_wavefront_offset 0
		.amdhsa_system_sgpr_workgroup_id_x 1
		.amdhsa_system_sgpr_workgroup_id_y 0
		.amdhsa_system_sgpr_workgroup_id_z 0
		.amdhsa_system_sgpr_workgroup_info 0
		.amdhsa_system_vgpr_workitem_id 0
		.amdhsa_next_free_vgpr 27
		.amdhsa_next_free_sgpr 22
		.amdhsa_reserve_vcc 1
		.amdhsa_reserve_flat_scratch 0
		.amdhsa_float_round_mode_32 0
		.amdhsa_float_round_mode_16_64 0
		.amdhsa_float_denorm_mode_32 3
		.amdhsa_float_denorm_mode_16_64 3
		.amdhsa_dx10_clamp 1
		.amdhsa_ieee_mode 1
		.amdhsa_fp16_overflow 0
		.amdhsa_exception_fp_ieee_invalid_op 0
		.amdhsa_exception_fp_denorm_src 0
		.amdhsa_exception_fp_ieee_div_zero 0
		.amdhsa_exception_fp_ieee_overflow 0
		.amdhsa_exception_fp_ieee_underflow 0
		.amdhsa_exception_fp_ieee_inexact 0
		.amdhsa_exception_int_div_zero 0
	.end_amdhsa_kernel
	.section	.text._ZN2at6native12_GLOBAL__N_125multi_tensor_apply_kernelINS1_18TensorListMetadataILi2EEENS1_14UnaryOpFunctorIsLi2ELi1ELi1EEEJSt6negateIsEEEEvT_T0_DpT1_,"axG",@progbits,_ZN2at6native12_GLOBAL__N_125multi_tensor_apply_kernelINS1_18TensorListMetadataILi2EEENS1_14UnaryOpFunctorIsLi2ELi1ELi1EEEJSt6negateIsEEEEvT_T0_DpT1_,comdat
.Lfunc_end309:
	.size	_ZN2at6native12_GLOBAL__N_125multi_tensor_apply_kernelINS1_18TensorListMetadataILi2EEENS1_14UnaryOpFunctorIsLi2ELi1ELi1EEEJSt6negateIsEEEEvT_T0_DpT1_, .Lfunc_end309-_ZN2at6native12_GLOBAL__N_125multi_tensor_apply_kernelINS1_18TensorListMetadataILi2EEENS1_14UnaryOpFunctorIsLi2ELi1ELi1EEEJSt6negateIsEEEEvT_T0_DpT1_
                                        ; -- End function
	.set _ZN2at6native12_GLOBAL__N_125multi_tensor_apply_kernelINS1_18TensorListMetadataILi2EEENS1_14UnaryOpFunctorIsLi2ELi1ELi1EEEJSt6negateIsEEEEvT_T0_DpT1_.num_vgpr, 27
	.set _ZN2at6native12_GLOBAL__N_125multi_tensor_apply_kernelINS1_18TensorListMetadataILi2EEENS1_14UnaryOpFunctorIsLi2ELi1ELi1EEEJSt6negateIsEEEEvT_T0_DpT1_.num_agpr, 0
	.set _ZN2at6native12_GLOBAL__N_125multi_tensor_apply_kernelINS1_18TensorListMetadataILi2EEENS1_14UnaryOpFunctorIsLi2ELi1ELi1EEEJSt6negateIsEEEEvT_T0_DpT1_.numbered_sgpr, 22
	.set _ZN2at6native12_GLOBAL__N_125multi_tensor_apply_kernelINS1_18TensorListMetadataILi2EEENS1_14UnaryOpFunctorIsLi2ELi1ELi1EEEJSt6negateIsEEEEvT_T0_DpT1_.num_named_barrier, 0
	.set _ZN2at6native12_GLOBAL__N_125multi_tensor_apply_kernelINS1_18TensorListMetadataILi2EEENS1_14UnaryOpFunctorIsLi2ELi1ELi1EEEJSt6negateIsEEEEvT_T0_DpT1_.private_seg_size, 0
	.set _ZN2at6native12_GLOBAL__N_125multi_tensor_apply_kernelINS1_18TensorListMetadataILi2EEENS1_14UnaryOpFunctorIsLi2ELi1ELi1EEEJSt6negateIsEEEEvT_T0_DpT1_.uses_vcc, 1
	.set _ZN2at6native12_GLOBAL__N_125multi_tensor_apply_kernelINS1_18TensorListMetadataILi2EEENS1_14UnaryOpFunctorIsLi2ELi1ELi1EEEJSt6negateIsEEEEvT_T0_DpT1_.uses_flat_scratch, 0
	.set _ZN2at6native12_GLOBAL__N_125multi_tensor_apply_kernelINS1_18TensorListMetadataILi2EEENS1_14UnaryOpFunctorIsLi2ELi1ELi1EEEJSt6negateIsEEEEvT_T0_DpT1_.has_dyn_sized_stack, 0
	.set _ZN2at6native12_GLOBAL__N_125multi_tensor_apply_kernelINS1_18TensorListMetadataILi2EEENS1_14UnaryOpFunctorIsLi2ELi1ELi1EEEJSt6negateIsEEEEvT_T0_DpT1_.has_recursion, 0
	.set _ZN2at6native12_GLOBAL__N_125multi_tensor_apply_kernelINS1_18TensorListMetadataILi2EEENS1_14UnaryOpFunctorIsLi2ELi1ELi1EEEJSt6negateIsEEEEvT_T0_DpT1_.has_indirect_call, 0
	.section	.AMDGPU.csdata,"",@progbits
; Kernel info:
; codeLenInByte = 1328
; TotalNumSgprs: 26
; NumVgprs: 27
; ScratchSize: 0
; MemoryBound: 0
; FloatMode: 240
; IeeeMode: 1
; LDSByteSize: 0 bytes/workgroup (compile time only)
; SGPRBlocks: 3
; VGPRBlocks: 6
; NumSGPRsForWavesPerEU: 26
; NumVGPRsForWavesPerEU: 27
; Occupancy: 9
; WaveLimiterHint : 0
; COMPUTE_PGM_RSRC2:SCRATCH_EN: 0
; COMPUTE_PGM_RSRC2:USER_SGPR: 6
; COMPUTE_PGM_RSRC2:TRAP_HANDLER: 0
; COMPUTE_PGM_RSRC2:TGID_X_EN: 1
; COMPUTE_PGM_RSRC2:TGID_Y_EN: 0
; COMPUTE_PGM_RSRC2:TGID_Z_EN: 0
; COMPUTE_PGM_RSRC2:TIDIG_COMP_CNT: 0
	.section	.text._ZN2at6native12_GLOBAL__N_125multi_tensor_apply_kernelINS1_18TensorListMetadataILi2EEENS1_14UnaryOpFunctorIdLi2ELi1ELi1EEEJSt6negateIdEEEEvT_T0_DpT1_,"axG",@progbits,_ZN2at6native12_GLOBAL__N_125multi_tensor_apply_kernelINS1_18TensorListMetadataILi2EEENS1_14UnaryOpFunctorIdLi2ELi1ELi1EEEJSt6negateIdEEEEvT_T0_DpT1_,comdat
	.globl	_ZN2at6native12_GLOBAL__N_125multi_tensor_apply_kernelINS1_18TensorListMetadataILi2EEENS1_14UnaryOpFunctorIdLi2ELi1ELi1EEEJSt6negateIdEEEEvT_T0_DpT1_ ; -- Begin function _ZN2at6native12_GLOBAL__N_125multi_tensor_apply_kernelINS1_18TensorListMetadataILi2EEENS1_14UnaryOpFunctorIdLi2ELi1ELi1EEEJSt6negateIdEEEEvT_T0_DpT1_
	.p2align	8
	.type	_ZN2at6native12_GLOBAL__N_125multi_tensor_apply_kernelINS1_18TensorListMetadataILi2EEENS1_14UnaryOpFunctorIdLi2ELi1ELi1EEEJSt6negateIdEEEEvT_T0_DpT1_,@function
_ZN2at6native12_GLOBAL__N_125multi_tensor_apply_kernelINS1_18TensorListMetadataILi2EEENS1_14UnaryOpFunctorIdLi2ELi1ELi1EEEJSt6negateIdEEEEvT_T0_DpT1_: ; @_ZN2at6native12_GLOBAL__N_125multi_tensor_apply_kernelINS1_18TensorListMetadataILi2EEENS1_14UnaryOpFunctorIdLi2ELi1ELi1EEEJSt6negateIdEEEEvT_T0_DpT1_
; %bb.0:
	v_mov_b32_e32 v1, s6
	global_load_ubyte v1, v1, s[4:5] offset:1536
	s_add_u32 s0, s4, s6
	s_mul_hi_u32 s1, s6, 3
	s_mul_i32 s6, s6, 3
	s_addc_u32 s2, s5, 0
	s_add_u32 s0, s0, s6
	s_addc_u32 s1, s2, s1
	s_load_dword s6, s[0:1], 0x740
	s_mov_b32 s11, 0
	s_mov_b32 s13, s11
	s_waitcnt vmcnt(0)
	v_readfirstlane_b32 s0, v1
	s_lshl_b32 s7, s0, 3
	s_load_dwordx2 s[14:15], s[4:5], s7 offset:0x400
	s_load_dwordx2 s[2:3], s[4:5], s7 offset:0x0
	;; [unrolled: 1-line block ×3, first 2 shown]
	s_waitcnt lgkmcnt(0)
	s_ashr_i32 s7, s6, 31
	s_lshl_b64 s[8:9], s[6:7], 19
	s_lshl_b64 s[6:7], s[6:7], 16
	s_add_u32 s10, s2, s8
	s_and_b32 s12, s0, 31
	s_and_b32 s10, s10, 31
	s_sub_u32 s6, s14, s6
	s_subb_u32 s7, s15, s7
	s_and_b32 s14, s14, 3
	s_mov_b32 s15, s11
	s_or_b64 s[12:13], s[12:13], s[14:15]
	s_or_b64 s[10:11], s[12:13], s[10:11]
	s_cmp_eq_u64 s[10:11], 0
	s_mov_b64 s[10:11], -1
	s_cbranch_scc0 .LBB310_5
; %bb.1:
	v_mov_b32_e32 v1, 0x10000
	v_mov_b32_e32 v2, 0
	v_cmp_lt_i64_e32 vcc, s[6:7], v[1:2]
	v_mov_b32_e32 v2, 0
	s_and_b64 s[10:11], vcc, exec
	s_cselect_b32 s11, s7, 0
	s_cselect_b32 s10, s6, 0x10000
	v_lshlrev_b32_e32 v1, 2, v0
	v_cmp_gt_i64_e32 vcc, s[10:11], v[1:2]
	s_and_saveexec_b64 s[12:13], vcc
	s_cbranch_execz .LBB310_4
; %bb.2:
	s_load_dword s14, s[4:5], 0xc5c
	v_mov_b32_e32 v1, v2
	v_lshlrev_b32_e32 v2, 5, v0
	v_mov_b32_e32 v4, s9
	v_add_co_u32_e32 v3, vcc, s8, v2
	s_waitcnt lgkmcnt(0)
	s_and_b32 s16, s14, 0xffff
	v_mov_b32_e32 v2, v1
	v_addc_co_u32_e32 v4, vcc, 0, v4, vcc
	s_lshl_b32 s17, s16, 5
	s_mov_b64 s[14:15], 0
	v_mov_b32_e32 v5, s3
	v_mov_b32_e32 v6, s1
	;; [unrolled: 1-line block ×3, first 2 shown]
.LBB310_3:                              ; =>This Inner Loop Header: Depth=1
	v_add_co_u32_e32 v15, vcc, s2, v3
	v_addc_co_u32_e32 v16, vcc, v5, v4, vcc
	global_load_dwordx4 v[7:10], v[15:16], off
	global_load_dwordx4 v[11:14], v[15:16], off offset:16
	v_add_co_u32_e32 v15, vcc, s0, v3
	v_addc_co_u32_e32 v16, vcc, v6, v4, vcc
	v_add_co_u32_e32 v1, vcc, s16, v1
	v_addc_co_u32_e32 v2, vcc, 0, v2, vcc
	v_add_co_u32_e32 v3, vcc, s17, v3
	v_lshlrev_b64 v[17:18], 2, v[1:2]
	v_addc_co_u32_e32 v4, vcc, 0, v4, vcc
	v_cmp_le_i64_e32 vcc, s[10:11], v[17:18]
	s_or_b64 s[14:15], vcc, s[14:15]
	s_waitcnt vmcnt(1)
	v_xor_b32_e32 v8, 0x80000000, v8
	v_xor_b32_e32 v10, 0x80000000, v10
	s_waitcnt vmcnt(0)
	v_xor_b32_e32 v12, 0x80000000, v12
	v_xor_b32_e32 v14, 0x80000000, v14
	global_store_dwordx4 v[15:16], v[7:10], off
	global_store_dwordx4 v[15:16], v[11:14], off offset:16
	s_andn2_b64 exec, exec, s[14:15]
	s_cbranch_execnz .LBB310_3
.LBB310_4:
	s_or_b64 exec, exec, s[12:13]
	s_mov_b64 s[10:11], 0
.LBB310_5:
	s_andn2_b64 vcc, exec, s[10:11]
	s_cbranch_vccnz .LBB310_25
; %bb.6:
	v_cmp_lt_i64_e64 s[10:11], s[6:7], 1
	s_and_b64 vcc, exec, s[10:11]
	s_cbranch_vccnz .LBB310_25
; %bb.7:
	v_mov_b32_e32 v1, 0x10000
	s_load_dword s12, s[4:5], 0xc5c
	v_mov_b32_e32 v2, 0
	v_cmp_lt_i64_e32 vcc, s[6:7], v[1:2]
	v_mov_b32_e32 v3, 0
	s_and_b64 s[4:5], vcc, exec
	v_cmp_lt_u64_e32 vcc, s[6:7], v[1:2]
	s_cselect_b32 s11, s7, 0
	s_cselect_b32 s10, s6, 0x10000
	s_waitcnt lgkmcnt(0)
	s_and_b32 s14, s12, 0xffff
	v_lshlrev_b32_e32 v2, 3, v0
	s_and_b64 s[4:5], vcc, exec
	v_mov_b32_e32 v1, s3
	v_add_co_u32_e32 v9, vcc, s2, v2
	v_mad_u64_u32 v[3:4], s[4:5], s14, 24, v[2:3]
	v_addc_co_u32_e32 v10, vcc, 0, v1, vcc
	v_mov_b32_e32 v1, s1
	v_add_co_u32_e32 v11, vcc, s0, v2
	v_addc_co_u32_e32 v12, vcc, 0, v1, vcc
	v_mov_b32_e32 v1, s3
	v_add_co_u32_e32 v13, vcc, s2, v3
	;; [unrolled: 3-line block ×3, first 2 shown]
	s_cselect_b32 s13, s7, 0
	s_cselect_b32 s12, s6, 0x10000
	v_addc_co_u32_e32 v16, vcc, v1, v4, vcc
	s_lshl_b32 s4, s14, 4
	v_add_co_u32_e32 v1, vcc, s4, v2
	v_addc_co_u32_e64 v2, s[4:5], 0, 0, vcc
	v_mov_b32_e32 v3, s3
	v_add_co_u32_e32 v17, vcc, s2, v1
	v_addc_co_u32_e32 v18, vcc, v3, v2, vcc
	v_mov_b32_e32 v3, s1
	v_add_co_u32_e32 v19, vcc, s0, v1
	v_addc_co_u32_e32 v20, vcc, v3, v2, vcc
	v_add_co_u32_e32 v21, vcc, s14, v0
	v_lshlrev_b32_e32 v1, 3, v21
	v_addc_co_u32_e64 v22, s[4:5], 0, 0, vcc
	v_mov_b32_e32 v2, s3
	v_add_co_u32_e32 v23, vcc, s2, v1
	v_addc_co_u32_e32 v24, vcc, 0, v2, vcc
	v_mov_b32_e32 v2, s1
	v_add_co_u32_e32 v25, vcc, s0, v1
	s_mul_i32 s7, s14, 3
	v_addc_co_u32_e32 v26, vcc, 0, v2, vcc
	s_lshl_b32 s6, s14, 1
	v_add_co_u32_e32 v27, vcc, s7, v0
	v_addc_co_u32_e64 v28, s[0:1], 0, 0, vcc
	v_add_co_u32_e32 v29, vcc, s6, v0
	s_lshl_b32 s18, s14, 2
	s_lshl_b32 s19, s14, 5
	s_mov_b64 s[14:15], 0
	v_addc_co_u32_e64 v30, s[0:1], 0, 0, vcc
	s_branch .LBB310_9
.LBB310_8:                              ;   in Loop: Header=BB310_9 Depth=1
	s_or_b64 exec, exec, s[0:1]
	v_add_co_u32_e32 v9, vcc, s19, v9
	v_addc_co_u32_e32 v10, vcc, 0, v10, vcc
	v_add_co_u32_e32 v11, vcc, s19, v11
	v_addc_co_u32_e32 v12, vcc, 0, v12, vcc
	;; [unrolled: 2-line block ×6, first 2 shown]
	s_add_u32 s14, s14, s18
	v_add_co_u32_e32 v23, vcc, s19, v23
	s_waitcnt vmcnt(0)
	v_mov_b32_e32 v1, s10
	s_addc_u32 s15, s15, 0
	v_addc_co_u32_e32 v24, vcc, 0, v24, vcc
	v_mov_b32_e32 v2, s11
	v_cmp_ge_i64_e32 vcc, s[14:15], v[1:2]
	v_add_co_u32_e64 v25, s[0:1], s19, v25
	v_addc_co_u32_e64 v26, s[0:1], 0, v26, s[0:1]
	s_cbranch_vccnz .LBB310_25
.LBB310_9:                              ; =>This Inner Loop Header: Depth=1
	v_mov_b32_e32 v2, s15
	v_add_co_u32_e32 v1, vcc, s14, v0
	v_addc_co_u32_e32 v2, vcc, 0, v2, vcc
	v_cmp_gt_u64_e32 vcc, s[12:13], v[1:2]
	v_mov_b32_e32 v1, 0
	v_mov_b32_e32 v5, 0
	;; [unrolled: 1-line block ×4, first 2 shown]
	s_and_saveexec_b64 s[2:3], vcc
	s_cbranch_execz .LBB310_11
; %bb.10:                               ;   in Loop: Header=BB310_9 Depth=1
	v_mov_b32_e32 v4, s9
	v_add_co_u32_e64 v3, s[0:1], s8, v9
	v_addc_co_u32_e64 v4, s[0:1], v10, v4, s[0:1]
	global_load_dwordx2 v[5:6], v[3:4], off
.LBB310_11:                             ;   in Loop: Header=BB310_9 Depth=1
	s_or_b64 exec, exec, s[2:3]
	v_mov_b32_e32 v4, s15
	v_add_co_u32_e64 v3, s[0:1], s14, v21
	v_addc_co_u32_e64 v4, s[0:1], v22, v4, s[0:1]
	v_cmp_gt_u64_e64 s[0:1], s[12:13], v[3:4]
	s_and_saveexec_b64 s[4:5], s[0:1]
	s_cbranch_execz .LBB310_13
; %bb.12:                               ;   in Loop: Header=BB310_9 Depth=1
	v_mov_b32_e32 v2, s9
	v_add_co_u32_e64 v1, s[2:3], s8, v23
	v_addc_co_u32_e64 v2, s[2:3], v24, v2, s[2:3]
	global_load_dwordx2 v[1:2], v[1:2], off
.LBB310_13:                             ;   in Loop: Header=BB310_9 Depth=1
	s_or_b64 exec, exec, s[4:5]
	v_mov_b32_e32 v4, s15
	v_add_co_u32_e64 v3, s[2:3], s14, v29
	v_addc_co_u32_e64 v4, s[2:3], v30, v4, s[2:3]
	v_cmp_gt_u64_e64 s[2:3], s[12:13], v[3:4]
	v_mov_b32_e32 v3, 0
	v_mov_b32_e32 v7, 0
	;; [unrolled: 1-line block ×4, first 2 shown]
	s_and_saveexec_b64 s[6:7], s[2:3]
	s_cbranch_execz .LBB310_15
; %bb.14:                               ;   in Loop: Header=BB310_9 Depth=1
	v_mov_b32_e32 v8, s9
	v_add_co_u32_e64 v7, s[4:5], s8, v17
	v_addc_co_u32_e64 v8, s[4:5], v18, v8, s[4:5]
	global_load_dwordx2 v[7:8], v[7:8], off
.LBB310_15:                             ;   in Loop: Header=BB310_9 Depth=1
	s_or_b64 exec, exec, s[6:7]
	v_mov_b32_e32 v32, s15
	v_add_co_u32_e64 v31, s[4:5], s14, v27
	v_addc_co_u32_e64 v32, s[4:5], v28, v32, s[4:5]
	v_cmp_gt_u64_e64 s[4:5], s[12:13], v[31:32]
	s_and_saveexec_b64 s[16:17], s[4:5]
	s_cbranch_execnz .LBB310_20
; %bb.16:                               ;   in Loop: Header=BB310_9 Depth=1
	s_or_b64 exec, exec, s[16:17]
	s_and_saveexec_b64 s[6:7], vcc
	s_cbranch_execnz .LBB310_21
.LBB310_17:                             ;   in Loop: Header=BB310_9 Depth=1
	s_or_b64 exec, exec, s[6:7]
	s_and_saveexec_b64 s[6:7], s[0:1]
	s_cbranch_execnz .LBB310_22
.LBB310_18:                             ;   in Loop: Header=BB310_9 Depth=1
	s_or_b64 exec, exec, s[6:7]
	s_and_saveexec_b64 s[0:1], s[2:3]
	s_cbranch_execnz .LBB310_23
.LBB310_19:                             ;   in Loop: Header=BB310_9 Depth=1
	s_or_b64 exec, exec, s[0:1]
	s_and_saveexec_b64 s[0:1], s[4:5]
	s_cbranch_execz .LBB310_8
	s_branch .LBB310_24
.LBB310_20:                             ;   in Loop: Header=BB310_9 Depth=1
	v_mov_b32_e32 v4, s9
	v_add_co_u32_e64 v3, s[6:7], s8, v13
	v_addc_co_u32_e64 v4, s[6:7], v14, v4, s[6:7]
	global_load_dwordx2 v[3:4], v[3:4], off
	s_or_b64 exec, exec, s[16:17]
	s_and_saveexec_b64 s[6:7], vcc
	s_cbranch_execz .LBB310_17
.LBB310_21:                             ;   in Loop: Header=BB310_9 Depth=1
	v_mov_b32_e32 v32, s9
	v_add_co_u32_e32 v31, vcc, s8, v11
	v_addc_co_u32_e32 v32, vcc, v12, v32, vcc
	s_waitcnt vmcnt(0)
	v_xor_b32_e32 v6, 0x80000000, v6
	global_store_dwordx2 v[31:32], v[5:6], off
	s_or_b64 exec, exec, s[6:7]
	s_and_saveexec_b64 s[6:7], s[0:1]
	s_cbranch_execz .LBB310_18
.LBB310_22:                             ;   in Loop: Header=BB310_9 Depth=1
	s_waitcnt vmcnt(0)
	v_mov_b32_e32 v6, s9
	v_add_co_u32_e32 v5, vcc, s8, v25
	v_xor_b32_e32 v2, 0x80000000, v2
	v_addc_co_u32_e32 v6, vcc, v26, v6, vcc
	global_store_dwordx2 v[5:6], v[1:2], off
	s_or_b64 exec, exec, s[6:7]
	s_and_saveexec_b64 s[0:1], s[2:3]
	s_cbranch_execz .LBB310_19
.LBB310_23:                             ;   in Loop: Header=BB310_9 Depth=1
	s_waitcnt vmcnt(0)
	v_mov_b32_e32 v2, s9
	v_add_co_u32_e32 v1, vcc, s8, v19
	v_xor_b32_e32 v8, 0x80000000, v8
	v_addc_co_u32_e32 v2, vcc, v20, v2, vcc
	global_store_dwordx2 v[1:2], v[7:8], off
	s_or_b64 exec, exec, s[0:1]
	s_and_saveexec_b64 s[0:1], s[4:5]
	s_cbranch_execz .LBB310_8
.LBB310_24:                             ;   in Loop: Header=BB310_9 Depth=1
	s_waitcnt vmcnt(0)
	v_mov_b32_e32 v2, s9
	v_add_co_u32_e32 v1, vcc, s8, v15
	v_xor_b32_e32 v4, 0x80000000, v4
	v_addc_co_u32_e32 v2, vcc, v16, v2, vcc
	global_store_dwordx2 v[1:2], v[3:4], off
	s_branch .LBB310_8
.LBB310_25:
	s_endpgm
	.section	.rodata,"a",@progbits
	.p2align	6, 0x0
	.amdhsa_kernel _ZN2at6native12_GLOBAL__N_125multi_tensor_apply_kernelINS1_18TensorListMetadataILi2EEENS1_14UnaryOpFunctorIdLi2ELi1ELi1EEEJSt6negateIdEEEEvT_T0_DpT1_
		.amdhsa_group_segment_fixed_size 0
		.amdhsa_private_segment_fixed_size 0
		.amdhsa_kernarg_size 3408
		.amdhsa_user_sgpr_count 6
		.amdhsa_user_sgpr_private_segment_buffer 1
		.amdhsa_user_sgpr_dispatch_ptr 0
		.amdhsa_user_sgpr_queue_ptr 0
		.amdhsa_user_sgpr_kernarg_segment_ptr 1
		.amdhsa_user_sgpr_dispatch_id 0
		.amdhsa_user_sgpr_flat_scratch_init 0
		.amdhsa_user_sgpr_private_segment_size 0
		.amdhsa_uses_dynamic_stack 0
		.amdhsa_system_sgpr_private_segment_wavefront_offset 0
		.amdhsa_system_sgpr_workgroup_id_x 1
		.amdhsa_system_sgpr_workgroup_id_y 0
		.amdhsa_system_sgpr_workgroup_id_z 0
		.amdhsa_system_sgpr_workgroup_info 0
		.amdhsa_system_vgpr_workitem_id 0
		.amdhsa_next_free_vgpr 33
		.amdhsa_next_free_sgpr 20
		.amdhsa_reserve_vcc 1
		.amdhsa_reserve_flat_scratch 0
		.amdhsa_float_round_mode_32 0
		.amdhsa_float_round_mode_16_64 0
		.amdhsa_float_denorm_mode_32 3
		.amdhsa_float_denorm_mode_16_64 3
		.amdhsa_dx10_clamp 1
		.amdhsa_ieee_mode 1
		.amdhsa_fp16_overflow 0
		.amdhsa_exception_fp_ieee_invalid_op 0
		.amdhsa_exception_fp_denorm_src 0
		.amdhsa_exception_fp_ieee_div_zero 0
		.amdhsa_exception_fp_ieee_overflow 0
		.amdhsa_exception_fp_ieee_underflow 0
		.amdhsa_exception_fp_ieee_inexact 0
		.amdhsa_exception_int_div_zero 0
	.end_amdhsa_kernel
	.section	.text._ZN2at6native12_GLOBAL__N_125multi_tensor_apply_kernelINS1_18TensorListMetadataILi2EEENS1_14UnaryOpFunctorIdLi2ELi1ELi1EEEJSt6negateIdEEEEvT_T0_DpT1_,"axG",@progbits,_ZN2at6native12_GLOBAL__N_125multi_tensor_apply_kernelINS1_18TensorListMetadataILi2EEENS1_14UnaryOpFunctorIdLi2ELi1ELi1EEEJSt6negateIdEEEEvT_T0_DpT1_,comdat
.Lfunc_end310:
	.size	_ZN2at6native12_GLOBAL__N_125multi_tensor_apply_kernelINS1_18TensorListMetadataILi2EEENS1_14UnaryOpFunctorIdLi2ELi1ELi1EEEJSt6negateIdEEEEvT_T0_DpT1_, .Lfunc_end310-_ZN2at6native12_GLOBAL__N_125multi_tensor_apply_kernelINS1_18TensorListMetadataILi2EEENS1_14UnaryOpFunctorIdLi2ELi1ELi1EEEJSt6negateIdEEEEvT_T0_DpT1_
                                        ; -- End function
	.set _ZN2at6native12_GLOBAL__N_125multi_tensor_apply_kernelINS1_18TensorListMetadataILi2EEENS1_14UnaryOpFunctorIdLi2ELi1ELi1EEEJSt6negateIdEEEEvT_T0_DpT1_.num_vgpr, 33
	.set _ZN2at6native12_GLOBAL__N_125multi_tensor_apply_kernelINS1_18TensorListMetadataILi2EEENS1_14UnaryOpFunctorIdLi2ELi1ELi1EEEJSt6negateIdEEEEvT_T0_DpT1_.num_agpr, 0
	.set _ZN2at6native12_GLOBAL__N_125multi_tensor_apply_kernelINS1_18TensorListMetadataILi2EEENS1_14UnaryOpFunctorIdLi2ELi1ELi1EEEJSt6negateIdEEEEvT_T0_DpT1_.numbered_sgpr, 20
	.set _ZN2at6native12_GLOBAL__N_125multi_tensor_apply_kernelINS1_18TensorListMetadataILi2EEENS1_14UnaryOpFunctorIdLi2ELi1ELi1EEEJSt6negateIdEEEEvT_T0_DpT1_.num_named_barrier, 0
	.set _ZN2at6native12_GLOBAL__N_125multi_tensor_apply_kernelINS1_18TensorListMetadataILi2EEENS1_14UnaryOpFunctorIdLi2ELi1ELi1EEEJSt6negateIdEEEEvT_T0_DpT1_.private_seg_size, 0
	.set _ZN2at6native12_GLOBAL__N_125multi_tensor_apply_kernelINS1_18TensorListMetadataILi2EEENS1_14UnaryOpFunctorIdLi2ELi1ELi1EEEJSt6negateIdEEEEvT_T0_DpT1_.uses_vcc, 1
	.set _ZN2at6native12_GLOBAL__N_125multi_tensor_apply_kernelINS1_18TensorListMetadataILi2EEENS1_14UnaryOpFunctorIdLi2ELi1ELi1EEEJSt6negateIdEEEEvT_T0_DpT1_.uses_flat_scratch, 0
	.set _ZN2at6native12_GLOBAL__N_125multi_tensor_apply_kernelINS1_18TensorListMetadataILi2EEENS1_14UnaryOpFunctorIdLi2ELi1ELi1EEEJSt6negateIdEEEEvT_T0_DpT1_.has_dyn_sized_stack, 0
	.set _ZN2at6native12_GLOBAL__N_125multi_tensor_apply_kernelINS1_18TensorListMetadataILi2EEENS1_14UnaryOpFunctorIdLi2ELi1ELi1EEEJSt6negateIdEEEEvT_T0_DpT1_.has_recursion, 0
	.set _ZN2at6native12_GLOBAL__N_125multi_tensor_apply_kernelINS1_18TensorListMetadataILi2EEENS1_14UnaryOpFunctorIdLi2ELi1ELi1EEEJSt6negateIdEEEEvT_T0_DpT1_.has_indirect_call, 0
	.section	.AMDGPU.csdata,"",@progbits
; Kernel info:
; codeLenInByte = 1320
; TotalNumSgprs: 24
; NumVgprs: 33
; ScratchSize: 0
; MemoryBound: 0
; FloatMode: 240
; IeeeMode: 1
; LDSByteSize: 0 bytes/workgroup (compile time only)
; SGPRBlocks: 2
; VGPRBlocks: 8
; NumSGPRsForWavesPerEU: 24
; NumVGPRsForWavesPerEU: 33
; Occupancy: 7
; WaveLimiterHint : 0
; COMPUTE_PGM_RSRC2:SCRATCH_EN: 0
; COMPUTE_PGM_RSRC2:USER_SGPR: 6
; COMPUTE_PGM_RSRC2:TRAP_HANDLER: 0
; COMPUTE_PGM_RSRC2:TGID_X_EN: 1
; COMPUTE_PGM_RSRC2:TGID_Y_EN: 0
; COMPUTE_PGM_RSRC2:TGID_Z_EN: 0
; COMPUTE_PGM_RSRC2:TIDIG_COMP_CNT: 0
	.section	.text._ZN2at6native12_GLOBAL__N_125multi_tensor_apply_kernelINS1_18TensorListMetadataILi2EEENS1_14UnaryOpFunctorIfLi2ELi1ELi1EEEJSt6negateIfEEEEvT_T0_DpT1_,"axG",@progbits,_ZN2at6native12_GLOBAL__N_125multi_tensor_apply_kernelINS1_18TensorListMetadataILi2EEENS1_14UnaryOpFunctorIfLi2ELi1ELi1EEEJSt6negateIfEEEEvT_T0_DpT1_,comdat
	.globl	_ZN2at6native12_GLOBAL__N_125multi_tensor_apply_kernelINS1_18TensorListMetadataILi2EEENS1_14UnaryOpFunctorIfLi2ELi1ELi1EEEJSt6negateIfEEEEvT_T0_DpT1_ ; -- Begin function _ZN2at6native12_GLOBAL__N_125multi_tensor_apply_kernelINS1_18TensorListMetadataILi2EEENS1_14UnaryOpFunctorIfLi2ELi1ELi1EEEJSt6negateIfEEEEvT_T0_DpT1_
	.p2align	8
	.type	_ZN2at6native12_GLOBAL__N_125multi_tensor_apply_kernelINS1_18TensorListMetadataILi2EEENS1_14UnaryOpFunctorIfLi2ELi1ELi1EEEJSt6negateIfEEEEvT_T0_DpT1_,@function
_ZN2at6native12_GLOBAL__N_125multi_tensor_apply_kernelINS1_18TensorListMetadataILi2EEENS1_14UnaryOpFunctorIfLi2ELi1ELi1EEEJSt6negateIfEEEEvT_T0_DpT1_: ; @_ZN2at6native12_GLOBAL__N_125multi_tensor_apply_kernelINS1_18TensorListMetadataILi2EEENS1_14UnaryOpFunctorIfLi2ELi1ELi1EEEJSt6negateIfEEEEvT_T0_DpT1_
; %bb.0:
	v_mov_b32_e32 v1, s6
	global_load_ubyte v1, v1, s[4:5] offset:1536
	s_add_u32 s0, s4, s6
	s_mul_hi_u32 s1, s6, 3
	s_mul_i32 s6, s6, 3
	s_addc_u32 s2, s5, 0
	s_add_u32 s0, s0, s6
	s_addc_u32 s1, s2, s1
	s_load_dword s6, s[0:1], 0x740
	s_mov_b32 s11, 0
	s_mov_b32 s13, s11
	s_waitcnt vmcnt(0)
	v_readfirstlane_b32 s0, v1
	s_lshl_b32 s7, s0, 3
	s_load_dwordx2 s[14:15], s[4:5], s7 offset:0x400
	s_load_dwordx2 s[2:3], s[4:5], s7 offset:0x0
	;; [unrolled: 1-line block ×3, first 2 shown]
	s_waitcnt lgkmcnt(0)
	s_ashr_i32 s7, s6, 31
	s_lshl_b64 s[8:9], s[6:7], 18
	s_lshl_b64 s[6:7], s[6:7], 16
	s_add_u32 s10, s2, s8
	s_and_b32 s12, s0, 15
	s_and_b32 s10, s10, 15
	s_sub_u32 s6, s14, s6
	s_subb_u32 s7, s15, s7
	s_and_b32 s14, s14, 3
	s_mov_b32 s15, s11
	s_or_b64 s[12:13], s[12:13], s[14:15]
	s_or_b64 s[10:11], s[12:13], s[10:11]
	s_cmp_eq_u64 s[10:11], 0
	s_mov_b64 s[10:11], -1
	s_cbranch_scc0 .LBB311_5
; %bb.1:
	v_mov_b32_e32 v1, 0x10000
	v_mov_b32_e32 v2, 0
	v_cmp_lt_i64_e32 vcc, s[6:7], v[1:2]
	v_mov_b32_e32 v2, 0
	s_and_b64 s[10:11], vcc, exec
	s_cselect_b32 s11, s7, 0
	s_cselect_b32 s10, s6, 0x10000
	v_lshlrev_b32_e32 v1, 2, v0
	v_cmp_gt_i64_e32 vcc, s[10:11], v[1:2]
	s_and_saveexec_b64 s[12:13], vcc
	s_cbranch_execz .LBB311_4
; %bb.2:
	s_load_dword s14, s[4:5], 0xc5c
	v_mov_b32_e32 v1, v2
	v_lshlrev_b32_e32 v2, 4, v0
	v_mov_b32_e32 v4, s9
	v_add_co_u32_e32 v3, vcc, s8, v2
	s_waitcnt lgkmcnt(0)
	s_and_b32 s16, s14, 0xffff
	v_mov_b32_e32 v2, v1
	v_addc_co_u32_e32 v4, vcc, 0, v4, vcc
	s_lshl_b32 s17, s16, 4
	s_mov_b64 s[14:15], 0
	v_mov_b32_e32 v5, s3
	v_mov_b32_e32 v6, s1
	;; [unrolled: 1-line block ×3, first 2 shown]
.LBB311_3:                              ; =>This Inner Loop Header: Depth=1
	v_add_co_u32_e32 v7, vcc, s2, v3
	v_addc_co_u32_e32 v8, vcc, v5, v4, vcc
	global_load_dwordx4 v[7:10], v[7:8], off
	v_add_co_u32_e32 v11, vcc, s0, v3
	v_addc_co_u32_e32 v12, vcc, v6, v4, vcc
	v_add_co_u32_e32 v1, vcc, s16, v1
	v_addc_co_u32_e32 v2, vcc, 0, v2, vcc
	v_add_co_u32_e32 v3, vcc, s17, v3
	v_lshlrev_b64 v[13:14], 2, v[1:2]
	v_addc_co_u32_e32 v4, vcc, 0, v4, vcc
	v_cmp_le_i64_e32 vcc, s[10:11], v[13:14]
	s_or_b64 s[14:15], vcc, s[14:15]
	s_waitcnt vmcnt(0)
	v_xor_b32_e32 v7, 0x80000000, v7
	v_xor_b32_e32 v8, 0x80000000, v8
	;; [unrolled: 1-line block ×4, first 2 shown]
	global_store_dwordx4 v[11:12], v[7:10], off
	s_andn2_b64 exec, exec, s[14:15]
	s_cbranch_execnz .LBB311_3
.LBB311_4:
	s_or_b64 exec, exec, s[12:13]
	s_mov_b64 s[10:11], 0
.LBB311_5:
	s_andn2_b64 vcc, exec, s[10:11]
	s_cbranch_vccnz .LBB311_25
; %bb.6:
	v_cmp_lt_i64_e64 s[10:11], s[6:7], 1
	s_and_b64 vcc, exec, s[10:11]
	s_cbranch_vccnz .LBB311_25
; %bb.7:
	v_mov_b32_e32 v1, 0x10000
	s_load_dword s12, s[4:5], 0xc5c
	v_mov_b32_e32 v2, 0
	v_cmp_lt_i64_e32 vcc, s[6:7], v[1:2]
	v_mov_b32_e32 v10, 0
	s_and_b64 s[4:5], vcc, exec
	v_cmp_lt_u64_e32 vcc, s[6:7], v[1:2]
	s_cselect_b32 s11, s7, 0
	s_cselect_b32 s10, s6, 0x10000
	s_waitcnt lgkmcnt(0)
	s_and_b32 s14, s12, 0xffff
	v_lshlrev_b32_e32 v9, 2, v0
	s_and_b64 s[4:5], vcc, exec
	v_mov_b32_e32 v2, s3
	v_add_co_u32_e32 v1, vcc, s2, v9
	v_mad_u64_u32 v[7:8], s[4:5], s14, 12, v[9:10]
	v_addc_co_u32_e32 v2, vcc, 0, v2, vcc
	v_mov_b32_e32 v4, s1
	v_add_co_u32_e32 v3, vcc, s0, v9
	v_addc_co_u32_e32 v4, vcc, 0, v4, vcc
	v_mov_b32_e32 v6, s3
	v_add_co_u32_e32 v5, vcc, s2, v7
	;; [unrolled: 3-line block ×3, first 2 shown]
	s_cselect_b32 s13, s7, 0
	s_cselect_b32 s12, s6, 0x10000
	v_addc_co_u32_e32 v8, vcc, v10, v8, vcc
	s_lshl_b32 s4, s14, 3
	v_add_co_u32_e32 v11, vcc, s4, v9
	v_addc_co_u32_e64 v12, s[4:5], 0, 0, vcc
	v_mov_b32_e32 v10, s3
	v_add_co_u32_e32 v9, vcc, s2, v11
	v_addc_co_u32_e32 v10, vcc, v10, v12, vcc
	v_mov_b32_e32 v13, s1
	v_add_co_u32_e32 v11, vcc, s0, v11
	v_addc_co_u32_e32 v12, vcc, v13, v12, vcc
	v_add_co_u32_e32 v13, vcc, s14, v0
	v_lshlrev_b32_e32 v17, 2, v13
	v_addc_co_u32_e64 v14, s[4:5], 0, 0, vcc
	v_mov_b32_e32 v16, s3
	v_add_co_u32_e32 v15, vcc, s2, v17
	v_addc_co_u32_e32 v16, vcc, 0, v16, vcc
	v_mov_b32_e32 v18, s1
	v_add_co_u32_e32 v17, vcc, s0, v17
	s_mul_i32 s7, s14, 3
	v_addc_co_u32_e32 v18, vcc, 0, v18, vcc
	s_lshl_b32 s6, s14, 1
	v_add_co_u32_e32 v19, vcc, s7, v0
	v_addc_co_u32_e64 v20, s[0:1], 0, 0, vcc
	v_add_co_u32_e32 v21, vcc, s6, v0
	s_lshl_b32 s18, s14, 2
	s_lshl_b32 s19, s14, 4
	s_mov_b64 s[14:15], 0
	v_addc_co_u32_e64 v22, s[0:1], 0, 0, vcc
	s_branch .LBB311_9
.LBB311_8:                              ;   in Loop: Header=BB311_9 Depth=1
	s_or_b64 exec, exec, s[0:1]
	v_add_co_u32_e32 v1, vcc, s19, v1
	v_addc_co_u32_e32 v2, vcc, 0, v2, vcc
	v_add_co_u32_e32 v3, vcc, s19, v3
	v_addc_co_u32_e32 v4, vcc, 0, v4, vcc
	;; [unrolled: 2-line block ×6, first 2 shown]
	s_add_u32 s14, s14, s18
	v_add_co_u32_e32 v15, vcc, s19, v15
	s_waitcnt vmcnt(0)
	v_mov_b32_e32 v24, s11
	s_addc_u32 s15, s15, 0
	v_addc_co_u32_e32 v16, vcc, 0, v16, vcc
	v_mov_b32_e32 v23, s10
	v_cmp_ge_i64_e32 vcc, s[14:15], v[23:24]
	v_add_co_u32_e64 v17, s[0:1], s19, v17
	v_addc_co_u32_e64 v18, s[0:1], 0, v18, s[0:1]
	s_cbranch_vccnz .LBB311_25
.LBB311_9:                              ; =>This Inner Loop Header: Depth=1
	v_mov_b32_e32 v24, s15
	v_add_co_u32_e32 v23, vcc, s14, v0
	v_addc_co_u32_e32 v24, vcc, 0, v24, vcc
	v_cmp_gt_u64_e32 vcc, s[12:13], v[23:24]
	v_mov_b32_e32 v24, 0
	s_and_saveexec_b64 s[2:3], vcc
	s_cbranch_execz .LBB311_11
; %bb.10:                               ;   in Loop: Header=BB311_9 Depth=1
	v_mov_b32_e32 v24, s9
	v_add_co_u32_e64 v23, s[0:1], s8, v1
	v_addc_co_u32_e64 v24, s[0:1], v2, v24, s[0:1]
	global_load_dword v24, v[23:24], off
.LBB311_11:                             ;   in Loop: Header=BB311_9 Depth=1
	s_or_b64 exec, exec, s[2:3]
	v_mov_b32_e32 v23, s15
	v_add_co_u32_e64 v25, s[0:1], s14, v13
	v_addc_co_u32_e64 v26, s[0:1], v14, v23, s[0:1]
	v_cmp_gt_u64_e64 s[0:1], s[12:13], v[25:26]
	v_mov_b32_e32 v23, 0
	v_mov_b32_e32 v25, 0
	s_and_saveexec_b64 s[4:5], s[0:1]
	s_cbranch_execz .LBB311_13
; %bb.12:                               ;   in Loop: Header=BB311_9 Depth=1
	v_mov_b32_e32 v26, s9
	v_add_co_u32_e64 v25, s[2:3], s8, v15
	v_addc_co_u32_e64 v26, s[2:3], v16, v26, s[2:3]
	global_load_dword v25, v[25:26], off
.LBB311_13:                             ;   in Loop: Header=BB311_9 Depth=1
	s_or_b64 exec, exec, s[4:5]
	v_mov_b32_e32 v27, s15
	v_add_co_u32_e64 v26, s[2:3], s14, v21
	v_addc_co_u32_e64 v27, s[2:3], v22, v27, s[2:3]
	v_cmp_gt_u64_e64 s[2:3], s[12:13], v[26:27]
	s_and_saveexec_b64 s[6:7], s[2:3]
	s_cbranch_execz .LBB311_15
; %bb.14:                               ;   in Loop: Header=BB311_9 Depth=1
	v_mov_b32_e32 v23, s9
	v_add_co_u32_e64 v26, s[4:5], s8, v9
	v_addc_co_u32_e64 v27, s[4:5], v10, v23, s[4:5]
	global_load_dword v23, v[26:27], off
.LBB311_15:                             ;   in Loop: Header=BB311_9 Depth=1
	s_or_b64 exec, exec, s[6:7]
	v_mov_b32_e32 v27, s15
	v_add_co_u32_e64 v26, s[4:5], s14, v19
	v_addc_co_u32_e64 v27, s[4:5], v20, v27, s[4:5]
	v_cmp_gt_u64_e64 s[4:5], s[12:13], v[26:27]
	v_mov_b32_e32 v26, 0
	s_and_saveexec_b64 s[16:17], s[4:5]
	s_cbranch_execnz .LBB311_20
; %bb.16:                               ;   in Loop: Header=BB311_9 Depth=1
	s_or_b64 exec, exec, s[16:17]
	s_and_saveexec_b64 s[6:7], vcc
	s_cbranch_execnz .LBB311_21
.LBB311_17:                             ;   in Loop: Header=BB311_9 Depth=1
	s_or_b64 exec, exec, s[6:7]
	s_and_saveexec_b64 s[6:7], s[0:1]
	s_cbranch_execnz .LBB311_22
.LBB311_18:                             ;   in Loop: Header=BB311_9 Depth=1
	s_or_b64 exec, exec, s[6:7]
	s_and_saveexec_b64 s[0:1], s[2:3]
	s_cbranch_execnz .LBB311_23
.LBB311_19:                             ;   in Loop: Header=BB311_9 Depth=1
	s_or_b64 exec, exec, s[0:1]
	s_and_saveexec_b64 s[0:1], s[4:5]
	s_cbranch_execz .LBB311_8
	s_branch .LBB311_24
.LBB311_20:                             ;   in Loop: Header=BB311_9 Depth=1
	v_mov_b32_e32 v27, s9
	v_add_co_u32_e64 v26, s[6:7], s8, v5
	v_addc_co_u32_e64 v27, s[6:7], v6, v27, s[6:7]
	global_load_dword v26, v[26:27], off
	s_or_b64 exec, exec, s[16:17]
	s_and_saveexec_b64 s[6:7], vcc
	s_cbranch_execz .LBB311_17
.LBB311_21:                             ;   in Loop: Header=BB311_9 Depth=1
	v_mov_b32_e32 v28, s9
	v_add_co_u32_e32 v27, vcc, s8, v3
	v_addc_co_u32_e32 v28, vcc, v4, v28, vcc
	s_waitcnt vmcnt(0)
	v_xor_b32_e32 v24, 0x80000000, v24
	global_store_dword v[27:28], v24, off
	s_or_b64 exec, exec, s[6:7]
	s_and_saveexec_b64 s[6:7], s[0:1]
	s_cbranch_execz .LBB311_18
.LBB311_22:                             ;   in Loop: Header=BB311_9 Depth=1
	s_waitcnt vmcnt(0)
	v_xor_b32_e32 v27, 0x80000000, v25
	v_mov_b32_e32 v25, s9
	v_add_co_u32_e32 v24, vcc, s8, v17
	v_addc_co_u32_e32 v25, vcc, v18, v25, vcc
	global_store_dword v[24:25], v27, off
	s_or_b64 exec, exec, s[6:7]
	s_and_saveexec_b64 s[0:1], s[2:3]
	s_cbranch_execz .LBB311_19
.LBB311_23:                             ;   in Loop: Header=BB311_9 Depth=1
	s_waitcnt vmcnt(0)
	v_xor_b32_e32 v25, 0x80000000, v23
	v_mov_b32_e32 v24, s9
	v_add_co_u32_e32 v23, vcc, s8, v11
	v_addc_co_u32_e32 v24, vcc, v12, v24, vcc
	global_store_dword v[23:24], v25, off
	s_or_b64 exec, exec, s[0:1]
	s_and_saveexec_b64 s[0:1], s[4:5]
	s_cbranch_execz .LBB311_8
.LBB311_24:                             ;   in Loop: Header=BB311_9 Depth=1
	s_waitcnt vmcnt(0)
	v_mov_b32_e32 v24, s9
	v_add_co_u32_e32 v23, vcc, s8, v7
	v_xor_b32_e32 v25, 0x80000000, v26
	v_addc_co_u32_e32 v24, vcc, v8, v24, vcc
	global_store_dword v[23:24], v25, off
	s_branch .LBB311_8
.LBB311_25:
	s_endpgm
	.section	.rodata,"a",@progbits
	.p2align	6, 0x0
	.amdhsa_kernel _ZN2at6native12_GLOBAL__N_125multi_tensor_apply_kernelINS1_18TensorListMetadataILi2EEENS1_14UnaryOpFunctorIfLi2ELi1ELi1EEEJSt6negateIfEEEEvT_T0_DpT1_
		.amdhsa_group_segment_fixed_size 0
		.amdhsa_private_segment_fixed_size 0
		.amdhsa_kernarg_size 3408
		.amdhsa_user_sgpr_count 6
		.amdhsa_user_sgpr_private_segment_buffer 1
		.amdhsa_user_sgpr_dispatch_ptr 0
		.amdhsa_user_sgpr_queue_ptr 0
		.amdhsa_user_sgpr_kernarg_segment_ptr 1
		.amdhsa_user_sgpr_dispatch_id 0
		.amdhsa_user_sgpr_flat_scratch_init 0
		.amdhsa_user_sgpr_private_segment_size 0
		.amdhsa_uses_dynamic_stack 0
		.amdhsa_system_sgpr_private_segment_wavefront_offset 0
		.amdhsa_system_sgpr_workgroup_id_x 1
		.amdhsa_system_sgpr_workgroup_id_y 0
		.amdhsa_system_sgpr_workgroup_id_z 0
		.amdhsa_system_sgpr_workgroup_info 0
		.amdhsa_system_vgpr_workitem_id 0
		.amdhsa_next_free_vgpr 29
		.amdhsa_next_free_sgpr 20
		.amdhsa_reserve_vcc 1
		.amdhsa_reserve_flat_scratch 0
		.amdhsa_float_round_mode_32 0
		.amdhsa_float_round_mode_16_64 0
		.amdhsa_float_denorm_mode_32 3
		.amdhsa_float_denorm_mode_16_64 3
		.amdhsa_dx10_clamp 1
		.amdhsa_ieee_mode 1
		.amdhsa_fp16_overflow 0
		.amdhsa_exception_fp_ieee_invalid_op 0
		.amdhsa_exception_fp_denorm_src 0
		.amdhsa_exception_fp_ieee_div_zero 0
		.amdhsa_exception_fp_ieee_overflow 0
		.amdhsa_exception_fp_ieee_underflow 0
		.amdhsa_exception_fp_ieee_inexact 0
		.amdhsa_exception_int_div_zero 0
	.end_amdhsa_kernel
	.section	.text._ZN2at6native12_GLOBAL__N_125multi_tensor_apply_kernelINS1_18TensorListMetadataILi2EEENS1_14UnaryOpFunctorIfLi2ELi1ELi1EEEJSt6negateIfEEEEvT_T0_DpT1_,"axG",@progbits,_ZN2at6native12_GLOBAL__N_125multi_tensor_apply_kernelINS1_18TensorListMetadataILi2EEENS1_14UnaryOpFunctorIfLi2ELi1ELi1EEEJSt6negateIfEEEEvT_T0_DpT1_,comdat
.Lfunc_end311:
	.size	_ZN2at6native12_GLOBAL__N_125multi_tensor_apply_kernelINS1_18TensorListMetadataILi2EEENS1_14UnaryOpFunctorIfLi2ELi1ELi1EEEJSt6negateIfEEEEvT_T0_DpT1_, .Lfunc_end311-_ZN2at6native12_GLOBAL__N_125multi_tensor_apply_kernelINS1_18TensorListMetadataILi2EEENS1_14UnaryOpFunctorIfLi2ELi1ELi1EEEJSt6negateIfEEEEvT_T0_DpT1_
                                        ; -- End function
	.set _ZN2at6native12_GLOBAL__N_125multi_tensor_apply_kernelINS1_18TensorListMetadataILi2EEENS1_14UnaryOpFunctorIfLi2ELi1ELi1EEEJSt6negateIfEEEEvT_T0_DpT1_.num_vgpr, 29
	.set _ZN2at6native12_GLOBAL__N_125multi_tensor_apply_kernelINS1_18TensorListMetadataILi2EEENS1_14UnaryOpFunctorIfLi2ELi1ELi1EEEJSt6negateIfEEEEvT_T0_DpT1_.num_agpr, 0
	.set _ZN2at6native12_GLOBAL__N_125multi_tensor_apply_kernelINS1_18TensorListMetadataILi2EEENS1_14UnaryOpFunctorIfLi2ELi1ELi1EEEJSt6negateIfEEEEvT_T0_DpT1_.numbered_sgpr, 20
	.set _ZN2at6native12_GLOBAL__N_125multi_tensor_apply_kernelINS1_18TensorListMetadataILi2EEENS1_14UnaryOpFunctorIfLi2ELi1ELi1EEEJSt6negateIfEEEEvT_T0_DpT1_.num_named_barrier, 0
	.set _ZN2at6native12_GLOBAL__N_125multi_tensor_apply_kernelINS1_18TensorListMetadataILi2EEENS1_14UnaryOpFunctorIfLi2ELi1ELi1EEEJSt6negateIfEEEEvT_T0_DpT1_.private_seg_size, 0
	.set _ZN2at6native12_GLOBAL__N_125multi_tensor_apply_kernelINS1_18TensorListMetadataILi2EEENS1_14UnaryOpFunctorIfLi2ELi1ELi1EEEJSt6negateIfEEEEvT_T0_DpT1_.uses_vcc, 1
	.set _ZN2at6native12_GLOBAL__N_125multi_tensor_apply_kernelINS1_18TensorListMetadataILi2EEENS1_14UnaryOpFunctorIfLi2ELi1ELi1EEEJSt6negateIfEEEEvT_T0_DpT1_.uses_flat_scratch, 0
	.set _ZN2at6native12_GLOBAL__N_125multi_tensor_apply_kernelINS1_18TensorListMetadataILi2EEENS1_14UnaryOpFunctorIfLi2ELi1ELi1EEEJSt6negateIfEEEEvT_T0_DpT1_.has_dyn_sized_stack, 0
	.set _ZN2at6native12_GLOBAL__N_125multi_tensor_apply_kernelINS1_18TensorListMetadataILi2EEENS1_14UnaryOpFunctorIfLi2ELi1ELi1EEEJSt6negateIfEEEEvT_T0_DpT1_.has_recursion, 0
	.set _ZN2at6native12_GLOBAL__N_125multi_tensor_apply_kernelINS1_18TensorListMetadataILi2EEENS1_14UnaryOpFunctorIfLi2ELi1ELi1EEEJSt6negateIfEEEEvT_T0_DpT1_.has_indirect_call, 0
	.section	.AMDGPU.csdata,"",@progbits
; Kernel info:
; codeLenInByte = 1284
; TotalNumSgprs: 24
; NumVgprs: 29
; ScratchSize: 0
; MemoryBound: 0
; FloatMode: 240
; IeeeMode: 1
; LDSByteSize: 0 bytes/workgroup (compile time only)
; SGPRBlocks: 2
; VGPRBlocks: 7
; NumSGPRsForWavesPerEU: 24
; NumVGPRsForWavesPerEU: 29
; Occupancy: 8
; WaveLimiterHint : 0
; COMPUTE_PGM_RSRC2:SCRATCH_EN: 0
; COMPUTE_PGM_RSRC2:USER_SGPR: 6
; COMPUTE_PGM_RSRC2:TRAP_HANDLER: 0
; COMPUTE_PGM_RSRC2:TGID_X_EN: 1
; COMPUTE_PGM_RSRC2:TGID_Y_EN: 0
; COMPUTE_PGM_RSRC2:TGID_Z_EN: 0
; COMPUTE_PGM_RSRC2:TIDIG_COMP_CNT: 0
	.section	.text._ZN2at6native12_GLOBAL__N_125multi_tensor_apply_kernelINS1_18TensorListMetadataILi2EEENS1_14UnaryOpFunctorIN3c107complexIdEELi2ELi1ELi1EEEJSt6negateIS8_EEEEvT_T0_DpT1_,"axG",@progbits,_ZN2at6native12_GLOBAL__N_125multi_tensor_apply_kernelINS1_18TensorListMetadataILi2EEENS1_14UnaryOpFunctorIN3c107complexIdEELi2ELi1ELi1EEEJSt6negateIS8_EEEEvT_T0_DpT1_,comdat
	.globl	_ZN2at6native12_GLOBAL__N_125multi_tensor_apply_kernelINS1_18TensorListMetadataILi2EEENS1_14UnaryOpFunctorIN3c107complexIdEELi2ELi1ELi1EEEJSt6negateIS8_EEEEvT_T0_DpT1_ ; -- Begin function _ZN2at6native12_GLOBAL__N_125multi_tensor_apply_kernelINS1_18TensorListMetadataILi2EEENS1_14UnaryOpFunctorIN3c107complexIdEELi2ELi1ELi1EEEJSt6negateIS8_EEEEvT_T0_DpT1_
	.p2align	8
	.type	_ZN2at6native12_GLOBAL__N_125multi_tensor_apply_kernelINS1_18TensorListMetadataILi2EEENS1_14UnaryOpFunctorIN3c107complexIdEELi2ELi1ELi1EEEJSt6negateIS8_EEEEvT_T0_DpT1_,@function
_ZN2at6native12_GLOBAL__N_125multi_tensor_apply_kernelINS1_18TensorListMetadataILi2EEENS1_14UnaryOpFunctorIN3c107complexIdEELi2ELi1ELi1EEEJSt6negateIS8_EEEEvT_T0_DpT1_: ; @_ZN2at6native12_GLOBAL__N_125multi_tensor_apply_kernelINS1_18TensorListMetadataILi2EEENS1_14UnaryOpFunctorIN3c107complexIdEELi2ELi1ELi1EEEJSt6negateIS8_EEEEvT_T0_DpT1_
; %bb.0:
	v_mov_b32_e32 v1, s6
	global_load_ubyte v1, v1, s[4:5] offset:1536
	s_add_u32 s0, s4, s6
	s_mul_hi_u32 s3, s6, 3
	s_mul_i32 s6, s6, 3
	s_addc_u32 s8, s5, 0
	s_add_u32 s2, s0, s6
	s_addc_u32 s3, s8, s3
	s_load_dword s2, s[2:3], 0x740
	s_mov_b32 s1, 0
	s_mov_b32 s7, s1
	s_waitcnt lgkmcnt(0)
	s_ashr_i32 s3, s2, 31
	s_lshl_b64 s[14:15], s[2:3], 20
	s_waitcnt vmcnt(0)
	v_readfirstlane_b32 s0, v1
	s_lshl_b32 s0, s0, 3
	s_load_dwordx2 s[8:9], s[4:5], s0 offset:0x0
	s_load_dwordx2 s[12:13], s[4:5], s0 offset:0x400
	;; [unrolled: 1-line block ×3, first 2 shown]
	s_waitcnt lgkmcnt(0)
	s_add_u32 s8, s8, s14
	s_addc_u32 s9, s9, s15
	s_and_b32 s0, s8, 63
	s_add_u32 s10, s10, s14
	s_addc_u32 s11, s11, s15
	s_lshl_b64 s[2:3], s[2:3], 16
	s_and_b32 s6, s10, 63
	s_sub_u32 s2, s12, s2
	s_subb_u32 s3, s13, s3
	s_and_b32 s12, s12, 3
	s_mov_b32 s13, s1
	s_or_b64 s[6:7], s[6:7], s[12:13]
	s_or_b64 s[0:1], s[6:7], s[0:1]
	s_cmp_eq_u64 s[0:1], 0
	s_mov_b64 s[0:1], -1
	s_cbranch_scc0 .LBB312_5
; %bb.1:
	v_mov_b32_e32 v1, 0x10000
	v_mov_b32_e32 v2, 0
	v_cmp_lt_i64_e32 vcc, s[2:3], v[1:2]
	v_mov_b32_e32 v2, 0
	s_and_b64 s[0:1], vcc, exec
	s_cselect_b32 s7, s3, 0
	s_cselect_b32 s6, s2, 0x10000
	v_lshlrev_b32_e32 v1, 2, v0
	v_cmp_gt_i64_e32 vcc, s[6:7], v[1:2]
	s_and_saveexec_b64 s[12:13], vcc
	s_cbranch_execz .LBB312_4
; %bb.2:
	s_load_dword s0, s[4:5], 0xc5c
	v_mov_b32_e32 v1, v2
	v_mov_b32_e32 v2, v1
	v_lshlrev_b32_e32 v3, 6, v0
	s_mov_b64 s[14:15], 0
	s_waitcnt lgkmcnt(0)
	s_and_b32 s20, s0, 0xffff
	s_mov_b64 s[16:17], s[8:9]
	s_lshl_b32 s21, s20, 6
	s_mov_b64 s[18:19], s[10:11]
	v_mov_b32_e32 v1, v0
.LBB312_3:                              ; =>This Inner Loop Header: Depth=1
	v_mov_b32_e32 v4, s17
	v_add_co_u32_e32 v20, vcc, s16, v3
	v_addc_co_u32_e32 v21, vcc, 0, v4, vcc
	global_load_dwordx4 v[4:7], v[20:21], off
	global_load_dwordx4 v[8:11], v[20:21], off offset:16
	global_load_dwordx4 v[12:15], v[20:21], off offset:32
	global_load_dwordx4 v[16:19], v[20:21], off offset:48
	v_add_co_u32_e64 v1, s[0:1], s20, v1
	v_addc_co_u32_e64 v2, s[0:1], 0, v2, s[0:1]
	v_mov_b32_e32 v21, s19
	v_add_co_u32_e32 v20, vcc, s18, v3
	s_add_u32 s18, s18, s21
	v_lshlrev_b64 v[22:23], 2, v[1:2]
	v_addc_co_u32_e32 v21, vcc, 0, v21, vcc
	s_addc_u32 s19, s19, 0
	s_add_u32 s16, s16, s21
	v_cmp_le_i64_e32 vcc, s[6:7], v[22:23]
	s_addc_u32 s17, s17, 0
	s_or_b64 s[14:15], vcc, s[14:15]
	s_waitcnt vmcnt(3)
	v_xor_b32_e32 v5, 0x80000000, v5
	v_xor_b32_e32 v7, 0x80000000, v7
	s_waitcnt vmcnt(2)
	v_xor_b32_e32 v9, 0x80000000, v9
	v_xor_b32_e32 v11, 0x80000000, v11
	;; [unrolled: 3-line block ×4, first 2 shown]
	global_store_dwordx4 v[20:21], v[4:7], off
	global_store_dwordx4 v[20:21], v[8:11], off offset:16
	global_store_dwordx4 v[20:21], v[12:15], off offset:32
	;; [unrolled: 1-line block ×3, first 2 shown]
	s_andn2_b64 exec, exec, s[14:15]
	s_cbranch_execnz .LBB312_3
.LBB312_4:
	s_or_b64 exec, exec, s[12:13]
	s_mov_b64 s[0:1], 0
.LBB312_5:
	s_andn2_b64 vcc, exec, s[0:1]
	s_cbranch_vccnz .LBB312_25
; %bb.6:
	v_cmp_lt_i64_e64 s[0:1], s[2:3], 1
	s_and_b64 vcc, exec, s[0:1]
	s_cbranch_vccnz .LBB312_25
; %bb.7:
	v_mov_b32_e32 v1, 0x10000
	s_load_dword s4, s[4:5], 0xc5c
	v_mov_b32_e32 v2, 0
	v_cmp_lt_i64_e32 vcc, s[2:3], v[1:2]
	s_mov_b64 s[16:17], 0
	s_and_b64 s[0:1], vcc, exec
	v_cmp_lt_u64_e32 vcc, s[2:3], v[1:2]
	s_cselect_b32 s13, s3, 0
	s_cselect_b32 s12, s2, 0x10000
	s_waitcnt lgkmcnt(0)
	s_and_b32 s20, s4, 0xffff
	s_and_b64 s[0:1], vcc, exec
	s_cselect_b32 s15, s3, 0
	s_cselect_b32 s14, s2, 0x10000
	s_lshl_b32 s21, s20, 1
	s_mul_i32 s22, s20, 3
	s_lshl_b32 s23, s20, 2
	s_branch .LBB312_9
.LBB312_8:                              ;   in Loop: Header=BB312_9 Depth=1
	s_or_b64 exec, exec, s[0:1]
	s_add_u32 s16, s16, s23
	s_waitcnt vmcnt(0)
	v_mov_b32_e32 v1, s12
	s_addc_u32 s17, s17, 0
	v_mov_b32_e32 v2, s13
	v_cmp_ge_i64_e32 vcc, s[16:17], v[1:2]
	s_cbranch_vccnz .LBB312_25
.LBB312_9:                              ; =>This Inner Loop Header: Depth=1
	v_mov_b32_e32 v1, s17
	v_add_co_u32_e32 v17, vcc, s16, v0
	v_addc_co_u32_e32 v18, vcc, 0, v1, vcc
	v_cmp_gt_u64_e32 vcc, s[14:15], v[17:18]
	v_mov_b32_e32 v3, 0
	v_mov_b32_e32 v11, 0
	;; [unrolled: 1-line block ×6, first 2 shown]
	s_and_saveexec_b64 s[2:3], vcc
	s_cbranch_execz .LBB312_11
; %bb.10:                               ;   in Loop: Header=BB312_9 Depth=1
	v_lshlrev_b64 v[1:2], 4, v[17:18]
	v_mov_b32_e32 v5, s9
	v_add_co_u32_e64 v1, s[0:1], s8, v1
	v_addc_co_u32_e64 v2, s[0:1], v5, v2, s[0:1]
	global_load_dwordx4 v[9:12], v[1:2], off
.LBB312_11:                             ;   in Loop: Header=BB312_9 Depth=1
	s_or_b64 exec, exec, s[2:3]
	v_add_co_u32_e64 v19, s[0:1], s20, v17
	v_addc_co_u32_e64 v20, s[0:1], 0, v18, s[0:1]
	v_cmp_gt_u64_e64 s[0:1], s[14:15], v[19:20]
	v_mov_b32_e32 v1, 0
	v_mov_b32_e32 v2, 0
	s_and_saveexec_b64 s[4:5], s[0:1]
	s_cbranch_execz .LBB312_13
; %bb.12:                               ;   in Loop: Header=BB312_9 Depth=1
	v_lshlrev_b64 v[1:2], 4, v[19:20]
	v_mov_b32_e32 v3, s9
	v_add_co_u32_e64 v1, s[2:3], s8, v1
	v_addc_co_u32_e64 v2, s[2:3], v3, v2, s[2:3]
	global_load_dwordx4 v[1:4], v[1:2], off
.LBB312_13:                             ;   in Loop: Header=BB312_9 Depth=1
	s_or_b64 exec, exec, s[4:5]
	v_add_co_u32_e64 v21, s[2:3], s21, v17
	v_addc_co_u32_e64 v22, s[2:3], 0, v18, s[2:3]
	v_cmp_gt_u64_e64 s[2:3], s[14:15], v[21:22]
	v_mov_b32_e32 v7, 0
	v_mov_b32_e32 v15, 0
	v_mov_b32_e32 v13, 0
	v_mov_b32_e32 v8, 0
	v_mov_b32_e32 v16, 0
	v_mov_b32_e32 v14, 0
	s_and_saveexec_b64 s[6:7], s[2:3]
	s_cbranch_execz .LBB312_15
; %bb.14:                               ;   in Loop: Header=BB312_9 Depth=1
	v_lshlrev_b64 v[5:6], 4, v[21:22]
	v_mov_b32_e32 v13, s9
	v_add_co_u32_e64 v5, s[4:5], s8, v5
	v_addc_co_u32_e64 v6, s[4:5], v13, v6, s[4:5]
	global_load_dwordx4 v[13:16], v[5:6], off
.LBB312_15:                             ;   in Loop: Header=BB312_9 Depth=1
	s_or_b64 exec, exec, s[6:7]
	v_add_co_u32_e64 v23, s[4:5], s22, v17
	v_addc_co_u32_e64 v24, s[4:5], 0, v18, s[4:5]
	v_cmp_gt_u64_e64 s[4:5], s[14:15], v[23:24]
	v_mov_b32_e32 v5, 0
	v_mov_b32_e32 v6, 0
	s_and_saveexec_b64 s[18:19], s[4:5]
	s_cbranch_execnz .LBB312_20
; %bb.16:                               ;   in Loop: Header=BB312_9 Depth=1
	s_or_b64 exec, exec, s[18:19]
	s_and_saveexec_b64 s[6:7], vcc
	s_cbranch_execnz .LBB312_21
.LBB312_17:                             ;   in Loop: Header=BB312_9 Depth=1
	s_or_b64 exec, exec, s[6:7]
	s_and_saveexec_b64 s[6:7], s[0:1]
	s_cbranch_execnz .LBB312_22
.LBB312_18:                             ;   in Loop: Header=BB312_9 Depth=1
	s_or_b64 exec, exec, s[6:7]
	s_and_saveexec_b64 s[0:1], s[2:3]
	s_cbranch_execnz .LBB312_23
.LBB312_19:                             ;   in Loop: Header=BB312_9 Depth=1
	s_or_b64 exec, exec, s[0:1]
	s_and_saveexec_b64 s[0:1], s[4:5]
	s_cbranch_execz .LBB312_8
	s_branch .LBB312_24
.LBB312_20:                             ;   in Loop: Header=BB312_9 Depth=1
	v_lshlrev_b64 v[5:6], 4, v[23:24]
	v_mov_b32_e32 v7, s9
	v_add_co_u32_e64 v5, s[6:7], s8, v5
	v_addc_co_u32_e64 v6, s[6:7], v7, v6, s[6:7]
	global_load_dwordx4 v[5:8], v[5:6], off
	s_or_b64 exec, exec, s[18:19]
	s_and_saveexec_b64 s[6:7], vcc
	s_cbranch_execz .LBB312_17
.LBB312_21:                             ;   in Loop: Header=BB312_9 Depth=1
	v_lshlrev_b64 v[17:18], 4, v[17:18]
	v_mov_b32_e32 v25, s11
	v_add_co_u32_e32 v17, vcc, s10, v17
	v_addc_co_u32_e32 v18, vcc, v25, v18, vcc
	s_waitcnt vmcnt(0)
	v_xor_b32_e32 v10, 0x80000000, v10
	v_xor_b32_e32 v12, 0x80000000, v12
	global_store_dwordx4 v[17:18], v[9:12], off
	s_or_b64 exec, exec, s[6:7]
	s_and_saveexec_b64 s[6:7], s[0:1]
	s_cbranch_execz .LBB312_18
.LBB312_22:                             ;   in Loop: Header=BB312_9 Depth=1
	s_waitcnt vmcnt(0)
	v_lshlrev_b64 v[9:10], 4, v[19:20]
	v_mov_b32_e32 v11, s11
	v_add_co_u32_e32 v9, vcc, s10, v9
	v_xor_b32_e32 v2, 0x80000000, v2
	v_xor_b32_e32 v4, 0x80000000, v4
	v_addc_co_u32_e32 v10, vcc, v11, v10, vcc
	global_store_dwordx4 v[9:10], v[1:4], off
	s_or_b64 exec, exec, s[6:7]
	s_and_saveexec_b64 s[0:1], s[2:3]
	s_cbranch_execz .LBB312_19
.LBB312_23:                             ;   in Loop: Header=BB312_9 Depth=1
	s_waitcnt vmcnt(0)
	v_lshlrev_b64 v[1:2], 4, v[21:22]
	v_mov_b32_e32 v3, s11
	v_add_co_u32_e32 v1, vcc, s10, v1
	v_xor_b32_e32 v14, 0x80000000, v14
	v_xor_b32_e32 v16, 0x80000000, v16
	v_addc_co_u32_e32 v2, vcc, v3, v2, vcc
	global_store_dwordx4 v[1:2], v[13:16], off
	s_or_b64 exec, exec, s[0:1]
	s_and_saveexec_b64 s[0:1], s[4:5]
	s_cbranch_execz .LBB312_8
.LBB312_24:                             ;   in Loop: Header=BB312_9 Depth=1
	s_waitcnt vmcnt(0)
	v_lshlrev_b64 v[1:2], 4, v[23:24]
	v_mov_b32_e32 v3, s11
	v_add_co_u32_e32 v1, vcc, s10, v1
	v_xor_b32_e32 v6, 0x80000000, v6
	v_xor_b32_e32 v8, 0x80000000, v8
	v_addc_co_u32_e32 v2, vcc, v3, v2, vcc
	global_store_dwordx4 v[1:2], v[5:8], off
	s_branch .LBB312_8
.LBB312_25:
	s_endpgm
	.section	.rodata,"a",@progbits
	.p2align	6, 0x0
	.amdhsa_kernel _ZN2at6native12_GLOBAL__N_125multi_tensor_apply_kernelINS1_18TensorListMetadataILi2EEENS1_14UnaryOpFunctorIN3c107complexIdEELi2ELi1ELi1EEEJSt6negateIS8_EEEEvT_T0_DpT1_
		.amdhsa_group_segment_fixed_size 0
		.amdhsa_private_segment_fixed_size 0
		.amdhsa_kernarg_size 3408
		.amdhsa_user_sgpr_count 6
		.amdhsa_user_sgpr_private_segment_buffer 1
		.amdhsa_user_sgpr_dispatch_ptr 0
		.amdhsa_user_sgpr_queue_ptr 0
		.amdhsa_user_sgpr_kernarg_segment_ptr 1
		.amdhsa_user_sgpr_dispatch_id 0
		.amdhsa_user_sgpr_flat_scratch_init 0
		.amdhsa_user_sgpr_private_segment_size 0
		.amdhsa_uses_dynamic_stack 0
		.amdhsa_system_sgpr_private_segment_wavefront_offset 0
		.amdhsa_system_sgpr_workgroup_id_x 1
		.amdhsa_system_sgpr_workgroup_id_y 0
		.amdhsa_system_sgpr_workgroup_id_z 0
		.amdhsa_system_sgpr_workgroup_info 0
		.amdhsa_system_vgpr_workitem_id 0
		.amdhsa_next_free_vgpr 26
		.amdhsa_next_free_sgpr 24
		.amdhsa_reserve_vcc 1
		.amdhsa_reserve_flat_scratch 0
		.amdhsa_float_round_mode_32 0
		.amdhsa_float_round_mode_16_64 0
		.amdhsa_float_denorm_mode_32 3
		.amdhsa_float_denorm_mode_16_64 3
		.amdhsa_dx10_clamp 1
		.amdhsa_ieee_mode 1
		.amdhsa_fp16_overflow 0
		.amdhsa_exception_fp_ieee_invalid_op 0
		.amdhsa_exception_fp_denorm_src 0
		.amdhsa_exception_fp_ieee_div_zero 0
		.amdhsa_exception_fp_ieee_overflow 0
		.amdhsa_exception_fp_ieee_underflow 0
		.amdhsa_exception_fp_ieee_inexact 0
		.amdhsa_exception_int_div_zero 0
	.end_amdhsa_kernel
	.section	.text._ZN2at6native12_GLOBAL__N_125multi_tensor_apply_kernelINS1_18TensorListMetadataILi2EEENS1_14UnaryOpFunctorIN3c107complexIdEELi2ELi1ELi1EEEJSt6negateIS8_EEEEvT_T0_DpT1_,"axG",@progbits,_ZN2at6native12_GLOBAL__N_125multi_tensor_apply_kernelINS1_18TensorListMetadataILi2EEENS1_14UnaryOpFunctorIN3c107complexIdEELi2ELi1ELi1EEEJSt6negateIS8_EEEEvT_T0_DpT1_,comdat
.Lfunc_end312:
	.size	_ZN2at6native12_GLOBAL__N_125multi_tensor_apply_kernelINS1_18TensorListMetadataILi2EEENS1_14UnaryOpFunctorIN3c107complexIdEELi2ELi1ELi1EEEJSt6negateIS8_EEEEvT_T0_DpT1_, .Lfunc_end312-_ZN2at6native12_GLOBAL__N_125multi_tensor_apply_kernelINS1_18TensorListMetadataILi2EEENS1_14UnaryOpFunctorIN3c107complexIdEELi2ELi1ELi1EEEJSt6negateIS8_EEEEvT_T0_DpT1_
                                        ; -- End function
	.set _ZN2at6native12_GLOBAL__N_125multi_tensor_apply_kernelINS1_18TensorListMetadataILi2EEENS1_14UnaryOpFunctorIN3c107complexIdEELi2ELi1ELi1EEEJSt6negateIS8_EEEEvT_T0_DpT1_.num_vgpr, 26
	.set _ZN2at6native12_GLOBAL__N_125multi_tensor_apply_kernelINS1_18TensorListMetadataILi2EEENS1_14UnaryOpFunctorIN3c107complexIdEELi2ELi1ELi1EEEJSt6negateIS8_EEEEvT_T0_DpT1_.num_agpr, 0
	.set _ZN2at6native12_GLOBAL__N_125multi_tensor_apply_kernelINS1_18TensorListMetadataILi2EEENS1_14UnaryOpFunctorIN3c107complexIdEELi2ELi1ELi1EEEJSt6negateIS8_EEEEvT_T0_DpT1_.numbered_sgpr, 24
	.set _ZN2at6native12_GLOBAL__N_125multi_tensor_apply_kernelINS1_18TensorListMetadataILi2EEENS1_14UnaryOpFunctorIN3c107complexIdEELi2ELi1ELi1EEEJSt6negateIS8_EEEEvT_T0_DpT1_.num_named_barrier, 0
	.set _ZN2at6native12_GLOBAL__N_125multi_tensor_apply_kernelINS1_18TensorListMetadataILi2EEENS1_14UnaryOpFunctorIN3c107complexIdEELi2ELi1ELi1EEEJSt6negateIS8_EEEEvT_T0_DpT1_.private_seg_size, 0
	.set _ZN2at6native12_GLOBAL__N_125multi_tensor_apply_kernelINS1_18TensorListMetadataILi2EEENS1_14UnaryOpFunctorIN3c107complexIdEELi2ELi1ELi1EEEJSt6negateIS8_EEEEvT_T0_DpT1_.uses_vcc, 1
	.set _ZN2at6native12_GLOBAL__N_125multi_tensor_apply_kernelINS1_18TensorListMetadataILi2EEENS1_14UnaryOpFunctorIN3c107complexIdEELi2ELi1ELi1EEEJSt6negateIS8_EEEEvT_T0_DpT1_.uses_flat_scratch, 0
	.set _ZN2at6native12_GLOBAL__N_125multi_tensor_apply_kernelINS1_18TensorListMetadataILi2EEENS1_14UnaryOpFunctorIN3c107complexIdEELi2ELi1ELi1EEEJSt6negateIS8_EEEEvT_T0_DpT1_.has_dyn_sized_stack, 0
	.set _ZN2at6native12_GLOBAL__N_125multi_tensor_apply_kernelINS1_18TensorListMetadataILi2EEENS1_14UnaryOpFunctorIN3c107complexIdEELi2ELi1ELi1EEEJSt6negateIS8_EEEEvT_T0_DpT1_.has_recursion, 0
	.set _ZN2at6native12_GLOBAL__N_125multi_tensor_apply_kernelINS1_18TensorListMetadataILi2EEENS1_14UnaryOpFunctorIN3c107complexIdEELi2ELi1ELi1EEEJSt6negateIS8_EEEEvT_T0_DpT1_.has_indirect_call, 0
	.section	.AMDGPU.csdata,"",@progbits
; Kernel info:
; codeLenInByte = 1292
; TotalNumSgprs: 28
; NumVgprs: 26
; ScratchSize: 0
; MemoryBound: 1
; FloatMode: 240
; IeeeMode: 1
; LDSByteSize: 0 bytes/workgroup (compile time only)
; SGPRBlocks: 3
; VGPRBlocks: 6
; NumSGPRsForWavesPerEU: 28
; NumVGPRsForWavesPerEU: 26
; Occupancy: 9
; WaveLimiterHint : 0
; COMPUTE_PGM_RSRC2:SCRATCH_EN: 0
; COMPUTE_PGM_RSRC2:USER_SGPR: 6
; COMPUTE_PGM_RSRC2:TRAP_HANDLER: 0
; COMPUTE_PGM_RSRC2:TGID_X_EN: 1
; COMPUTE_PGM_RSRC2:TGID_Y_EN: 0
; COMPUTE_PGM_RSRC2:TGID_Z_EN: 0
; COMPUTE_PGM_RSRC2:TIDIG_COMP_CNT: 0
	.section	.text._ZN2at6native12_GLOBAL__N_125multi_tensor_apply_kernelINS1_18TensorListMetadataILi2EEENS1_14UnaryOpFunctorIN3c107complexIfEELi2ELi1ELi1EEEJSt6negateIS8_EEEEvT_T0_DpT1_,"axG",@progbits,_ZN2at6native12_GLOBAL__N_125multi_tensor_apply_kernelINS1_18TensorListMetadataILi2EEENS1_14UnaryOpFunctorIN3c107complexIfEELi2ELi1ELi1EEEJSt6negateIS8_EEEEvT_T0_DpT1_,comdat
	.globl	_ZN2at6native12_GLOBAL__N_125multi_tensor_apply_kernelINS1_18TensorListMetadataILi2EEENS1_14UnaryOpFunctorIN3c107complexIfEELi2ELi1ELi1EEEJSt6negateIS8_EEEEvT_T0_DpT1_ ; -- Begin function _ZN2at6native12_GLOBAL__N_125multi_tensor_apply_kernelINS1_18TensorListMetadataILi2EEENS1_14UnaryOpFunctorIN3c107complexIfEELi2ELi1ELi1EEEJSt6negateIS8_EEEEvT_T0_DpT1_
	.p2align	8
	.type	_ZN2at6native12_GLOBAL__N_125multi_tensor_apply_kernelINS1_18TensorListMetadataILi2EEENS1_14UnaryOpFunctorIN3c107complexIfEELi2ELi1ELi1EEEJSt6negateIS8_EEEEvT_T0_DpT1_,@function
_ZN2at6native12_GLOBAL__N_125multi_tensor_apply_kernelINS1_18TensorListMetadataILi2EEENS1_14UnaryOpFunctorIN3c107complexIfEELi2ELi1ELi1EEEJSt6negateIS8_EEEEvT_T0_DpT1_: ; @_ZN2at6native12_GLOBAL__N_125multi_tensor_apply_kernelINS1_18TensorListMetadataILi2EEENS1_14UnaryOpFunctorIN3c107complexIfEELi2ELi1ELi1EEEJSt6negateIS8_EEEEvT_T0_DpT1_
; %bb.0:
	v_mov_b32_e32 v1, s6
	global_load_ubyte v1, v1, s[4:5] offset:1536
	s_add_u32 s0, s4, s6
	s_mul_hi_u32 s3, s6, 3
	s_mul_i32 s6, s6, 3
	s_addc_u32 s8, s5, 0
	s_add_u32 s2, s0, s6
	s_addc_u32 s3, s8, s3
	s_load_dword s2, s[2:3], 0x740
	s_mov_b32 s1, 0
	s_mov_b32 s7, s1
	s_waitcnt lgkmcnt(0)
	s_ashr_i32 s3, s2, 31
	s_lshl_b64 s[14:15], s[2:3], 19
	s_waitcnt vmcnt(0)
	v_readfirstlane_b32 s0, v1
	s_lshl_b32 s0, s0, 3
	s_load_dwordx2 s[8:9], s[4:5], s0 offset:0x0
	s_load_dwordx2 s[12:13], s[4:5], s0 offset:0x400
	;; [unrolled: 1-line block ×3, first 2 shown]
	s_waitcnt lgkmcnt(0)
	s_add_u32 s8, s8, s14
	s_addc_u32 s9, s9, s15
	s_and_b32 s0, s8, 31
	s_add_u32 s10, s10, s14
	s_addc_u32 s11, s11, s15
	s_lshl_b64 s[2:3], s[2:3], 16
	s_and_b32 s6, s10, 31
	s_sub_u32 s2, s12, s2
	s_subb_u32 s3, s13, s3
	s_and_b32 s12, s12, 3
	s_mov_b32 s13, s1
	s_or_b64 s[6:7], s[6:7], s[12:13]
	s_or_b64 s[0:1], s[6:7], s[0:1]
	s_cmp_eq_u64 s[0:1], 0
	s_mov_b64 s[0:1], -1
	s_cbranch_scc0 .LBB313_5
; %bb.1:
	v_mov_b32_e32 v1, 0x10000
	v_mov_b32_e32 v2, 0
	v_cmp_lt_i64_e32 vcc, s[2:3], v[1:2]
	v_mov_b32_e32 v2, 0
	s_and_b64 s[0:1], vcc, exec
	s_cselect_b32 s7, s3, 0
	s_cselect_b32 s6, s2, 0x10000
	v_lshlrev_b32_e32 v1, 2, v0
	v_cmp_gt_i64_e32 vcc, s[6:7], v[1:2]
	s_and_saveexec_b64 s[12:13], vcc
	s_cbranch_execz .LBB313_4
; %bb.2:
	s_load_dword s0, s[4:5], 0xc5c
	v_mov_b32_e32 v1, v2
	v_mov_b32_e32 v2, v1
	v_lshlrev_b32_e32 v3, 5, v0
	s_mov_b64 s[14:15], 0
	s_waitcnt lgkmcnt(0)
	s_and_b32 s20, s0, 0xffff
	s_mov_b64 s[16:17], s[8:9]
	s_lshl_b32 s21, s20, 5
	s_mov_b64 s[18:19], s[10:11]
	v_mov_b32_e32 v1, v0
.LBB313_3:                              ; =>This Inner Loop Header: Depth=1
	v_mov_b32_e32 v4, s17
	v_add_co_u32_e32 v12, vcc, s16, v3
	v_addc_co_u32_e32 v13, vcc, 0, v4, vcc
	global_load_dwordx4 v[4:7], v[12:13], off
	global_load_dwordx4 v[8:11], v[12:13], off offset:16
	v_add_co_u32_e64 v1, s[0:1], s20, v1
	v_addc_co_u32_e64 v2, s[0:1], 0, v2, s[0:1]
	v_mov_b32_e32 v13, s19
	v_add_co_u32_e32 v12, vcc, s18, v3
	s_add_u32 s18, s18, s21
	v_lshlrev_b64 v[14:15], 2, v[1:2]
	v_addc_co_u32_e32 v13, vcc, 0, v13, vcc
	s_addc_u32 s19, s19, 0
	s_add_u32 s16, s16, s21
	v_cmp_le_i64_e32 vcc, s[6:7], v[14:15]
	s_addc_u32 s17, s17, 0
	s_or_b64 s[14:15], vcc, s[14:15]
	s_waitcnt vmcnt(1)
	v_xor_b32_e32 v4, 0x80000000, v4
	v_xor_b32_e32 v5, 0x80000000, v5
	;; [unrolled: 1-line block ×4, first 2 shown]
	s_waitcnt vmcnt(0)
	v_xor_b32_e32 v8, 0x80000000, v8
	v_xor_b32_e32 v9, 0x80000000, v9
	;; [unrolled: 1-line block ×4, first 2 shown]
	global_store_dwordx4 v[12:13], v[4:7], off
	global_store_dwordx4 v[12:13], v[8:11], off offset:16
	s_andn2_b64 exec, exec, s[14:15]
	s_cbranch_execnz .LBB313_3
.LBB313_4:
	s_or_b64 exec, exec, s[12:13]
	s_mov_b64 s[0:1], 0
.LBB313_5:
	s_andn2_b64 vcc, exec, s[0:1]
	s_cbranch_vccnz .LBB313_25
; %bb.6:
	v_cmp_lt_i64_e64 s[0:1], s[2:3], 1
	s_and_b64 vcc, exec, s[0:1]
	s_cbranch_vccnz .LBB313_25
; %bb.7:
	v_mov_b32_e32 v1, 0x10000
	s_load_dword s4, s[4:5], 0xc5c
	v_mov_b32_e32 v2, 0
	v_cmp_lt_i64_e32 vcc, s[2:3], v[1:2]
	s_mov_b64 s[16:17], 0
	s_and_b64 s[0:1], vcc, exec
	v_cmp_lt_u64_e32 vcc, s[2:3], v[1:2]
	s_cselect_b32 s13, s3, 0
	s_cselect_b32 s12, s2, 0x10000
	s_waitcnt lgkmcnt(0)
	s_and_b32 s20, s4, 0xffff
	s_and_b64 s[0:1], vcc, exec
	s_cselect_b32 s15, s3, 0
	s_cselect_b32 s14, s2, 0x10000
	s_lshl_b32 s21, s20, 1
	s_mul_i32 s22, s20, 3
	s_lshl_b32 s23, s20, 2
	s_branch .LBB313_9
.LBB313_8:                              ;   in Loop: Header=BB313_9 Depth=1
	s_or_b64 exec, exec, s[0:1]
	s_add_u32 s16, s16, s23
	v_mov_b32_e32 v1, s12
	s_addc_u32 s17, s17, 0
	v_mov_b32_e32 v2, s13
	v_cmp_ge_i64_e32 vcc, s[16:17], v[1:2]
	s_cbranch_vccnz .LBB313_25
.LBB313_9:                              ; =>This Inner Loop Header: Depth=1
	v_mov_b32_e32 v2, s17
	v_add_co_u32_e32 v1, vcc, s16, v0
	v_addc_co_u32_e32 v2, vcc, 0, v2, vcc
	v_cmp_gt_u64_e32 vcc, s[14:15], v[1:2]
	s_waitcnt vmcnt(0)
	v_mov_b32_e32 v6, 0
	v_mov_b32_e32 v5, 0
	s_and_saveexec_b64 s[2:3], vcc
	s_cbranch_execz .LBB313_11
; %bb.10:                               ;   in Loop: Header=BB313_9 Depth=1
	v_lshlrev_b64 v[3:4], 3, v[1:2]
	v_mov_b32_e32 v5, s9
	v_add_co_u32_e64 v3, s[0:1], s8, v3
	v_addc_co_u32_e64 v4, s[0:1], v5, v4, s[0:1]
	global_load_dwordx2 v[5:6], v[3:4], off
.LBB313_11:                             ;   in Loop: Header=BB313_9 Depth=1
	s_or_b64 exec, exec, s[2:3]
	v_add_co_u32_e64 v7, s[0:1], s20, v1
	v_addc_co_u32_e64 v8, s[0:1], 0, v2, s[0:1]
	v_cmp_gt_u64_e64 s[0:1], s[14:15], v[7:8]
	v_mov_b32_e32 v4, 0
	v_mov_b32_e32 v12, 0
	;; [unrolled: 1-line block ×3, first 2 shown]
	s_and_saveexec_b64 s[4:5], s[0:1]
	s_cbranch_execz .LBB313_13
; %bb.12:                               ;   in Loop: Header=BB313_9 Depth=1
	v_lshlrev_b64 v[9:10], 3, v[7:8]
	v_mov_b32_e32 v3, s9
	v_add_co_u32_e64 v9, s[2:3], s8, v9
	v_addc_co_u32_e64 v10, s[2:3], v3, v10, s[2:3]
	global_load_dwordx2 v[11:12], v[9:10], off
.LBB313_13:                             ;   in Loop: Header=BB313_9 Depth=1
	s_or_b64 exec, exec, s[4:5]
	v_add_co_u32_e64 v9, s[2:3], s21, v1
	v_addc_co_u32_e64 v10, s[2:3], 0, v2, s[2:3]
	v_cmp_gt_u64_e64 s[2:3], s[14:15], v[9:10]
	v_mov_b32_e32 v3, 0
	s_and_saveexec_b64 s[6:7], s[2:3]
	s_cbranch_execz .LBB313_15
; %bb.14:                               ;   in Loop: Header=BB313_9 Depth=1
	v_lshlrev_b64 v[3:4], 3, v[9:10]
	v_mov_b32_e32 v13, s9
	v_add_co_u32_e64 v3, s[4:5], s8, v3
	v_addc_co_u32_e64 v4, s[4:5], v13, v4, s[4:5]
	global_load_dwordx2 v[3:4], v[3:4], off
.LBB313_15:                             ;   in Loop: Header=BB313_9 Depth=1
	s_or_b64 exec, exec, s[6:7]
	v_add_co_u32_e64 v13, s[4:5], s22, v1
	v_addc_co_u32_e64 v14, s[4:5], 0, v2, s[4:5]
	v_cmp_gt_u64_e64 s[4:5], s[14:15], v[13:14]
	v_mov_b32_e32 v16, 0
	v_mov_b32_e32 v15, 0
	s_and_saveexec_b64 s[18:19], s[4:5]
	s_cbranch_execnz .LBB313_20
; %bb.16:                               ;   in Loop: Header=BB313_9 Depth=1
	s_or_b64 exec, exec, s[18:19]
	s_and_saveexec_b64 s[6:7], vcc
	s_cbranch_execnz .LBB313_21
.LBB313_17:                             ;   in Loop: Header=BB313_9 Depth=1
	s_or_b64 exec, exec, s[6:7]
	s_and_saveexec_b64 s[6:7], s[0:1]
	s_cbranch_execnz .LBB313_22
.LBB313_18:                             ;   in Loop: Header=BB313_9 Depth=1
	s_or_b64 exec, exec, s[6:7]
	s_and_saveexec_b64 s[0:1], s[2:3]
	s_cbranch_execnz .LBB313_23
.LBB313_19:                             ;   in Loop: Header=BB313_9 Depth=1
	s_or_b64 exec, exec, s[0:1]
	s_and_saveexec_b64 s[0:1], s[4:5]
	s_cbranch_execz .LBB313_8
	s_branch .LBB313_24
.LBB313_20:                             ;   in Loop: Header=BB313_9 Depth=1
	v_lshlrev_b64 v[15:16], 3, v[13:14]
	v_mov_b32_e32 v17, s9
	v_add_co_u32_e64 v15, s[6:7], s8, v15
	v_addc_co_u32_e64 v16, s[6:7], v17, v16, s[6:7]
	global_load_dwordx2 v[15:16], v[15:16], off
	s_or_b64 exec, exec, s[18:19]
	s_and_saveexec_b64 s[6:7], vcc
	s_cbranch_execz .LBB313_17
.LBB313_21:                             ;   in Loop: Header=BB313_9 Depth=1
	v_lshlrev_b64 v[1:2], 3, v[1:2]
	v_mov_b32_e32 v17, s11
	v_add_co_u32_e32 v1, vcc, s10, v1
	v_addc_co_u32_e32 v2, vcc, v17, v2, vcc
	s_waitcnt vmcnt(0)
	v_xor_b32_e32 v5, 0x80000000, v5
	v_xor_b32_e32 v6, 0x80000000, v6
	global_store_dwordx2 v[1:2], v[5:6], off
	s_or_b64 exec, exec, s[6:7]
	s_and_saveexec_b64 s[6:7], s[0:1]
	s_cbranch_execz .LBB313_18
.LBB313_22:                             ;   in Loop: Header=BB313_9 Depth=1
	s_waitcnt vmcnt(0)
	v_lshlrev_b64 v[5:6], 3, v[7:8]
	v_mov_b32_e32 v7, s11
	v_add_co_u32_e32 v5, vcc, s10, v5
	v_xor_b32_e32 v1, 0x80000000, v11
	v_xor_b32_e32 v2, 0x80000000, v12
	v_addc_co_u32_e32 v6, vcc, v7, v6, vcc
	global_store_dwordx2 v[5:6], v[1:2], off
	s_or_b64 exec, exec, s[6:7]
	s_and_saveexec_b64 s[0:1], s[2:3]
	s_cbranch_execz .LBB313_19
.LBB313_23:                             ;   in Loop: Header=BB313_9 Depth=1
	s_waitcnt vmcnt(0)
	v_xor_b32_e32 v1, 0x80000000, v3
	v_xor_b32_e32 v2, 0x80000000, v4
	v_lshlrev_b64 v[3:4], 3, v[9:10]
	v_mov_b32_e32 v5, s11
	v_add_co_u32_e32 v3, vcc, s10, v3
	v_addc_co_u32_e32 v4, vcc, v5, v4, vcc
	global_store_dwordx2 v[3:4], v[1:2], off
	s_or_b64 exec, exec, s[0:1]
	s_and_saveexec_b64 s[0:1], s[4:5]
	s_cbranch_execz .LBB313_8
.LBB313_24:                             ;   in Loop: Header=BB313_9 Depth=1
	s_waitcnt vmcnt(0)
	v_lshlrev_b64 v[3:4], 3, v[13:14]
	v_mov_b32_e32 v5, s11
	v_add_co_u32_e32 v3, vcc, s10, v3
	v_xor_b32_e32 v1, 0x80000000, v15
	v_xor_b32_e32 v2, 0x80000000, v16
	v_addc_co_u32_e32 v4, vcc, v5, v4, vcc
	global_store_dwordx2 v[3:4], v[1:2], off
	s_branch .LBB313_8
.LBB313_25:
	s_endpgm
	.section	.rodata,"a",@progbits
	.p2align	6, 0x0
	.amdhsa_kernel _ZN2at6native12_GLOBAL__N_125multi_tensor_apply_kernelINS1_18TensorListMetadataILi2EEENS1_14UnaryOpFunctorIN3c107complexIfEELi2ELi1ELi1EEEJSt6negateIS8_EEEEvT_T0_DpT1_
		.amdhsa_group_segment_fixed_size 0
		.amdhsa_private_segment_fixed_size 0
		.amdhsa_kernarg_size 3408
		.amdhsa_user_sgpr_count 6
		.amdhsa_user_sgpr_private_segment_buffer 1
		.amdhsa_user_sgpr_dispatch_ptr 0
		.amdhsa_user_sgpr_queue_ptr 0
		.amdhsa_user_sgpr_kernarg_segment_ptr 1
		.amdhsa_user_sgpr_dispatch_id 0
		.amdhsa_user_sgpr_flat_scratch_init 0
		.amdhsa_user_sgpr_private_segment_size 0
		.amdhsa_uses_dynamic_stack 0
		.amdhsa_system_sgpr_private_segment_wavefront_offset 0
		.amdhsa_system_sgpr_workgroup_id_x 1
		.amdhsa_system_sgpr_workgroup_id_y 0
		.amdhsa_system_sgpr_workgroup_id_z 0
		.amdhsa_system_sgpr_workgroup_info 0
		.amdhsa_system_vgpr_workitem_id 0
		.amdhsa_next_free_vgpr 18
		.amdhsa_next_free_sgpr 24
		.amdhsa_reserve_vcc 1
		.amdhsa_reserve_flat_scratch 0
		.amdhsa_float_round_mode_32 0
		.amdhsa_float_round_mode_16_64 0
		.amdhsa_float_denorm_mode_32 3
		.amdhsa_float_denorm_mode_16_64 3
		.amdhsa_dx10_clamp 1
		.amdhsa_ieee_mode 1
		.amdhsa_fp16_overflow 0
		.amdhsa_exception_fp_ieee_invalid_op 0
		.amdhsa_exception_fp_denorm_src 0
		.amdhsa_exception_fp_ieee_div_zero 0
		.amdhsa_exception_fp_ieee_overflow 0
		.amdhsa_exception_fp_ieee_underflow 0
		.amdhsa_exception_fp_ieee_inexact 0
		.amdhsa_exception_int_div_zero 0
	.end_amdhsa_kernel
	.section	.text._ZN2at6native12_GLOBAL__N_125multi_tensor_apply_kernelINS1_18TensorListMetadataILi2EEENS1_14UnaryOpFunctorIN3c107complexIfEELi2ELi1ELi1EEEJSt6negateIS8_EEEEvT_T0_DpT1_,"axG",@progbits,_ZN2at6native12_GLOBAL__N_125multi_tensor_apply_kernelINS1_18TensorListMetadataILi2EEENS1_14UnaryOpFunctorIN3c107complexIfEELi2ELi1ELi1EEEJSt6negateIS8_EEEEvT_T0_DpT1_,comdat
.Lfunc_end313:
	.size	_ZN2at6native12_GLOBAL__N_125multi_tensor_apply_kernelINS1_18TensorListMetadataILi2EEENS1_14UnaryOpFunctorIN3c107complexIfEELi2ELi1ELi1EEEJSt6negateIS8_EEEEvT_T0_DpT1_, .Lfunc_end313-_ZN2at6native12_GLOBAL__N_125multi_tensor_apply_kernelINS1_18TensorListMetadataILi2EEENS1_14UnaryOpFunctorIN3c107complexIfEELi2ELi1ELi1EEEJSt6negateIS8_EEEEvT_T0_DpT1_
                                        ; -- End function
	.set _ZN2at6native12_GLOBAL__N_125multi_tensor_apply_kernelINS1_18TensorListMetadataILi2EEENS1_14UnaryOpFunctorIN3c107complexIfEELi2ELi1ELi1EEEJSt6negateIS8_EEEEvT_T0_DpT1_.num_vgpr, 18
	.set _ZN2at6native12_GLOBAL__N_125multi_tensor_apply_kernelINS1_18TensorListMetadataILi2EEENS1_14UnaryOpFunctorIN3c107complexIfEELi2ELi1ELi1EEEJSt6negateIS8_EEEEvT_T0_DpT1_.num_agpr, 0
	.set _ZN2at6native12_GLOBAL__N_125multi_tensor_apply_kernelINS1_18TensorListMetadataILi2EEENS1_14UnaryOpFunctorIN3c107complexIfEELi2ELi1ELi1EEEJSt6negateIS8_EEEEvT_T0_DpT1_.numbered_sgpr, 24
	.set _ZN2at6native12_GLOBAL__N_125multi_tensor_apply_kernelINS1_18TensorListMetadataILi2EEENS1_14UnaryOpFunctorIN3c107complexIfEELi2ELi1ELi1EEEJSt6negateIS8_EEEEvT_T0_DpT1_.num_named_barrier, 0
	.set _ZN2at6native12_GLOBAL__N_125multi_tensor_apply_kernelINS1_18TensorListMetadataILi2EEENS1_14UnaryOpFunctorIN3c107complexIfEELi2ELi1ELi1EEEJSt6negateIS8_EEEEvT_T0_DpT1_.private_seg_size, 0
	.set _ZN2at6native12_GLOBAL__N_125multi_tensor_apply_kernelINS1_18TensorListMetadataILi2EEENS1_14UnaryOpFunctorIN3c107complexIfEELi2ELi1ELi1EEEJSt6negateIS8_EEEEvT_T0_DpT1_.uses_vcc, 1
	.set _ZN2at6native12_GLOBAL__N_125multi_tensor_apply_kernelINS1_18TensorListMetadataILi2EEENS1_14UnaryOpFunctorIN3c107complexIfEELi2ELi1ELi1EEEJSt6negateIS8_EEEEvT_T0_DpT1_.uses_flat_scratch, 0
	.set _ZN2at6native12_GLOBAL__N_125multi_tensor_apply_kernelINS1_18TensorListMetadataILi2EEENS1_14UnaryOpFunctorIN3c107complexIfEELi2ELi1ELi1EEEJSt6negateIS8_EEEEvT_T0_DpT1_.has_dyn_sized_stack, 0
	.set _ZN2at6native12_GLOBAL__N_125multi_tensor_apply_kernelINS1_18TensorListMetadataILi2EEENS1_14UnaryOpFunctorIN3c107complexIfEELi2ELi1ELi1EEEJSt6negateIS8_EEEEvT_T0_DpT1_.has_recursion, 0
	.set _ZN2at6native12_GLOBAL__N_125multi_tensor_apply_kernelINS1_18TensorListMetadataILi2EEENS1_14UnaryOpFunctorIN3c107complexIfEELi2ELi1ELi1EEEJSt6negateIS8_EEEEvT_T0_DpT1_.has_indirect_call, 0
	.section	.AMDGPU.csdata,"",@progbits
; Kernel info:
; codeLenInByte = 1220
; TotalNumSgprs: 28
; NumVgprs: 18
; ScratchSize: 0
; MemoryBound: 0
; FloatMode: 240
; IeeeMode: 1
; LDSByteSize: 0 bytes/workgroup (compile time only)
; SGPRBlocks: 3
; VGPRBlocks: 4
; NumSGPRsForWavesPerEU: 28
; NumVGPRsForWavesPerEU: 18
; Occupancy: 10
; WaveLimiterHint : 0
; COMPUTE_PGM_RSRC2:SCRATCH_EN: 0
; COMPUTE_PGM_RSRC2:USER_SGPR: 6
; COMPUTE_PGM_RSRC2:TRAP_HANDLER: 0
; COMPUTE_PGM_RSRC2:TGID_X_EN: 1
; COMPUTE_PGM_RSRC2:TGID_Y_EN: 0
; COMPUTE_PGM_RSRC2:TGID_Z_EN: 0
; COMPUTE_PGM_RSRC2:TIDIG_COMP_CNT: 0
	.section	.text._ZN2at6native12_GLOBAL__N_125multi_tensor_apply_kernelINS1_18TensorListMetadataILi2EEENS1_14UnaryOpFunctorIN3c104HalfELi2ELi1ELi1EEEJSt6negateIfEEEEvT_T0_DpT1_,"axG",@progbits,_ZN2at6native12_GLOBAL__N_125multi_tensor_apply_kernelINS1_18TensorListMetadataILi2EEENS1_14UnaryOpFunctorIN3c104HalfELi2ELi1ELi1EEEJSt6negateIfEEEEvT_T0_DpT1_,comdat
	.globl	_ZN2at6native12_GLOBAL__N_125multi_tensor_apply_kernelINS1_18TensorListMetadataILi2EEENS1_14UnaryOpFunctorIN3c104HalfELi2ELi1ELi1EEEJSt6negateIfEEEEvT_T0_DpT1_ ; -- Begin function _ZN2at6native12_GLOBAL__N_125multi_tensor_apply_kernelINS1_18TensorListMetadataILi2EEENS1_14UnaryOpFunctorIN3c104HalfELi2ELi1ELi1EEEJSt6negateIfEEEEvT_T0_DpT1_
	.p2align	8
	.type	_ZN2at6native12_GLOBAL__N_125multi_tensor_apply_kernelINS1_18TensorListMetadataILi2EEENS1_14UnaryOpFunctorIN3c104HalfELi2ELi1ELi1EEEJSt6negateIfEEEEvT_T0_DpT1_,@function
_ZN2at6native12_GLOBAL__N_125multi_tensor_apply_kernelINS1_18TensorListMetadataILi2EEENS1_14UnaryOpFunctorIN3c104HalfELi2ELi1ELi1EEEJSt6negateIfEEEEvT_T0_DpT1_: ; @_ZN2at6native12_GLOBAL__N_125multi_tensor_apply_kernelINS1_18TensorListMetadataILi2EEENS1_14UnaryOpFunctorIN3c104HalfELi2ELi1ELi1EEEJSt6negateIfEEEEvT_T0_DpT1_
; %bb.0:
	v_mov_b32_e32 v1, s6
	global_load_ubyte v1, v1, s[4:5] offset:1536
	s_add_u32 s0, s4, s6
	s_mul_hi_u32 s1, s6, 3
	s_mul_i32 s6, s6, 3
	s_addc_u32 s2, s5, 0
	s_add_u32 s0, s0, s6
	s_addc_u32 s1, s2, s1
	s_load_dword s6, s[0:1], 0x740
	s_mov_b32 s11, 0
	s_mov_b32 s13, s11
	s_waitcnt vmcnt(0)
	v_readfirstlane_b32 s0, v1
	s_lshl_b32 s7, s0, 3
	s_load_dwordx2 s[14:15], s[4:5], s7 offset:0x400
	s_load_dwordx2 s[2:3], s[4:5], s7 offset:0x0
	;; [unrolled: 1-line block ×3, first 2 shown]
	s_waitcnt lgkmcnt(0)
	s_ashr_i32 s7, s6, 31
	s_lshl_b64 s[8:9], s[6:7], 17
	s_lshl_b64 s[6:7], s[6:7], 16
	s_add_u32 s10, s2, s8
	s_and_b32 s12, s0, 7
	s_and_b32 s10, s10, 7
	s_sub_u32 s6, s14, s6
	s_subb_u32 s7, s15, s7
	s_and_b32 s14, s14, 3
	s_mov_b32 s15, s11
	s_or_b64 s[12:13], s[12:13], s[14:15]
	s_or_b64 s[10:11], s[12:13], s[10:11]
	s_cmp_eq_u64 s[10:11], 0
	s_mov_b64 s[10:11], -1
	s_cbranch_scc0 .LBB314_5
; %bb.1:
	v_mov_b32_e32 v1, 0x10000
	v_mov_b32_e32 v2, 0
	v_cmp_lt_i64_e32 vcc, s[6:7], v[1:2]
	v_mov_b32_e32 v2, 0
	s_and_b64 s[10:11], vcc, exec
	s_cselect_b32 s11, s7, 0
	s_cselect_b32 s10, s6, 0x10000
	v_lshlrev_b32_e32 v1, 2, v0
	v_cmp_gt_i64_e32 vcc, s[10:11], v[1:2]
	s_and_saveexec_b64 s[12:13], vcc
	s_cbranch_execz .LBB314_4
; %bb.2:
	s_load_dword s14, s[4:5], 0xc5c
	v_mov_b32_e32 v1, v2
	v_lshlrev_b32_e32 v2, 3, v0
	v_mov_b32_e32 v4, s9
	v_add_co_u32_e32 v3, vcc, s8, v2
	s_waitcnt lgkmcnt(0)
	s_and_b32 s16, s14, 0xffff
	s_lshl_b32 s17, s16, 3
	s_add_u32 s18, s2, 4
	s_addc_u32 s19, s3, 0
	v_mov_b32_e32 v2, v1
	v_addc_co_u32_e32 v4, vcc, 0, v4, vcc
	s_mov_b64 s[14:15], 0
	v_mov_b32_e32 v5, s19
	v_mov_b32_e32 v6, s1
	;; [unrolled: 1-line block ×3, first 2 shown]
.LBB314_3:                              ; =>This Inner Loop Header: Depth=1
	v_add_co_u32_e32 v7, vcc, s18, v3
	v_addc_co_u32_e32 v8, vcc, v5, v4, vcc
	global_load_dwordx2 v[7:8], v[7:8], off offset:-4
	v_add_co_u32_e32 v9, vcc, s0, v3
	v_addc_co_u32_e32 v10, vcc, v6, v4, vcc
	v_add_co_u32_e32 v1, vcc, s16, v1
	v_addc_co_u32_e32 v2, vcc, 0, v2, vcc
	v_add_co_u32_e32 v3, vcc, s17, v3
	v_lshlrev_b64 v[11:12], 2, v[1:2]
	v_addc_co_u32_e32 v4, vcc, 0, v4, vcc
	v_cmp_le_i64_e32 vcc, s[10:11], v[11:12]
	s_or_b64 s[14:15], vcc, s[14:15]
	s_waitcnt vmcnt(0)
	v_xor_b32_e32 v7, 0x80008000, v7
	v_xor_b32_e32 v8, 0x80008000, v8
	global_store_dwordx2 v[9:10], v[7:8], off
	s_andn2_b64 exec, exec, s[14:15]
	s_cbranch_execnz .LBB314_3
.LBB314_4:
	s_or_b64 exec, exec, s[12:13]
	s_mov_b64 s[10:11], 0
.LBB314_5:
	s_andn2_b64 vcc, exec, s[10:11]
	s_cbranch_vccnz .LBB314_25
; %bb.6:
	v_cmp_lt_i64_e64 s[10:11], s[6:7], 1
	s_and_b64 vcc, exec, s[10:11]
	s_cbranch_vccnz .LBB314_25
; %bb.7:
	v_mov_b32_e32 v1, 0x10000
	s_load_dword s12, s[4:5], 0xc5c
	v_mov_b32_e32 v2, 0
	v_cmp_lt_i64_e32 vcc, s[6:7], v[1:2]
	v_mov_b32_e32 v10, 0
	s_and_b64 s[4:5], vcc, exec
	v_cmp_lt_u64_e32 vcc, s[6:7], v[1:2]
	s_cselect_b32 s11, s7, 0
	s_cselect_b32 s10, s6, 0x10000
	s_waitcnt lgkmcnt(0)
	s_and_b32 s14, s12, 0xffff
	v_lshlrev_b32_e32 v9, 1, v0
	s_and_b64 s[4:5], vcc, exec
	v_mov_b32_e32 v2, s3
	v_add_co_u32_e32 v1, vcc, s2, v9
	v_mad_u64_u32 v[7:8], s[4:5], s14, 6, v[9:10]
	v_addc_co_u32_e32 v2, vcc, 0, v2, vcc
	v_mov_b32_e32 v4, s1
	v_add_co_u32_e32 v3, vcc, s0, v9
	v_addc_co_u32_e32 v4, vcc, 0, v4, vcc
	v_mov_b32_e32 v6, s3
	v_add_co_u32_e32 v5, vcc, s2, v7
	;; [unrolled: 3-line block ×3, first 2 shown]
	s_cselect_b32 s13, s7, 0
	s_cselect_b32 s12, s6, 0x10000
	s_lshl_b32 s18, s14, 2
	v_addc_co_u32_e32 v8, vcc, v10, v8, vcc
	v_add_co_u32_e32 v11, vcc, s18, v9
	v_addc_co_u32_e64 v12, s[4:5], 0, 0, vcc
	v_mov_b32_e32 v10, s3
	v_add_co_u32_e32 v9, vcc, s2, v11
	v_addc_co_u32_e32 v10, vcc, v10, v12, vcc
	v_mov_b32_e32 v13, s1
	v_add_co_u32_e32 v11, vcc, s0, v11
	v_addc_co_u32_e32 v12, vcc, v13, v12, vcc
	v_add_co_u32_e32 v13, vcc, s14, v0
	v_lshlrev_b32_e32 v17, 1, v13
	v_addc_co_u32_e64 v14, s[4:5], 0, 0, vcc
	v_mov_b32_e32 v16, s3
	v_add_co_u32_e32 v15, vcc, s2, v17
	v_addc_co_u32_e32 v16, vcc, 0, v16, vcc
	v_mov_b32_e32 v18, s1
	v_add_co_u32_e32 v17, vcc, s0, v17
	s_mul_i32 s7, s14, 3
	v_addc_co_u32_e32 v18, vcc, 0, v18, vcc
	s_lshl_b32 s6, s14, 1
	v_add_co_u32_e32 v19, vcc, s7, v0
	v_addc_co_u32_e64 v20, s[0:1], 0, 0, vcc
	v_add_co_u32_e32 v21, vcc, s6, v0
	s_lshl_b32 s19, s14, 3
	s_mov_b64 s[14:15], 0
	v_addc_co_u32_e64 v22, s[0:1], 0, 0, vcc
	s_branch .LBB314_9
.LBB314_8:                              ;   in Loop: Header=BB314_9 Depth=1
	s_or_b64 exec, exec, s[0:1]
	v_add_co_u32_e32 v1, vcc, s19, v1
	v_addc_co_u32_e32 v2, vcc, 0, v2, vcc
	v_add_co_u32_e32 v3, vcc, s19, v3
	v_addc_co_u32_e32 v4, vcc, 0, v4, vcc
	;; [unrolled: 2-line block ×6, first 2 shown]
	s_add_u32 s14, s14, s18
	v_add_co_u32_e32 v15, vcc, s19, v15
	s_waitcnt vmcnt(0)
	v_mov_b32_e32 v24, s11
	s_addc_u32 s15, s15, 0
	v_addc_co_u32_e32 v16, vcc, 0, v16, vcc
	v_mov_b32_e32 v23, s10
	v_cmp_ge_i64_e32 vcc, s[14:15], v[23:24]
	v_add_co_u32_e64 v17, s[0:1], s19, v17
	v_addc_co_u32_e64 v18, s[0:1], 0, v18, s[0:1]
	s_cbranch_vccnz .LBB314_25
.LBB314_9:                              ; =>This Inner Loop Header: Depth=1
	v_mov_b32_e32 v24, s15
	v_add_co_u32_e32 v23, vcc, s14, v0
	v_addc_co_u32_e32 v24, vcc, 0, v24, vcc
	v_cmp_gt_u64_e32 vcc, s[12:13], v[23:24]
	v_mov_b32_e32 v24, 0
	s_and_saveexec_b64 s[2:3], vcc
	s_cbranch_execz .LBB314_11
; %bb.10:                               ;   in Loop: Header=BB314_9 Depth=1
	v_mov_b32_e32 v24, s9
	v_add_co_u32_e64 v23, s[0:1], s8, v1
	v_addc_co_u32_e64 v24, s[0:1], v2, v24, s[0:1]
	global_load_ushort v24, v[23:24], off
.LBB314_11:                             ;   in Loop: Header=BB314_9 Depth=1
	s_or_b64 exec, exec, s[2:3]
	v_mov_b32_e32 v23, s15
	v_add_co_u32_e64 v25, s[0:1], s14, v13
	v_addc_co_u32_e64 v26, s[0:1], v14, v23, s[0:1]
	v_cmp_gt_u64_e64 s[0:1], s[12:13], v[25:26]
	v_mov_b32_e32 v23, 0
	v_mov_b32_e32 v25, 0
	s_and_saveexec_b64 s[4:5], s[0:1]
	s_cbranch_execz .LBB314_13
; %bb.12:                               ;   in Loop: Header=BB314_9 Depth=1
	v_mov_b32_e32 v26, s9
	v_add_co_u32_e64 v25, s[2:3], s8, v15
	v_addc_co_u32_e64 v26, s[2:3], v16, v26, s[2:3]
	global_load_ushort v25, v[25:26], off
.LBB314_13:                             ;   in Loop: Header=BB314_9 Depth=1
	s_or_b64 exec, exec, s[4:5]
	v_mov_b32_e32 v27, s15
	v_add_co_u32_e64 v26, s[2:3], s14, v21
	v_addc_co_u32_e64 v27, s[2:3], v22, v27, s[2:3]
	v_cmp_gt_u64_e64 s[2:3], s[12:13], v[26:27]
	s_and_saveexec_b64 s[6:7], s[2:3]
	s_cbranch_execz .LBB314_15
; %bb.14:                               ;   in Loop: Header=BB314_9 Depth=1
	v_mov_b32_e32 v23, s9
	v_add_co_u32_e64 v26, s[4:5], s8, v9
	v_addc_co_u32_e64 v27, s[4:5], v10, v23, s[4:5]
	global_load_ushort v23, v[26:27], off
.LBB314_15:                             ;   in Loop: Header=BB314_9 Depth=1
	s_or_b64 exec, exec, s[6:7]
	v_mov_b32_e32 v27, s15
	v_add_co_u32_e64 v26, s[4:5], s14, v19
	v_addc_co_u32_e64 v27, s[4:5], v20, v27, s[4:5]
	v_cmp_gt_u64_e64 s[4:5], s[12:13], v[26:27]
	v_mov_b32_e32 v26, 0
	s_and_saveexec_b64 s[16:17], s[4:5]
	s_cbranch_execnz .LBB314_20
; %bb.16:                               ;   in Loop: Header=BB314_9 Depth=1
	s_or_b64 exec, exec, s[16:17]
	s_and_saveexec_b64 s[6:7], vcc
	s_cbranch_execnz .LBB314_21
.LBB314_17:                             ;   in Loop: Header=BB314_9 Depth=1
	s_or_b64 exec, exec, s[6:7]
	s_and_saveexec_b64 s[6:7], s[0:1]
	s_cbranch_execnz .LBB314_22
.LBB314_18:                             ;   in Loop: Header=BB314_9 Depth=1
	s_or_b64 exec, exec, s[6:7]
	s_and_saveexec_b64 s[0:1], s[2:3]
	s_cbranch_execnz .LBB314_23
.LBB314_19:                             ;   in Loop: Header=BB314_9 Depth=1
	s_or_b64 exec, exec, s[0:1]
	s_and_saveexec_b64 s[0:1], s[4:5]
	s_cbranch_execz .LBB314_8
	s_branch .LBB314_24
.LBB314_20:                             ;   in Loop: Header=BB314_9 Depth=1
	v_mov_b32_e32 v27, s9
	v_add_co_u32_e64 v26, s[6:7], s8, v5
	v_addc_co_u32_e64 v27, s[6:7], v6, v27, s[6:7]
	global_load_ushort v26, v[26:27], off
	s_or_b64 exec, exec, s[16:17]
	s_and_saveexec_b64 s[6:7], vcc
	s_cbranch_execz .LBB314_17
.LBB314_21:                             ;   in Loop: Header=BB314_9 Depth=1
	v_mov_b32_e32 v28, s9
	v_add_co_u32_e32 v27, vcc, s8, v3
	v_addc_co_u32_e32 v28, vcc, v4, v28, vcc
	s_waitcnt vmcnt(0)
	v_xor_b32_e32 v24, 0x8000, v24
	global_store_short v[27:28], v24, off
	s_or_b64 exec, exec, s[6:7]
	s_and_saveexec_b64 s[6:7], s[0:1]
	s_cbranch_execz .LBB314_18
.LBB314_22:                             ;   in Loop: Header=BB314_9 Depth=1
	s_waitcnt vmcnt(0)
	v_xor_b32_e32 v27, 0x8000, v25
	v_mov_b32_e32 v25, s9
	v_add_co_u32_e32 v24, vcc, s8, v17
	v_addc_co_u32_e32 v25, vcc, v18, v25, vcc
	global_store_short v[24:25], v27, off
	s_or_b64 exec, exec, s[6:7]
	s_and_saveexec_b64 s[0:1], s[2:3]
	s_cbranch_execz .LBB314_19
.LBB314_23:                             ;   in Loop: Header=BB314_9 Depth=1
	s_waitcnt vmcnt(0)
	v_xor_b32_e32 v25, 0x8000, v23
	v_mov_b32_e32 v24, s9
	v_add_co_u32_e32 v23, vcc, s8, v11
	v_addc_co_u32_e32 v24, vcc, v12, v24, vcc
	global_store_short v[23:24], v25, off
	s_or_b64 exec, exec, s[0:1]
	s_and_saveexec_b64 s[0:1], s[4:5]
	s_cbranch_execz .LBB314_8
.LBB314_24:                             ;   in Loop: Header=BB314_9 Depth=1
	s_waitcnt vmcnt(0)
	v_mov_b32_e32 v24, s9
	v_add_co_u32_e32 v23, vcc, s8, v7
	v_xor_b32_e32 v25, 0x8000, v26
	v_addc_co_u32_e32 v24, vcc, v8, v24, vcc
	global_store_short v[23:24], v25, off
	s_branch .LBB314_8
.LBB314_25:
	s_endpgm
	.section	.rodata,"a",@progbits
	.p2align	6, 0x0
	.amdhsa_kernel _ZN2at6native12_GLOBAL__N_125multi_tensor_apply_kernelINS1_18TensorListMetadataILi2EEENS1_14UnaryOpFunctorIN3c104HalfELi2ELi1ELi1EEEJSt6negateIfEEEEvT_T0_DpT1_
		.amdhsa_group_segment_fixed_size 0
		.amdhsa_private_segment_fixed_size 0
		.amdhsa_kernarg_size 3408
		.amdhsa_user_sgpr_count 6
		.amdhsa_user_sgpr_private_segment_buffer 1
		.amdhsa_user_sgpr_dispatch_ptr 0
		.amdhsa_user_sgpr_queue_ptr 0
		.amdhsa_user_sgpr_kernarg_segment_ptr 1
		.amdhsa_user_sgpr_dispatch_id 0
		.amdhsa_user_sgpr_flat_scratch_init 0
		.amdhsa_user_sgpr_private_segment_size 0
		.amdhsa_uses_dynamic_stack 0
		.amdhsa_system_sgpr_private_segment_wavefront_offset 0
		.amdhsa_system_sgpr_workgroup_id_x 1
		.amdhsa_system_sgpr_workgroup_id_y 0
		.amdhsa_system_sgpr_workgroup_id_z 0
		.amdhsa_system_sgpr_workgroup_info 0
		.amdhsa_system_vgpr_workitem_id 0
		.amdhsa_next_free_vgpr 29
		.amdhsa_next_free_sgpr 20
		.amdhsa_reserve_vcc 1
		.amdhsa_reserve_flat_scratch 0
		.amdhsa_float_round_mode_32 0
		.amdhsa_float_round_mode_16_64 0
		.amdhsa_float_denorm_mode_32 3
		.amdhsa_float_denorm_mode_16_64 3
		.amdhsa_dx10_clamp 1
		.amdhsa_ieee_mode 1
		.amdhsa_fp16_overflow 0
		.amdhsa_exception_fp_ieee_invalid_op 0
		.amdhsa_exception_fp_denorm_src 0
		.amdhsa_exception_fp_ieee_div_zero 0
		.amdhsa_exception_fp_ieee_overflow 0
		.amdhsa_exception_fp_ieee_underflow 0
		.amdhsa_exception_fp_ieee_inexact 0
		.amdhsa_exception_int_div_zero 0
	.end_amdhsa_kernel
	.section	.text._ZN2at6native12_GLOBAL__N_125multi_tensor_apply_kernelINS1_18TensorListMetadataILi2EEENS1_14UnaryOpFunctorIN3c104HalfELi2ELi1ELi1EEEJSt6negateIfEEEEvT_T0_DpT1_,"axG",@progbits,_ZN2at6native12_GLOBAL__N_125multi_tensor_apply_kernelINS1_18TensorListMetadataILi2EEENS1_14UnaryOpFunctorIN3c104HalfELi2ELi1ELi1EEEJSt6negateIfEEEEvT_T0_DpT1_,comdat
.Lfunc_end314:
	.size	_ZN2at6native12_GLOBAL__N_125multi_tensor_apply_kernelINS1_18TensorListMetadataILi2EEENS1_14UnaryOpFunctorIN3c104HalfELi2ELi1ELi1EEEJSt6negateIfEEEEvT_T0_DpT1_, .Lfunc_end314-_ZN2at6native12_GLOBAL__N_125multi_tensor_apply_kernelINS1_18TensorListMetadataILi2EEENS1_14UnaryOpFunctorIN3c104HalfELi2ELi1ELi1EEEJSt6negateIfEEEEvT_T0_DpT1_
                                        ; -- End function
	.set _ZN2at6native12_GLOBAL__N_125multi_tensor_apply_kernelINS1_18TensorListMetadataILi2EEENS1_14UnaryOpFunctorIN3c104HalfELi2ELi1ELi1EEEJSt6negateIfEEEEvT_T0_DpT1_.num_vgpr, 29
	.set _ZN2at6native12_GLOBAL__N_125multi_tensor_apply_kernelINS1_18TensorListMetadataILi2EEENS1_14UnaryOpFunctorIN3c104HalfELi2ELi1ELi1EEEJSt6negateIfEEEEvT_T0_DpT1_.num_agpr, 0
	.set _ZN2at6native12_GLOBAL__N_125multi_tensor_apply_kernelINS1_18TensorListMetadataILi2EEENS1_14UnaryOpFunctorIN3c104HalfELi2ELi1ELi1EEEJSt6negateIfEEEEvT_T0_DpT1_.numbered_sgpr, 20
	.set _ZN2at6native12_GLOBAL__N_125multi_tensor_apply_kernelINS1_18TensorListMetadataILi2EEENS1_14UnaryOpFunctorIN3c104HalfELi2ELi1ELi1EEEJSt6negateIfEEEEvT_T0_DpT1_.num_named_barrier, 0
	.set _ZN2at6native12_GLOBAL__N_125multi_tensor_apply_kernelINS1_18TensorListMetadataILi2EEENS1_14UnaryOpFunctorIN3c104HalfELi2ELi1ELi1EEEJSt6negateIfEEEEvT_T0_DpT1_.private_seg_size, 0
	.set _ZN2at6native12_GLOBAL__N_125multi_tensor_apply_kernelINS1_18TensorListMetadataILi2EEENS1_14UnaryOpFunctorIN3c104HalfELi2ELi1ELi1EEEJSt6negateIfEEEEvT_T0_DpT1_.uses_vcc, 1
	.set _ZN2at6native12_GLOBAL__N_125multi_tensor_apply_kernelINS1_18TensorListMetadataILi2EEENS1_14UnaryOpFunctorIN3c104HalfELi2ELi1ELi1EEEJSt6negateIfEEEEvT_T0_DpT1_.uses_flat_scratch, 0
	.set _ZN2at6native12_GLOBAL__N_125multi_tensor_apply_kernelINS1_18TensorListMetadataILi2EEENS1_14UnaryOpFunctorIN3c104HalfELi2ELi1ELi1EEEJSt6negateIfEEEEvT_T0_DpT1_.has_dyn_sized_stack, 0
	.set _ZN2at6native12_GLOBAL__N_125multi_tensor_apply_kernelINS1_18TensorListMetadataILi2EEENS1_14UnaryOpFunctorIN3c104HalfELi2ELi1ELi1EEEJSt6negateIfEEEEvT_T0_DpT1_.has_recursion, 0
	.set _ZN2at6native12_GLOBAL__N_125multi_tensor_apply_kernelINS1_18TensorListMetadataILi2EEENS1_14UnaryOpFunctorIN3c104HalfELi2ELi1ELi1EEEJSt6negateIfEEEEvT_T0_DpT1_.has_indirect_call, 0
	.section	.AMDGPU.csdata,"",@progbits
; Kernel info:
; codeLenInByte = 1272
; TotalNumSgprs: 24
; NumVgprs: 29
; ScratchSize: 0
; MemoryBound: 0
; FloatMode: 240
; IeeeMode: 1
; LDSByteSize: 0 bytes/workgroup (compile time only)
; SGPRBlocks: 2
; VGPRBlocks: 7
; NumSGPRsForWavesPerEU: 24
; NumVGPRsForWavesPerEU: 29
; Occupancy: 8
; WaveLimiterHint : 0
; COMPUTE_PGM_RSRC2:SCRATCH_EN: 0
; COMPUTE_PGM_RSRC2:USER_SGPR: 6
; COMPUTE_PGM_RSRC2:TRAP_HANDLER: 0
; COMPUTE_PGM_RSRC2:TGID_X_EN: 1
; COMPUTE_PGM_RSRC2:TGID_Y_EN: 0
; COMPUTE_PGM_RSRC2:TGID_Z_EN: 0
; COMPUTE_PGM_RSRC2:TIDIG_COMP_CNT: 0
	.section	.text._ZN2at6native12_GLOBAL__N_125multi_tensor_apply_kernelINS1_18TensorListMetadataILi2EEENS1_14UnaryOpFunctorIN3c108BFloat16ELi2ELi1ELi1EEEJSt6negateIfEEEEvT_T0_DpT1_,"axG",@progbits,_ZN2at6native12_GLOBAL__N_125multi_tensor_apply_kernelINS1_18TensorListMetadataILi2EEENS1_14UnaryOpFunctorIN3c108BFloat16ELi2ELi1ELi1EEEJSt6negateIfEEEEvT_T0_DpT1_,comdat
	.globl	_ZN2at6native12_GLOBAL__N_125multi_tensor_apply_kernelINS1_18TensorListMetadataILi2EEENS1_14UnaryOpFunctorIN3c108BFloat16ELi2ELi1ELi1EEEJSt6negateIfEEEEvT_T0_DpT1_ ; -- Begin function _ZN2at6native12_GLOBAL__N_125multi_tensor_apply_kernelINS1_18TensorListMetadataILi2EEENS1_14UnaryOpFunctorIN3c108BFloat16ELi2ELi1ELi1EEEJSt6negateIfEEEEvT_T0_DpT1_
	.p2align	8
	.type	_ZN2at6native12_GLOBAL__N_125multi_tensor_apply_kernelINS1_18TensorListMetadataILi2EEENS1_14UnaryOpFunctorIN3c108BFloat16ELi2ELi1ELi1EEEJSt6negateIfEEEEvT_T0_DpT1_,@function
_ZN2at6native12_GLOBAL__N_125multi_tensor_apply_kernelINS1_18TensorListMetadataILi2EEENS1_14UnaryOpFunctorIN3c108BFloat16ELi2ELi1ELi1EEEJSt6negateIfEEEEvT_T0_DpT1_: ; @_ZN2at6native12_GLOBAL__N_125multi_tensor_apply_kernelINS1_18TensorListMetadataILi2EEENS1_14UnaryOpFunctorIN3c108BFloat16ELi2ELi1ELi1EEEJSt6negateIfEEEEvT_T0_DpT1_
; %bb.0:
	v_mov_b32_e32 v1, s6
	global_load_ubyte v1, v1, s[4:5] offset:1536
	s_add_u32 s0, s4, s6
	s_mul_hi_u32 s2, s6, 3
	s_mul_i32 s6, s6, 3
	s_addc_u32 s7, s5, 0
	s_add_u32 s6, s0, s6
	s_addc_u32 s7, s7, s2
	s_load_dword s10, s[6:7], 0x740
	s_mov_b32 s1, 0
	s_mov_b32 s3, s1
	s_waitcnt lgkmcnt(0)
	s_ashr_i32 s11, s10, 31
	s_lshl_b64 s[8:9], s[10:11], 17
	s_lshl_b64 s[10:11], s[10:11], 16
	s_waitcnt vmcnt(0)
	v_readfirstlane_b32 s0, v1
	s_lshl_b32 s0, s0, 3
	s_load_dwordx2 s[16:17], s[4:5], s0 offset:0x400
	s_load_dwordx2 s[14:15], s[4:5], s0 offset:0x0
	;; [unrolled: 1-line block ×3, first 2 shown]
	s_waitcnt lgkmcnt(0)
	s_add_u32 s0, s14, s8
	s_and_b32 s2, s6, 7
	s_and_b32 s0, s0, 7
	s_sub_u32 s12, s16, s10
	s_subb_u32 s13, s17, s11
	s_and_b32 s10, s16, 3
	s_mov_b32 s11, s1
	s_or_b64 s[2:3], s[2:3], s[10:11]
	s_or_b64 s[0:1], s[2:3], s[0:1]
	s_cmp_eq_u64 s[0:1], 0
	s_mov_b64 s[0:1], -1
	s_cbranch_scc0 .LBB315_5
; %bb.1:
	v_mov_b32_e32 v1, 0x10000
	v_mov_b32_e32 v2, 0
	v_cmp_lt_i64_e32 vcc, s[12:13], v[1:2]
	v_mov_b32_e32 v2, 0
	s_and_b64 s[0:1], vcc, exec
	s_cselect_b32 s11, s13, 0
	s_cselect_b32 s10, s12, 0x10000
	v_lshlrev_b32_e32 v1, 2, v0
	v_cmp_gt_i64_e32 vcc, s[10:11], v[1:2]
	s_and_saveexec_b64 s[16:17], vcc
	s_cbranch_execz .LBB315_4
; %bb.2:
	s_load_dword s0, s[4:5], 0xc5c
	v_mov_b32_e32 v1, v2
	v_lshlrev_b32_e32 v2, 3, v0
	v_mov_b32_e32 v4, s9
	v_add_co_u32_e32 v3, vcc, s8, v2
	s_waitcnt lgkmcnt(0)
	s_and_b32 s20, s0, 0xffff
	v_mov_b32_e32 v2, v1
	v_addc_co_u32_e32 v4, vcc, 0, v4, vcc
	s_lshl_b32 s21, s20, 3
	s_mov_b64 s[18:19], 0
	v_mov_b32_e32 v5, s15
	s_movk_i32 s22, 0x7fff
	v_mov_b32_e32 v6, s7
	v_mov_b32_e32 v7, 0x7fc00000
	;; [unrolled: 1-line block ×4, first 2 shown]
.LBB315_3:                              ; =>This Inner Loop Header: Depth=1
	v_add_co_u32_e32 v9, vcc, s14, v3
	v_addc_co_u32_e32 v10, vcc, v5, v4, vcc
	global_load_dwordx2 v[9:10], v[9:10], off
	v_add_co_u32_e32 v11, vcc, s6, v3
	v_addc_co_u32_e32 v12, vcc, v6, v4, vcc
	v_add_co_u32_e32 v1, vcc, s20, v1
	v_addc_co_u32_e32 v2, vcc, 0, v2, vcc
	v_add_co_u32_e32 v3, vcc, s21, v3
	v_lshlrev_b64 v[13:14], 2, v[1:2]
	v_addc_co_u32_e32 v4, vcc, 0, v4, vcc
	v_cmp_le_i64_e32 vcc, s[10:11], v[13:14]
	s_or_b64 s[18:19], vcc, s[18:19]
	s_waitcnt vmcnt(0)
	v_and_b32_e32 v13, 0xffff0000, v9
	v_lshlrev_b32_e32 v14, 16, v9
	v_alignbit_b32 v9, v10, v9, 16
	v_and_b32_e32 v10, 0xffff0000, v10
	v_xor_b32_e32 v15, 0x80000000, v14
	v_xor_b32_e32 v16, 0x80000000, v13
	v_and_b32_e32 v9, 0xffff0000, v9
	v_xor_b32_e32 v17, 0x80000000, v10
	v_bfe_u32 v18, v15, 16, 1
	v_bfe_u32 v19, v16, 16, 1
	v_xor_b32_e32 v20, 0x80000000, v9
	v_bfe_u32 v21, v17, 16, 1
	v_add3_u32 v15, v15, v18, s22
	v_add3_u32 v16, v16, v19, s22
	v_bfe_u32 v18, v20, 16, 1
	v_add3_u32 v17, v17, v21, s22
	v_lshrrev_b32_e32 v15, 16, v15
	v_and_b32_e32 v16, 0xffff0000, v16
	v_add3_u32 v18, v20, v18, s22
	v_and_b32_e32 v17, 0xffff0000, v17
	v_cmp_o_f32_e32 vcc, v10, v10
	v_cmp_o_f32_e64 s[0:1], v13, v13
	v_cmp_o_f32_e64 s[2:3], v14, v14
	v_lshrrev_b32_e32 v10, 16, v18
	v_cndmask_b32_e32 v13, v7, v17, vcc
	v_cndmask_b32_e64 v14, v7, v16, s[0:1]
	v_cndmask_b32_e64 v15, v8, v15, s[2:3]
	v_cmp_o_f32_e32 vcc, v9, v9
	v_cndmask_b32_e32 v9, v8, v10, vcc
	v_or_b32_e32 v14, v15, v14
	v_or3_b32 v10, 0, v9, v13
	v_or3_b32 v9, v14, 0, 0
	global_store_dwordx2 v[11:12], v[9:10], off
	s_andn2_b64 exec, exec, s[18:19]
	s_cbranch_execnz .LBB315_3
.LBB315_4:
	s_or_b64 exec, exec, s[16:17]
	s_mov_b64 s[0:1], 0
.LBB315_5:
	s_andn2_b64 vcc, exec, s[0:1]
	s_cbranch_vccnz .LBB315_25
; %bb.6:
	v_cmp_lt_i64_e64 s[0:1], s[12:13], 1
	s_and_b64 vcc, exec, s[0:1]
	s_cbranch_vccnz .LBB315_25
; %bb.7:
	v_mov_b32_e32 v1, 0x10000
	s_load_dword s2, s[4:5], 0xc5c
	v_mov_b32_e32 v2, 0
	v_cmp_lt_i64_e32 vcc, s[12:13], v[1:2]
	v_mov_b32_e32 v10, 0
	s_and_b64 s[0:1], vcc, exec
	v_cmp_lt_u64_e32 vcc, s[12:13], v[1:2]
	s_cselect_b32 s11, s13, 0
	s_cselect_b32 s10, s12, 0x10000
	s_waitcnt lgkmcnt(0)
	s_and_b32 s2, s2, 0xffff
	v_lshlrev_b32_e32 v9, 1, v0
	s_and_b64 s[0:1], vcc, exec
	v_mov_b32_e32 v2, s15
	v_add_co_u32_e32 v1, vcc, s14, v9
	v_mad_u64_u32 v[7:8], s[0:1], s2, 6, v[9:10]
	v_addc_co_u32_e32 v2, vcc, 0, v2, vcc
	v_mov_b32_e32 v4, s7
	v_add_co_u32_e32 v3, vcc, s6, v9
	v_addc_co_u32_e32 v4, vcc, 0, v4, vcc
	v_mov_b32_e32 v6, s15
	v_add_co_u32_e32 v5, vcc, s14, v7
	;; [unrolled: 3-line block ×3, first 2 shown]
	s_cselect_b32 s13, s13, 0
	s_cselect_b32 s12, s12, 0x10000
	s_lshl_b32 s18, s2, 2
	v_addc_co_u32_e32 v8, vcc, v10, v8, vcc
	v_add_co_u32_e32 v11, vcc, s18, v9
	v_addc_co_u32_e64 v12, s[0:1], 0, 0, vcc
	v_mov_b32_e32 v10, s15
	v_add_co_u32_e32 v9, vcc, s14, v11
	v_addc_co_u32_e32 v10, vcc, v10, v12, vcc
	v_mov_b32_e32 v13, s7
	v_add_co_u32_e32 v11, vcc, s6, v11
	v_addc_co_u32_e32 v12, vcc, v13, v12, vcc
	v_add_co_u32_e32 v13, vcc, s2, v0
	v_lshlrev_b32_e32 v17, 1, v13
	v_addc_co_u32_e64 v14, s[0:1], 0, 0, vcc
	v_mov_b32_e32 v16, s15
	v_add_co_u32_e32 v15, vcc, s14, v17
	v_addc_co_u32_e32 v16, vcc, 0, v16, vcc
	v_mov_b32_e32 v18, s7
	v_add_co_u32_e32 v17, vcc, s6, v17
	s_mul_i32 s4, s2, 3
	v_addc_co_u32_e32 v18, vcc, 0, v18, vcc
	s_lshl_b32 s3, s2, 1
	v_add_co_u32_e32 v19, vcc, s4, v0
	v_addc_co_u32_e64 v20, s[0:1], 0, 0, vcc
	v_add_co_u32_e32 v21, vcc, s3, v0
	s_lshl_b32 s19, s2, 3
	s_mov_b64 s[14:15], 0
	s_movk_i32 s20, 0x7fff
	v_addc_co_u32_e64 v22, s[0:1], 0, 0, vcc
	v_mov_b32_e32 v23, 0x7fc0
	s_branch .LBB315_9
.LBB315_8:                              ;   in Loop: Header=BB315_9 Depth=1
	s_or_b64 exec, exec, s[0:1]
	v_add_co_u32_e32 v1, vcc, s19, v1
	v_addc_co_u32_e32 v2, vcc, 0, v2, vcc
	v_add_co_u32_e32 v3, vcc, s19, v3
	v_addc_co_u32_e32 v4, vcc, 0, v4, vcc
	;; [unrolled: 2-line block ×6, first 2 shown]
	s_add_u32 s14, s14, s18
	v_add_co_u32_e32 v15, vcc, s19, v15
	v_mov_b32_e32 v25, s11
	s_addc_u32 s15, s15, 0
	v_addc_co_u32_e32 v16, vcc, 0, v16, vcc
	v_mov_b32_e32 v24, s10
	v_cmp_ge_i64_e32 vcc, s[14:15], v[24:25]
	v_add_co_u32_e64 v17, s[0:1], s19, v17
	v_addc_co_u32_e64 v18, s[0:1], 0, v18, s[0:1]
	s_cbranch_vccnz .LBB315_25
.LBB315_9:                              ; =>This Inner Loop Header: Depth=1
	v_mov_b32_e32 v25, s15
	v_add_co_u32_e32 v24, vcc, s14, v0
	v_addc_co_u32_e32 v25, vcc, 0, v25, vcc
	v_cmp_gt_u64_e32 vcc, s[12:13], v[24:25]
	v_mov_b32_e32 v25, 0
	s_and_saveexec_b64 s[2:3], vcc
	s_cbranch_execz .LBB315_11
; %bb.10:                               ;   in Loop: Header=BB315_9 Depth=1
	v_mov_b32_e32 v25, s9
	v_add_co_u32_e64 v24, s[0:1], s8, v1
	v_addc_co_u32_e64 v25, s[0:1], v2, v25, s[0:1]
	global_load_ushort v24, v[24:25], off
	s_waitcnt vmcnt(0)
	v_lshlrev_b32_e32 v25, 16, v24
.LBB315_11:                             ;   in Loop: Header=BB315_9 Depth=1
	s_or_b64 exec, exec, s[2:3]
	v_mov_b32_e32 v24, s15
	v_add_co_u32_e64 v26, s[0:1], s14, v13
	v_addc_co_u32_e64 v27, s[0:1], v14, v24, s[0:1]
	v_cmp_gt_u64_e64 s[0:1], s[12:13], v[26:27]
	v_mov_b32_e32 v24, 0
	v_mov_b32_e32 v26, 0
	s_and_saveexec_b64 s[4:5], s[0:1]
	s_cbranch_execz .LBB315_13
; %bb.12:                               ;   in Loop: Header=BB315_9 Depth=1
	v_mov_b32_e32 v27, s9
	v_add_co_u32_e64 v26, s[2:3], s8, v15
	v_addc_co_u32_e64 v27, s[2:3], v16, v27, s[2:3]
	global_load_ushort v26, v[26:27], off
	s_waitcnt vmcnt(0)
	v_lshlrev_b32_e32 v26, 16, v26
.LBB315_13:                             ;   in Loop: Header=BB315_9 Depth=1
	s_or_b64 exec, exec, s[4:5]
	v_mov_b32_e32 v28, s15
	v_add_co_u32_e64 v27, s[2:3], s14, v21
	v_addc_co_u32_e64 v28, s[2:3], v22, v28, s[2:3]
	v_cmp_gt_u64_e64 s[2:3], s[12:13], v[27:28]
	s_and_saveexec_b64 s[6:7], s[2:3]
	s_cbranch_execz .LBB315_15
; %bb.14:                               ;   in Loop: Header=BB315_9 Depth=1
	v_mov_b32_e32 v24, s9
	v_add_co_u32_e64 v27, s[4:5], s8, v9
	v_addc_co_u32_e64 v28, s[4:5], v10, v24, s[4:5]
	global_load_ushort v24, v[27:28], off
	s_waitcnt vmcnt(0)
	v_lshlrev_b32_e32 v24, 16, v24
.LBB315_15:                             ;   in Loop: Header=BB315_9 Depth=1
	s_or_b64 exec, exec, s[6:7]
	v_mov_b32_e32 v28, s15
	v_add_co_u32_e64 v27, s[4:5], s14, v19
	v_addc_co_u32_e64 v28, s[4:5], v20, v28, s[4:5]
	v_cmp_gt_u64_e64 s[4:5], s[12:13], v[27:28]
	v_mov_b32_e32 v27, 0
	s_and_saveexec_b64 s[16:17], s[4:5]
	s_cbranch_execnz .LBB315_20
; %bb.16:                               ;   in Loop: Header=BB315_9 Depth=1
	s_or_b64 exec, exec, s[16:17]
	s_and_saveexec_b64 s[6:7], vcc
	s_cbranch_execnz .LBB315_21
.LBB315_17:                             ;   in Loop: Header=BB315_9 Depth=1
	s_or_b64 exec, exec, s[6:7]
	s_and_saveexec_b64 s[6:7], s[0:1]
	s_cbranch_execnz .LBB315_22
.LBB315_18:                             ;   in Loop: Header=BB315_9 Depth=1
	s_or_b64 exec, exec, s[6:7]
	s_and_saveexec_b64 s[0:1], s[2:3]
	s_cbranch_execnz .LBB315_23
.LBB315_19:                             ;   in Loop: Header=BB315_9 Depth=1
	s_or_b64 exec, exec, s[0:1]
	s_and_saveexec_b64 s[0:1], s[4:5]
	s_cbranch_execz .LBB315_8
	s_branch .LBB315_24
.LBB315_20:                             ;   in Loop: Header=BB315_9 Depth=1
	v_mov_b32_e32 v28, s9
	v_add_co_u32_e64 v27, s[6:7], s8, v5
	v_addc_co_u32_e64 v28, s[6:7], v6, v28, s[6:7]
	global_load_ushort v27, v[27:28], off
	s_waitcnt vmcnt(0)
	v_lshlrev_b32_e32 v27, 16, v27
	s_or_b64 exec, exec, s[16:17]
	s_and_saveexec_b64 s[6:7], vcc
	s_cbranch_execz .LBB315_17
.LBB315_21:                             ;   in Loop: Header=BB315_9 Depth=1
	v_xor_b32_e32 v28, 0x80000000, v25
	v_bfe_u32 v29, v28, 16, 1
	v_add3_u32 v28, v28, v29, s20
	v_cmp_o_f32_e32 vcc, v25, v25
	v_cndmask_b32_sdwa v25, v23, v28, vcc dst_sel:DWORD dst_unused:UNUSED_PAD src0_sel:DWORD src1_sel:WORD_1
	v_mov_b32_e32 v29, s9
	v_add_co_u32_e32 v28, vcc, s8, v3
	v_addc_co_u32_e32 v29, vcc, v4, v29, vcc
	global_store_short v[28:29], v25, off
	s_or_b64 exec, exec, s[6:7]
	s_and_saveexec_b64 s[6:7], s[0:1]
	s_cbranch_execz .LBB315_18
.LBB315_22:                             ;   in Loop: Header=BB315_9 Depth=1
	v_xor_b32_e32 v25, 0x80000000, v26
	v_bfe_u32 v28, v25, 16, 1
	v_add3_u32 v25, v25, v28, s20
	v_cmp_o_f32_e32 vcc, v26, v26
	v_cndmask_b32_sdwa v28, v23, v25, vcc dst_sel:DWORD dst_unused:UNUSED_PAD src0_sel:DWORD src1_sel:WORD_1
	v_mov_b32_e32 v26, s9
	v_add_co_u32_e32 v25, vcc, s8, v17
	v_addc_co_u32_e32 v26, vcc, v18, v26, vcc
	global_store_short v[25:26], v28, off
	s_or_b64 exec, exec, s[6:7]
	s_and_saveexec_b64 s[0:1], s[2:3]
	s_cbranch_execz .LBB315_19
.LBB315_23:                             ;   in Loop: Header=BB315_9 Depth=1
	v_xor_b32_e32 v25, 0x80000000, v24
	v_bfe_u32 v26, v25, 16, 1
	v_add3_u32 v25, v25, v26, s20
	v_cmp_o_f32_e32 vcc, v24, v24
	v_cndmask_b32_sdwa v26, v23, v25, vcc dst_sel:DWORD dst_unused:UNUSED_PAD src0_sel:DWORD src1_sel:WORD_1
	v_mov_b32_e32 v25, s9
	v_add_co_u32_e32 v24, vcc, s8, v11
	v_addc_co_u32_e32 v25, vcc, v12, v25, vcc
	global_store_short v[24:25], v26, off
	s_or_b64 exec, exec, s[0:1]
	s_and_saveexec_b64 s[0:1], s[4:5]
	s_cbranch_execz .LBB315_8
.LBB315_24:                             ;   in Loop: Header=BB315_9 Depth=1
	v_xor_b32_e32 v24, 0x80000000, v27
	v_bfe_u32 v25, v24, 16, 1
	v_add3_u32 v24, v24, v25, s20
	v_cmp_o_f32_e32 vcc, v27, v27
	v_cndmask_b32_sdwa v26, v23, v24, vcc dst_sel:DWORD dst_unused:UNUSED_PAD src0_sel:DWORD src1_sel:WORD_1
	v_mov_b32_e32 v25, s9
	v_add_co_u32_e32 v24, vcc, s8, v7
	v_addc_co_u32_e32 v25, vcc, v8, v25, vcc
	global_store_short v[24:25], v26, off
	s_branch .LBB315_8
.LBB315_25:
	s_endpgm
	.section	.rodata,"a",@progbits
	.p2align	6, 0x0
	.amdhsa_kernel _ZN2at6native12_GLOBAL__N_125multi_tensor_apply_kernelINS1_18TensorListMetadataILi2EEENS1_14UnaryOpFunctorIN3c108BFloat16ELi2ELi1ELi1EEEJSt6negateIfEEEEvT_T0_DpT1_
		.amdhsa_group_segment_fixed_size 0
		.amdhsa_private_segment_fixed_size 0
		.amdhsa_kernarg_size 3408
		.amdhsa_user_sgpr_count 6
		.amdhsa_user_sgpr_private_segment_buffer 1
		.amdhsa_user_sgpr_dispatch_ptr 0
		.amdhsa_user_sgpr_queue_ptr 0
		.amdhsa_user_sgpr_kernarg_segment_ptr 1
		.amdhsa_user_sgpr_dispatch_id 0
		.amdhsa_user_sgpr_flat_scratch_init 0
		.amdhsa_user_sgpr_private_segment_size 0
		.amdhsa_uses_dynamic_stack 0
		.amdhsa_system_sgpr_private_segment_wavefront_offset 0
		.amdhsa_system_sgpr_workgroup_id_x 1
		.amdhsa_system_sgpr_workgroup_id_y 0
		.amdhsa_system_sgpr_workgroup_id_z 0
		.amdhsa_system_sgpr_workgroup_info 0
		.amdhsa_system_vgpr_workitem_id 0
		.amdhsa_next_free_vgpr 30
		.amdhsa_next_free_sgpr 23
		.amdhsa_reserve_vcc 1
		.amdhsa_reserve_flat_scratch 0
		.amdhsa_float_round_mode_32 0
		.amdhsa_float_round_mode_16_64 0
		.amdhsa_float_denorm_mode_32 3
		.amdhsa_float_denorm_mode_16_64 3
		.amdhsa_dx10_clamp 1
		.amdhsa_ieee_mode 1
		.amdhsa_fp16_overflow 0
		.amdhsa_exception_fp_ieee_invalid_op 0
		.amdhsa_exception_fp_denorm_src 0
		.amdhsa_exception_fp_ieee_div_zero 0
		.amdhsa_exception_fp_ieee_overflow 0
		.amdhsa_exception_fp_ieee_underflow 0
		.amdhsa_exception_fp_ieee_inexact 0
		.amdhsa_exception_int_div_zero 0
	.end_amdhsa_kernel
	.section	.text._ZN2at6native12_GLOBAL__N_125multi_tensor_apply_kernelINS1_18TensorListMetadataILi2EEENS1_14UnaryOpFunctorIN3c108BFloat16ELi2ELi1ELi1EEEJSt6negateIfEEEEvT_T0_DpT1_,"axG",@progbits,_ZN2at6native12_GLOBAL__N_125multi_tensor_apply_kernelINS1_18TensorListMetadataILi2EEENS1_14UnaryOpFunctorIN3c108BFloat16ELi2ELi1ELi1EEEJSt6negateIfEEEEvT_T0_DpT1_,comdat
.Lfunc_end315:
	.size	_ZN2at6native12_GLOBAL__N_125multi_tensor_apply_kernelINS1_18TensorListMetadataILi2EEENS1_14UnaryOpFunctorIN3c108BFloat16ELi2ELi1ELi1EEEJSt6negateIfEEEEvT_T0_DpT1_, .Lfunc_end315-_ZN2at6native12_GLOBAL__N_125multi_tensor_apply_kernelINS1_18TensorListMetadataILi2EEENS1_14UnaryOpFunctorIN3c108BFloat16ELi2ELi1ELi1EEEJSt6negateIfEEEEvT_T0_DpT1_
                                        ; -- End function
	.set _ZN2at6native12_GLOBAL__N_125multi_tensor_apply_kernelINS1_18TensorListMetadataILi2EEENS1_14UnaryOpFunctorIN3c108BFloat16ELi2ELi1ELi1EEEJSt6negateIfEEEEvT_T0_DpT1_.num_vgpr, 30
	.set _ZN2at6native12_GLOBAL__N_125multi_tensor_apply_kernelINS1_18TensorListMetadataILi2EEENS1_14UnaryOpFunctorIN3c108BFloat16ELi2ELi1ELi1EEEJSt6negateIfEEEEvT_T0_DpT1_.num_agpr, 0
	.set _ZN2at6native12_GLOBAL__N_125multi_tensor_apply_kernelINS1_18TensorListMetadataILi2EEENS1_14UnaryOpFunctorIN3c108BFloat16ELi2ELi1ELi1EEEJSt6negateIfEEEEvT_T0_DpT1_.numbered_sgpr, 23
	.set _ZN2at6native12_GLOBAL__N_125multi_tensor_apply_kernelINS1_18TensorListMetadataILi2EEENS1_14UnaryOpFunctorIN3c108BFloat16ELi2ELi1ELi1EEEJSt6negateIfEEEEvT_T0_DpT1_.num_named_barrier, 0
	.set _ZN2at6native12_GLOBAL__N_125multi_tensor_apply_kernelINS1_18TensorListMetadataILi2EEENS1_14UnaryOpFunctorIN3c108BFloat16ELi2ELi1ELi1EEEJSt6negateIfEEEEvT_T0_DpT1_.private_seg_size, 0
	.set _ZN2at6native12_GLOBAL__N_125multi_tensor_apply_kernelINS1_18TensorListMetadataILi2EEENS1_14UnaryOpFunctorIN3c108BFloat16ELi2ELi1ELi1EEEJSt6negateIfEEEEvT_T0_DpT1_.uses_vcc, 1
	.set _ZN2at6native12_GLOBAL__N_125multi_tensor_apply_kernelINS1_18TensorListMetadataILi2EEENS1_14UnaryOpFunctorIN3c108BFloat16ELi2ELi1ELi1EEEJSt6negateIfEEEEvT_T0_DpT1_.uses_flat_scratch, 0
	.set _ZN2at6native12_GLOBAL__N_125multi_tensor_apply_kernelINS1_18TensorListMetadataILi2EEENS1_14UnaryOpFunctorIN3c108BFloat16ELi2ELi1ELi1EEEJSt6negateIfEEEEvT_T0_DpT1_.has_dyn_sized_stack, 0
	.set _ZN2at6native12_GLOBAL__N_125multi_tensor_apply_kernelINS1_18TensorListMetadataILi2EEENS1_14UnaryOpFunctorIN3c108BFloat16ELi2ELi1ELi1EEEJSt6negateIfEEEEvT_T0_DpT1_.has_recursion, 0
	.set _ZN2at6native12_GLOBAL__N_125multi_tensor_apply_kernelINS1_18TensorListMetadataILi2EEENS1_14UnaryOpFunctorIN3c108BFloat16ELi2ELi1ELi1EEEJSt6negateIfEEEEvT_T0_DpT1_.has_indirect_call, 0
	.section	.AMDGPU.csdata,"",@progbits
; Kernel info:
; codeLenInByte = 1632
; TotalNumSgprs: 27
; NumVgprs: 30
; ScratchSize: 0
; MemoryBound: 0
; FloatMode: 240
; IeeeMode: 1
; LDSByteSize: 0 bytes/workgroup (compile time only)
; SGPRBlocks: 3
; VGPRBlocks: 7
; NumSGPRsForWavesPerEU: 27
; NumVGPRsForWavesPerEU: 30
; Occupancy: 8
; WaveLimiterHint : 0
; COMPUTE_PGM_RSRC2:SCRATCH_EN: 0
; COMPUTE_PGM_RSRC2:USER_SGPR: 6
; COMPUTE_PGM_RSRC2:TRAP_HANDLER: 0
; COMPUTE_PGM_RSRC2:TGID_X_EN: 1
; COMPUTE_PGM_RSRC2:TGID_Y_EN: 0
; COMPUTE_PGM_RSRC2:TGID_Z_EN: 0
; COMPUTE_PGM_RSRC2:TIDIG_COMP_CNT: 0
	.section	.text._ZN2at6native12_GLOBAL__N_125multi_tensor_apply_kernelINS1_18TensorListMetadataILi1EEENS1_14UnaryOpFunctorIhLi1ELi1ELi0EEEJSt6negateIhEEEEvT_T0_DpT1_,"axG",@progbits,_ZN2at6native12_GLOBAL__N_125multi_tensor_apply_kernelINS1_18TensorListMetadataILi1EEENS1_14UnaryOpFunctorIhLi1ELi1ELi0EEEJSt6negateIhEEEEvT_T0_DpT1_,comdat
	.globl	_ZN2at6native12_GLOBAL__N_125multi_tensor_apply_kernelINS1_18TensorListMetadataILi1EEENS1_14UnaryOpFunctorIhLi1ELi1ELi0EEEJSt6negateIhEEEEvT_T0_DpT1_ ; -- Begin function _ZN2at6native12_GLOBAL__N_125multi_tensor_apply_kernelINS1_18TensorListMetadataILi1EEENS1_14UnaryOpFunctorIhLi1ELi1ELi0EEEJSt6negateIhEEEEvT_T0_DpT1_
	.p2align	8
	.type	_ZN2at6native12_GLOBAL__N_125multi_tensor_apply_kernelINS1_18TensorListMetadataILi1EEENS1_14UnaryOpFunctorIhLi1ELi1ELi0EEEJSt6negateIhEEEEvT_T0_DpT1_,@function
_ZN2at6native12_GLOBAL__N_125multi_tensor_apply_kernelINS1_18TensorListMetadataILi1EEENS1_14UnaryOpFunctorIhLi1ELi1ELi0EEEJSt6negateIhEEEEvT_T0_DpT1_: ; @_ZN2at6native12_GLOBAL__N_125multi_tensor_apply_kernelINS1_18TensorListMetadataILi1EEENS1_14UnaryOpFunctorIhLi1ELi1ELi0EEEJSt6negateIhEEEEvT_T0_DpT1_
; %bb.0:
	v_mov_b32_e32 v1, s6
	global_load_ubyte v1, v1, s[4:5] offset:1760
	s_add_u32 s0, s4, s6
	s_mul_hi_u32 s1, s6, 3
	s_mul_i32 s6, s6, 3
	s_addc_u32 s2, s5, 0
	s_add_u32 s0, s0, s6
	s_addc_u32 s1, s2, s1
	s_load_dword s0, s[0:1], 0x820
	s_waitcnt vmcnt(0)
	v_readfirstlane_b32 s1, v1
	s_lshl_b32 s1, s1, 3
	s_load_dwordx2 s[2:3], s[4:5], s1 offset:0x370
	s_load_dwordx2 s[10:11], s[4:5], s1 offset:0x0
	s_waitcnt lgkmcnt(0)
	s_ashr_i32 s1, s0, 31
	s_lshl_b64 s[12:13], s[0:1], 16
	s_sub_u32 s14, s2, s12
	s_subb_u32 s15, s3, s13
	s_or_b32 s0, s2, s10
	s_and_b32 s0, s0, 3
	s_cmp_eq_u32 s0, 0
	s_cbranch_scc1 .LBB316_21
; %bb.1:
	v_cmp_lt_i64_e64 s[0:1], s[14:15], 1
	s_and_b64 vcc, exec, s[0:1]
	s_cbranch_vccnz .LBB316_20
; %bb.2:
	v_mov_b32_e32 v1, 0x10000
	s_load_dword s2, s[4:5], 0xd3c
	v_mov_b32_e32 v2, 0
	v_cmp_lt_i64_e32 vcc, s[14:15], v[1:2]
	s_mov_b64 s[20:21], 0
	s_and_b64 s[0:1], vcc, exec
	v_cmp_lt_u64_e32 vcc, s[14:15], v[1:2]
	s_cselect_b32 s17, s15, 0
	s_cselect_b32 s16, s14, 0x10000
	s_waitcnt lgkmcnt(0)
	s_and_b32 s2, s2, 0xffff
	s_and_b64 s[0:1], vcc, exec
	s_cselect_b32 s19, s15, 0
	s_cselect_b32 s18, s14, 0x10000
	s_lshl_b32 s3, s2, 1
	s_mul_i32 s0, s2, 3
	s_lshl_b32 s24, s2, 2
	v_mov_b32_e32 v1, s13
	v_add_co_u32_e32 v11, vcc, s12, v0
	s_add_u32 s1, s12, s0
	v_addc_co_u32_e32 v12, vcc, 0, v1, vcc
	s_addc_u32 s6, s13, 0
	v_mov_b32_e32 v2, s11
	v_add_co_u32_e32 v1, vcc, s10, v11
	s_add_u32 s1, s10, s1
	v_addc_co_u32_e32 v2, vcc, v2, v12, vcc
	s_addc_u32 s6, s11, s6
	v_mov_b32_e32 v4, s6
	v_add_co_u32_e32 v3, vcc, s1, v0
	v_addc_co_u32_e32 v4, vcc, 0, v4, vcc
	v_add_co_u32_e32 v5, vcc, s0, v0
	v_addc_co_u32_e64 v6, s[0:1], 0, 0, vcc
	s_add_u32 s0, s12, s3
	s_addc_u32 s1, s13, 0
	s_add_u32 s0, s10, s0
	s_addc_u32 s1, s11, s1
	v_mov_b32_e32 v8, s1
	v_add_co_u32_e32 v7, vcc, s0, v0
	v_addc_co_u32_e32 v8, vcc, 0, v8, vcc
	v_add_co_u32_e32 v9, vcc, s3, v0
	v_addc_co_u32_e64 v10, s[0:1], 0, 0, vcc
	s_add_u32 s0, s10, s2
	s_addc_u32 s1, s11, 0
	v_mov_b32_e32 v13, s1
	v_add_co_u32_e32 v11, vcc, s0, v11
	v_addc_co_u32_e32 v12, vcc, v13, v12, vcc
	v_add_co_u32_e32 v13, vcc, s2, v0
	v_addc_co_u32_e64 v14, s[0:1], 0, 0, vcc
	s_branch .LBB316_4
.LBB316_3:                              ;   in Loop: Header=BB316_4 Depth=1
	s_or_b64 exec, exec, s[0:1]
	s_add_u32 s20, s20, s24
	v_mov_b32_e32 v15, s16
	s_addc_u32 s21, s21, 0
	v_mov_b32_e32 v16, s17
	v_cmp_lt_i64_e32 vcc, s[20:21], v[15:16]
	s_cbranch_vccz .LBB316_20
.LBB316_4:                              ; =>This Inner Loop Header: Depth=1
	v_mov_b32_e32 v16, s21
	v_add_co_u32_e32 v15, vcc, s20, v0
	v_addc_co_u32_e32 v16, vcc, 0, v16, vcc
	v_cmp_gt_u64_e32 vcc, s[18:19], v[15:16]
	v_mov_b32_e32 v15, 0
	s_and_saveexec_b64 s[2:3], vcc
	s_cbranch_execz .LBB316_6
; %bb.5:                                ;   in Loop: Header=BB316_4 Depth=1
	v_mov_b32_e32 v16, s21
	v_add_co_u32_e64 v15, s[0:1], s20, v1
	v_addc_co_u32_e64 v16, s[0:1], v2, v16, s[0:1]
	global_load_ubyte v15, v[15:16], off
.LBB316_6:                              ;   in Loop: Header=BB316_4 Depth=1
	s_or_b64 exec, exec, s[2:3]
	v_mov_b32_e32 v17, s21
	v_add_co_u32_e64 v16, s[0:1], s20, v13
	v_addc_co_u32_e64 v17, s[0:1], v14, v17, s[0:1]
	v_cmp_gt_u64_e64 s[0:1], s[18:19], v[16:17]
	v_mov_b32_e32 v16, 0
	v_mov_b32_e32 v17, 0
	s_and_saveexec_b64 s[6:7], s[0:1]
	s_cbranch_execz .LBB316_8
; %bb.7:                                ;   in Loop: Header=BB316_4 Depth=1
	v_mov_b32_e32 v18, s21
	v_add_co_u32_e64 v17, s[2:3], s20, v11
	v_addc_co_u32_e64 v18, s[2:3], v12, v18, s[2:3]
	global_load_ubyte v17, v[17:18], off
.LBB316_8:                              ;   in Loop: Header=BB316_4 Depth=1
	s_or_b64 exec, exec, s[6:7]
	v_mov_b32_e32 v19, s21
	v_add_co_u32_e64 v18, s[2:3], s20, v9
	v_addc_co_u32_e64 v19, s[2:3], v10, v19, s[2:3]
	v_cmp_gt_u64_e64 s[2:3], s[18:19], v[18:19]
	s_and_saveexec_b64 s[8:9], s[2:3]
	s_cbranch_execz .LBB316_10
; %bb.9:                                ;   in Loop: Header=BB316_4 Depth=1
	v_mov_b32_e32 v16, s21
	v_add_co_u32_e64 v18, s[6:7], s20, v7
	v_addc_co_u32_e64 v19, s[6:7], v8, v16, s[6:7]
	global_load_ubyte v16, v[18:19], off
.LBB316_10:                             ;   in Loop: Header=BB316_4 Depth=1
	s_or_b64 exec, exec, s[8:9]
	v_mov_b32_e32 v19, s21
	v_add_co_u32_e64 v18, s[6:7], s20, v5
	v_addc_co_u32_e64 v19, s[6:7], v6, v19, s[6:7]
	v_cmp_gt_u64_e64 s[6:7], s[18:19], v[18:19]
	v_mov_b32_e32 v18, 0
	s_and_saveexec_b64 s[22:23], s[6:7]
	s_cbranch_execz .LBB316_12
; %bb.11:                               ;   in Loop: Header=BB316_4 Depth=1
	v_mov_b32_e32 v19, s21
	v_add_co_u32_e64 v18, s[8:9], s20, v3
	v_addc_co_u32_e64 v19, s[8:9], v4, v19, s[8:9]
	global_load_ubyte v18, v[18:19], off
.LBB316_12:                             ;   in Loop: Header=BB316_4 Depth=1
	s_or_b64 exec, exec, s[22:23]
	s_waitcnt vmcnt(0)
	v_lshlrev_b16_e32 v17, 8, v17
	v_sub_u16_e32 v15, 0, v15
	v_sub_u16_sdwa v15, v15, v17 dst_sel:DWORD dst_unused:UNUSED_PAD src0_sel:BYTE_0 src1_sel:DWORD
	v_lshlrev_b16_e32 v17, 8, v18
	v_sub_u16_e32 v16, 0, v16
	v_sub_u16_sdwa v16, v16, v17 dst_sel:WORD_1 dst_unused:UNUSED_PAD src0_sel:BYTE_0 src1_sel:DWORD
	v_or_b32_e32 v15, v15, v16
	s_and_saveexec_b64 s[8:9], vcc
	s_cbranch_execnz .LBB316_16
; %bb.13:                               ;   in Loop: Header=BB316_4 Depth=1
	s_or_b64 exec, exec, s[8:9]
	s_and_saveexec_b64 s[8:9], s[0:1]
	s_cbranch_execnz .LBB316_17
.LBB316_14:                             ;   in Loop: Header=BB316_4 Depth=1
	s_or_b64 exec, exec, s[8:9]
	s_and_saveexec_b64 s[0:1], s[2:3]
	s_cbranch_execnz .LBB316_18
.LBB316_15:                             ;   in Loop: Header=BB316_4 Depth=1
	s_or_b64 exec, exec, s[0:1]
	s_and_saveexec_b64 s[0:1], s[6:7]
	s_cbranch_execz .LBB316_3
	s_branch .LBB316_19
.LBB316_16:                             ;   in Loop: Header=BB316_4 Depth=1
	v_mov_b32_e32 v17, s21
	v_add_co_u32_e32 v16, vcc, s20, v1
	v_addc_co_u32_e32 v17, vcc, v2, v17, vcc
	global_store_byte v[16:17], v15, off
	s_or_b64 exec, exec, s[8:9]
	s_and_saveexec_b64 s[8:9], s[0:1]
	s_cbranch_execz .LBB316_14
.LBB316_17:                             ;   in Loop: Header=BB316_4 Depth=1
	v_mov_b32_e32 v17, s21
	v_add_co_u32_e32 v16, vcc, s20, v11
	v_addc_co_u32_e32 v17, vcc, v12, v17, vcc
	v_lshrrev_b32_e32 v18, 8, v15
	global_store_byte v[16:17], v18, off
	s_or_b64 exec, exec, s[8:9]
	s_and_saveexec_b64 s[0:1], s[2:3]
	s_cbranch_execz .LBB316_15
.LBB316_18:                             ;   in Loop: Header=BB316_4 Depth=1
	v_mov_b32_e32 v17, s21
	v_add_co_u32_e32 v16, vcc, s20, v7
	v_addc_co_u32_e32 v17, vcc, v8, v17, vcc
	global_store_byte_d16_hi v[16:17], v15, off
	s_or_b64 exec, exec, s[0:1]
	s_and_saveexec_b64 s[0:1], s[6:7]
	s_cbranch_execz .LBB316_3
.LBB316_19:                             ;   in Loop: Header=BB316_4 Depth=1
	v_mov_b32_e32 v17, s21
	v_add_co_u32_e32 v16, vcc, s20, v3
	v_addc_co_u32_e32 v17, vcc, v4, v17, vcc
	v_lshrrev_b32_e32 v15, 24, v15
	global_store_byte v[16:17], v15, off
	s_branch .LBB316_3
.LBB316_20:
	s_cbranch_execz .LBB316_22
	s_branch .LBB316_25
.LBB316_21:
.LBB316_22:
	v_mov_b32_e32 v1, 0x10000
	v_mov_b32_e32 v2, 0
	v_cmp_lt_i64_e32 vcc, s[14:15], v[1:2]
	v_mov_b32_e32 v3, 0
	s_and_b64 s[0:1], vcc, exec
	s_cselect_b32 s1, s15, 0
	s_cselect_b32 s0, s14, 0x10000
	v_lshlrev_b32_e32 v2, 2, v0
	v_cmp_gt_i64_e32 vcc, s[0:1], v[2:3]
	s_and_saveexec_b64 s[2:3], vcc
	s_cbranch_execz .LBB316_25
; %bb.23:
	s_load_dword s2, s[4:5], 0xd3c
	v_mov_b32_e32 v1, v3
	s_movk_i32 s6, 0xff00
	s_waitcnt lgkmcnt(0)
	s_and_b32 s4, s2, 0xffff
	s_add_u32 s2, s10, s12
	s_addc_u32 s3, s11, s13
	v_mov_b32_e32 v5, s3
	v_add_co_u32_e32 v4, vcc, s2, v2
	v_addc_co_u32_e32 v5, vcc, 0, v5, vcc
	s_lshl_b32 s5, s4, 2
	s_mov_b64 s[2:3], 0
.LBB316_24:                             ; =>This Inner Loop Header: Depth=1
	global_load_dword v2, v[4:5], off
	v_add_co_u32_e32 v0, vcc, s4, v0
	v_addc_co_u32_e32 v1, vcc, 0, v1, vcc
	v_lshlrev_b64 v[6:7], 2, v[0:1]
	v_cmp_le_i64_e32 vcc, s[0:1], v[6:7]
	s_or_b64 s[2:3], vcc, s[2:3]
	s_waitcnt vmcnt(0)
	v_and_b32_e32 v6, 0xffffff00, v2
	v_sub_u16_e32 v7, 0, v2
	v_and_b32_sdwa v8, v2, s6 dst_sel:DWORD dst_unused:UNUSED_PAD src0_sel:WORD_1 src1_sel:DWORD
	v_sub_u16_sdwa v2, v3, v2 dst_sel:DWORD dst_unused:UNUSED_PAD src0_sel:DWORD src1_sel:WORD_1
	v_sub_u16_sdwa v6, v7, v6 dst_sel:DWORD dst_unused:UNUSED_PAD src0_sel:BYTE_0 src1_sel:DWORD
	v_sub_u16_sdwa v2, v2, v8 dst_sel:WORD_1 dst_unused:UNUSED_PAD src0_sel:BYTE_0 src1_sel:DWORD
	v_or_b32_e32 v2, v6, v2
	global_store_dword v[4:5], v2, off
	v_add_co_u32_e32 v4, vcc, s5, v4
	v_addc_co_u32_e32 v5, vcc, 0, v5, vcc
	s_andn2_b64 exec, exec, s[2:3]
	s_cbranch_execnz .LBB316_24
.LBB316_25:
	s_endpgm
	.section	.rodata,"a",@progbits
	.p2align	6, 0x0
	.amdhsa_kernel _ZN2at6native12_GLOBAL__N_125multi_tensor_apply_kernelINS1_18TensorListMetadataILi1EEENS1_14UnaryOpFunctorIhLi1ELi1ELi0EEEJSt6negateIhEEEEvT_T0_DpT1_
		.amdhsa_group_segment_fixed_size 0
		.amdhsa_private_segment_fixed_size 0
		.amdhsa_kernarg_size 3632
		.amdhsa_user_sgpr_count 6
		.amdhsa_user_sgpr_private_segment_buffer 1
		.amdhsa_user_sgpr_dispatch_ptr 0
		.amdhsa_user_sgpr_queue_ptr 0
		.amdhsa_user_sgpr_kernarg_segment_ptr 1
		.amdhsa_user_sgpr_dispatch_id 0
		.amdhsa_user_sgpr_flat_scratch_init 0
		.amdhsa_user_sgpr_private_segment_size 0
		.amdhsa_uses_dynamic_stack 0
		.amdhsa_system_sgpr_private_segment_wavefront_offset 0
		.amdhsa_system_sgpr_workgroup_id_x 1
		.amdhsa_system_sgpr_workgroup_id_y 0
		.amdhsa_system_sgpr_workgroup_id_z 0
		.amdhsa_system_sgpr_workgroup_info 0
		.amdhsa_system_vgpr_workitem_id 0
		.amdhsa_next_free_vgpr 20
		.amdhsa_next_free_sgpr 25
		.amdhsa_reserve_vcc 1
		.amdhsa_reserve_flat_scratch 0
		.amdhsa_float_round_mode_32 0
		.amdhsa_float_round_mode_16_64 0
		.amdhsa_float_denorm_mode_32 3
		.amdhsa_float_denorm_mode_16_64 3
		.amdhsa_dx10_clamp 1
		.amdhsa_ieee_mode 1
		.amdhsa_fp16_overflow 0
		.amdhsa_exception_fp_ieee_invalid_op 0
		.amdhsa_exception_fp_denorm_src 0
		.amdhsa_exception_fp_ieee_div_zero 0
		.amdhsa_exception_fp_ieee_overflow 0
		.amdhsa_exception_fp_ieee_underflow 0
		.amdhsa_exception_fp_ieee_inexact 0
		.amdhsa_exception_int_div_zero 0
	.end_amdhsa_kernel
	.section	.text._ZN2at6native12_GLOBAL__N_125multi_tensor_apply_kernelINS1_18TensorListMetadataILi1EEENS1_14UnaryOpFunctorIhLi1ELi1ELi0EEEJSt6negateIhEEEEvT_T0_DpT1_,"axG",@progbits,_ZN2at6native12_GLOBAL__N_125multi_tensor_apply_kernelINS1_18TensorListMetadataILi1EEENS1_14UnaryOpFunctorIhLi1ELi1ELi0EEEJSt6negateIhEEEEvT_T0_DpT1_,comdat
.Lfunc_end316:
	.size	_ZN2at6native12_GLOBAL__N_125multi_tensor_apply_kernelINS1_18TensorListMetadataILi1EEENS1_14UnaryOpFunctorIhLi1ELi1ELi0EEEJSt6negateIhEEEEvT_T0_DpT1_, .Lfunc_end316-_ZN2at6native12_GLOBAL__N_125multi_tensor_apply_kernelINS1_18TensorListMetadataILi1EEENS1_14UnaryOpFunctorIhLi1ELi1ELi0EEEJSt6negateIhEEEEvT_T0_DpT1_
                                        ; -- End function
	.set _ZN2at6native12_GLOBAL__N_125multi_tensor_apply_kernelINS1_18TensorListMetadataILi1EEENS1_14UnaryOpFunctorIhLi1ELi1ELi0EEEJSt6negateIhEEEEvT_T0_DpT1_.num_vgpr, 20
	.set _ZN2at6native12_GLOBAL__N_125multi_tensor_apply_kernelINS1_18TensorListMetadataILi1EEENS1_14UnaryOpFunctorIhLi1ELi1ELi0EEEJSt6negateIhEEEEvT_T0_DpT1_.num_agpr, 0
	.set _ZN2at6native12_GLOBAL__N_125multi_tensor_apply_kernelINS1_18TensorListMetadataILi1EEENS1_14UnaryOpFunctorIhLi1ELi1ELi0EEEJSt6negateIhEEEEvT_T0_DpT1_.numbered_sgpr, 25
	.set _ZN2at6native12_GLOBAL__N_125multi_tensor_apply_kernelINS1_18TensorListMetadataILi1EEENS1_14UnaryOpFunctorIhLi1ELi1ELi0EEEJSt6negateIhEEEEvT_T0_DpT1_.num_named_barrier, 0
	.set _ZN2at6native12_GLOBAL__N_125multi_tensor_apply_kernelINS1_18TensorListMetadataILi1EEENS1_14UnaryOpFunctorIhLi1ELi1ELi0EEEJSt6negateIhEEEEvT_T0_DpT1_.private_seg_size, 0
	.set _ZN2at6native12_GLOBAL__N_125multi_tensor_apply_kernelINS1_18TensorListMetadataILi1EEENS1_14UnaryOpFunctorIhLi1ELi1ELi0EEEJSt6negateIhEEEEvT_T0_DpT1_.uses_vcc, 1
	.set _ZN2at6native12_GLOBAL__N_125multi_tensor_apply_kernelINS1_18TensorListMetadataILi1EEENS1_14UnaryOpFunctorIhLi1ELi1ELi0EEEJSt6negateIhEEEEvT_T0_DpT1_.uses_flat_scratch, 0
	.set _ZN2at6native12_GLOBAL__N_125multi_tensor_apply_kernelINS1_18TensorListMetadataILi1EEENS1_14UnaryOpFunctorIhLi1ELi1ELi0EEEJSt6negateIhEEEEvT_T0_DpT1_.has_dyn_sized_stack, 0
	.set _ZN2at6native12_GLOBAL__N_125multi_tensor_apply_kernelINS1_18TensorListMetadataILi1EEENS1_14UnaryOpFunctorIhLi1ELi1ELi0EEEJSt6negateIhEEEEvT_T0_DpT1_.has_recursion, 0
	.set _ZN2at6native12_GLOBAL__N_125multi_tensor_apply_kernelINS1_18TensorListMetadataILi1EEENS1_14UnaryOpFunctorIhLi1ELi1ELi0EEEJSt6negateIhEEEEvT_T0_DpT1_.has_indirect_call, 0
	.section	.AMDGPU.csdata,"",@progbits
; Kernel info:
; codeLenInByte = 1100
; TotalNumSgprs: 29
; NumVgprs: 20
; ScratchSize: 0
; MemoryBound: 0
; FloatMode: 240
; IeeeMode: 1
; LDSByteSize: 0 bytes/workgroup (compile time only)
; SGPRBlocks: 3
; VGPRBlocks: 4
; NumSGPRsForWavesPerEU: 29
; NumVGPRsForWavesPerEU: 20
; Occupancy: 10
; WaveLimiterHint : 0
; COMPUTE_PGM_RSRC2:SCRATCH_EN: 0
; COMPUTE_PGM_RSRC2:USER_SGPR: 6
; COMPUTE_PGM_RSRC2:TRAP_HANDLER: 0
; COMPUTE_PGM_RSRC2:TGID_X_EN: 1
; COMPUTE_PGM_RSRC2:TGID_Y_EN: 0
; COMPUTE_PGM_RSRC2:TGID_Z_EN: 0
; COMPUTE_PGM_RSRC2:TIDIG_COMP_CNT: 0
	.section	.text._ZN2at6native12_GLOBAL__N_125multi_tensor_apply_kernelINS1_18TensorListMetadataILi1EEENS1_14UnaryOpFunctorIaLi1ELi1ELi0EEEJSt6negateIaEEEEvT_T0_DpT1_,"axG",@progbits,_ZN2at6native12_GLOBAL__N_125multi_tensor_apply_kernelINS1_18TensorListMetadataILi1EEENS1_14UnaryOpFunctorIaLi1ELi1ELi0EEEJSt6negateIaEEEEvT_T0_DpT1_,comdat
	.globl	_ZN2at6native12_GLOBAL__N_125multi_tensor_apply_kernelINS1_18TensorListMetadataILi1EEENS1_14UnaryOpFunctorIaLi1ELi1ELi0EEEJSt6negateIaEEEEvT_T0_DpT1_ ; -- Begin function _ZN2at6native12_GLOBAL__N_125multi_tensor_apply_kernelINS1_18TensorListMetadataILi1EEENS1_14UnaryOpFunctorIaLi1ELi1ELi0EEEJSt6negateIaEEEEvT_T0_DpT1_
	.p2align	8
	.type	_ZN2at6native12_GLOBAL__N_125multi_tensor_apply_kernelINS1_18TensorListMetadataILi1EEENS1_14UnaryOpFunctorIaLi1ELi1ELi0EEEJSt6negateIaEEEEvT_T0_DpT1_,@function
_ZN2at6native12_GLOBAL__N_125multi_tensor_apply_kernelINS1_18TensorListMetadataILi1EEENS1_14UnaryOpFunctorIaLi1ELi1ELi0EEEJSt6negateIaEEEEvT_T0_DpT1_: ; @_ZN2at6native12_GLOBAL__N_125multi_tensor_apply_kernelINS1_18TensorListMetadataILi1EEENS1_14UnaryOpFunctorIaLi1ELi1ELi0EEEJSt6negateIaEEEEvT_T0_DpT1_
; %bb.0:
	v_mov_b32_e32 v1, s6
	global_load_ubyte v1, v1, s[4:5] offset:1760
	s_add_u32 s0, s4, s6
	s_mul_hi_u32 s1, s6, 3
	s_mul_i32 s6, s6, 3
	s_addc_u32 s2, s5, 0
	s_add_u32 s0, s0, s6
	s_addc_u32 s1, s2, s1
	s_load_dword s0, s[0:1], 0x820
	s_waitcnt vmcnt(0)
	v_readfirstlane_b32 s1, v1
	s_lshl_b32 s1, s1, 3
	s_load_dwordx2 s[2:3], s[4:5], s1 offset:0x370
	s_load_dwordx2 s[10:11], s[4:5], s1 offset:0x0
	s_waitcnt lgkmcnt(0)
	s_ashr_i32 s1, s0, 31
	s_lshl_b64 s[12:13], s[0:1], 16
	s_sub_u32 s14, s2, s12
	s_subb_u32 s15, s3, s13
	s_or_b32 s0, s2, s10
	s_and_b32 s0, s0, 3
	s_cmp_eq_u32 s0, 0
	s_cbranch_scc1 .LBB317_21
; %bb.1:
	v_cmp_lt_i64_e64 s[0:1], s[14:15], 1
	s_and_b64 vcc, exec, s[0:1]
	s_cbranch_vccnz .LBB317_20
; %bb.2:
	v_mov_b32_e32 v1, 0x10000
	s_load_dword s2, s[4:5], 0xd3c
	v_mov_b32_e32 v2, 0
	v_cmp_lt_i64_e32 vcc, s[14:15], v[1:2]
	s_mov_b64 s[20:21], 0
	s_and_b64 s[0:1], vcc, exec
	v_cmp_lt_u64_e32 vcc, s[14:15], v[1:2]
	s_cselect_b32 s17, s15, 0
	s_cselect_b32 s16, s14, 0x10000
	s_waitcnt lgkmcnt(0)
	s_and_b32 s2, s2, 0xffff
	s_and_b64 s[0:1], vcc, exec
	s_cselect_b32 s19, s15, 0
	s_cselect_b32 s18, s14, 0x10000
	s_lshl_b32 s3, s2, 1
	s_mul_i32 s0, s2, 3
	s_lshl_b32 s24, s2, 2
	v_mov_b32_e32 v1, s13
	v_add_co_u32_e32 v11, vcc, s12, v0
	s_add_u32 s1, s12, s0
	v_addc_co_u32_e32 v12, vcc, 0, v1, vcc
	s_addc_u32 s6, s13, 0
	v_mov_b32_e32 v2, s11
	v_add_co_u32_e32 v1, vcc, s10, v11
	s_add_u32 s1, s10, s1
	v_addc_co_u32_e32 v2, vcc, v2, v12, vcc
	s_addc_u32 s6, s11, s6
	v_mov_b32_e32 v4, s6
	v_add_co_u32_e32 v3, vcc, s1, v0
	v_addc_co_u32_e32 v4, vcc, 0, v4, vcc
	v_add_co_u32_e32 v5, vcc, s0, v0
	v_addc_co_u32_e64 v6, s[0:1], 0, 0, vcc
	s_add_u32 s0, s12, s3
	s_addc_u32 s1, s13, 0
	s_add_u32 s0, s10, s0
	s_addc_u32 s1, s11, s1
	v_mov_b32_e32 v8, s1
	v_add_co_u32_e32 v7, vcc, s0, v0
	v_addc_co_u32_e32 v8, vcc, 0, v8, vcc
	v_add_co_u32_e32 v9, vcc, s3, v0
	v_addc_co_u32_e64 v10, s[0:1], 0, 0, vcc
	s_add_u32 s0, s10, s2
	s_addc_u32 s1, s11, 0
	v_mov_b32_e32 v13, s1
	v_add_co_u32_e32 v11, vcc, s0, v11
	v_addc_co_u32_e32 v12, vcc, v13, v12, vcc
	v_add_co_u32_e32 v13, vcc, s2, v0
	v_addc_co_u32_e64 v14, s[0:1], 0, 0, vcc
	s_branch .LBB317_4
.LBB317_3:                              ;   in Loop: Header=BB317_4 Depth=1
	s_or_b64 exec, exec, s[0:1]
	s_add_u32 s20, s20, s24
	v_mov_b32_e32 v15, s16
	s_addc_u32 s21, s21, 0
	v_mov_b32_e32 v16, s17
	v_cmp_lt_i64_e32 vcc, s[20:21], v[15:16]
	s_cbranch_vccz .LBB317_20
.LBB317_4:                              ; =>This Inner Loop Header: Depth=1
	v_mov_b32_e32 v16, s21
	v_add_co_u32_e32 v15, vcc, s20, v0
	v_addc_co_u32_e32 v16, vcc, 0, v16, vcc
	v_cmp_gt_u64_e32 vcc, s[18:19], v[15:16]
	v_mov_b32_e32 v15, 0
	s_and_saveexec_b64 s[2:3], vcc
	s_cbranch_execz .LBB317_6
; %bb.5:                                ;   in Loop: Header=BB317_4 Depth=1
	v_mov_b32_e32 v16, s21
	v_add_co_u32_e64 v15, s[0:1], s20, v1
	v_addc_co_u32_e64 v16, s[0:1], v2, v16, s[0:1]
	global_load_ubyte v15, v[15:16], off
.LBB317_6:                              ;   in Loop: Header=BB317_4 Depth=1
	s_or_b64 exec, exec, s[2:3]
	v_mov_b32_e32 v17, s21
	v_add_co_u32_e64 v16, s[0:1], s20, v13
	v_addc_co_u32_e64 v17, s[0:1], v14, v17, s[0:1]
	v_cmp_gt_u64_e64 s[0:1], s[18:19], v[16:17]
	v_mov_b32_e32 v16, 0
	v_mov_b32_e32 v17, 0
	s_and_saveexec_b64 s[6:7], s[0:1]
	s_cbranch_execz .LBB317_8
; %bb.7:                                ;   in Loop: Header=BB317_4 Depth=1
	v_mov_b32_e32 v18, s21
	v_add_co_u32_e64 v17, s[2:3], s20, v11
	v_addc_co_u32_e64 v18, s[2:3], v12, v18, s[2:3]
	global_load_ubyte v17, v[17:18], off
.LBB317_8:                              ;   in Loop: Header=BB317_4 Depth=1
	s_or_b64 exec, exec, s[6:7]
	v_mov_b32_e32 v19, s21
	v_add_co_u32_e64 v18, s[2:3], s20, v9
	v_addc_co_u32_e64 v19, s[2:3], v10, v19, s[2:3]
	v_cmp_gt_u64_e64 s[2:3], s[18:19], v[18:19]
	s_and_saveexec_b64 s[8:9], s[2:3]
	s_cbranch_execz .LBB317_10
; %bb.9:                                ;   in Loop: Header=BB317_4 Depth=1
	v_mov_b32_e32 v16, s21
	v_add_co_u32_e64 v18, s[6:7], s20, v7
	v_addc_co_u32_e64 v19, s[6:7], v8, v16, s[6:7]
	global_load_ubyte v16, v[18:19], off
.LBB317_10:                             ;   in Loop: Header=BB317_4 Depth=1
	s_or_b64 exec, exec, s[8:9]
	v_mov_b32_e32 v19, s21
	v_add_co_u32_e64 v18, s[6:7], s20, v5
	v_addc_co_u32_e64 v19, s[6:7], v6, v19, s[6:7]
	v_cmp_gt_u64_e64 s[6:7], s[18:19], v[18:19]
	v_mov_b32_e32 v18, 0
	s_and_saveexec_b64 s[22:23], s[6:7]
	s_cbranch_execz .LBB317_12
; %bb.11:                               ;   in Loop: Header=BB317_4 Depth=1
	v_mov_b32_e32 v19, s21
	v_add_co_u32_e64 v18, s[8:9], s20, v3
	v_addc_co_u32_e64 v19, s[8:9], v4, v19, s[8:9]
	global_load_ubyte v18, v[18:19], off
.LBB317_12:                             ;   in Loop: Header=BB317_4 Depth=1
	s_or_b64 exec, exec, s[22:23]
	s_waitcnt vmcnt(0)
	v_lshlrev_b16_e32 v17, 8, v17
	v_sub_u16_e32 v15, 0, v15
	v_sub_u16_sdwa v15, v15, v17 dst_sel:DWORD dst_unused:UNUSED_PAD src0_sel:BYTE_0 src1_sel:DWORD
	v_lshlrev_b16_e32 v17, 8, v18
	v_sub_u16_e32 v16, 0, v16
	v_sub_u16_sdwa v16, v16, v17 dst_sel:WORD_1 dst_unused:UNUSED_PAD src0_sel:BYTE_0 src1_sel:DWORD
	v_or_b32_e32 v15, v15, v16
	s_and_saveexec_b64 s[8:9], vcc
	s_cbranch_execnz .LBB317_16
; %bb.13:                               ;   in Loop: Header=BB317_4 Depth=1
	s_or_b64 exec, exec, s[8:9]
	s_and_saveexec_b64 s[8:9], s[0:1]
	s_cbranch_execnz .LBB317_17
.LBB317_14:                             ;   in Loop: Header=BB317_4 Depth=1
	s_or_b64 exec, exec, s[8:9]
	s_and_saveexec_b64 s[0:1], s[2:3]
	s_cbranch_execnz .LBB317_18
.LBB317_15:                             ;   in Loop: Header=BB317_4 Depth=1
	s_or_b64 exec, exec, s[0:1]
	s_and_saveexec_b64 s[0:1], s[6:7]
	s_cbranch_execz .LBB317_3
	s_branch .LBB317_19
.LBB317_16:                             ;   in Loop: Header=BB317_4 Depth=1
	v_mov_b32_e32 v17, s21
	v_add_co_u32_e32 v16, vcc, s20, v1
	v_addc_co_u32_e32 v17, vcc, v2, v17, vcc
	global_store_byte v[16:17], v15, off
	s_or_b64 exec, exec, s[8:9]
	s_and_saveexec_b64 s[8:9], s[0:1]
	s_cbranch_execz .LBB317_14
.LBB317_17:                             ;   in Loop: Header=BB317_4 Depth=1
	v_mov_b32_e32 v17, s21
	v_add_co_u32_e32 v16, vcc, s20, v11
	v_addc_co_u32_e32 v17, vcc, v12, v17, vcc
	v_lshrrev_b32_e32 v18, 8, v15
	global_store_byte v[16:17], v18, off
	s_or_b64 exec, exec, s[8:9]
	s_and_saveexec_b64 s[0:1], s[2:3]
	s_cbranch_execz .LBB317_15
.LBB317_18:                             ;   in Loop: Header=BB317_4 Depth=1
	v_mov_b32_e32 v17, s21
	v_add_co_u32_e32 v16, vcc, s20, v7
	v_addc_co_u32_e32 v17, vcc, v8, v17, vcc
	global_store_byte_d16_hi v[16:17], v15, off
	s_or_b64 exec, exec, s[0:1]
	s_and_saveexec_b64 s[0:1], s[6:7]
	s_cbranch_execz .LBB317_3
.LBB317_19:                             ;   in Loop: Header=BB317_4 Depth=1
	v_mov_b32_e32 v17, s21
	v_add_co_u32_e32 v16, vcc, s20, v3
	v_addc_co_u32_e32 v17, vcc, v4, v17, vcc
	v_lshrrev_b32_e32 v15, 24, v15
	global_store_byte v[16:17], v15, off
	s_branch .LBB317_3
.LBB317_20:
	s_cbranch_execz .LBB317_22
	s_branch .LBB317_25
.LBB317_21:
.LBB317_22:
	v_mov_b32_e32 v1, 0x10000
	v_mov_b32_e32 v2, 0
	v_cmp_lt_i64_e32 vcc, s[14:15], v[1:2]
	v_mov_b32_e32 v3, 0
	s_and_b64 s[0:1], vcc, exec
	s_cselect_b32 s1, s15, 0
	s_cselect_b32 s0, s14, 0x10000
	v_lshlrev_b32_e32 v2, 2, v0
	v_cmp_gt_i64_e32 vcc, s[0:1], v[2:3]
	s_and_saveexec_b64 s[2:3], vcc
	s_cbranch_execz .LBB317_25
; %bb.23:
	s_load_dword s2, s[4:5], 0xd3c
	v_mov_b32_e32 v1, v3
	s_movk_i32 s6, 0xff00
	s_waitcnt lgkmcnt(0)
	s_and_b32 s4, s2, 0xffff
	s_add_u32 s2, s10, s12
	s_addc_u32 s3, s11, s13
	v_mov_b32_e32 v5, s3
	v_add_co_u32_e32 v4, vcc, s2, v2
	v_addc_co_u32_e32 v5, vcc, 0, v5, vcc
	s_lshl_b32 s5, s4, 2
	s_mov_b64 s[2:3], 0
.LBB317_24:                             ; =>This Inner Loop Header: Depth=1
	global_load_dword v2, v[4:5], off
	v_add_co_u32_e32 v0, vcc, s4, v0
	v_addc_co_u32_e32 v1, vcc, 0, v1, vcc
	v_lshlrev_b64 v[6:7], 2, v[0:1]
	v_cmp_le_i64_e32 vcc, s[0:1], v[6:7]
	s_or_b64 s[2:3], vcc, s[2:3]
	s_waitcnt vmcnt(0)
	v_and_b32_e32 v6, 0xffffff00, v2
	v_sub_u16_e32 v7, 0, v2
	v_and_b32_sdwa v8, v2, s6 dst_sel:DWORD dst_unused:UNUSED_PAD src0_sel:WORD_1 src1_sel:DWORD
	v_sub_u16_sdwa v2, v3, v2 dst_sel:DWORD dst_unused:UNUSED_PAD src0_sel:DWORD src1_sel:WORD_1
	v_sub_u16_sdwa v6, v7, v6 dst_sel:DWORD dst_unused:UNUSED_PAD src0_sel:BYTE_0 src1_sel:DWORD
	v_sub_u16_sdwa v2, v2, v8 dst_sel:WORD_1 dst_unused:UNUSED_PAD src0_sel:BYTE_0 src1_sel:DWORD
	v_or_b32_e32 v2, v6, v2
	global_store_dword v[4:5], v2, off
	v_add_co_u32_e32 v4, vcc, s5, v4
	v_addc_co_u32_e32 v5, vcc, 0, v5, vcc
	s_andn2_b64 exec, exec, s[2:3]
	s_cbranch_execnz .LBB317_24
.LBB317_25:
	s_endpgm
	.section	.rodata,"a",@progbits
	.p2align	6, 0x0
	.amdhsa_kernel _ZN2at6native12_GLOBAL__N_125multi_tensor_apply_kernelINS1_18TensorListMetadataILi1EEENS1_14UnaryOpFunctorIaLi1ELi1ELi0EEEJSt6negateIaEEEEvT_T0_DpT1_
		.amdhsa_group_segment_fixed_size 0
		.amdhsa_private_segment_fixed_size 0
		.amdhsa_kernarg_size 3632
		.amdhsa_user_sgpr_count 6
		.amdhsa_user_sgpr_private_segment_buffer 1
		.amdhsa_user_sgpr_dispatch_ptr 0
		.amdhsa_user_sgpr_queue_ptr 0
		.amdhsa_user_sgpr_kernarg_segment_ptr 1
		.amdhsa_user_sgpr_dispatch_id 0
		.amdhsa_user_sgpr_flat_scratch_init 0
		.amdhsa_user_sgpr_private_segment_size 0
		.amdhsa_uses_dynamic_stack 0
		.amdhsa_system_sgpr_private_segment_wavefront_offset 0
		.amdhsa_system_sgpr_workgroup_id_x 1
		.amdhsa_system_sgpr_workgroup_id_y 0
		.amdhsa_system_sgpr_workgroup_id_z 0
		.amdhsa_system_sgpr_workgroup_info 0
		.amdhsa_system_vgpr_workitem_id 0
		.amdhsa_next_free_vgpr 20
		.amdhsa_next_free_sgpr 25
		.amdhsa_reserve_vcc 1
		.amdhsa_reserve_flat_scratch 0
		.amdhsa_float_round_mode_32 0
		.amdhsa_float_round_mode_16_64 0
		.amdhsa_float_denorm_mode_32 3
		.amdhsa_float_denorm_mode_16_64 3
		.amdhsa_dx10_clamp 1
		.amdhsa_ieee_mode 1
		.amdhsa_fp16_overflow 0
		.amdhsa_exception_fp_ieee_invalid_op 0
		.amdhsa_exception_fp_denorm_src 0
		.amdhsa_exception_fp_ieee_div_zero 0
		.amdhsa_exception_fp_ieee_overflow 0
		.amdhsa_exception_fp_ieee_underflow 0
		.amdhsa_exception_fp_ieee_inexact 0
		.amdhsa_exception_int_div_zero 0
	.end_amdhsa_kernel
	.section	.text._ZN2at6native12_GLOBAL__N_125multi_tensor_apply_kernelINS1_18TensorListMetadataILi1EEENS1_14UnaryOpFunctorIaLi1ELi1ELi0EEEJSt6negateIaEEEEvT_T0_DpT1_,"axG",@progbits,_ZN2at6native12_GLOBAL__N_125multi_tensor_apply_kernelINS1_18TensorListMetadataILi1EEENS1_14UnaryOpFunctorIaLi1ELi1ELi0EEEJSt6negateIaEEEEvT_T0_DpT1_,comdat
.Lfunc_end317:
	.size	_ZN2at6native12_GLOBAL__N_125multi_tensor_apply_kernelINS1_18TensorListMetadataILi1EEENS1_14UnaryOpFunctorIaLi1ELi1ELi0EEEJSt6negateIaEEEEvT_T0_DpT1_, .Lfunc_end317-_ZN2at6native12_GLOBAL__N_125multi_tensor_apply_kernelINS1_18TensorListMetadataILi1EEENS1_14UnaryOpFunctorIaLi1ELi1ELi0EEEJSt6negateIaEEEEvT_T0_DpT1_
                                        ; -- End function
	.set _ZN2at6native12_GLOBAL__N_125multi_tensor_apply_kernelINS1_18TensorListMetadataILi1EEENS1_14UnaryOpFunctorIaLi1ELi1ELi0EEEJSt6negateIaEEEEvT_T0_DpT1_.num_vgpr, 20
	.set _ZN2at6native12_GLOBAL__N_125multi_tensor_apply_kernelINS1_18TensorListMetadataILi1EEENS1_14UnaryOpFunctorIaLi1ELi1ELi0EEEJSt6negateIaEEEEvT_T0_DpT1_.num_agpr, 0
	.set _ZN2at6native12_GLOBAL__N_125multi_tensor_apply_kernelINS1_18TensorListMetadataILi1EEENS1_14UnaryOpFunctorIaLi1ELi1ELi0EEEJSt6negateIaEEEEvT_T0_DpT1_.numbered_sgpr, 25
	.set _ZN2at6native12_GLOBAL__N_125multi_tensor_apply_kernelINS1_18TensorListMetadataILi1EEENS1_14UnaryOpFunctorIaLi1ELi1ELi0EEEJSt6negateIaEEEEvT_T0_DpT1_.num_named_barrier, 0
	.set _ZN2at6native12_GLOBAL__N_125multi_tensor_apply_kernelINS1_18TensorListMetadataILi1EEENS1_14UnaryOpFunctorIaLi1ELi1ELi0EEEJSt6negateIaEEEEvT_T0_DpT1_.private_seg_size, 0
	.set _ZN2at6native12_GLOBAL__N_125multi_tensor_apply_kernelINS1_18TensorListMetadataILi1EEENS1_14UnaryOpFunctorIaLi1ELi1ELi0EEEJSt6negateIaEEEEvT_T0_DpT1_.uses_vcc, 1
	.set _ZN2at6native12_GLOBAL__N_125multi_tensor_apply_kernelINS1_18TensorListMetadataILi1EEENS1_14UnaryOpFunctorIaLi1ELi1ELi0EEEJSt6negateIaEEEEvT_T0_DpT1_.uses_flat_scratch, 0
	.set _ZN2at6native12_GLOBAL__N_125multi_tensor_apply_kernelINS1_18TensorListMetadataILi1EEENS1_14UnaryOpFunctorIaLi1ELi1ELi0EEEJSt6negateIaEEEEvT_T0_DpT1_.has_dyn_sized_stack, 0
	.set _ZN2at6native12_GLOBAL__N_125multi_tensor_apply_kernelINS1_18TensorListMetadataILi1EEENS1_14UnaryOpFunctorIaLi1ELi1ELi0EEEJSt6negateIaEEEEvT_T0_DpT1_.has_recursion, 0
	.set _ZN2at6native12_GLOBAL__N_125multi_tensor_apply_kernelINS1_18TensorListMetadataILi1EEENS1_14UnaryOpFunctorIaLi1ELi1ELi0EEEJSt6negateIaEEEEvT_T0_DpT1_.has_indirect_call, 0
	.section	.AMDGPU.csdata,"",@progbits
; Kernel info:
; codeLenInByte = 1100
; TotalNumSgprs: 29
; NumVgprs: 20
; ScratchSize: 0
; MemoryBound: 0
; FloatMode: 240
; IeeeMode: 1
; LDSByteSize: 0 bytes/workgroup (compile time only)
; SGPRBlocks: 3
; VGPRBlocks: 4
; NumSGPRsForWavesPerEU: 29
; NumVGPRsForWavesPerEU: 20
; Occupancy: 10
; WaveLimiterHint : 0
; COMPUTE_PGM_RSRC2:SCRATCH_EN: 0
; COMPUTE_PGM_RSRC2:USER_SGPR: 6
; COMPUTE_PGM_RSRC2:TRAP_HANDLER: 0
; COMPUTE_PGM_RSRC2:TGID_X_EN: 1
; COMPUTE_PGM_RSRC2:TGID_Y_EN: 0
; COMPUTE_PGM_RSRC2:TGID_Z_EN: 0
; COMPUTE_PGM_RSRC2:TIDIG_COMP_CNT: 0
	.section	.text._ZN2at6native12_GLOBAL__N_125multi_tensor_apply_kernelINS1_18TensorListMetadataILi1EEENS1_14UnaryOpFunctorIiLi1ELi1ELi0EEEJSt6negateIiEEEEvT_T0_DpT1_,"axG",@progbits,_ZN2at6native12_GLOBAL__N_125multi_tensor_apply_kernelINS1_18TensorListMetadataILi1EEENS1_14UnaryOpFunctorIiLi1ELi1ELi0EEEJSt6negateIiEEEEvT_T0_DpT1_,comdat
	.globl	_ZN2at6native12_GLOBAL__N_125multi_tensor_apply_kernelINS1_18TensorListMetadataILi1EEENS1_14UnaryOpFunctorIiLi1ELi1ELi0EEEJSt6negateIiEEEEvT_T0_DpT1_ ; -- Begin function _ZN2at6native12_GLOBAL__N_125multi_tensor_apply_kernelINS1_18TensorListMetadataILi1EEENS1_14UnaryOpFunctorIiLi1ELi1ELi0EEEJSt6negateIiEEEEvT_T0_DpT1_
	.p2align	8
	.type	_ZN2at6native12_GLOBAL__N_125multi_tensor_apply_kernelINS1_18TensorListMetadataILi1EEENS1_14UnaryOpFunctorIiLi1ELi1ELi0EEEJSt6negateIiEEEEvT_T0_DpT1_,@function
_ZN2at6native12_GLOBAL__N_125multi_tensor_apply_kernelINS1_18TensorListMetadataILi1EEENS1_14UnaryOpFunctorIiLi1ELi1ELi0EEEJSt6negateIiEEEEvT_T0_DpT1_: ; @_ZN2at6native12_GLOBAL__N_125multi_tensor_apply_kernelINS1_18TensorListMetadataILi1EEENS1_14UnaryOpFunctorIiLi1ELi1ELi0EEEJSt6negateIiEEEEvT_T0_DpT1_
; %bb.0:
	v_mov_b32_e32 v1, s6
	global_load_ubyte v1, v1, s[4:5] offset:1760
	s_add_u32 s0, s4, s6
	s_mul_hi_u32 s1, s6, 3
	s_mul_i32 s6, s6, 3
	s_addc_u32 s2, s5, 0
	s_add_u32 s0, s0, s6
	s_addc_u32 s1, s2, s1
	s_load_dword s0, s[0:1], 0x820
	s_mov_b32 s7, 0
	s_waitcnt vmcnt(0)
	v_readfirstlane_b32 s1, v1
	s_lshl_b32 s1, s1, 3
	s_load_dwordx2 s[2:3], s[4:5], s1 offset:0x370
	s_load_dwordx2 s[10:11], s[4:5], s1 offset:0x0
	s_waitcnt lgkmcnt(0)
	s_ashr_i32 s1, s0, 31
	s_lshl_b64 s[12:13], s[0:1], 18
	s_lshl_b64 s[0:1], s[0:1], 16
	s_and_b32 s6, s10, 15
	s_sub_u32 s14, s2, s0
	s_subb_u32 s15, s3, s1
	s_and_b32 s0, s2, 3
	s_mov_b32 s1, s7
	s_or_b64 s[0:1], s[6:7], s[0:1]
	s_cmp_eq_u64 s[0:1], 0
	s_cbranch_scc1 .LBB318_21
; %bb.1:
	v_cmp_lt_i64_e64 s[0:1], s[14:15], 1
	s_and_b64 vcc, exec, s[0:1]
	s_cbranch_vccnz .LBB318_20
; %bb.2:
	v_mov_b32_e32 v1, 0x10000
	s_load_dword s2, s[4:5], 0xd3c
	v_mov_b32_e32 v2, 0
	v_cmp_lt_i64_e32 vcc, s[14:15], v[1:2]
	s_mov_b64 s[20:21], 0
	s_and_b64 s[0:1], vcc, exec
	v_cmp_lt_u64_e32 vcc, s[14:15], v[1:2]
	s_cselect_b32 s17, s15, 0
	s_cselect_b32 s16, s14, 0x10000
	s_waitcnt lgkmcnt(0)
	s_and_b32 s2, s2, 0xffff
	s_and_b64 s[0:1], vcc, exec
	s_cselect_b32 s19, s15, 0
	s_cselect_b32 s18, s14, 0x10000
	s_lshl_b32 s3, s2, 1
	s_lshl_b32 s24, s2, 2
	s_add_u32 s6, s10, s12
	v_lshlrev_b32_e32 v1, 2, v0
	s_addc_u32 s7, s11, s13
	v_mov_b32_e32 v2, s7
	v_add_co_u32_e32 v1, vcc, s6, v1
	s_mul_i32 s0, s2, 3
	v_addc_co_u32_e32 v2, vcc, 0, v2, vcc
	v_add_co_u32_e32 v5, vcc, s0, v0
	v_addc_co_u32_e64 v6, s[0:1], 0, 0, vcc
	v_add_co_u32_e32 v7, vcc, s3, v0
	v_addc_co_u32_e64 v8, s[0:1], 0, 0, vcc
	v_add_co_u32_e32 v9, vcc, s2, v0
	v_lshlrev_b32_e32 v3, 2, v9
	v_addc_co_u32_e64 v10, s[0:1], 0, 0, vcc
	v_mov_b32_e32 v4, s7
	v_add_co_u32_e32 v3, vcc, s6, v3
	s_lshl_b32 s25, s2, 4
	s_mul_i32 s26, s2, 12
	s_lshl_b32 s27, s2, 3
	v_addc_co_u32_e32 v4, vcc, 0, v4, vcc
	s_branch .LBB318_4
.LBB318_3:                              ;   in Loop: Header=BB318_4 Depth=1
	s_or_b64 exec, exec, s[0:1]
	s_add_u32 s20, s20, s24
	v_add_co_u32_e32 v1, vcc, s25, v1
	s_waitcnt vmcnt(0)
	v_mov_b32_e32 v11, s16
	s_addc_u32 s21, s21, 0
	v_addc_co_u32_e32 v2, vcc, 0, v2, vcc
	v_mov_b32_e32 v12, s17
	v_cmp_lt_i64_e32 vcc, s[20:21], v[11:12]
	v_add_co_u32_e64 v3, s[0:1], s25, v3
	v_addc_co_u32_e64 v4, s[0:1], 0, v4, s[0:1]
	s_cbranch_vccz .LBB318_20
.LBB318_4:                              ; =>This Inner Loop Header: Depth=1
	v_mov_b32_e32 v12, s21
	v_add_co_u32_e32 v11, vcc, s20, v0
	v_addc_co_u32_e32 v12, vcc, 0, v12, vcc
	v_cmp_gt_u64_e32 vcc, s[18:19], v[11:12]
	v_mov_b32_e32 v11, 0
	s_and_saveexec_b64 s[0:1], vcc
	s_cbranch_execz .LBB318_6
; %bb.5:                                ;   in Loop: Header=BB318_4 Depth=1
	global_load_dword v11, v[1:2], off
.LBB318_6:                              ;   in Loop: Header=BB318_4 Depth=1
	s_or_b64 exec, exec, s[0:1]
	v_mov_b32_e32 v13, s21
	v_add_co_u32_e64 v12, s[0:1], s20, v9
	v_addc_co_u32_e64 v13, s[0:1], v10, v13, s[0:1]
	v_cmp_gt_u64_e64 s[0:1], s[18:19], v[12:13]
	v_mov_b32_e32 v12, 0
	v_mov_b32_e32 v13, 0
	s_and_saveexec_b64 s[2:3], s[0:1]
	s_cbranch_execz .LBB318_8
; %bb.7:                                ;   in Loop: Header=BB318_4 Depth=1
	global_load_dword v13, v[3:4], off
.LBB318_8:                              ;   in Loop: Header=BB318_4 Depth=1
	s_or_b64 exec, exec, s[2:3]
	v_mov_b32_e32 v15, s21
	v_add_co_u32_e64 v14, s[2:3], s20, v7
	v_addc_co_u32_e64 v15, s[2:3], v8, v15, s[2:3]
	v_cmp_gt_u64_e64 s[2:3], s[18:19], v[14:15]
	s_and_saveexec_b64 s[8:9], s[2:3]
	s_cbranch_execz .LBB318_10
; %bb.9:                                ;   in Loop: Header=BB318_4 Depth=1
	v_add_co_u32_e64 v14, s[6:7], s27, v1
	v_addc_co_u32_e64 v15, s[6:7], 0, v2, s[6:7]
	global_load_dword v12, v[14:15], off
.LBB318_10:                             ;   in Loop: Header=BB318_4 Depth=1
	s_or_b64 exec, exec, s[8:9]
	v_mov_b32_e32 v15, s21
	v_add_co_u32_e64 v14, s[6:7], s20, v5
	v_addc_co_u32_e64 v15, s[6:7], v6, v15, s[6:7]
	v_cmp_gt_u64_e64 s[6:7], s[18:19], v[14:15]
	v_mov_b32_e32 v14, 0
	s_and_saveexec_b64 s[22:23], s[6:7]
	s_cbranch_execnz .LBB318_15
; %bb.11:                               ;   in Loop: Header=BB318_4 Depth=1
	s_or_b64 exec, exec, s[22:23]
	s_and_saveexec_b64 s[8:9], vcc
	s_cbranch_execnz .LBB318_16
.LBB318_12:                             ;   in Loop: Header=BB318_4 Depth=1
	s_or_b64 exec, exec, s[8:9]
	s_and_saveexec_b64 s[8:9], s[0:1]
	s_cbranch_execnz .LBB318_17
.LBB318_13:                             ;   in Loop: Header=BB318_4 Depth=1
	s_or_b64 exec, exec, s[8:9]
	s_and_saveexec_b64 s[0:1], s[2:3]
	s_cbranch_execnz .LBB318_18
.LBB318_14:                             ;   in Loop: Header=BB318_4 Depth=1
	s_or_b64 exec, exec, s[0:1]
	s_and_saveexec_b64 s[0:1], s[6:7]
	s_cbranch_execz .LBB318_3
	s_branch .LBB318_19
.LBB318_15:                             ;   in Loop: Header=BB318_4 Depth=1
	v_add_co_u32_e64 v14, s[8:9], s26, v1
	v_addc_co_u32_e64 v15, s[8:9], 0, v2, s[8:9]
	global_load_dword v14, v[14:15], off
	s_or_b64 exec, exec, s[22:23]
	s_and_saveexec_b64 s[8:9], vcc
	s_cbranch_execz .LBB318_12
.LBB318_16:                             ;   in Loop: Header=BB318_4 Depth=1
	s_waitcnt vmcnt(0)
	v_sub_u32_e32 v11, 0, v11
	global_store_dword v[1:2], v11, off
	s_or_b64 exec, exec, s[8:9]
	s_and_saveexec_b64 s[8:9], s[0:1]
	s_cbranch_execz .LBB318_13
.LBB318_17:                             ;   in Loop: Header=BB318_4 Depth=1
	s_waitcnt vmcnt(0)
	v_sub_u32_e32 v11, 0, v13
	global_store_dword v[3:4], v11, off
	s_or_b64 exec, exec, s[8:9]
	s_and_saveexec_b64 s[0:1], s[2:3]
	s_cbranch_execz .LBB318_14
.LBB318_18:                             ;   in Loop: Header=BB318_4 Depth=1
	s_waitcnt vmcnt(0)
	v_add_co_u32_e32 v11, vcc, s27, v1
	v_sub_u32_e32 v13, 0, v12
	v_addc_co_u32_e32 v12, vcc, 0, v2, vcc
	global_store_dword v[11:12], v13, off
	s_or_b64 exec, exec, s[0:1]
	s_and_saveexec_b64 s[0:1], s[6:7]
	s_cbranch_execz .LBB318_3
.LBB318_19:                             ;   in Loop: Header=BB318_4 Depth=1
	s_waitcnt vmcnt(0)
	v_add_co_u32_e32 v11, vcc, s26, v1
	v_sub_u32_e32 v13, 0, v14
	v_addc_co_u32_e32 v12, vcc, 0, v2, vcc
	global_store_dword v[11:12], v13, off
	s_branch .LBB318_3
.LBB318_20:
	s_cbranch_execz .LBB318_22
	s_branch .LBB318_25
.LBB318_21:
.LBB318_22:
	v_mov_b32_e32 v1, 0x10000
	v_mov_b32_e32 v2, 0
	v_cmp_lt_i64_e32 vcc, s[14:15], v[1:2]
	v_mov_b32_e32 v2, 0
	s_and_b64 s[0:1], vcc, exec
	s_cselect_b32 s1, s15, 0
	s_cselect_b32 s0, s14, 0x10000
	v_lshlrev_b32_e32 v1, 2, v0
	v_cmp_gt_i64_e32 vcc, s[0:1], v[1:2]
	s_and_saveexec_b64 s[2:3], vcc
	s_cbranch_execz .LBB318_25
; %bb.23:
	s_load_dword s2, s[4:5], 0xd3c
	v_mov_b32_e32 v1, v2
	v_lshlrev_b32_e32 v2, 4, v0
	s_waitcnt lgkmcnt(0)
	s_and_b32 s4, s2, 0xffff
	s_add_u32 s2, s10, s12
	s_addc_u32 s3, s11, s13
	v_mov_b32_e32 v3, s3
	v_add_co_u32_e32 v2, vcc, s2, v2
	v_addc_co_u32_e32 v3, vcc, 0, v3, vcc
	v_add_co_u32_e32 v2, vcc, 8, v2
	v_addc_co_u32_e32 v3, vcc, 0, v3, vcc
	s_lshl_b32 s5, s4, 4
	s_mov_b64 s[2:3], 0
.LBB318_24:                             ; =>This Inner Loop Header: Depth=1
	global_load_dwordx4 v[4:7], v[2:3], off offset:-8
	v_add_co_u32_e32 v0, vcc, s4, v0
	v_addc_co_u32_e32 v1, vcc, 0, v1, vcc
	v_lshlrev_b64 v[8:9], 2, v[0:1]
	v_cmp_le_i64_e32 vcc, s[0:1], v[8:9]
	s_or_b64 s[2:3], vcc, s[2:3]
	s_waitcnt vmcnt(0)
	v_sub_u32_e32 v4, 0, v4
	v_sub_u32_e32 v5, 0, v5
	;; [unrolled: 1-line block ×4, first 2 shown]
	global_store_dwordx4 v[2:3], v[4:7], off offset:-8
	v_add_co_u32_e32 v2, vcc, s5, v2
	v_addc_co_u32_e32 v3, vcc, 0, v3, vcc
	s_andn2_b64 exec, exec, s[2:3]
	s_cbranch_execnz .LBB318_24
.LBB318_25:
	s_endpgm
	.section	.rodata,"a",@progbits
	.p2align	6, 0x0
	.amdhsa_kernel _ZN2at6native12_GLOBAL__N_125multi_tensor_apply_kernelINS1_18TensorListMetadataILi1EEENS1_14UnaryOpFunctorIiLi1ELi1ELi0EEEJSt6negateIiEEEEvT_T0_DpT1_
		.amdhsa_group_segment_fixed_size 0
		.amdhsa_private_segment_fixed_size 0
		.amdhsa_kernarg_size 3632
		.amdhsa_user_sgpr_count 6
		.amdhsa_user_sgpr_private_segment_buffer 1
		.amdhsa_user_sgpr_dispatch_ptr 0
		.amdhsa_user_sgpr_queue_ptr 0
		.amdhsa_user_sgpr_kernarg_segment_ptr 1
		.amdhsa_user_sgpr_dispatch_id 0
		.amdhsa_user_sgpr_flat_scratch_init 0
		.amdhsa_user_sgpr_private_segment_size 0
		.amdhsa_uses_dynamic_stack 0
		.amdhsa_system_sgpr_private_segment_wavefront_offset 0
		.amdhsa_system_sgpr_workgroup_id_x 1
		.amdhsa_system_sgpr_workgroup_id_y 0
		.amdhsa_system_sgpr_workgroup_id_z 0
		.amdhsa_system_sgpr_workgroup_info 0
		.amdhsa_system_vgpr_workitem_id 0
		.amdhsa_next_free_vgpr 16
		.amdhsa_next_free_sgpr 28
		.amdhsa_reserve_vcc 1
		.amdhsa_reserve_flat_scratch 0
		.amdhsa_float_round_mode_32 0
		.amdhsa_float_round_mode_16_64 0
		.amdhsa_float_denorm_mode_32 3
		.amdhsa_float_denorm_mode_16_64 3
		.amdhsa_dx10_clamp 1
		.amdhsa_ieee_mode 1
		.amdhsa_fp16_overflow 0
		.amdhsa_exception_fp_ieee_invalid_op 0
		.amdhsa_exception_fp_denorm_src 0
		.amdhsa_exception_fp_ieee_div_zero 0
		.amdhsa_exception_fp_ieee_overflow 0
		.amdhsa_exception_fp_ieee_underflow 0
		.amdhsa_exception_fp_ieee_inexact 0
		.amdhsa_exception_int_div_zero 0
	.end_amdhsa_kernel
	.section	.text._ZN2at6native12_GLOBAL__N_125multi_tensor_apply_kernelINS1_18TensorListMetadataILi1EEENS1_14UnaryOpFunctorIiLi1ELi1ELi0EEEJSt6negateIiEEEEvT_T0_DpT1_,"axG",@progbits,_ZN2at6native12_GLOBAL__N_125multi_tensor_apply_kernelINS1_18TensorListMetadataILi1EEENS1_14UnaryOpFunctorIiLi1ELi1ELi0EEEJSt6negateIiEEEEvT_T0_DpT1_,comdat
.Lfunc_end318:
	.size	_ZN2at6native12_GLOBAL__N_125multi_tensor_apply_kernelINS1_18TensorListMetadataILi1EEENS1_14UnaryOpFunctorIiLi1ELi1ELi0EEEJSt6negateIiEEEEvT_T0_DpT1_, .Lfunc_end318-_ZN2at6native12_GLOBAL__N_125multi_tensor_apply_kernelINS1_18TensorListMetadataILi1EEENS1_14UnaryOpFunctorIiLi1ELi1ELi0EEEJSt6negateIiEEEEvT_T0_DpT1_
                                        ; -- End function
	.set _ZN2at6native12_GLOBAL__N_125multi_tensor_apply_kernelINS1_18TensorListMetadataILi1EEENS1_14UnaryOpFunctorIiLi1ELi1ELi0EEEJSt6negateIiEEEEvT_T0_DpT1_.num_vgpr, 16
	.set _ZN2at6native12_GLOBAL__N_125multi_tensor_apply_kernelINS1_18TensorListMetadataILi1EEENS1_14UnaryOpFunctorIiLi1ELi1ELi0EEEJSt6negateIiEEEEvT_T0_DpT1_.num_agpr, 0
	.set _ZN2at6native12_GLOBAL__N_125multi_tensor_apply_kernelINS1_18TensorListMetadataILi1EEENS1_14UnaryOpFunctorIiLi1ELi1ELi0EEEJSt6negateIiEEEEvT_T0_DpT1_.numbered_sgpr, 28
	.set _ZN2at6native12_GLOBAL__N_125multi_tensor_apply_kernelINS1_18TensorListMetadataILi1EEENS1_14UnaryOpFunctorIiLi1ELi1ELi0EEEJSt6negateIiEEEEvT_T0_DpT1_.num_named_barrier, 0
	.set _ZN2at6native12_GLOBAL__N_125multi_tensor_apply_kernelINS1_18TensorListMetadataILi1EEENS1_14UnaryOpFunctorIiLi1ELi1ELi0EEEJSt6negateIiEEEEvT_T0_DpT1_.private_seg_size, 0
	.set _ZN2at6native12_GLOBAL__N_125multi_tensor_apply_kernelINS1_18TensorListMetadataILi1EEENS1_14UnaryOpFunctorIiLi1ELi1ELi0EEEJSt6negateIiEEEEvT_T0_DpT1_.uses_vcc, 1
	.set _ZN2at6native12_GLOBAL__N_125multi_tensor_apply_kernelINS1_18TensorListMetadataILi1EEENS1_14UnaryOpFunctorIiLi1ELi1ELi0EEEJSt6negateIiEEEEvT_T0_DpT1_.uses_flat_scratch, 0
	.set _ZN2at6native12_GLOBAL__N_125multi_tensor_apply_kernelINS1_18TensorListMetadataILi1EEENS1_14UnaryOpFunctorIiLi1ELi1ELi0EEEJSt6negateIiEEEEvT_T0_DpT1_.has_dyn_sized_stack, 0
	.set _ZN2at6native12_GLOBAL__N_125multi_tensor_apply_kernelINS1_18TensorListMetadataILi1EEENS1_14UnaryOpFunctorIiLi1ELi1ELi0EEEJSt6negateIiEEEEvT_T0_DpT1_.has_recursion, 0
	.set _ZN2at6native12_GLOBAL__N_125multi_tensor_apply_kernelINS1_18TensorListMetadataILi1EEENS1_14UnaryOpFunctorIiLi1ELi1ELi0EEEJSt6negateIiEEEEvT_T0_DpT1_.has_indirect_call, 0
	.section	.AMDGPU.csdata,"",@progbits
; Kernel info:
; codeLenInByte = 988
; TotalNumSgprs: 32
; NumVgprs: 16
; ScratchSize: 0
; MemoryBound: 0
; FloatMode: 240
; IeeeMode: 1
; LDSByteSize: 0 bytes/workgroup (compile time only)
; SGPRBlocks: 3
; VGPRBlocks: 3
; NumSGPRsForWavesPerEU: 32
; NumVGPRsForWavesPerEU: 16
; Occupancy: 10
; WaveLimiterHint : 0
; COMPUTE_PGM_RSRC2:SCRATCH_EN: 0
; COMPUTE_PGM_RSRC2:USER_SGPR: 6
; COMPUTE_PGM_RSRC2:TRAP_HANDLER: 0
; COMPUTE_PGM_RSRC2:TGID_X_EN: 1
; COMPUTE_PGM_RSRC2:TGID_Y_EN: 0
; COMPUTE_PGM_RSRC2:TGID_Z_EN: 0
; COMPUTE_PGM_RSRC2:TIDIG_COMP_CNT: 0
	.section	.text._ZN2at6native12_GLOBAL__N_125multi_tensor_apply_kernelINS1_18TensorListMetadataILi1EEENS1_14UnaryOpFunctorIlLi1ELi1ELi0EEEJSt6negateIlEEEEvT_T0_DpT1_,"axG",@progbits,_ZN2at6native12_GLOBAL__N_125multi_tensor_apply_kernelINS1_18TensorListMetadataILi1EEENS1_14UnaryOpFunctorIlLi1ELi1ELi0EEEJSt6negateIlEEEEvT_T0_DpT1_,comdat
	.globl	_ZN2at6native12_GLOBAL__N_125multi_tensor_apply_kernelINS1_18TensorListMetadataILi1EEENS1_14UnaryOpFunctorIlLi1ELi1ELi0EEEJSt6negateIlEEEEvT_T0_DpT1_ ; -- Begin function _ZN2at6native12_GLOBAL__N_125multi_tensor_apply_kernelINS1_18TensorListMetadataILi1EEENS1_14UnaryOpFunctorIlLi1ELi1ELi0EEEJSt6negateIlEEEEvT_T0_DpT1_
	.p2align	8
	.type	_ZN2at6native12_GLOBAL__N_125multi_tensor_apply_kernelINS1_18TensorListMetadataILi1EEENS1_14UnaryOpFunctorIlLi1ELi1ELi0EEEJSt6negateIlEEEEvT_T0_DpT1_,@function
_ZN2at6native12_GLOBAL__N_125multi_tensor_apply_kernelINS1_18TensorListMetadataILi1EEENS1_14UnaryOpFunctorIlLi1ELi1ELi0EEEJSt6negateIlEEEEvT_T0_DpT1_: ; @_ZN2at6native12_GLOBAL__N_125multi_tensor_apply_kernelINS1_18TensorListMetadataILi1EEENS1_14UnaryOpFunctorIlLi1ELi1ELi0EEEJSt6negateIlEEEEvT_T0_DpT1_
; %bb.0:
	v_mov_b32_e32 v1, s6
	global_load_ubyte v1, v1, s[4:5] offset:1760
	s_add_u32 s0, s4, s6
	s_mul_hi_u32 s1, s6, 3
	s_mul_i32 s6, s6, 3
	s_addc_u32 s2, s5, 0
	s_add_u32 s0, s0, s6
	s_addc_u32 s1, s2, s1
	s_load_dword s0, s[0:1], 0x820
	s_mov_b32 s7, 0
	s_waitcnt vmcnt(0)
	v_readfirstlane_b32 s1, v1
	s_lshl_b32 s1, s1, 3
	s_load_dwordx2 s[2:3], s[4:5], s1 offset:0x370
	s_load_dwordx2 s[10:11], s[4:5], s1 offset:0x0
	s_waitcnt lgkmcnt(0)
	s_ashr_i32 s1, s0, 31
	s_lshl_b64 s[12:13], s[0:1], 19
	s_lshl_b64 s[0:1], s[0:1], 16
	s_and_b32 s6, s10, 31
	s_sub_u32 s14, s2, s0
	s_subb_u32 s15, s3, s1
	s_and_b32 s0, s2, 3
	s_mov_b32 s1, s7
	s_or_b64 s[0:1], s[6:7], s[0:1]
	s_cmp_eq_u64 s[0:1], 0
	s_cbranch_scc1 .LBB319_21
; %bb.1:
	v_cmp_lt_i64_e64 s[0:1], s[14:15], 1
	s_and_b64 vcc, exec, s[0:1]
	s_cbranch_vccnz .LBB319_20
; %bb.2:
	v_mov_b32_e32 v1, 0x10000
	s_load_dword s2, s[4:5], 0xd3c
	v_mov_b32_e32 v2, 0
	v_cmp_lt_i64_e32 vcc, s[14:15], v[1:2]
	s_mov_b64 s[20:21], 0
	s_and_b64 s[0:1], vcc, exec
	v_cmp_lt_u64_e32 vcc, s[14:15], v[1:2]
	s_cselect_b32 s17, s15, 0
	s_cselect_b32 s16, s14, 0x10000
	s_waitcnt lgkmcnt(0)
	s_and_b32 s2, s2, 0xffff
	s_and_b64 s[0:1], vcc, exec
	s_cselect_b32 s19, s15, 0
	s_cselect_b32 s18, s14, 0x10000
	s_lshl_b32 s3, s2, 1
	s_lshl_b32 s24, s2, 2
	s_add_u32 s6, s10, s12
	v_lshlrev_b32_e32 v1, 3, v0
	s_addc_u32 s7, s11, s13
	v_mov_b32_e32 v2, s7
	v_add_co_u32_e32 v1, vcc, s6, v1
	s_mul_i32 s0, s2, 3
	v_addc_co_u32_e32 v2, vcc, 0, v2, vcc
	v_add_co_u32_e32 v13, vcc, s0, v0
	v_addc_co_u32_e64 v14, s[0:1], 0, 0, vcc
	v_add_co_u32_e32 v15, vcc, s3, v0
	v_addc_co_u32_e64 v16, s[0:1], 0, 0, vcc
	v_add_co_u32_e32 v17, vcc, s2, v0
	v_lshlrev_b32_e32 v3, 3, v17
	v_addc_co_u32_e64 v18, s[0:1], 0, 0, vcc
	v_mov_b32_e32 v4, s7
	v_add_co_u32_e32 v3, vcc, s6, v3
	s_lshl_b32 s25, s2, 5
	s_mul_i32 s26, s2, 24
	s_lshl_b32 s27, s2, 4
	v_addc_co_u32_e32 v4, vcc, 0, v4, vcc
	s_branch .LBB319_4
.LBB319_3:                              ;   in Loop: Header=BB319_4 Depth=1
	s_or_b64 exec, exec, s[0:1]
	s_add_u32 s20, s20, s24
	v_add_co_u32_e32 v1, vcc, s25, v1
	s_waitcnt vmcnt(0)
	v_mov_b32_e32 v5, s16
	s_addc_u32 s21, s21, 0
	v_addc_co_u32_e32 v2, vcc, 0, v2, vcc
	v_mov_b32_e32 v6, s17
	v_cmp_lt_i64_e32 vcc, s[20:21], v[5:6]
	v_add_co_u32_e64 v3, s[0:1], s25, v3
	v_addc_co_u32_e64 v4, s[0:1], 0, v4, s[0:1]
	s_cbranch_vccz .LBB319_20
.LBB319_4:                              ; =>This Inner Loop Header: Depth=1
	v_mov_b32_e32 v6, s21
	v_add_co_u32_e32 v5, vcc, s20, v0
	v_addc_co_u32_e32 v6, vcc, 0, v6, vcc
	v_cmp_gt_u64_e32 vcc, s[18:19], v[5:6]
	v_mov_b32_e32 v5, 0
	v_mov_b32_e32 v9, 0
	;; [unrolled: 1-line block ×4, first 2 shown]
	s_and_saveexec_b64 s[0:1], vcc
	s_cbranch_execz .LBB319_6
; %bb.5:                                ;   in Loop: Header=BB319_4 Depth=1
	global_load_dwordx2 v[9:10], v[1:2], off
.LBB319_6:                              ;   in Loop: Header=BB319_4 Depth=1
	s_or_b64 exec, exec, s[0:1]
	v_mov_b32_e32 v8, s21
	v_add_co_u32_e64 v7, s[0:1], s20, v17
	v_addc_co_u32_e64 v8, s[0:1], v18, v8, s[0:1]
	v_cmp_gt_u64_e64 s[0:1], s[18:19], v[7:8]
	s_and_saveexec_b64 s[2:3], s[0:1]
	s_cbranch_execz .LBB319_8
; %bb.7:                                ;   in Loop: Header=BB319_4 Depth=1
	global_load_dwordx2 v[5:6], v[3:4], off
.LBB319_8:                              ;   in Loop: Header=BB319_4 Depth=1
	s_or_b64 exec, exec, s[2:3]
	v_mov_b32_e32 v8, s21
	v_add_co_u32_e64 v7, s[2:3], s20, v15
	v_addc_co_u32_e64 v8, s[2:3], v16, v8, s[2:3]
	v_cmp_gt_u64_e64 s[2:3], s[18:19], v[7:8]
	v_mov_b32_e32 v7, 0
	v_mov_b32_e32 v11, 0
	;; [unrolled: 1-line block ×4, first 2 shown]
	s_and_saveexec_b64 s[8:9], s[2:3]
	s_cbranch_execz .LBB319_10
; %bb.9:                                ;   in Loop: Header=BB319_4 Depth=1
	v_add_co_u32_e64 v11, s[6:7], s27, v1
	v_addc_co_u32_e64 v12, s[6:7], 0, v2, s[6:7]
	global_load_dwordx2 v[11:12], v[11:12], off
.LBB319_10:                             ;   in Loop: Header=BB319_4 Depth=1
	s_or_b64 exec, exec, s[8:9]
	v_mov_b32_e32 v20, s21
	v_add_co_u32_e64 v19, s[6:7], s20, v13
	v_addc_co_u32_e64 v20, s[6:7], v14, v20, s[6:7]
	v_cmp_gt_u64_e64 s[6:7], s[18:19], v[19:20]
	s_and_saveexec_b64 s[22:23], s[6:7]
	s_cbranch_execnz .LBB319_15
; %bb.11:                               ;   in Loop: Header=BB319_4 Depth=1
	s_or_b64 exec, exec, s[22:23]
	s_and_saveexec_b64 s[8:9], vcc
	s_cbranch_execnz .LBB319_16
.LBB319_12:                             ;   in Loop: Header=BB319_4 Depth=1
	s_or_b64 exec, exec, s[8:9]
	s_and_saveexec_b64 s[8:9], s[0:1]
	s_cbranch_execnz .LBB319_17
.LBB319_13:                             ;   in Loop: Header=BB319_4 Depth=1
	s_or_b64 exec, exec, s[8:9]
	s_and_saveexec_b64 s[0:1], s[2:3]
	s_cbranch_execnz .LBB319_18
.LBB319_14:                             ;   in Loop: Header=BB319_4 Depth=1
	s_or_b64 exec, exec, s[0:1]
	s_and_saveexec_b64 s[0:1], s[6:7]
	s_cbranch_execz .LBB319_3
	s_branch .LBB319_19
.LBB319_15:                             ;   in Loop: Header=BB319_4 Depth=1
	v_add_co_u32_e64 v7, s[8:9], s26, v1
	v_addc_co_u32_e64 v8, s[8:9], 0, v2, s[8:9]
	global_load_dwordx2 v[7:8], v[7:8], off
	s_or_b64 exec, exec, s[22:23]
	s_and_saveexec_b64 s[8:9], vcc
	s_cbranch_execz .LBB319_12
.LBB319_16:                             ;   in Loop: Header=BB319_4 Depth=1
	s_waitcnt vmcnt(0)
	v_sub_co_u32_e32 v9, vcc, 0, v9
	v_subb_co_u32_e32 v10, vcc, 0, v10, vcc
	global_store_dwordx2 v[1:2], v[9:10], off
	s_or_b64 exec, exec, s[8:9]
	s_and_saveexec_b64 s[8:9], s[0:1]
	s_cbranch_execz .LBB319_13
.LBB319_17:                             ;   in Loop: Header=BB319_4 Depth=1
	s_waitcnt vmcnt(0)
	v_sub_co_u32_e32 v5, vcc, 0, v5
	v_subb_co_u32_e32 v6, vcc, 0, v6, vcc
	global_store_dwordx2 v[3:4], v[5:6], off
	s_or_b64 exec, exec, s[8:9]
	s_and_saveexec_b64 s[0:1], s[2:3]
	s_cbranch_execz .LBB319_14
.LBB319_18:                             ;   in Loop: Header=BB319_4 Depth=1
	s_waitcnt vmcnt(0)
	v_sub_co_u32_e32 v5, vcc, 0, v11
	v_subb_co_u32_e32 v6, vcc, 0, v12, vcc
	v_add_co_u32_e32 v9, vcc, s27, v1
	v_addc_co_u32_e32 v10, vcc, 0, v2, vcc
	global_store_dwordx2 v[9:10], v[5:6], off
	s_or_b64 exec, exec, s[0:1]
	s_and_saveexec_b64 s[0:1], s[6:7]
	s_cbranch_execz .LBB319_3
.LBB319_19:                             ;   in Loop: Header=BB319_4 Depth=1
	s_waitcnt vmcnt(0)
	v_sub_co_u32_e32 v5, vcc, 0, v7
	v_subb_co_u32_e32 v6, vcc, 0, v8, vcc
	v_add_co_u32_e32 v7, vcc, s26, v1
	v_addc_co_u32_e32 v8, vcc, 0, v2, vcc
	global_store_dwordx2 v[7:8], v[5:6], off
	s_branch .LBB319_3
.LBB319_20:
	s_cbranch_execz .LBB319_22
	s_branch .LBB319_25
.LBB319_21:
.LBB319_22:
	v_mov_b32_e32 v1, 0x10000
	v_mov_b32_e32 v2, 0
	v_cmp_lt_i64_e32 vcc, s[14:15], v[1:2]
	v_mov_b32_e32 v2, 0
	s_and_b64 s[0:1], vcc, exec
	s_cselect_b32 s1, s15, 0
	s_cselect_b32 s0, s14, 0x10000
	v_lshlrev_b32_e32 v1, 2, v0
	v_cmp_gt_i64_e32 vcc, s[0:1], v[1:2]
	s_and_saveexec_b64 s[2:3], vcc
	s_cbranch_execz .LBB319_25
; %bb.23:
	s_load_dword s2, s[4:5], 0xd3c
	v_mov_b32_e32 v1, v2
	v_lshlrev_b32_e32 v2, 5, v0
	s_waitcnt lgkmcnt(0)
	s_and_b32 s4, s2, 0xffff
	s_add_u32 s2, s10, s12
	s_addc_u32 s3, s11, s13
	v_mov_b32_e32 v3, s3
	v_add_co_u32_e32 v2, vcc, s2, v2
	v_addc_co_u32_e32 v3, vcc, 0, v3, vcc
	v_add_co_u32_e32 v2, vcc, 16, v2
	v_addc_co_u32_e32 v3, vcc, 0, v3, vcc
	s_lshl_b32 s5, s4, 5
	s_mov_b64 s[2:3], 0
.LBB319_24:                             ; =>This Inner Loop Header: Depth=1
	global_load_dwordx4 v[4:7], v[2:3], off offset:-16
	global_load_dwordx4 v[8:11], v[2:3], off
	v_add_co_u32_e32 v0, vcc, s4, v0
	v_addc_co_u32_e32 v1, vcc, 0, v1, vcc
	v_lshlrev_b64 v[12:13], 2, v[0:1]
	v_cmp_le_i64_e32 vcc, s[0:1], v[12:13]
	s_or_b64 s[2:3], vcc, s[2:3]
	s_waitcnt vmcnt(1)
	v_sub_co_u32_e32 v4, vcc, 0, v4
	v_subb_co_u32_e32 v5, vcc, 0, v5, vcc
	v_sub_co_u32_e32 v6, vcc, 0, v6
	v_subb_co_u32_e32 v7, vcc, 0, v7, vcc
	s_waitcnt vmcnt(0)
	v_sub_co_u32_e32 v8, vcc, 0, v8
	v_subb_co_u32_e32 v9, vcc, 0, v9, vcc
	v_sub_co_u32_e32 v10, vcc, 0, v10
	v_subb_co_u32_e32 v11, vcc, 0, v11, vcc
	global_store_dwordx4 v[2:3], v[4:7], off offset:-16
	global_store_dwordx4 v[2:3], v[8:11], off
	v_add_co_u32_e32 v2, vcc, s5, v2
	v_addc_co_u32_e32 v3, vcc, 0, v3, vcc
	s_andn2_b64 exec, exec, s[2:3]
	s_cbranch_execnz .LBB319_24
.LBB319_25:
	s_endpgm
	.section	.rodata,"a",@progbits
	.p2align	6, 0x0
	.amdhsa_kernel _ZN2at6native12_GLOBAL__N_125multi_tensor_apply_kernelINS1_18TensorListMetadataILi1EEENS1_14UnaryOpFunctorIlLi1ELi1ELi0EEEJSt6negateIlEEEEvT_T0_DpT1_
		.amdhsa_group_segment_fixed_size 0
		.amdhsa_private_segment_fixed_size 0
		.amdhsa_kernarg_size 3632
		.amdhsa_user_sgpr_count 6
		.amdhsa_user_sgpr_private_segment_buffer 1
		.amdhsa_user_sgpr_dispatch_ptr 0
		.amdhsa_user_sgpr_queue_ptr 0
		.amdhsa_user_sgpr_kernarg_segment_ptr 1
		.amdhsa_user_sgpr_dispatch_id 0
		.amdhsa_user_sgpr_flat_scratch_init 0
		.amdhsa_user_sgpr_private_segment_size 0
		.amdhsa_uses_dynamic_stack 0
		.amdhsa_system_sgpr_private_segment_wavefront_offset 0
		.amdhsa_system_sgpr_workgroup_id_x 1
		.amdhsa_system_sgpr_workgroup_id_y 0
		.amdhsa_system_sgpr_workgroup_id_z 0
		.amdhsa_system_sgpr_workgroup_info 0
		.amdhsa_system_vgpr_workitem_id 0
		.amdhsa_next_free_vgpr 21
		.amdhsa_next_free_sgpr 28
		.amdhsa_reserve_vcc 1
		.amdhsa_reserve_flat_scratch 0
		.amdhsa_float_round_mode_32 0
		.amdhsa_float_round_mode_16_64 0
		.amdhsa_float_denorm_mode_32 3
		.amdhsa_float_denorm_mode_16_64 3
		.amdhsa_dx10_clamp 1
		.amdhsa_ieee_mode 1
		.amdhsa_fp16_overflow 0
		.amdhsa_exception_fp_ieee_invalid_op 0
		.amdhsa_exception_fp_denorm_src 0
		.amdhsa_exception_fp_ieee_div_zero 0
		.amdhsa_exception_fp_ieee_overflow 0
		.amdhsa_exception_fp_ieee_underflow 0
		.amdhsa_exception_fp_ieee_inexact 0
		.amdhsa_exception_int_div_zero 0
	.end_amdhsa_kernel
	.section	.text._ZN2at6native12_GLOBAL__N_125multi_tensor_apply_kernelINS1_18TensorListMetadataILi1EEENS1_14UnaryOpFunctorIlLi1ELi1ELi0EEEJSt6negateIlEEEEvT_T0_DpT1_,"axG",@progbits,_ZN2at6native12_GLOBAL__N_125multi_tensor_apply_kernelINS1_18TensorListMetadataILi1EEENS1_14UnaryOpFunctorIlLi1ELi1ELi0EEEJSt6negateIlEEEEvT_T0_DpT1_,comdat
.Lfunc_end319:
	.size	_ZN2at6native12_GLOBAL__N_125multi_tensor_apply_kernelINS1_18TensorListMetadataILi1EEENS1_14UnaryOpFunctorIlLi1ELi1ELi0EEEJSt6negateIlEEEEvT_T0_DpT1_, .Lfunc_end319-_ZN2at6native12_GLOBAL__N_125multi_tensor_apply_kernelINS1_18TensorListMetadataILi1EEENS1_14UnaryOpFunctorIlLi1ELi1ELi0EEEJSt6negateIlEEEEvT_T0_DpT1_
                                        ; -- End function
	.set _ZN2at6native12_GLOBAL__N_125multi_tensor_apply_kernelINS1_18TensorListMetadataILi1EEENS1_14UnaryOpFunctorIlLi1ELi1ELi0EEEJSt6negateIlEEEEvT_T0_DpT1_.num_vgpr, 21
	.set _ZN2at6native12_GLOBAL__N_125multi_tensor_apply_kernelINS1_18TensorListMetadataILi1EEENS1_14UnaryOpFunctorIlLi1ELi1ELi0EEEJSt6negateIlEEEEvT_T0_DpT1_.num_agpr, 0
	.set _ZN2at6native12_GLOBAL__N_125multi_tensor_apply_kernelINS1_18TensorListMetadataILi1EEENS1_14UnaryOpFunctorIlLi1ELi1ELi0EEEJSt6negateIlEEEEvT_T0_DpT1_.numbered_sgpr, 28
	.set _ZN2at6native12_GLOBAL__N_125multi_tensor_apply_kernelINS1_18TensorListMetadataILi1EEENS1_14UnaryOpFunctorIlLi1ELi1ELi0EEEJSt6negateIlEEEEvT_T0_DpT1_.num_named_barrier, 0
	.set _ZN2at6native12_GLOBAL__N_125multi_tensor_apply_kernelINS1_18TensorListMetadataILi1EEENS1_14UnaryOpFunctorIlLi1ELi1ELi0EEEJSt6negateIlEEEEvT_T0_DpT1_.private_seg_size, 0
	.set _ZN2at6native12_GLOBAL__N_125multi_tensor_apply_kernelINS1_18TensorListMetadataILi1EEENS1_14UnaryOpFunctorIlLi1ELi1ELi0EEEJSt6negateIlEEEEvT_T0_DpT1_.uses_vcc, 1
	.set _ZN2at6native12_GLOBAL__N_125multi_tensor_apply_kernelINS1_18TensorListMetadataILi1EEENS1_14UnaryOpFunctorIlLi1ELi1ELi0EEEJSt6negateIlEEEEvT_T0_DpT1_.uses_flat_scratch, 0
	.set _ZN2at6native12_GLOBAL__N_125multi_tensor_apply_kernelINS1_18TensorListMetadataILi1EEENS1_14UnaryOpFunctorIlLi1ELi1ELi0EEEJSt6negateIlEEEEvT_T0_DpT1_.has_dyn_sized_stack, 0
	.set _ZN2at6native12_GLOBAL__N_125multi_tensor_apply_kernelINS1_18TensorListMetadataILi1EEENS1_14UnaryOpFunctorIlLi1ELi1ELi0EEEJSt6negateIlEEEEvT_T0_DpT1_.has_recursion, 0
	.set _ZN2at6native12_GLOBAL__N_125multi_tensor_apply_kernelINS1_18TensorListMetadataILi1EEENS1_14UnaryOpFunctorIlLi1ELi1ELi0EEEJSt6negateIlEEEEvT_T0_DpT1_.has_indirect_call, 0
	.section	.AMDGPU.csdata,"",@progbits
; Kernel info:
; codeLenInByte = 1056
; TotalNumSgprs: 32
; NumVgprs: 21
; ScratchSize: 0
; MemoryBound: 0
; FloatMode: 240
; IeeeMode: 1
; LDSByteSize: 0 bytes/workgroup (compile time only)
; SGPRBlocks: 3
; VGPRBlocks: 5
; NumSGPRsForWavesPerEU: 32
; NumVGPRsForWavesPerEU: 21
; Occupancy: 10
; WaveLimiterHint : 0
; COMPUTE_PGM_RSRC2:SCRATCH_EN: 0
; COMPUTE_PGM_RSRC2:USER_SGPR: 6
; COMPUTE_PGM_RSRC2:TRAP_HANDLER: 0
; COMPUTE_PGM_RSRC2:TGID_X_EN: 1
; COMPUTE_PGM_RSRC2:TGID_Y_EN: 0
; COMPUTE_PGM_RSRC2:TGID_Z_EN: 0
; COMPUTE_PGM_RSRC2:TIDIG_COMP_CNT: 0
	.section	.text._ZN2at6native12_GLOBAL__N_125multi_tensor_apply_kernelINS1_18TensorListMetadataILi1EEENS1_14UnaryOpFunctorIsLi1ELi1ELi0EEEJSt6negateIsEEEEvT_T0_DpT1_,"axG",@progbits,_ZN2at6native12_GLOBAL__N_125multi_tensor_apply_kernelINS1_18TensorListMetadataILi1EEENS1_14UnaryOpFunctorIsLi1ELi1ELi0EEEJSt6negateIsEEEEvT_T0_DpT1_,comdat
	.globl	_ZN2at6native12_GLOBAL__N_125multi_tensor_apply_kernelINS1_18TensorListMetadataILi1EEENS1_14UnaryOpFunctorIsLi1ELi1ELi0EEEJSt6negateIsEEEEvT_T0_DpT1_ ; -- Begin function _ZN2at6native12_GLOBAL__N_125multi_tensor_apply_kernelINS1_18TensorListMetadataILi1EEENS1_14UnaryOpFunctorIsLi1ELi1ELi0EEEJSt6negateIsEEEEvT_T0_DpT1_
	.p2align	8
	.type	_ZN2at6native12_GLOBAL__N_125multi_tensor_apply_kernelINS1_18TensorListMetadataILi1EEENS1_14UnaryOpFunctorIsLi1ELi1ELi0EEEJSt6negateIsEEEEvT_T0_DpT1_,@function
_ZN2at6native12_GLOBAL__N_125multi_tensor_apply_kernelINS1_18TensorListMetadataILi1EEENS1_14UnaryOpFunctorIsLi1ELi1ELi0EEEJSt6negateIsEEEEvT_T0_DpT1_: ; @_ZN2at6native12_GLOBAL__N_125multi_tensor_apply_kernelINS1_18TensorListMetadataILi1EEENS1_14UnaryOpFunctorIsLi1ELi1ELi0EEEJSt6negateIsEEEEvT_T0_DpT1_
; %bb.0:
	v_mov_b32_e32 v1, s6
	global_load_ubyte v1, v1, s[4:5] offset:1760
	s_add_u32 s0, s4, s6
	s_mul_hi_u32 s1, s6, 3
	s_mul_i32 s6, s6, 3
	s_addc_u32 s2, s5, 0
	s_add_u32 s0, s0, s6
	s_addc_u32 s1, s2, s1
	s_load_dword s0, s[0:1], 0x820
	s_mov_b32 s7, 0
	s_waitcnt vmcnt(0)
	v_readfirstlane_b32 s1, v1
	s_lshl_b32 s1, s1, 3
	s_load_dwordx2 s[2:3], s[4:5], s1 offset:0x370
	s_load_dwordx2 s[10:11], s[4:5], s1 offset:0x0
	s_waitcnt lgkmcnt(0)
	s_ashr_i32 s1, s0, 31
	s_lshl_b64 s[12:13], s[0:1], 17
	s_lshl_b64 s[0:1], s[0:1], 16
	s_and_b32 s6, s10, 7
	s_sub_u32 s14, s2, s0
	s_subb_u32 s15, s3, s1
	s_and_b32 s0, s2, 3
	s_mov_b32 s1, s7
	s_or_b64 s[0:1], s[6:7], s[0:1]
	s_cmp_eq_u64 s[0:1], 0
	s_cbranch_scc1 .LBB320_21
; %bb.1:
	v_cmp_lt_i64_e64 s[0:1], s[14:15], 1
	s_and_b64 vcc, exec, s[0:1]
	s_cbranch_vccnz .LBB320_20
; %bb.2:
	v_mov_b32_e32 v1, 0x10000
	s_load_dword s2, s[4:5], 0xd3c
	v_mov_b32_e32 v2, 0
	v_cmp_lt_i64_e32 vcc, s[14:15], v[1:2]
	v_mov_b32_e32 v12, 0
	s_and_b64 s[0:1], vcc, exec
	v_cmp_lt_u64_e32 vcc, s[14:15], v[1:2]
	s_cselect_b32 s17, s15, 0
	s_cselect_b32 s16, s14, 0x10000
	s_waitcnt lgkmcnt(0)
	s_and_b32 s2, s2, 0xffff
	s_and_b64 s[0:1], vcc, exec
	s_cselect_b32 s19, s15, 0
	s_cselect_b32 s18, s14, 0x10000
	s_lshl_b32 s3, s2, 1
	s_lshl_b32 s25, s2, 2
	s_add_u32 s6, s10, s12
	v_lshlrev_b32_e32 v1, 1, v0
	s_addc_u32 s7, s11, s13
	v_mov_b32_e32 v2, s7
	v_add_co_u32_e32 v1, vcc, s6, v1
	s_mul_i32 s0, s2, 3
	v_addc_co_u32_e32 v2, vcc, 0, v2, vcc
	v_add_co_u32_e32 v5, vcc, s0, v0
	v_addc_co_u32_e64 v6, s[0:1], 0, 0, vcc
	v_add_co_u32_e32 v7, vcc, s3, v0
	v_addc_co_u32_e64 v8, s[0:1], 0, 0, vcc
	v_add_co_u32_e32 v9, vcc, s2, v0
	v_lshlrev_b32_e32 v3, 1, v9
	v_addc_co_u32_e64 v10, s[0:1], 0, 0, vcc
	v_mov_b32_e32 v4, s7
	v_add_co_u32_e32 v3, vcc, s6, v3
	s_mov_b32 s24, 0xffff
	s_lshl_b32 s26, s2, 3
	s_mul_i32 s27, s2, 6
	v_addc_co_u32_e32 v4, vcc, 0, v4, vcc
	s_mov_b64 s[20:21], 0
	s_mov_b32 s28, 0x5040100
	v_mov_b32_e32 v11, 0
	s_branch .LBB320_4
.LBB320_3:                              ;   in Loop: Header=BB320_4 Depth=1
	s_or_b64 exec, exec, s[0:1]
	s_add_u32 s20, s20, s25
	v_add_co_u32_e32 v1, vcc, s26, v1
	v_mov_b32_e32 v13, s16
	s_addc_u32 s21, s21, 0
	v_addc_co_u32_e32 v2, vcc, 0, v2, vcc
	v_mov_b32_e32 v14, s17
	v_cmp_lt_i64_e32 vcc, s[20:21], v[13:14]
	v_add_co_u32_e64 v3, s[0:1], s26, v3
	v_addc_co_u32_e64 v4, s[0:1], 0, v4, s[0:1]
	s_cbranch_vccz .LBB320_20
.LBB320_4:                              ; =>This Inner Loop Header: Depth=1
	v_mov_b32_e32 v14, s21
	v_add_co_u32_e32 v13, vcc, s20, v0
	v_addc_co_u32_e32 v14, vcc, 0, v14, vcc
	v_cmp_gt_u64_e32 vcc, s[18:19], v[13:14]
	v_and_b32_e32 v12, 0xffff0000, v12
	s_and_saveexec_b64 s[0:1], vcc
	s_cbranch_execz .LBB320_6
; %bb.5:                                ;   in Loop: Header=BB320_4 Depth=1
	global_load_ushort v13, v[1:2], off
	s_waitcnt vmcnt(0)
	v_bfi_b32 v12, s24, v13, v12
.LBB320_6:                              ;   in Loop: Header=BB320_4 Depth=1
	s_or_b64 exec, exec, s[0:1]
	v_mov_b32_e32 v14, s21
	v_add_co_u32_e64 v13, s[0:1], s20, v9
	v_addc_co_u32_e64 v14, s[0:1], v10, v14, s[0:1]
	v_cmp_gt_u64_e64 s[0:1], s[18:19], v[13:14]
	v_and_b32_e32 v12, 0xffff, v12
	s_and_saveexec_b64 s[2:3], s[0:1]
	s_cbranch_execz .LBB320_8
; %bb.7:                                ;   in Loop: Header=BB320_4 Depth=1
	global_load_ushort v13, v[3:4], off
	s_waitcnt vmcnt(0)
	v_perm_b32 v12, v13, v12, s28
.LBB320_8:                              ;   in Loop: Header=BB320_4 Depth=1
	s_or_b64 exec, exec, s[2:3]
	v_mov_b32_e32 v14, s21
	v_add_co_u32_e64 v13, s[2:3], s20, v7
	v_addc_co_u32_e64 v14, s[2:3], v8, v14, s[2:3]
	v_cmp_gt_u64_e64 s[2:3], s[18:19], v[13:14]
	v_and_b32_e32 v11, 0xffff0000, v11
	s_and_saveexec_b64 s[8:9], s[2:3]
	s_cbranch_execz .LBB320_10
; %bb.9:                                ;   in Loop: Header=BB320_4 Depth=1
	v_add_co_u32_e64 v13, s[6:7], s25, v1
	v_addc_co_u32_e64 v14, s[6:7], 0, v2, s[6:7]
	global_load_ushort v13, v[13:14], off
	s_waitcnt vmcnt(0)
	v_bfi_b32 v11, s24, v13, v11
.LBB320_10:                             ;   in Loop: Header=BB320_4 Depth=1
	s_or_b64 exec, exec, s[8:9]
	v_mov_b32_e32 v14, s21
	v_add_co_u32_e64 v13, s[6:7], s20, v5
	v_addc_co_u32_e64 v14, s[6:7], v6, v14, s[6:7]
	v_cmp_gt_u64_e64 s[6:7], s[18:19], v[13:14]
	v_and_b32_e32 v11, 0xffff, v11
	s_and_saveexec_b64 s[22:23], s[6:7]
	s_cbranch_execnz .LBB320_15
; %bb.11:                               ;   in Loop: Header=BB320_4 Depth=1
	s_or_b64 exec, exec, s[22:23]
	v_pk_sub_i16 v12, 0, v12
	s_and_saveexec_b64 s[8:9], vcc
	s_cbranch_execnz .LBB320_16
.LBB320_12:                             ;   in Loop: Header=BB320_4 Depth=1
	s_or_b64 exec, exec, s[8:9]
	s_and_saveexec_b64 s[8:9], s[0:1]
	s_cbranch_execnz .LBB320_17
.LBB320_13:                             ;   in Loop: Header=BB320_4 Depth=1
	s_or_b64 exec, exec, s[8:9]
	v_pk_sub_i16 v11, 0, v11
	s_and_saveexec_b64 s[0:1], s[2:3]
	s_cbranch_execnz .LBB320_18
.LBB320_14:                             ;   in Loop: Header=BB320_4 Depth=1
	s_or_b64 exec, exec, s[0:1]
	s_and_saveexec_b64 s[0:1], s[6:7]
	s_cbranch_execz .LBB320_3
	s_branch .LBB320_19
.LBB320_15:                             ;   in Loop: Header=BB320_4 Depth=1
	v_add_co_u32_e64 v13, s[8:9], s27, v1
	v_addc_co_u32_e64 v14, s[8:9], 0, v2, s[8:9]
	global_load_ushort v13, v[13:14], off
	s_waitcnt vmcnt(0)
	v_perm_b32 v11, v13, v11, s28
	s_or_b64 exec, exec, s[22:23]
	v_pk_sub_i16 v12, 0, v12
	s_and_saveexec_b64 s[8:9], vcc
	s_cbranch_execz .LBB320_12
.LBB320_16:                             ;   in Loop: Header=BB320_4 Depth=1
	global_store_short v[1:2], v12, off
	s_or_b64 exec, exec, s[8:9]
	s_and_saveexec_b64 s[8:9], s[0:1]
	s_cbranch_execz .LBB320_13
.LBB320_17:                             ;   in Loop: Header=BB320_4 Depth=1
	global_store_short_d16_hi v[3:4], v12, off
	s_or_b64 exec, exec, s[8:9]
	v_pk_sub_i16 v11, 0, v11
	s_and_saveexec_b64 s[0:1], s[2:3]
	s_cbranch_execz .LBB320_14
.LBB320_18:                             ;   in Loop: Header=BB320_4 Depth=1
	v_add_co_u32_e32 v13, vcc, s25, v1
	v_addc_co_u32_e32 v14, vcc, 0, v2, vcc
	global_store_short v[13:14], v11, off
	s_or_b64 exec, exec, s[0:1]
	s_and_saveexec_b64 s[0:1], s[6:7]
	s_cbranch_execz .LBB320_3
.LBB320_19:                             ;   in Loop: Header=BB320_4 Depth=1
	v_add_co_u32_e32 v13, vcc, s27, v1
	v_addc_co_u32_e32 v14, vcc, 0, v2, vcc
	global_store_short_d16_hi v[13:14], v11, off
	s_branch .LBB320_3
.LBB320_20:
	s_cbranch_execz .LBB320_22
	s_branch .LBB320_25
.LBB320_21:
.LBB320_22:
	v_mov_b32_e32 v1, 0x10000
	v_mov_b32_e32 v2, 0
	v_cmp_lt_i64_e32 vcc, s[14:15], v[1:2]
	v_mov_b32_e32 v2, 0
	s_and_b64 s[0:1], vcc, exec
	s_cselect_b32 s1, s15, 0
	s_cselect_b32 s0, s14, 0x10000
	v_lshlrev_b32_e32 v1, 2, v0
	v_cmp_gt_i64_e32 vcc, s[0:1], v[1:2]
	s_and_saveexec_b64 s[2:3], vcc
	s_cbranch_execz .LBB320_25
; %bb.23:
	s_load_dword s2, s[4:5], 0xd3c
	v_mov_b32_e32 v1, v2
	v_lshlrev_b32_e32 v2, 3, v0
	s_waitcnt lgkmcnt(0)
	s_and_b32 s4, s2, 0xffff
	s_add_u32 s2, s10, s12
	s_addc_u32 s3, s11, s13
	v_mov_b32_e32 v3, s3
	v_add_co_u32_e32 v2, vcc, s2, v2
	v_addc_co_u32_e32 v3, vcc, 0, v3, vcc
	s_lshl_b32 s5, s4, 3
	s_mov_b64 s[2:3], 0
.LBB320_24:                             ; =>This Inner Loop Header: Depth=1
	global_load_dwordx2 v[4:5], v[2:3], off
	v_add_co_u32_e32 v0, vcc, s4, v0
	v_addc_co_u32_e32 v1, vcc, 0, v1, vcc
	v_lshlrev_b64 v[6:7], 2, v[0:1]
	v_cmp_le_i64_e32 vcc, s[0:1], v[6:7]
	s_or_b64 s[2:3], vcc, s[2:3]
	s_waitcnt vmcnt(0)
	v_pk_sub_i16 v5, 0, v5
	v_pk_sub_i16 v4, 0, v4
	global_store_dwordx2 v[2:3], v[4:5], off
	v_add_co_u32_e32 v2, vcc, s5, v2
	v_addc_co_u32_e32 v3, vcc, 0, v3, vcc
	s_andn2_b64 exec, exec, s[2:3]
	s_cbranch_execnz .LBB320_24
.LBB320_25:
	s_endpgm
	.section	.rodata,"a",@progbits
	.p2align	6, 0x0
	.amdhsa_kernel _ZN2at6native12_GLOBAL__N_125multi_tensor_apply_kernelINS1_18TensorListMetadataILi1EEENS1_14UnaryOpFunctorIsLi1ELi1ELi0EEEJSt6negateIsEEEEvT_T0_DpT1_
		.amdhsa_group_segment_fixed_size 0
		.amdhsa_private_segment_fixed_size 0
		.amdhsa_kernarg_size 3632
		.amdhsa_user_sgpr_count 6
		.amdhsa_user_sgpr_private_segment_buffer 1
		.amdhsa_user_sgpr_dispatch_ptr 0
		.amdhsa_user_sgpr_queue_ptr 0
		.amdhsa_user_sgpr_kernarg_segment_ptr 1
		.amdhsa_user_sgpr_dispatch_id 0
		.amdhsa_user_sgpr_flat_scratch_init 0
		.amdhsa_user_sgpr_private_segment_size 0
		.amdhsa_uses_dynamic_stack 0
		.amdhsa_system_sgpr_private_segment_wavefront_offset 0
		.amdhsa_system_sgpr_workgroup_id_x 1
		.amdhsa_system_sgpr_workgroup_id_y 0
		.amdhsa_system_sgpr_workgroup_id_z 0
		.amdhsa_system_sgpr_workgroup_info 0
		.amdhsa_system_vgpr_workitem_id 0
		.amdhsa_next_free_vgpr 15
		.amdhsa_next_free_sgpr 29
		.amdhsa_reserve_vcc 1
		.amdhsa_reserve_flat_scratch 0
		.amdhsa_float_round_mode_32 0
		.amdhsa_float_round_mode_16_64 0
		.amdhsa_float_denorm_mode_32 3
		.amdhsa_float_denorm_mode_16_64 3
		.amdhsa_dx10_clamp 1
		.amdhsa_ieee_mode 1
		.amdhsa_fp16_overflow 0
		.amdhsa_exception_fp_ieee_invalid_op 0
		.amdhsa_exception_fp_denorm_src 0
		.amdhsa_exception_fp_ieee_div_zero 0
		.amdhsa_exception_fp_ieee_overflow 0
		.amdhsa_exception_fp_ieee_underflow 0
		.amdhsa_exception_fp_ieee_inexact 0
		.amdhsa_exception_int_div_zero 0
	.end_amdhsa_kernel
	.section	.text._ZN2at6native12_GLOBAL__N_125multi_tensor_apply_kernelINS1_18TensorListMetadataILi1EEENS1_14UnaryOpFunctorIsLi1ELi1ELi0EEEJSt6negateIsEEEEvT_T0_DpT1_,"axG",@progbits,_ZN2at6native12_GLOBAL__N_125multi_tensor_apply_kernelINS1_18TensorListMetadataILi1EEENS1_14UnaryOpFunctorIsLi1ELi1ELi0EEEJSt6negateIsEEEEvT_T0_DpT1_,comdat
.Lfunc_end320:
	.size	_ZN2at6native12_GLOBAL__N_125multi_tensor_apply_kernelINS1_18TensorListMetadataILi1EEENS1_14UnaryOpFunctorIsLi1ELi1ELi0EEEJSt6negateIsEEEEvT_T0_DpT1_, .Lfunc_end320-_ZN2at6native12_GLOBAL__N_125multi_tensor_apply_kernelINS1_18TensorListMetadataILi1EEENS1_14UnaryOpFunctorIsLi1ELi1ELi0EEEJSt6negateIsEEEEvT_T0_DpT1_
                                        ; -- End function
	.set _ZN2at6native12_GLOBAL__N_125multi_tensor_apply_kernelINS1_18TensorListMetadataILi1EEENS1_14UnaryOpFunctorIsLi1ELi1ELi0EEEJSt6negateIsEEEEvT_T0_DpT1_.num_vgpr, 15
	.set _ZN2at6native12_GLOBAL__N_125multi_tensor_apply_kernelINS1_18TensorListMetadataILi1EEENS1_14UnaryOpFunctorIsLi1ELi1ELi0EEEJSt6negateIsEEEEvT_T0_DpT1_.num_agpr, 0
	.set _ZN2at6native12_GLOBAL__N_125multi_tensor_apply_kernelINS1_18TensorListMetadataILi1EEENS1_14UnaryOpFunctorIsLi1ELi1ELi0EEEJSt6negateIsEEEEvT_T0_DpT1_.numbered_sgpr, 29
	.set _ZN2at6native12_GLOBAL__N_125multi_tensor_apply_kernelINS1_18TensorListMetadataILi1EEENS1_14UnaryOpFunctorIsLi1ELi1ELi0EEEJSt6negateIsEEEEvT_T0_DpT1_.num_named_barrier, 0
	.set _ZN2at6native12_GLOBAL__N_125multi_tensor_apply_kernelINS1_18TensorListMetadataILi1EEENS1_14UnaryOpFunctorIsLi1ELi1ELi0EEEJSt6negateIsEEEEvT_T0_DpT1_.private_seg_size, 0
	.set _ZN2at6native12_GLOBAL__N_125multi_tensor_apply_kernelINS1_18TensorListMetadataILi1EEENS1_14UnaryOpFunctorIsLi1ELi1ELi0EEEJSt6negateIsEEEEvT_T0_DpT1_.uses_vcc, 1
	.set _ZN2at6native12_GLOBAL__N_125multi_tensor_apply_kernelINS1_18TensorListMetadataILi1EEENS1_14UnaryOpFunctorIsLi1ELi1ELi0EEEJSt6negateIsEEEEvT_T0_DpT1_.uses_flat_scratch, 0
	.set _ZN2at6native12_GLOBAL__N_125multi_tensor_apply_kernelINS1_18TensorListMetadataILi1EEENS1_14UnaryOpFunctorIsLi1ELi1ELi0EEEJSt6negateIsEEEEvT_T0_DpT1_.has_dyn_sized_stack, 0
	.set _ZN2at6native12_GLOBAL__N_125multi_tensor_apply_kernelINS1_18TensorListMetadataILi1EEENS1_14UnaryOpFunctorIsLi1ELi1ELi0EEEJSt6negateIsEEEEvT_T0_DpT1_.has_recursion, 0
	.set _ZN2at6native12_GLOBAL__N_125multi_tensor_apply_kernelINS1_18TensorListMetadataILi1EEENS1_14UnaryOpFunctorIsLi1ELi1ELi0EEEJSt6negateIsEEEEvT_T0_DpT1_.has_indirect_call, 0
	.section	.AMDGPU.csdata,"",@progbits
; Kernel info:
; codeLenInByte = 1060
; TotalNumSgprs: 33
; NumVgprs: 15
; ScratchSize: 0
; MemoryBound: 0
; FloatMode: 240
; IeeeMode: 1
; LDSByteSize: 0 bytes/workgroup (compile time only)
; SGPRBlocks: 4
; VGPRBlocks: 3
; NumSGPRsForWavesPerEU: 33
; NumVGPRsForWavesPerEU: 15
; Occupancy: 10
; WaveLimiterHint : 0
; COMPUTE_PGM_RSRC2:SCRATCH_EN: 0
; COMPUTE_PGM_RSRC2:USER_SGPR: 6
; COMPUTE_PGM_RSRC2:TRAP_HANDLER: 0
; COMPUTE_PGM_RSRC2:TGID_X_EN: 1
; COMPUTE_PGM_RSRC2:TGID_Y_EN: 0
; COMPUTE_PGM_RSRC2:TGID_Z_EN: 0
; COMPUTE_PGM_RSRC2:TIDIG_COMP_CNT: 0
	.section	.text._ZN2at6native12_GLOBAL__N_125multi_tensor_apply_kernelINS1_18TensorListMetadataILi1EEENS1_14UnaryOpFunctorIdLi1ELi1ELi0EEEJSt6negateIdEEEEvT_T0_DpT1_,"axG",@progbits,_ZN2at6native12_GLOBAL__N_125multi_tensor_apply_kernelINS1_18TensorListMetadataILi1EEENS1_14UnaryOpFunctorIdLi1ELi1ELi0EEEJSt6negateIdEEEEvT_T0_DpT1_,comdat
	.globl	_ZN2at6native12_GLOBAL__N_125multi_tensor_apply_kernelINS1_18TensorListMetadataILi1EEENS1_14UnaryOpFunctorIdLi1ELi1ELi0EEEJSt6negateIdEEEEvT_T0_DpT1_ ; -- Begin function _ZN2at6native12_GLOBAL__N_125multi_tensor_apply_kernelINS1_18TensorListMetadataILi1EEENS1_14UnaryOpFunctorIdLi1ELi1ELi0EEEJSt6negateIdEEEEvT_T0_DpT1_
	.p2align	8
	.type	_ZN2at6native12_GLOBAL__N_125multi_tensor_apply_kernelINS1_18TensorListMetadataILi1EEENS1_14UnaryOpFunctorIdLi1ELi1ELi0EEEJSt6negateIdEEEEvT_T0_DpT1_,@function
_ZN2at6native12_GLOBAL__N_125multi_tensor_apply_kernelINS1_18TensorListMetadataILi1EEENS1_14UnaryOpFunctorIdLi1ELi1ELi0EEEJSt6negateIdEEEEvT_T0_DpT1_: ; @_ZN2at6native12_GLOBAL__N_125multi_tensor_apply_kernelINS1_18TensorListMetadataILi1EEENS1_14UnaryOpFunctorIdLi1ELi1ELi0EEEJSt6negateIdEEEEvT_T0_DpT1_
; %bb.0:
	v_mov_b32_e32 v1, s6
	global_load_ubyte v1, v1, s[4:5] offset:1760
	s_add_u32 s0, s4, s6
	s_mul_hi_u32 s1, s6, 3
	s_mul_i32 s6, s6, 3
	s_addc_u32 s2, s5, 0
	s_add_u32 s0, s0, s6
	s_addc_u32 s1, s2, s1
	s_load_dword s0, s[0:1], 0x820
	s_mov_b32 s7, 0
	s_waitcnt vmcnt(0)
	v_readfirstlane_b32 s1, v1
	s_lshl_b32 s1, s1, 3
	s_load_dwordx2 s[2:3], s[4:5], s1 offset:0x370
	s_load_dwordx2 s[10:11], s[4:5], s1 offset:0x0
	s_waitcnt lgkmcnt(0)
	s_ashr_i32 s1, s0, 31
	s_lshl_b64 s[12:13], s[0:1], 19
	s_lshl_b64 s[0:1], s[0:1], 16
	s_and_b32 s6, s10, 31
	s_sub_u32 s14, s2, s0
	s_subb_u32 s15, s3, s1
	s_and_b32 s0, s2, 3
	s_mov_b32 s1, s7
	s_or_b64 s[0:1], s[6:7], s[0:1]
	s_cmp_eq_u64 s[0:1], 0
	s_cbranch_scc1 .LBB321_21
; %bb.1:
	v_cmp_lt_i64_e64 s[0:1], s[14:15], 1
	s_and_b64 vcc, exec, s[0:1]
	s_cbranch_vccnz .LBB321_20
; %bb.2:
	v_mov_b32_e32 v1, 0x10000
	s_load_dword s2, s[4:5], 0xd3c
	v_mov_b32_e32 v2, 0
	v_cmp_lt_i64_e32 vcc, s[14:15], v[1:2]
	s_mov_b64 s[20:21], 0
	s_and_b64 s[0:1], vcc, exec
	v_cmp_lt_u64_e32 vcc, s[14:15], v[1:2]
	s_cselect_b32 s17, s15, 0
	s_cselect_b32 s16, s14, 0x10000
	s_waitcnt lgkmcnt(0)
	s_and_b32 s2, s2, 0xffff
	s_and_b64 s[0:1], vcc, exec
	s_cselect_b32 s19, s15, 0
	s_cselect_b32 s18, s14, 0x10000
	s_lshl_b32 s3, s2, 1
	s_lshl_b32 s24, s2, 2
	s_add_u32 s6, s10, s12
	v_lshlrev_b32_e32 v1, 3, v0
	s_addc_u32 s7, s11, s13
	v_mov_b32_e32 v2, s7
	v_add_co_u32_e32 v1, vcc, s6, v1
	s_mul_i32 s0, s2, 3
	v_addc_co_u32_e32 v2, vcc, 0, v2, vcc
	v_add_co_u32_e32 v13, vcc, s0, v0
	v_addc_co_u32_e64 v14, s[0:1], 0, 0, vcc
	v_add_co_u32_e32 v15, vcc, s3, v0
	v_addc_co_u32_e64 v16, s[0:1], 0, 0, vcc
	v_add_co_u32_e32 v17, vcc, s2, v0
	v_lshlrev_b32_e32 v3, 3, v17
	v_addc_co_u32_e64 v18, s[0:1], 0, 0, vcc
	v_mov_b32_e32 v4, s7
	v_add_co_u32_e32 v3, vcc, s6, v3
	s_lshl_b32 s25, s2, 5
	s_mul_i32 s26, s2, 24
	s_lshl_b32 s27, s2, 4
	v_addc_co_u32_e32 v4, vcc, 0, v4, vcc
	s_branch .LBB321_4
.LBB321_3:                              ;   in Loop: Header=BB321_4 Depth=1
	s_or_b64 exec, exec, s[0:1]
	s_add_u32 s20, s20, s24
	v_add_co_u32_e32 v1, vcc, s25, v1
	s_waitcnt vmcnt(0)
	v_mov_b32_e32 v5, s16
	s_addc_u32 s21, s21, 0
	v_addc_co_u32_e32 v2, vcc, 0, v2, vcc
	v_mov_b32_e32 v6, s17
	v_cmp_lt_i64_e32 vcc, s[20:21], v[5:6]
	v_add_co_u32_e64 v3, s[0:1], s25, v3
	v_addc_co_u32_e64 v4, s[0:1], 0, v4, s[0:1]
	s_cbranch_vccz .LBB321_20
.LBB321_4:                              ; =>This Inner Loop Header: Depth=1
	v_mov_b32_e32 v6, s21
	v_add_co_u32_e32 v5, vcc, s20, v0
	v_addc_co_u32_e32 v6, vcc, 0, v6, vcc
	v_cmp_gt_u64_e32 vcc, s[18:19], v[5:6]
	v_mov_b32_e32 v5, 0
	v_mov_b32_e32 v9, 0
	;; [unrolled: 1-line block ×4, first 2 shown]
	s_and_saveexec_b64 s[0:1], vcc
	s_cbranch_execz .LBB321_6
; %bb.5:                                ;   in Loop: Header=BB321_4 Depth=1
	global_load_dwordx2 v[9:10], v[1:2], off
.LBB321_6:                              ;   in Loop: Header=BB321_4 Depth=1
	s_or_b64 exec, exec, s[0:1]
	v_mov_b32_e32 v8, s21
	v_add_co_u32_e64 v7, s[0:1], s20, v17
	v_addc_co_u32_e64 v8, s[0:1], v18, v8, s[0:1]
	v_cmp_gt_u64_e64 s[0:1], s[18:19], v[7:8]
	s_and_saveexec_b64 s[2:3], s[0:1]
	s_cbranch_execz .LBB321_8
; %bb.7:                                ;   in Loop: Header=BB321_4 Depth=1
	global_load_dwordx2 v[5:6], v[3:4], off
.LBB321_8:                              ;   in Loop: Header=BB321_4 Depth=1
	s_or_b64 exec, exec, s[2:3]
	v_mov_b32_e32 v8, s21
	v_add_co_u32_e64 v7, s[2:3], s20, v15
	v_addc_co_u32_e64 v8, s[2:3], v16, v8, s[2:3]
	v_cmp_gt_u64_e64 s[2:3], s[18:19], v[7:8]
	v_mov_b32_e32 v7, 0
	v_mov_b32_e32 v11, 0
	v_mov_b32_e32 v8, 0
	v_mov_b32_e32 v12, 0
	s_and_saveexec_b64 s[8:9], s[2:3]
	s_cbranch_execz .LBB321_10
; %bb.9:                                ;   in Loop: Header=BB321_4 Depth=1
	v_add_co_u32_e64 v11, s[6:7], s27, v1
	v_addc_co_u32_e64 v12, s[6:7], 0, v2, s[6:7]
	global_load_dwordx2 v[11:12], v[11:12], off
.LBB321_10:                             ;   in Loop: Header=BB321_4 Depth=1
	s_or_b64 exec, exec, s[8:9]
	v_mov_b32_e32 v20, s21
	v_add_co_u32_e64 v19, s[6:7], s20, v13
	v_addc_co_u32_e64 v20, s[6:7], v14, v20, s[6:7]
	v_cmp_gt_u64_e64 s[6:7], s[18:19], v[19:20]
	s_and_saveexec_b64 s[22:23], s[6:7]
	s_cbranch_execnz .LBB321_15
; %bb.11:                               ;   in Loop: Header=BB321_4 Depth=1
	s_or_b64 exec, exec, s[22:23]
	s_and_saveexec_b64 s[8:9], vcc
	s_cbranch_execnz .LBB321_16
.LBB321_12:                             ;   in Loop: Header=BB321_4 Depth=1
	s_or_b64 exec, exec, s[8:9]
	s_and_saveexec_b64 s[8:9], s[0:1]
	s_cbranch_execnz .LBB321_17
.LBB321_13:                             ;   in Loop: Header=BB321_4 Depth=1
	s_or_b64 exec, exec, s[8:9]
	s_and_saveexec_b64 s[0:1], s[2:3]
	s_cbranch_execnz .LBB321_18
.LBB321_14:                             ;   in Loop: Header=BB321_4 Depth=1
	s_or_b64 exec, exec, s[0:1]
	s_and_saveexec_b64 s[0:1], s[6:7]
	s_cbranch_execz .LBB321_3
	s_branch .LBB321_19
.LBB321_15:                             ;   in Loop: Header=BB321_4 Depth=1
	v_add_co_u32_e64 v7, s[8:9], s26, v1
	v_addc_co_u32_e64 v8, s[8:9], 0, v2, s[8:9]
	global_load_dwordx2 v[7:8], v[7:8], off
	s_or_b64 exec, exec, s[22:23]
	s_and_saveexec_b64 s[8:9], vcc
	s_cbranch_execz .LBB321_12
.LBB321_16:                             ;   in Loop: Header=BB321_4 Depth=1
	s_waitcnt vmcnt(0)
	v_xor_b32_e32 v10, 0x80000000, v10
	global_store_dwordx2 v[1:2], v[9:10], off
	s_or_b64 exec, exec, s[8:9]
	s_and_saveexec_b64 s[8:9], s[0:1]
	s_cbranch_execz .LBB321_13
.LBB321_17:                             ;   in Loop: Header=BB321_4 Depth=1
	s_waitcnt vmcnt(0)
	v_xor_b32_e32 v6, 0x80000000, v6
	global_store_dwordx2 v[3:4], v[5:6], off
	s_or_b64 exec, exec, s[8:9]
	s_and_saveexec_b64 s[0:1], s[2:3]
	s_cbranch_execz .LBB321_14
.LBB321_18:                             ;   in Loop: Header=BB321_4 Depth=1
	s_waitcnt vmcnt(0)
	v_add_co_u32_e32 v5, vcc, s27, v1
	v_xor_b32_e32 v12, 0x80000000, v12
	v_addc_co_u32_e32 v6, vcc, 0, v2, vcc
	global_store_dwordx2 v[5:6], v[11:12], off
	s_or_b64 exec, exec, s[0:1]
	s_and_saveexec_b64 s[0:1], s[6:7]
	s_cbranch_execz .LBB321_3
.LBB321_19:                             ;   in Loop: Header=BB321_4 Depth=1
	s_waitcnt vmcnt(0)
	v_add_co_u32_e32 v5, vcc, s26, v1
	v_xor_b32_e32 v8, 0x80000000, v8
	v_addc_co_u32_e32 v6, vcc, 0, v2, vcc
	global_store_dwordx2 v[5:6], v[7:8], off
	s_branch .LBB321_3
.LBB321_20:
	s_cbranch_execz .LBB321_22
	s_branch .LBB321_25
.LBB321_21:
.LBB321_22:
	v_mov_b32_e32 v1, 0x10000
	v_mov_b32_e32 v2, 0
	v_cmp_lt_i64_e32 vcc, s[14:15], v[1:2]
	v_mov_b32_e32 v2, 0
	s_and_b64 s[0:1], vcc, exec
	s_cselect_b32 s1, s15, 0
	s_cselect_b32 s0, s14, 0x10000
	v_lshlrev_b32_e32 v1, 2, v0
	v_cmp_gt_i64_e32 vcc, s[0:1], v[1:2]
	s_and_saveexec_b64 s[2:3], vcc
	s_cbranch_execz .LBB321_25
; %bb.23:
	s_load_dword s2, s[4:5], 0xd3c
	v_mov_b32_e32 v1, v2
	v_lshlrev_b32_e32 v2, 5, v0
	s_waitcnt lgkmcnt(0)
	s_and_b32 s4, s2, 0xffff
	s_add_u32 s2, s10, s12
	s_addc_u32 s3, s11, s13
	v_mov_b32_e32 v3, s3
	v_add_co_u32_e32 v2, vcc, s2, v2
	v_addc_co_u32_e32 v3, vcc, 0, v3, vcc
	v_add_co_u32_e32 v2, vcc, 16, v2
	v_addc_co_u32_e32 v3, vcc, 0, v3, vcc
	s_lshl_b32 s5, s4, 5
	s_mov_b64 s[2:3], 0
.LBB321_24:                             ; =>This Inner Loop Header: Depth=1
	global_load_dwordx4 v[4:7], v[2:3], off offset:-16
	global_load_dwordx4 v[8:11], v[2:3], off
	v_add_co_u32_e32 v0, vcc, s4, v0
	v_addc_co_u32_e32 v1, vcc, 0, v1, vcc
	v_lshlrev_b64 v[12:13], 2, v[0:1]
	v_cmp_le_i64_e32 vcc, s[0:1], v[12:13]
	s_or_b64 s[2:3], vcc, s[2:3]
	s_waitcnt vmcnt(1)
	v_xor_b32_e32 v5, 0x80000000, v5
	v_xor_b32_e32 v7, 0x80000000, v7
	s_waitcnt vmcnt(0)
	v_xor_b32_e32 v9, 0x80000000, v9
	v_xor_b32_e32 v11, 0x80000000, v11
	global_store_dwordx4 v[2:3], v[4:7], off offset:-16
	global_store_dwordx4 v[2:3], v[8:11], off
	v_add_co_u32_e32 v2, vcc, s5, v2
	v_addc_co_u32_e32 v3, vcc, 0, v3, vcc
	s_andn2_b64 exec, exec, s[2:3]
	s_cbranch_execnz .LBB321_24
.LBB321_25:
	s_endpgm
	.section	.rodata,"a",@progbits
	.p2align	6, 0x0
	.amdhsa_kernel _ZN2at6native12_GLOBAL__N_125multi_tensor_apply_kernelINS1_18TensorListMetadataILi1EEENS1_14UnaryOpFunctorIdLi1ELi1ELi0EEEJSt6negateIdEEEEvT_T0_DpT1_
		.amdhsa_group_segment_fixed_size 0
		.amdhsa_private_segment_fixed_size 0
		.amdhsa_kernarg_size 3632
		.amdhsa_user_sgpr_count 6
		.amdhsa_user_sgpr_private_segment_buffer 1
		.amdhsa_user_sgpr_dispatch_ptr 0
		.amdhsa_user_sgpr_queue_ptr 0
		.amdhsa_user_sgpr_kernarg_segment_ptr 1
		.amdhsa_user_sgpr_dispatch_id 0
		.amdhsa_user_sgpr_flat_scratch_init 0
		.amdhsa_user_sgpr_private_segment_size 0
		.amdhsa_uses_dynamic_stack 0
		.amdhsa_system_sgpr_private_segment_wavefront_offset 0
		.amdhsa_system_sgpr_workgroup_id_x 1
		.amdhsa_system_sgpr_workgroup_id_y 0
		.amdhsa_system_sgpr_workgroup_id_z 0
		.amdhsa_system_sgpr_workgroup_info 0
		.amdhsa_system_vgpr_workitem_id 0
		.amdhsa_next_free_vgpr 21
		.amdhsa_next_free_sgpr 28
		.amdhsa_reserve_vcc 1
		.amdhsa_reserve_flat_scratch 0
		.amdhsa_float_round_mode_32 0
		.amdhsa_float_round_mode_16_64 0
		.amdhsa_float_denorm_mode_32 3
		.amdhsa_float_denorm_mode_16_64 3
		.amdhsa_dx10_clamp 1
		.amdhsa_ieee_mode 1
		.amdhsa_fp16_overflow 0
		.amdhsa_exception_fp_ieee_invalid_op 0
		.amdhsa_exception_fp_denorm_src 0
		.amdhsa_exception_fp_ieee_div_zero 0
		.amdhsa_exception_fp_ieee_overflow 0
		.amdhsa_exception_fp_ieee_underflow 0
		.amdhsa_exception_fp_ieee_inexact 0
		.amdhsa_exception_int_div_zero 0
	.end_amdhsa_kernel
	.section	.text._ZN2at6native12_GLOBAL__N_125multi_tensor_apply_kernelINS1_18TensorListMetadataILi1EEENS1_14UnaryOpFunctorIdLi1ELi1ELi0EEEJSt6negateIdEEEEvT_T0_DpT1_,"axG",@progbits,_ZN2at6native12_GLOBAL__N_125multi_tensor_apply_kernelINS1_18TensorListMetadataILi1EEENS1_14UnaryOpFunctorIdLi1ELi1ELi0EEEJSt6negateIdEEEEvT_T0_DpT1_,comdat
.Lfunc_end321:
	.size	_ZN2at6native12_GLOBAL__N_125multi_tensor_apply_kernelINS1_18TensorListMetadataILi1EEENS1_14UnaryOpFunctorIdLi1ELi1ELi0EEEJSt6negateIdEEEEvT_T0_DpT1_, .Lfunc_end321-_ZN2at6native12_GLOBAL__N_125multi_tensor_apply_kernelINS1_18TensorListMetadataILi1EEENS1_14UnaryOpFunctorIdLi1ELi1ELi0EEEJSt6negateIdEEEEvT_T0_DpT1_
                                        ; -- End function
	.set _ZN2at6native12_GLOBAL__N_125multi_tensor_apply_kernelINS1_18TensorListMetadataILi1EEENS1_14UnaryOpFunctorIdLi1ELi1ELi0EEEJSt6negateIdEEEEvT_T0_DpT1_.num_vgpr, 21
	.set _ZN2at6native12_GLOBAL__N_125multi_tensor_apply_kernelINS1_18TensorListMetadataILi1EEENS1_14UnaryOpFunctorIdLi1ELi1ELi0EEEJSt6negateIdEEEEvT_T0_DpT1_.num_agpr, 0
	.set _ZN2at6native12_GLOBAL__N_125multi_tensor_apply_kernelINS1_18TensorListMetadataILi1EEENS1_14UnaryOpFunctorIdLi1ELi1ELi0EEEJSt6negateIdEEEEvT_T0_DpT1_.numbered_sgpr, 28
	.set _ZN2at6native12_GLOBAL__N_125multi_tensor_apply_kernelINS1_18TensorListMetadataILi1EEENS1_14UnaryOpFunctorIdLi1ELi1ELi0EEEJSt6negateIdEEEEvT_T0_DpT1_.num_named_barrier, 0
	.set _ZN2at6native12_GLOBAL__N_125multi_tensor_apply_kernelINS1_18TensorListMetadataILi1EEENS1_14UnaryOpFunctorIdLi1ELi1ELi0EEEJSt6negateIdEEEEvT_T0_DpT1_.private_seg_size, 0
	.set _ZN2at6native12_GLOBAL__N_125multi_tensor_apply_kernelINS1_18TensorListMetadataILi1EEENS1_14UnaryOpFunctorIdLi1ELi1ELi0EEEJSt6negateIdEEEEvT_T0_DpT1_.uses_vcc, 1
	.set _ZN2at6native12_GLOBAL__N_125multi_tensor_apply_kernelINS1_18TensorListMetadataILi1EEENS1_14UnaryOpFunctorIdLi1ELi1ELi0EEEJSt6negateIdEEEEvT_T0_DpT1_.uses_flat_scratch, 0
	.set _ZN2at6native12_GLOBAL__N_125multi_tensor_apply_kernelINS1_18TensorListMetadataILi1EEENS1_14UnaryOpFunctorIdLi1ELi1ELi0EEEJSt6negateIdEEEEvT_T0_DpT1_.has_dyn_sized_stack, 0
	.set _ZN2at6native12_GLOBAL__N_125multi_tensor_apply_kernelINS1_18TensorListMetadataILi1EEENS1_14UnaryOpFunctorIdLi1ELi1ELi0EEEJSt6negateIdEEEEvT_T0_DpT1_.has_recursion, 0
	.set _ZN2at6native12_GLOBAL__N_125multi_tensor_apply_kernelINS1_18TensorListMetadataILi1EEENS1_14UnaryOpFunctorIdLi1ELi1ELi0EEEJSt6negateIdEEEEvT_T0_DpT1_.has_indirect_call, 0
	.section	.AMDGPU.csdata,"",@progbits
; Kernel info:
; codeLenInByte = 1056
; TotalNumSgprs: 32
; NumVgprs: 21
; ScratchSize: 0
; MemoryBound: 0
; FloatMode: 240
; IeeeMode: 1
; LDSByteSize: 0 bytes/workgroup (compile time only)
; SGPRBlocks: 3
; VGPRBlocks: 5
; NumSGPRsForWavesPerEU: 32
; NumVGPRsForWavesPerEU: 21
; Occupancy: 10
; WaveLimiterHint : 0
; COMPUTE_PGM_RSRC2:SCRATCH_EN: 0
; COMPUTE_PGM_RSRC2:USER_SGPR: 6
; COMPUTE_PGM_RSRC2:TRAP_HANDLER: 0
; COMPUTE_PGM_RSRC2:TGID_X_EN: 1
; COMPUTE_PGM_RSRC2:TGID_Y_EN: 0
; COMPUTE_PGM_RSRC2:TGID_Z_EN: 0
; COMPUTE_PGM_RSRC2:TIDIG_COMP_CNT: 0
	.section	.text._ZN2at6native12_GLOBAL__N_125multi_tensor_apply_kernelINS1_18TensorListMetadataILi1EEENS1_14UnaryOpFunctorIfLi1ELi1ELi0EEEJSt6negateIfEEEEvT_T0_DpT1_,"axG",@progbits,_ZN2at6native12_GLOBAL__N_125multi_tensor_apply_kernelINS1_18TensorListMetadataILi1EEENS1_14UnaryOpFunctorIfLi1ELi1ELi0EEEJSt6negateIfEEEEvT_T0_DpT1_,comdat
	.globl	_ZN2at6native12_GLOBAL__N_125multi_tensor_apply_kernelINS1_18TensorListMetadataILi1EEENS1_14UnaryOpFunctorIfLi1ELi1ELi0EEEJSt6negateIfEEEEvT_T0_DpT1_ ; -- Begin function _ZN2at6native12_GLOBAL__N_125multi_tensor_apply_kernelINS1_18TensorListMetadataILi1EEENS1_14UnaryOpFunctorIfLi1ELi1ELi0EEEJSt6negateIfEEEEvT_T0_DpT1_
	.p2align	8
	.type	_ZN2at6native12_GLOBAL__N_125multi_tensor_apply_kernelINS1_18TensorListMetadataILi1EEENS1_14UnaryOpFunctorIfLi1ELi1ELi0EEEJSt6negateIfEEEEvT_T0_DpT1_,@function
_ZN2at6native12_GLOBAL__N_125multi_tensor_apply_kernelINS1_18TensorListMetadataILi1EEENS1_14UnaryOpFunctorIfLi1ELi1ELi0EEEJSt6negateIfEEEEvT_T0_DpT1_: ; @_ZN2at6native12_GLOBAL__N_125multi_tensor_apply_kernelINS1_18TensorListMetadataILi1EEENS1_14UnaryOpFunctorIfLi1ELi1ELi0EEEJSt6negateIfEEEEvT_T0_DpT1_
; %bb.0:
	v_mov_b32_e32 v1, s6
	global_load_ubyte v1, v1, s[4:5] offset:1760
	s_add_u32 s0, s4, s6
	s_mul_hi_u32 s1, s6, 3
	s_mul_i32 s6, s6, 3
	s_addc_u32 s2, s5, 0
	s_add_u32 s0, s0, s6
	s_addc_u32 s1, s2, s1
	s_load_dword s0, s[0:1], 0x820
	s_mov_b32 s7, 0
	s_waitcnt vmcnt(0)
	v_readfirstlane_b32 s1, v1
	s_lshl_b32 s1, s1, 3
	s_load_dwordx2 s[2:3], s[4:5], s1 offset:0x370
	s_load_dwordx2 s[10:11], s[4:5], s1 offset:0x0
	s_waitcnt lgkmcnt(0)
	s_ashr_i32 s1, s0, 31
	s_lshl_b64 s[12:13], s[0:1], 18
	s_lshl_b64 s[0:1], s[0:1], 16
	s_and_b32 s6, s10, 15
	s_sub_u32 s14, s2, s0
	s_subb_u32 s15, s3, s1
	s_and_b32 s0, s2, 3
	s_mov_b32 s1, s7
	s_or_b64 s[0:1], s[6:7], s[0:1]
	s_cmp_eq_u64 s[0:1], 0
	s_cbranch_scc1 .LBB322_21
; %bb.1:
	v_cmp_lt_i64_e64 s[0:1], s[14:15], 1
	s_and_b64 vcc, exec, s[0:1]
	s_cbranch_vccnz .LBB322_20
; %bb.2:
	v_mov_b32_e32 v1, 0x10000
	s_load_dword s2, s[4:5], 0xd3c
	v_mov_b32_e32 v2, 0
	v_cmp_lt_i64_e32 vcc, s[14:15], v[1:2]
	s_mov_b64 s[20:21], 0
	s_and_b64 s[0:1], vcc, exec
	v_cmp_lt_u64_e32 vcc, s[14:15], v[1:2]
	s_cselect_b32 s17, s15, 0
	s_cselect_b32 s16, s14, 0x10000
	s_waitcnt lgkmcnt(0)
	s_and_b32 s2, s2, 0xffff
	s_and_b64 s[0:1], vcc, exec
	s_cselect_b32 s19, s15, 0
	s_cselect_b32 s18, s14, 0x10000
	s_lshl_b32 s3, s2, 1
	s_lshl_b32 s24, s2, 2
	s_add_u32 s6, s10, s12
	v_lshlrev_b32_e32 v1, 2, v0
	s_addc_u32 s7, s11, s13
	v_mov_b32_e32 v2, s7
	v_add_co_u32_e32 v1, vcc, s6, v1
	s_mul_i32 s0, s2, 3
	v_addc_co_u32_e32 v2, vcc, 0, v2, vcc
	v_add_co_u32_e32 v5, vcc, s0, v0
	v_addc_co_u32_e64 v6, s[0:1], 0, 0, vcc
	v_add_co_u32_e32 v7, vcc, s3, v0
	v_addc_co_u32_e64 v8, s[0:1], 0, 0, vcc
	v_add_co_u32_e32 v9, vcc, s2, v0
	v_lshlrev_b32_e32 v3, 2, v9
	v_addc_co_u32_e64 v10, s[0:1], 0, 0, vcc
	v_mov_b32_e32 v4, s7
	v_add_co_u32_e32 v3, vcc, s6, v3
	s_lshl_b32 s25, s2, 4
	s_mul_i32 s26, s2, 12
	s_lshl_b32 s27, s2, 3
	v_addc_co_u32_e32 v4, vcc, 0, v4, vcc
	s_branch .LBB322_4
.LBB322_3:                              ;   in Loop: Header=BB322_4 Depth=1
	s_or_b64 exec, exec, s[0:1]
	s_add_u32 s20, s20, s24
	v_add_co_u32_e32 v1, vcc, s25, v1
	s_waitcnt vmcnt(0)
	v_mov_b32_e32 v11, s16
	s_addc_u32 s21, s21, 0
	v_addc_co_u32_e32 v2, vcc, 0, v2, vcc
	v_mov_b32_e32 v12, s17
	v_cmp_lt_i64_e32 vcc, s[20:21], v[11:12]
	v_add_co_u32_e64 v3, s[0:1], s25, v3
	v_addc_co_u32_e64 v4, s[0:1], 0, v4, s[0:1]
	s_cbranch_vccz .LBB322_20
.LBB322_4:                              ; =>This Inner Loop Header: Depth=1
	v_mov_b32_e32 v12, s21
	v_add_co_u32_e32 v11, vcc, s20, v0
	v_addc_co_u32_e32 v12, vcc, 0, v12, vcc
	v_cmp_gt_u64_e32 vcc, s[18:19], v[11:12]
	v_mov_b32_e32 v11, 0
	s_and_saveexec_b64 s[0:1], vcc
	s_cbranch_execz .LBB322_6
; %bb.5:                                ;   in Loop: Header=BB322_4 Depth=1
	global_load_dword v11, v[1:2], off
.LBB322_6:                              ;   in Loop: Header=BB322_4 Depth=1
	s_or_b64 exec, exec, s[0:1]
	v_mov_b32_e32 v13, s21
	v_add_co_u32_e64 v12, s[0:1], s20, v9
	v_addc_co_u32_e64 v13, s[0:1], v10, v13, s[0:1]
	v_cmp_gt_u64_e64 s[0:1], s[18:19], v[12:13]
	v_mov_b32_e32 v12, 0
	v_mov_b32_e32 v13, 0
	s_and_saveexec_b64 s[2:3], s[0:1]
	s_cbranch_execz .LBB322_8
; %bb.7:                                ;   in Loop: Header=BB322_4 Depth=1
	global_load_dword v13, v[3:4], off
.LBB322_8:                              ;   in Loop: Header=BB322_4 Depth=1
	s_or_b64 exec, exec, s[2:3]
	v_mov_b32_e32 v15, s21
	v_add_co_u32_e64 v14, s[2:3], s20, v7
	v_addc_co_u32_e64 v15, s[2:3], v8, v15, s[2:3]
	v_cmp_gt_u64_e64 s[2:3], s[18:19], v[14:15]
	s_and_saveexec_b64 s[8:9], s[2:3]
	s_cbranch_execz .LBB322_10
; %bb.9:                                ;   in Loop: Header=BB322_4 Depth=1
	v_add_co_u32_e64 v14, s[6:7], s27, v1
	v_addc_co_u32_e64 v15, s[6:7], 0, v2, s[6:7]
	global_load_dword v12, v[14:15], off
.LBB322_10:                             ;   in Loop: Header=BB322_4 Depth=1
	s_or_b64 exec, exec, s[8:9]
	v_mov_b32_e32 v15, s21
	v_add_co_u32_e64 v14, s[6:7], s20, v5
	v_addc_co_u32_e64 v15, s[6:7], v6, v15, s[6:7]
	v_cmp_gt_u64_e64 s[6:7], s[18:19], v[14:15]
	v_mov_b32_e32 v14, 0
	s_and_saveexec_b64 s[22:23], s[6:7]
	s_cbranch_execnz .LBB322_15
; %bb.11:                               ;   in Loop: Header=BB322_4 Depth=1
	s_or_b64 exec, exec, s[22:23]
	s_and_saveexec_b64 s[8:9], vcc
	s_cbranch_execnz .LBB322_16
.LBB322_12:                             ;   in Loop: Header=BB322_4 Depth=1
	s_or_b64 exec, exec, s[8:9]
	s_and_saveexec_b64 s[8:9], s[0:1]
	s_cbranch_execnz .LBB322_17
.LBB322_13:                             ;   in Loop: Header=BB322_4 Depth=1
	s_or_b64 exec, exec, s[8:9]
	s_and_saveexec_b64 s[0:1], s[2:3]
	s_cbranch_execnz .LBB322_18
.LBB322_14:                             ;   in Loop: Header=BB322_4 Depth=1
	s_or_b64 exec, exec, s[0:1]
	s_and_saveexec_b64 s[0:1], s[6:7]
	s_cbranch_execz .LBB322_3
	s_branch .LBB322_19
.LBB322_15:                             ;   in Loop: Header=BB322_4 Depth=1
	v_add_co_u32_e64 v14, s[8:9], s26, v1
	v_addc_co_u32_e64 v15, s[8:9], 0, v2, s[8:9]
	global_load_dword v14, v[14:15], off
	s_or_b64 exec, exec, s[22:23]
	s_and_saveexec_b64 s[8:9], vcc
	s_cbranch_execz .LBB322_12
.LBB322_16:                             ;   in Loop: Header=BB322_4 Depth=1
	s_waitcnt vmcnt(0)
	v_xor_b32_e32 v11, 0x80000000, v11
	global_store_dword v[1:2], v11, off
	s_or_b64 exec, exec, s[8:9]
	s_and_saveexec_b64 s[8:9], s[0:1]
	s_cbranch_execz .LBB322_13
.LBB322_17:                             ;   in Loop: Header=BB322_4 Depth=1
	s_waitcnt vmcnt(0)
	v_xor_b32_e32 v11, 0x80000000, v13
	global_store_dword v[3:4], v11, off
	s_or_b64 exec, exec, s[8:9]
	s_and_saveexec_b64 s[0:1], s[2:3]
	s_cbranch_execz .LBB322_14
.LBB322_18:                             ;   in Loop: Header=BB322_4 Depth=1
	s_waitcnt vmcnt(0)
	v_add_co_u32_e32 v11, vcc, s27, v1
	v_xor_b32_e32 v13, 0x80000000, v12
	v_addc_co_u32_e32 v12, vcc, 0, v2, vcc
	global_store_dword v[11:12], v13, off
	s_or_b64 exec, exec, s[0:1]
	s_and_saveexec_b64 s[0:1], s[6:7]
	s_cbranch_execz .LBB322_3
.LBB322_19:                             ;   in Loop: Header=BB322_4 Depth=1
	s_waitcnt vmcnt(0)
	v_add_co_u32_e32 v11, vcc, s26, v1
	v_xor_b32_e32 v13, 0x80000000, v14
	v_addc_co_u32_e32 v12, vcc, 0, v2, vcc
	global_store_dword v[11:12], v13, off
	s_branch .LBB322_3
.LBB322_20:
	s_cbranch_execz .LBB322_22
	s_branch .LBB322_25
.LBB322_21:
.LBB322_22:
	v_mov_b32_e32 v1, 0x10000
	v_mov_b32_e32 v2, 0
	v_cmp_lt_i64_e32 vcc, s[14:15], v[1:2]
	v_mov_b32_e32 v2, 0
	s_and_b64 s[0:1], vcc, exec
	s_cselect_b32 s1, s15, 0
	s_cselect_b32 s0, s14, 0x10000
	v_lshlrev_b32_e32 v1, 2, v0
	v_cmp_gt_i64_e32 vcc, s[0:1], v[1:2]
	s_and_saveexec_b64 s[2:3], vcc
	s_cbranch_execz .LBB322_25
; %bb.23:
	s_load_dword s2, s[4:5], 0xd3c
	v_mov_b32_e32 v1, v2
	v_lshlrev_b32_e32 v2, 4, v0
	s_waitcnt lgkmcnt(0)
	s_and_b32 s4, s2, 0xffff
	s_add_u32 s2, s10, s12
	s_addc_u32 s3, s11, s13
	v_mov_b32_e32 v3, s3
	v_add_co_u32_e32 v2, vcc, s2, v2
	v_addc_co_u32_e32 v3, vcc, 0, v3, vcc
	v_add_co_u32_e32 v2, vcc, 8, v2
	v_addc_co_u32_e32 v3, vcc, 0, v3, vcc
	s_lshl_b32 s5, s4, 4
	s_mov_b64 s[2:3], 0
.LBB322_24:                             ; =>This Inner Loop Header: Depth=1
	global_load_dwordx4 v[4:7], v[2:3], off offset:-8
	v_add_co_u32_e32 v0, vcc, s4, v0
	v_addc_co_u32_e32 v1, vcc, 0, v1, vcc
	v_lshlrev_b64 v[8:9], 2, v[0:1]
	v_cmp_le_i64_e32 vcc, s[0:1], v[8:9]
	s_or_b64 s[2:3], vcc, s[2:3]
	s_waitcnt vmcnt(0)
	v_xor_b32_e32 v4, 0x80000000, v4
	v_xor_b32_e32 v5, 0x80000000, v5
	;; [unrolled: 1-line block ×4, first 2 shown]
	global_store_dwordx4 v[2:3], v[4:7], off offset:-8
	v_add_co_u32_e32 v2, vcc, s5, v2
	v_addc_co_u32_e32 v3, vcc, 0, v3, vcc
	s_andn2_b64 exec, exec, s[2:3]
	s_cbranch_execnz .LBB322_24
.LBB322_25:
	s_endpgm
	.section	.rodata,"a",@progbits
	.p2align	6, 0x0
	.amdhsa_kernel _ZN2at6native12_GLOBAL__N_125multi_tensor_apply_kernelINS1_18TensorListMetadataILi1EEENS1_14UnaryOpFunctorIfLi1ELi1ELi0EEEJSt6negateIfEEEEvT_T0_DpT1_
		.amdhsa_group_segment_fixed_size 0
		.amdhsa_private_segment_fixed_size 0
		.amdhsa_kernarg_size 3632
		.amdhsa_user_sgpr_count 6
		.amdhsa_user_sgpr_private_segment_buffer 1
		.amdhsa_user_sgpr_dispatch_ptr 0
		.amdhsa_user_sgpr_queue_ptr 0
		.amdhsa_user_sgpr_kernarg_segment_ptr 1
		.amdhsa_user_sgpr_dispatch_id 0
		.amdhsa_user_sgpr_flat_scratch_init 0
		.amdhsa_user_sgpr_private_segment_size 0
		.amdhsa_uses_dynamic_stack 0
		.amdhsa_system_sgpr_private_segment_wavefront_offset 0
		.amdhsa_system_sgpr_workgroup_id_x 1
		.amdhsa_system_sgpr_workgroup_id_y 0
		.amdhsa_system_sgpr_workgroup_id_z 0
		.amdhsa_system_sgpr_workgroup_info 0
		.amdhsa_system_vgpr_workitem_id 0
		.amdhsa_next_free_vgpr 16
		.amdhsa_next_free_sgpr 28
		.amdhsa_reserve_vcc 1
		.amdhsa_reserve_flat_scratch 0
		.amdhsa_float_round_mode_32 0
		.amdhsa_float_round_mode_16_64 0
		.amdhsa_float_denorm_mode_32 3
		.amdhsa_float_denorm_mode_16_64 3
		.amdhsa_dx10_clamp 1
		.amdhsa_ieee_mode 1
		.amdhsa_fp16_overflow 0
		.amdhsa_exception_fp_ieee_invalid_op 0
		.amdhsa_exception_fp_denorm_src 0
		.amdhsa_exception_fp_ieee_div_zero 0
		.amdhsa_exception_fp_ieee_overflow 0
		.amdhsa_exception_fp_ieee_underflow 0
		.amdhsa_exception_fp_ieee_inexact 0
		.amdhsa_exception_int_div_zero 0
	.end_amdhsa_kernel
	.section	.text._ZN2at6native12_GLOBAL__N_125multi_tensor_apply_kernelINS1_18TensorListMetadataILi1EEENS1_14UnaryOpFunctorIfLi1ELi1ELi0EEEJSt6negateIfEEEEvT_T0_DpT1_,"axG",@progbits,_ZN2at6native12_GLOBAL__N_125multi_tensor_apply_kernelINS1_18TensorListMetadataILi1EEENS1_14UnaryOpFunctorIfLi1ELi1ELi0EEEJSt6negateIfEEEEvT_T0_DpT1_,comdat
.Lfunc_end322:
	.size	_ZN2at6native12_GLOBAL__N_125multi_tensor_apply_kernelINS1_18TensorListMetadataILi1EEENS1_14UnaryOpFunctorIfLi1ELi1ELi0EEEJSt6negateIfEEEEvT_T0_DpT1_, .Lfunc_end322-_ZN2at6native12_GLOBAL__N_125multi_tensor_apply_kernelINS1_18TensorListMetadataILi1EEENS1_14UnaryOpFunctorIfLi1ELi1ELi0EEEJSt6negateIfEEEEvT_T0_DpT1_
                                        ; -- End function
	.set _ZN2at6native12_GLOBAL__N_125multi_tensor_apply_kernelINS1_18TensorListMetadataILi1EEENS1_14UnaryOpFunctorIfLi1ELi1ELi0EEEJSt6negateIfEEEEvT_T0_DpT1_.num_vgpr, 16
	.set _ZN2at6native12_GLOBAL__N_125multi_tensor_apply_kernelINS1_18TensorListMetadataILi1EEENS1_14UnaryOpFunctorIfLi1ELi1ELi0EEEJSt6negateIfEEEEvT_T0_DpT1_.num_agpr, 0
	.set _ZN2at6native12_GLOBAL__N_125multi_tensor_apply_kernelINS1_18TensorListMetadataILi1EEENS1_14UnaryOpFunctorIfLi1ELi1ELi0EEEJSt6negateIfEEEEvT_T0_DpT1_.numbered_sgpr, 28
	.set _ZN2at6native12_GLOBAL__N_125multi_tensor_apply_kernelINS1_18TensorListMetadataILi1EEENS1_14UnaryOpFunctorIfLi1ELi1ELi0EEEJSt6negateIfEEEEvT_T0_DpT1_.num_named_barrier, 0
	.set _ZN2at6native12_GLOBAL__N_125multi_tensor_apply_kernelINS1_18TensorListMetadataILi1EEENS1_14UnaryOpFunctorIfLi1ELi1ELi0EEEJSt6negateIfEEEEvT_T0_DpT1_.private_seg_size, 0
	.set _ZN2at6native12_GLOBAL__N_125multi_tensor_apply_kernelINS1_18TensorListMetadataILi1EEENS1_14UnaryOpFunctorIfLi1ELi1ELi0EEEJSt6negateIfEEEEvT_T0_DpT1_.uses_vcc, 1
	.set _ZN2at6native12_GLOBAL__N_125multi_tensor_apply_kernelINS1_18TensorListMetadataILi1EEENS1_14UnaryOpFunctorIfLi1ELi1ELi0EEEJSt6negateIfEEEEvT_T0_DpT1_.uses_flat_scratch, 0
	.set _ZN2at6native12_GLOBAL__N_125multi_tensor_apply_kernelINS1_18TensorListMetadataILi1EEENS1_14UnaryOpFunctorIfLi1ELi1ELi0EEEJSt6negateIfEEEEvT_T0_DpT1_.has_dyn_sized_stack, 0
	.set _ZN2at6native12_GLOBAL__N_125multi_tensor_apply_kernelINS1_18TensorListMetadataILi1EEENS1_14UnaryOpFunctorIfLi1ELi1ELi0EEEJSt6negateIfEEEEvT_T0_DpT1_.has_recursion, 0
	.set _ZN2at6native12_GLOBAL__N_125multi_tensor_apply_kernelINS1_18TensorListMetadataILi1EEENS1_14UnaryOpFunctorIfLi1ELi1ELi0EEEJSt6negateIfEEEEvT_T0_DpT1_.has_indirect_call, 0
	.section	.AMDGPU.csdata,"",@progbits
; Kernel info:
; codeLenInByte = 1020
; TotalNumSgprs: 32
; NumVgprs: 16
; ScratchSize: 0
; MemoryBound: 0
; FloatMode: 240
; IeeeMode: 1
; LDSByteSize: 0 bytes/workgroup (compile time only)
; SGPRBlocks: 3
; VGPRBlocks: 3
; NumSGPRsForWavesPerEU: 32
; NumVGPRsForWavesPerEU: 16
; Occupancy: 10
; WaveLimiterHint : 0
; COMPUTE_PGM_RSRC2:SCRATCH_EN: 0
; COMPUTE_PGM_RSRC2:USER_SGPR: 6
; COMPUTE_PGM_RSRC2:TRAP_HANDLER: 0
; COMPUTE_PGM_RSRC2:TGID_X_EN: 1
; COMPUTE_PGM_RSRC2:TGID_Y_EN: 0
; COMPUTE_PGM_RSRC2:TGID_Z_EN: 0
; COMPUTE_PGM_RSRC2:TIDIG_COMP_CNT: 0
	.section	.text._ZN2at6native12_GLOBAL__N_125multi_tensor_apply_kernelINS1_18TensorListMetadataILi1EEENS1_14UnaryOpFunctorIN3c107complexIdEELi1ELi1ELi0EEEJSt6negateIS8_EEEEvT_T0_DpT1_,"axG",@progbits,_ZN2at6native12_GLOBAL__N_125multi_tensor_apply_kernelINS1_18TensorListMetadataILi1EEENS1_14UnaryOpFunctorIN3c107complexIdEELi1ELi1ELi0EEEJSt6negateIS8_EEEEvT_T0_DpT1_,comdat
	.globl	_ZN2at6native12_GLOBAL__N_125multi_tensor_apply_kernelINS1_18TensorListMetadataILi1EEENS1_14UnaryOpFunctorIN3c107complexIdEELi1ELi1ELi0EEEJSt6negateIS8_EEEEvT_T0_DpT1_ ; -- Begin function _ZN2at6native12_GLOBAL__N_125multi_tensor_apply_kernelINS1_18TensorListMetadataILi1EEENS1_14UnaryOpFunctorIN3c107complexIdEELi1ELi1ELi0EEEJSt6negateIS8_EEEEvT_T0_DpT1_
	.p2align	8
	.type	_ZN2at6native12_GLOBAL__N_125multi_tensor_apply_kernelINS1_18TensorListMetadataILi1EEENS1_14UnaryOpFunctorIN3c107complexIdEELi1ELi1ELi0EEEJSt6negateIS8_EEEEvT_T0_DpT1_,@function
_ZN2at6native12_GLOBAL__N_125multi_tensor_apply_kernelINS1_18TensorListMetadataILi1EEENS1_14UnaryOpFunctorIN3c107complexIdEELi1ELi1ELi0EEEJSt6negateIS8_EEEEvT_T0_DpT1_: ; @_ZN2at6native12_GLOBAL__N_125multi_tensor_apply_kernelINS1_18TensorListMetadataILi1EEENS1_14UnaryOpFunctorIN3c107complexIdEELi1ELi1ELi0EEEJSt6negateIS8_EEEEvT_T0_DpT1_
; %bb.0:
	v_mov_b32_e32 v1, s6
	global_load_ubyte v1, v1, s[4:5] offset:1760
	s_add_u32 s0, s4, s6
	s_mul_hi_u32 s1, s6, 3
	s_mul_i32 s6, s6, 3
	s_addc_u32 s2, s5, 0
	s_add_u32 s0, s0, s6
	s_addc_u32 s1, s2, s1
	s_load_dword s0, s[0:1], 0x820
	s_mov_b32 s7, 0
	s_waitcnt vmcnt(0)
	v_readfirstlane_b32 s1, v1
	s_lshl_b32 s1, s1, 3
	s_load_dwordx2 s[10:11], s[4:5], s1 offset:0x0
	s_load_dwordx2 s[2:3], s[4:5], s1 offset:0x370
	s_waitcnt lgkmcnt(0)
	s_ashr_i32 s1, s0, 31
	s_lshl_b64 s[12:13], s[0:1], 20
	s_add_u32 s24, s10, s12
	s_addc_u32 s25, s11, s13
	s_lshl_b64 s[0:1], s[0:1], 16
	s_and_b32 s6, s24, 63
	s_sub_u32 s14, s2, s0
	s_subb_u32 s15, s3, s1
	s_and_b32 s0, s2, 3
	s_mov_b32 s1, s7
	s_or_b64 s[0:1], s[6:7], s[0:1]
	s_cmp_eq_u64 s[0:1], 0
	s_cbranch_scc1 .LBB323_21
; %bb.1:
	v_cmp_lt_i64_e64 s[0:1], s[14:15], 1
	s_and_b64 vcc, exec, s[0:1]
	s_cbranch_vccnz .LBB323_20
; %bb.2:
	v_mov_b32_e32 v1, 0x10000
	s_load_dword s2, s[4:5], 0xd3c
	v_mov_b32_e32 v2, 0
	v_cmp_lt_i64_e32 vcc, s[14:15], v[1:2]
	v_mov_b32_e32 v18, 0
	s_and_b64 s[0:1], vcc, exec
	v_cmp_lt_u64_e32 vcc, s[14:15], v[1:2]
	s_cselect_b32 s17, s15, 0
	s_cselect_b32 s16, s14, 0x10000
	s_waitcnt lgkmcnt(0)
	s_and_b32 s2, s2, 0xffff
	s_and_b64 s[0:1], vcc, exec
	s_mul_i32 s6, s2, 3
	v_add_co_u32_e32 v20, vcc, s2, v0
	v_lshlrev_b32_e32 v17, 4, v0
	v_addc_co_u32_e64 v21, s[0:1], 0, 0, vcc
	v_add_co_u32_e32 v22, vcc, s6, v0
	v_mad_u64_u32 v[18:19], s[0:1], s2, 48, v[17:18]
	v_addc_co_u32_e64 v23, s[0:1], 0, 0, vcc
	s_cselect_b32 s19, s15, 0
	s_cselect_b32 s18, s14, 0x10000
	s_lshl_b32 s0, s2, 5
	s_lshl_b32 s3, s2, 1
	v_add_co_u32_e32 v1, vcc, s0, v17
	v_addc_co_u32_e64 v25, s[0:1], 0, 0, vcc
	v_add_co_u32_e32 v27, vcc, s3, v0
	s_lshl_b32 s26, s2, 2
	s_lshl_b32 s27, s2, 6
	v_or_b32_e32 v18, 8, v18
	v_lshlrev_b32_e32 v24, 4, v20
	v_or_b32_e32 v26, 8, v1
	v_addc_co_u32_e64 v28, s[0:1], 0, 0, vcc
	s_mov_b64 s[20:21], 0
	s_branch .LBB323_4
.LBB323_3:                              ;   in Loop: Header=BB323_4 Depth=1
	s_or_b64 exec, exec, s[0:1]
	s_add_u32 s20, s20, s26
	s_waitcnt vmcnt(0)
	v_mov_b32_e32 v1, s16
	s_addc_u32 s21, s21, 0
	v_mov_b32_e32 v2, s17
	v_cmp_lt_i64_e32 vcc, s[20:21], v[1:2]
	s_add_u32 s24, s24, s27
	s_addc_u32 s25, s25, 0
	s_cbranch_vccz .LBB323_20
.LBB323_4:                              ; =>This Inner Loop Header: Depth=1
	v_mov_b32_e32 v2, s21
	v_add_co_u32_e32 v1, vcc, s20, v0
	v_addc_co_u32_e32 v2, vcc, 0, v2, vcc
	v_cmp_gt_u64_e32 vcc, s[18:19], v[1:2]
	v_mov_b32_e32 v3, 0
	v_mov_b32_e32 v7, 0
	;; [unrolled: 1-line block ×6, first 2 shown]
	s_and_saveexec_b64 s[2:3], vcc
	s_cbranch_execz .LBB323_6
; %bb.5:                                ;   in Loop: Header=BB323_4 Depth=1
	v_mov_b32_e32 v2, s25
	v_add_co_u32_e64 v1, s[0:1], s24, v17
	v_addc_co_u32_e64 v2, s[0:1], 0, v2, s[0:1]
	global_load_dwordx4 v[5:8], v[1:2], off
.LBB323_6:                              ;   in Loop: Header=BB323_4 Depth=1
	s_or_b64 exec, exec, s[2:3]
	v_mov_b32_e32 v2, s21
	v_add_co_u32_e64 v1, s[0:1], s20, v20
	v_addc_co_u32_e64 v2, s[0:1], v21, v2, s[0:1]
	v_cmp_gt_u64_e64 s[0:1], s[18:19], v[1:2]
	v_mov_b32_e32 v1, 0
	v_mov_b32_e32 v2, 0
	s_and_saveexec_b64 s[6:7], s[0:1]
	s_cbranch_execz .LBB323_8
; %bb.7:                                ;   in Loop: Header=BB323_4 Depth=1
	v_mov_b32_e32 v2, s25
	v_add_co_u32_e64 v1, s[2:3], s24, v24
	v_addc_co_u32_e64 v2, s[2:3], 0, v2, s[2:3]
	global_load_dwordx4 v[1:4], v[1:2], off
.LBB323_8:                              ;   in Loop: Header=BB323_4 Depth=1
	s_or_b64 exec, exec, s[6:7]
	v_mov_b32_e32 v10, s21
	v_add_co_u32_e64 v9, s[2:3], s20, v27
	v_addc_co_u32_e64 v10, s[2:3], v28, v10, s[2:3]
	v_cmp_gt_u64_e64 s[2:3], s[18:19], v[9:10]
	v_mov_b32_e32 v11, 0
	v_mov_b32_e32 v15, 0
	;; [unrolled: 1-line block ×6, first 2 shown]
	s_and_saveexec_b64 s[8:9], s[2:3]
	s_cbranch_execz .LBB323_10
; %bb.9:                                ;   in Loop: Header=BB323_4 Depth=1
	v_mov_b32_e32 v10, s25
	v_add_co_u32_e64 v9, s[6:7], s24, v26
	v_addc_co_u32_e64 v10, s[6:7], v10, v25, s[6:7]
	global_load_dwordx4 v[13:16], v[9:10], off offset:-8
.LBB323_10:                             ;   in Loop: Header=BB323_4 Depth=1
	s_or_b64 exec, exec, s[8:9]
	v_mov_b32_e32 v10, s21
	v_add_co_u32_e64 v9, s[6:7], s20, v22
	v_addc_co_u32_e64 v10, s[6:7], v23, v10, s[6:7]
	v_cmp_gt_u64_e64 s[6:7], s[18:19], v[9:10]
	v_mov_b32_e32 v9, 0
	v_mov_b32_e32 v10, 0
	s_and_saveexec_b64 s[22:23], s[6:7]
	s_cbranch_execnz .LBB323_15
; %bb.11:                               ;   in Loop: Header=BB323_4 Depth=1
	s_or_b64 exec, exec, s[22:23]
	s_and_saveexec_b64 s[8:9], vcc
	s_cbranch_execnz .LBB323_16
.LBB323_12:                             ;   in Loop: Header=BB323_4 Depth=1
	s_or_b64 exec, exec, s[8:9]
	s_and_saveexec_b64 s[8:9], s[0:1]
	s_cbranch_execnz .LBB323_17
.LBB323_13:                             ;   in Loop: Header=BB323_4 Depth=1
	s_or_b64 exec, exec, s[8:9]
	s_and_saveexec_b64 s[0:1], s[2:3]
	s_cbranch_execnz .LBB323_18
.LBB323_14:                             ;   in Loop: Header=BB323_4 Depth=1
	s_or_b64 exec, exec, s[0:1]
	s_and_saveexec_b64 s[0:1], s[6:7]
	s_cbranch_execz .LBB323_3
	s_branch .LBB323_19
.LBB323_15:                             ;   in Loop: Header=BB323_4 Depth=1
	v_mov_b32_e32 v10, s25
	v_add_co_u32_e64 v9, s[8:9], s24, v18
	v_addc_co_u32_e64 v10, s[8:9], v10, v19, s[8:9]
	global_load_dwordx4 v[9:12], v[9:10], off offset:-8
	s_or_b64 exec, exec, s[22:23]
	s_and_saveexec_b64 s[8:9], vcc
	s_cbranch_execz .LBB323_12
.LBB323_16:                             ;   in Loop: Header=BB323_4 Depth=1
	v_mov_b32_e32 v30, s25
	v_add_co_u32_e32 v29, vcc, s24, v17
	v_addc_co_u32_e32 v30, vcc, 0, v30, vcc
	s_waitcnt vmcnt(0)
	v_xor_b32_e32 v6, 0x80000000, v6
	v_xor_b32_e32 v8, 0x80000000, v8
	global_store_dwordx4 v[29:30], v[5:8], off
	s_or_b64 exec, exec, s[8:9]
	s_and_saveexec_b64 s[8:9], s[0:1]
	s_cbranch_execz .LBB323_13
.LBB323_17:                             ;   in Loop: Header=BB323_4 Depth=1
	s_waitcnt vmcnt(0)
	v_mov_b32_e32 v6, s25
	v_add_co_u32_e32 v5, vcc, s24, v24
	v_xor_b32_e32 v2, 0x80000000, v2
	v_xor_b32_e32 v4, 0x80000000, v4
	v_addc_co_u32_e32 v6, vcc, 0, v6, vcc
	global_store_dwordx4 v[5:6], v[1:4], off
	s_or_b64 exec, exec, s[8:9]
	s_and_saveexec_b64 s[0:1], s[2:3]
	s_cbranch_execz .LBB323_14
.LBB323_18:                             ;   in Loop: Header=BB323_4 Depth=1
	s_waitcnt vmcnt(0)
	v_mov_b32_e32 v2, s25
	v_add_co_u32_e32 v1, vcc, s24, v26
	v_xor_b32_e32 v14, 0x80000000, v14
	v_xor_b32_e32 v16, 0x80000000, v16
	v_addc_co_u32_e32 v2, vcc, v2, v25, vcc
	global_store_dwordx4 v[1:2], v[13:16], off offset:-8
	s_or_b64 exec, exec, s[0:1]
	s_and_saveexec_b64 s[0:1], s[6:7]
	s_cbranch_execz .LBB323_3
.LBB323_19:                             ;   in Loop: Header=BB323_4 Depth=1
	s_waitcnt vmcnt(0)
	v_mov_b32_e32 v2, s25
	v_add_co_u32_e32 v1, vcc, s24, v18
	v_xor_b32_e32 v10, 0x80000000, v10
	v_xor_b32_e32 v12, 0x80000000, v12
	v_addc_co_u32_e32 v2, vcc, v2, v19, vcc
	global_store_dwordx4 v[1:2], v[9:12], off offset:-8
	s_branch .LBB323_3
.LBB323_20:
	s_cbranch_execz .LBB323_22
	s_branch .LBB323_25
.LBB323_21:
.LBB323_22:
	v_mov_b32_e32 v1, 0x10000
	v_mov_b32_e32 v2, 0
	v_cmp_lt_i64_e32 vcc, s[14:15], v[1:2]
	v_mov_b32_e32 v2, 0
	s_and_b64 s[0:1], vcc, exec
	s_cselect_b32 s1, s15, 0
	s_cselect_b32 s0, s14, 0x10000
	v_lshlrev_b32_e32 v1, 2, v0
	v_cmp_gt_i64_e32 vcc, s[0:1], v[1:2]
	s_and_saveexec_b64 s[2:3], vcc
	s_cbranch_execz .LBB323_25
; %bb.23:
	s_load_dword s2, s[4:5], 0xd3c
	v_mov_b32_e32 v1, v2
	v_lshlrev_b32_e32 v2, 6, v0
	s_waitcnt lgkmcnt(0)
	s_and_b32 s4, s2, 0xffff
	s_add_u32 s2, s10, s12
	s_addc_u32 s3, s11, s13
	v_mov_b32_e32 v3, s3
	v_add_co_u32_e32 v2, vcc, s2, v2
	v_addc_co_u32_e32 v3, vcc, 0, v3, vcc
	s_lshl_b32 s5, s4, 6
	s_mov_b64 s[2:3], 0
.LBB323_24:                             ; =>This Inner Loop Header: Depth=1
	global_load_dwordx4 v[4:7], v[2:3], off
	global_load_dwordx4 v[8:11], v[2:3], off offset:16
	global_load_dwordx4 v[12:15], v[2:3], off offset:32
	;; [unrolled: 1-line block ×3, first 2 shown]
	v_add_co_u32_e32 v0, vcc, s4, v0
	v_addc_co_u32_e32 v1, vcc, 0, v1, vcc
	v_lshlrev_b64 v[20:21], 2, v[0:1]
	v_cmp_le_i64_e32 vcc, s[0:1], v[20:21]
	s_or_b64 s[2:3], vcc, s[2:3]
	s_waitcnt vmcnt(3)
	v_xor_b32_e32 v5, 0x80000000, v5
	v_xor_b32_e32 v7, 0x80000000, v7
	s_waitcnt vmcnt(2)
	v_xor_b32_e32 v9, 0x80000000, v9
	v_xor_b32_e32 v11, 0x80000000, v11
	;; [unrolled: 3-line block ×4, first 2 shown]
	global_store_dwordx4 v[2:3], v[4:7], off
	global_store_dwordx4 v[2:3], v[8:11], off offset:16
	global_store_dwordx4 v[2:3], v[12:15], off offset:32
	;; [unrolled: 1-line block ×3, first 2 shown]
	v_add_co_u32_e32 v2, vcc, s5, v2
	v_addc_co_u32_e32 v3, vcc, 0, v3, vcc
	s_andn2_b64 exec, exec, s[2:3]
	s_cbranch_execnz .LBB323_24
.LBB323_25:
	s_endpgm
	.section	.rodata,"a",@progbits
	.p2align	6, 0x0
	.amdhsa_kernel _ZN2at6native12_GLOBAL__N_125multi_tensor_apply_kernelINS1_18TensorListMetadataILi1EEENS1_14UnaryOpFunctorIN3c107complexIdEELi1ELi1ELi0EEEJSt6negateIS8_EEEEvT_T0_DpT1_
		.amdhsa_group_segment_fixed_size 0
		.amdhsa_private_segment_fixed_size 0
		.amdhsa_kernarg_size 3632
		.amdhsa_user_sgpr_count 6
		.amdhsa_user_sgpr_private_segment_buffer 1
		.amdhsa_user_sgpr_dispatch_ptr 0
		.amdhsa_user_sgpr_queue_ptr 0
		.amdhsa_user_sgpr_kernarg_segment_ptr 1
		.amdhsa_user_sgpr_dispatch_id 0
		.amdhsa_user_sgpr_flat_scratch_init 0
		.amdhsa_user_sgpr_private_segment_size 0
		.amdhsa_uses_dynamic_stack 0
		.amdhsa_system_sgpr_private_segment_wavefront_offset 0
		.amdhsa_system_sgpr_workgroup_id_x 1
		.amdhsa_system_sgpr_workgroup_id_y 0
		.amdhsa_system_sgpr_workgroup_id_z 0
		.amdhsa_system_sgpr_workgroup_info 0
		.amdhsa_system_vgpr_workitem_id 0
		.amdhsa_next_free_vgpr 31
		.amdhsa_next_free_sgpr 28
		.amdhsa_reserve_vcc 1
		.amdhsa_reserve_flat_scratch 0
		.amdhsa_float_round_mode_32 0
		.amdhsa_float_round_mode_16_64 0
		.amdhsa_float_denorm_mode_32 3
		.amdhsa_float_denorm_mode_16_64 3
		.amdhsa_dx10_clamp 1
		.amdhsa_ieee_mode 1
		.amdhsa_fp16_overflow 0
		.amdhsa_exception_fp_ieee_invalid_op 0
		.amdhsa_exception_fp_denorm_src 0
		.amdhsa_exception_fp_ieee_div_zero 0
		.amdhsa_exception_fp_ieee_overflow 0
		.amdhsa_exception_fp_ieee_underflow 0
		.amdhsa_exception_fp_ieee_inexact 0
		.amdhsa_exception_int_div_zero 0
	.end_amdhsa_kernel
	.section	.text._ZN2at6native12_GLOBAL__N_125multi_tensor_apply_kernelINS1_18TensorListMetadataILi1EEENS1_14UnaryOpFunctorIN3c107complexIdEELi1ELi1ELi0EEEJSt6negateIS8_EEEEvT_T0_DpT1_,"axG",@progbits,_ZN2at6native12_GLOBAL__N_125multi_tensor_apply_kernelINS1_18TensorListMetadataILi1EEENS1_14UnaryOpFunctorIN3c107complexIdEELi1ELi1ELi0EEEJSt6negateIS8_EEEEvT_T0_DpT1_,comdat
.Lfunc_end323:
	.size	_ZN2at6native12_GLOBAL__N_125multi_tensor_apply_kernelINS1_18TensorListMetadataILi1EEENS1_14UnaryOpFunctorIN3c107complexIdEELi1ELi1ELi0EEEJSt6negateIS8_EEEEvT_T0_DpT1_, .Lfunc_end323-_ZN2at6native12_GLOBAL__N_125multi_tensor_apply_kernelINS1_18TensorListMetadataILi1EEENS1_14UnaryOpFunctorIN3c107complexIdEELi1ELi1ELi0EEEJSt6negateIS8_EEEEvT_T0_DpT1_
                                        ; -- End function
	.set _ZN2at6native12_GLOBAL__N_125multi_tensor_apply_kernelINS1_18TensorListMetadataILi1EEENS1_14UnaryOpFunctorIN3c107complexIdEELi1ELi1ELi0EEEJSt6negateIS8_EEEEvT_T0_DpT1_.num_vgpr, 31
	.set _ZN2at6native12_GLOBAL__N_125multi_tensor_apply_kernelINS1_18TensorListMetadataILi1EEENS1_14UnaryOpFunctorIN3c107complexIdEELi1ELi1ELi0EEEJSt6negateIS8_EEEEvT_T0_DpT1_.num_agpr, 0
	.set _ZN2at6native12_GLOBAL__N_125multi_tensor_apply_kernelINS1_18TensorListMetadataILi1EEENS1_14UnaryOpFunctorIN3c107complexIdEELi1ELi1ELi0EEEJSt6negateIS8_EEEEvT_T0_DpT1_.numbered_sgpr, 28
	.set _ZN2at6native12_GLOBAL__N_125multi_tensor_apply_kernelINS1_18TensorListMetadataILi1EEENS1_14UnaryOpFunctorIN3c107complexIdEELi1ELi1ELi0EEEJSt6negateIS8_EEEEvT_T0_DpT1_.num_named_barrier, 0
	.set _ZN2at6native12_GLOBAL__N_125multi_tensor_apply_kernelINS1_18TensorListMetadataILi1EEENS1_14UnaryOpFunctorIN3c107complexIdEELi1ELi1ELi0EEEJSt6negateIS8_EEEEvT_T0_DpT1_.private_seg_size, 0
	.set _ZN2at6native12_GLOBAL__N_125multi_tensor_apply_kernelINS1_18TensorListMetadataILi1EEENS1_14UnaryOpFunctorIN3c107complexIdEELi1ELi1ELi0EEEJSt6negateIS8_EEEEvT_T0_DpT1_.uses_vcc, 1
	.set _ZN2at6native12_GLOBAL__N_125multi_tensor_apply_kernelINS1_18TensorListMetadataILi1EEENS1_14UnaryOpFunctorIN3c107complexIdEELi1ELi1ELi0EEEJSt6negateIS8_EEEEvT_T0_DpT1_.uses_flat_scratch, 0
	.set _ZN2at6native12_GLOBAL__N_125multi_tensor_apply_kernelINS1_18TensorListMetadataILi1EEENS1_14UnaryOpFunctorIN3c107complexIdEELi1ELi1ELi0EEEJSt6negateIS8_EEEEvT_T0_DpT1_.has_dyn_sized_stack, 0
	.set _ZN2at6native12_GLOBAL__N_125multi_tensor_apply_kernelINS1_18TensorListMetadataILi1EEENS1_14UnaryOpFunctorIN3c107complexIdEELi1ELi1ELi0EEEJSt6negateIS8_EEEEvT_T0_DpT1_.has_recursion, 0
	.set _ZN2at6native12_GLOBAL__N_125multi_tensor_apply_kernelINS1_18TensorListMetadataILi1EEENS1_14UnaryOpFunctorIN3c107complexIdEELi1ELi1ELi0EEEJSt6negateIS8_EEEEvT_T0_DpT1_.has_indirect_call, 0
	.section	.AMDGPU.csdata,"",@progbits
; Kernel info:
; codeLenInByte = 1252
; TotalNumSgprs: 32
; NumVgprs: 31
; ScratchSize: 0
; MemoryBound: 1
; FloatMode: 240
; IeeeMode: 1
; LDSByteSize: 0 bytes/workgroup (compile time only)
; SGPRBlocks: 3
; VGPRBlocks: 7
; NumSGPRsForWavesPerEU: 32
; NumVGPRsForWavesPerEU: 31
; Occupancy: 8
; WaveLimiterHint : 0
; COMPUTE_PGM_RSRC2:SCRATCH_EN: 0
; COMPUTE_PGM_RSRC2:USER_SGPR: 6
; COMPUTE_PGM_RSRC2:TRAP_HANDLER: 0
; COMPUTE_PGM_RSRC2:TGID_X_EN: 1
; COMPUTE_PGM_RSRC2:TGID_Y_EN: 0
; COMPUTE_PGM_RSRC2:TGID_Z_EN: 0
; COMPUTE_PGM_RSRC2:TIDIG_COMP_CNT: 0
	.section	.text._ZN2at6native12_GLOBAL__N_125multi_tensor_apply_kernelINS1_18TensorListMetadataILi1EEENS1_14UnaryOpFunctorIN3c107complexIfEELi1ELi1ELi0EEEJSt6negateIS8_EEEEvT_T0_DpT1_,"axG",@progbits,_ZN2at6native12_GLOBAL__N_125multi_tensor_apply_kernelINS1_18TensorListMetadataILi1EEENS1_14UnaryOpFunctorIN3c107complexIfEELi1ELi1ELi0EEEJSt6negateIS8_EEEEvT_T0_DpT1_,comdat
	.globl	_ZN2at6native12_GLOBAL__N_125multi_tensor_apply_kernelINS1_18TensorListMetadataILi1EEENS1_14UnaryOpFunctorIN3c107complexIfEELi1ELi1ELi0EEEJSt6negateIS8_EEEEvT_T0_DpT1_ ; -- Begin function _ZN2at6native12_GLOBAL__N_125multi_tensor_apply_kernelINS1_18TensorListMetadataILi1EEENS1_14UnaryOpFunctorIN3c107complexIfEELi1ELi1ELi0EEEJSt6negateIS8_EEEEvT_T0_DpT1_
	.p2align	8
	.type	_ZN2at6native12_GLOBAL__N_125multi_tensor_apply_kernelINS1_18TensorListMetadataILi1EEENS1_14UnaryOpFunctorIN3c107complexIfEELi1ELi1ELi0EEEJSt6negateIS8_EEEEvT_T0_DpT1_,@function
_ZN2at6native12_GLOBAL__N_125multi_tensor_apply_kernelINS1_18TensorListMetadataILi1EEENS1_14UnaryOpFunctorIN3c107complexIfEELi1ELi1ELi0EEEJSt6negateIS8_EEEEvT_T0_DpT1_: ; @_ZN2at6native12_GLOBAL__N_125multi_tensor_apply_kernelINS1_18TensorListMetadataILi1EEENS1_14UnaryOpFunctorIN3c107complexIfEELi1ELi1ELi0EEEJSt6negateIS8_EEEEvT_T0_DpT1_
; %bb.0:
	v_mov_b32_e32 v1, s6
	global_load_ubyte v1, v1, s[4:5] offset:1760
	s_add_u32 s0, s4, s6
	s_mul_hi_u32 s1, s6, 3
	s_mul_i32 s6, s6, 3
	s_addc_u32 s2, s5, 0
	s_add_u32 s0, s0, s6
	s_addc_u32 s1, s2, s1
	s_load_dword s0, s[0:1], 0x820
	s_mov_b32 s7, 0
	s_waitcnt vmcnt(0)
	v_readfirstlane_b32 s1, v1
	s_lshl_b32 s1, s1, 3
	s_load_dwordx2 s[10:11], s[4:5], s1 offset:0x0
	s_load_dwordx2 s[2:3], s[4:5], s1 offset:0x370
	s_waitcnt lgkmcnt(0)
	s_ashr_i32 s1, s0, 31
	s_lshl_b64 s[12:13], s[0:1], 19
	s_add_u32 s24, s10, s12
	s_addc_u32 s25, s11, s13
	s_lshl_b64 s[0:1], s[0:1], 16
	s_and_b32 s6, s24, 31
	s_sub_u32 s14, s2, s0
	s_subb_u32 s15, s3, s1
	s_and_b32 s0, s2, 3
	s_mov_b32 s1, s7
	s_or_b64 s[0:1], s[6:7], s[0:1]
	s_cmp_eq_u64 s[0:1], 0
	s_cbranch_scc1 .LBB324_21
; %bb.1:
	v_cmp_lt_i64_e64 s[0:1], s[14:15], 1
	s_and_b64 vcc, exec, s[0:1]
	s_cbranch_vccnz .LBB324_20
; %bb.2:
	v_mov_b32_e32 v3, 0x10000
	s_load_dword s2, s[4:5], 0xd3c
	v_mov_b32_e32 v4, 0
	v_cmp_lt_i64_e32 vcc, s[14:15], v[3:4]
	v_mov_b32_e32 v2, 0
	s_and_b64 s[0:1], vcc, exec
	v_cmp_lt_u64_e32 vcc, s[14:15], v[3:4]
	s_cselect_b32 s17, s15, 0
	s_cselect_b32 s16, s14, 0x10000
	s_waitcnt lgkmcnt(0)
	s_and_b32 s2, s2, 0xffff
	s_and_b64 s[0:1], vcc, exec
	s_mul_i32 s6, s2, 3
	v_add_co_u32_e32 v12, vcc, s2, v0
	v_lshlrev_b32_e32 v1, 3, v0
	v_addc_co_u32_e64 v13, s[0:1], 0, 0, vcc
	v_add_co_u32_e32 v14, vcc, s6, v0
	v_mad_u64_u32 v[2:3], s[0:1], s2, 24, v[1:2]
	v_addc_co_u32_e64 v15, s[0:1], 0, 0, vcc
	s_cselect_b32 s19, s15, 0
	s_cselect_b32 s18, s14, 0x10000
	s_lshl_b32 s0, s2, 4
	s_lshl_b32 s3, s2, 1
	v_add_co_u32_e32 v4, vcc, s0, v1
	v_addc_co_u32_e64 v17, s[0:1], 0, 0, vcc
	v_add_co_u32_e32 v19, vcc, s3, v0
	s_lshl_b32 s26, s2, 2
	s_lshl_b32 s27, s2, 5
	v_or_b32_e32 v2, 4, v2
	v_lshlrev_b32_e32 v16, 3, v12
	v_or_b32_e32 v18, 4, v4
	v_addc_co_u32_e64 v20, s[0:1], 0, 0, vcc
	s_mov_b64 s[20:21], 0
	s_branch .LBB324_4
.LBB324_3:                              ;   in Loop: Header=BB324_4 Depth=1
	s_or_b64 exec, exec, s[0:1]
	s_add_u32 s20, s20, s26
	s_waitcnt vmcnt(0)
	v_mov_b32_e32 v4, s16
	s_addc_u32 s21, s21, 0
	v_mov_b32_e32 v5, s17
	v_cmp_lt_i64_e32 vcc, s[20:21], v[4:5]
	s_add_u32 s24, s24, s27
	s_addc_u32 s25, s25, 0
	s_cbranch_vccz .LBB324_20
.LBB324_4:                              ; =>This Inner Loop Header: Depth=1
	v_mov_b32_e32 v5, s21
	v_add_co_u32_e32 v4, vcc, s20, v0
	v_addc_co_u32_e32 v5, vcc, 0, v5, vcc
	v_cmp_gt_u64_e32 vcc, s[18:19], v[4:5]
	v_mov_b32_e32 v7, 0
	v_mov_b32_e32 v6, 0
	s_and_saveexec_b64 s[2:3], vcc
	s_cbranch_execz .LBB324_6
; %bb.5:                                ;   in Loop: Header=BB324_4 Depth=1
	v_mov_b32_e32 v5, s25
	v_add_co_u32_e64 v4, s[0:1], s24, v1
	v_addc_co_u32_e64 v5, s[0:1], 0, v5, s[0:1]
	global_load_dwordx2 v[6:7], v[4:5], off
.LBB324_6:                              ;   in Loop: Header=BB324_4 Depth=1
	s_or_b64 exec, exec, s[2:3]
	v_mov_b32_e32 v5, s21
	v_add_co_u32_e64 v4, s[0:1], s20, v12
	v_addc_co_u32_e64 v5, s[0:1], v13, v5, s[0:1]
	v_cmp_gt_u64_e64 s[0:1], s[18:19], v[4:5]
	v_mov_b32_e32 v5, 0
	v_mov_b32_e32 v9, 0
	;; [unrolled: 1-line block ×3, first 2 shown]
	s_and_saveexec_b64 s[6:7], s[0:1]
	s_cbranch_execz .LBB324_8
; %bb.7:                                ;   in Loop: Header=BB324_4 Depth=1
	v_mov_b32_e32 v4, s25
	v_add_co_u32_e64 v8, s[2:3], s24, v16
	v_addc_co_u32_e64 v9, s[2:3], 0, v4, s[2:3]
	global_load_dwordx2 v[8:9], v[8:9], off
.LBB324_8:                              ;   in Loop: Header=BB324_4 Depth=1
	s_or_b64 exec, exec, s[6:7]
	v_mov_b32_e32 v4, s21
	v_add_co_u32_e64 v10, s[2:3], s20, v19
	v_addc_co_u32_e64 v11, s[2:3], v20, v4, s[2:3]
	v_cmp_gt_u64_e64 s[2:3], s[18:19], v[10:11]
	v_mov_b32_e32 v4, 0
	s_and_saveexec_b64 s[8:9], s[2:3]
	s_cbranch_execz .LBB324_10
; %bb.9:                                ;   in Loop: Header=BB324_4 Depth=1
	v_mov_b32_e32 v5, s25
	v_add_co_u32_e64 v4, s[6:7], s24, v18
	v_addc_co_u32_e64 v5, s[6:7], v5, v17, s[6:7]
	global_load_dwordx2 v[4:5], v[4:5], off offset:-4
.LBB324_10:                             ;   in Loop: Header=BB324_4 Depth=1
	s_or_b64 exec, exec, s[8:9]
	v_mov_b32_e32 v11, s21
	v_add_co_u32_e64 v10, s[6:7], s20, v14
	v_addc_co_u32_e64 v11, s[6:7], v15, v11, s[6:7]
	v_cmp_gt_u64_e64 s[6:7], s[18:19], v[10:11]
	v_mov_b32_e32 v11, 0
	v_mov_b32_e32 v10, 0
	s_and_saveexec_b64 s[22:23], s[6:7]
	s_cbranch_execnz .LBB324_15
; %bb.11:                               ;   in Loop: Header=BB324_4 Depth=1
	s_or_b64 exec, exec, s[22:23]
	s_and_saveexec_b64 s[8:9], vcc
	s_cbranch_execnz .LBB324_16
.LBB324_12:                             ;   in Loop: Header=BB324_4 Depth=1
	s_or_b64 exec, exec, s[8:9]
	s_and_saveexec_b64 s[8:9], s[0:1]
	s_cbranch_execnz .LBB324_17
.LBB324_13:                             ;   in Loop: Header=BB324_4 Depth=1
	s_or_b64 exec, exec, s[8:9]
	s_and_saveexec_b64 s[0:1], s[2:3]
	s_cbranch_execnz .LBB324_18
.LBB324_14:                             ;   in Loop: Header=BB324_4 Depth=1
	s_or_b64 exec, exec, s[0:1]
	s_and_saveexec_b64 s[0:1], s[6:7]
	s_cbranch_execz .LBB324_3
	s_branch .LBB324_19
.LBB324_15:                             ;   in Loop: Header=BB324_4 Depth=1
	v_mov_b32_e32 v11, s25
	v_add_co_u32_e64 v10, s[8:9], s24, v2
	v_addc_co_u32_e64 v11, s[8:9], v11, v3, s[8:9]
	global_load_dwordx2 v[10:11], v[10:11], off offset:-4
	s_or_b64 exec, exec, s[22:23]
	s_and_saveexec_b64 s[8:9], vcc
	s_cbranch_execz .LBB324_12
.LBB324_16:                             ;   in Loop: Header=BB324_4 Depth=1
	v_mov_b32_e32 v22, s25
	v_add_co_u32_e32 v21, vcc, s24, v1
	v_addc_co_u32_e32 v22, vcc, 0, v22, vcc
	s_waitcnt vmcnt(0)
	v_xor_b32_e32 v6, 0x80000000, v6
	v_xor_b32_e32 v7, 0x80000000, v7
	global_store_dwordx2 v[21:22], v[6:7], off
	s_or_b64 exec, exec, s[8:9]
	s_and_saveexec_b64 s[8:9], s[0:1]
	s_cbranch_execz .LBB324_13
.LBB324_17:                             ;   in Loop: Header=BB324_4 Depth=1
	s_waitcnt vmcnt(0)
	v_xor_b32_e32 v6, 0x80000000, v8
	v_xor_b32_e32 v7, 0x80000000, v9
	v_mov_b32_e32 v9, s25
	v_add_co_u32_e32 v8, vcc, s24, v16
	v_addc_co_u32_e32 v9, vcc, 0, v9, vcc
	global_store_dwordx2 v[8:9], v[6:7], off
	s_or_b64 exec, exec, s[8:9]
	s_and_saveexec_b64 s[0:1], s[2:3]
	s_cbranch_execz .LBB324_14
.LBB324_18:                             ;   in Loop: Header=BB324_4 Depth=1
	s_waitcnt vmcnt(0)
	v_mov_b32_e32 v7, s25
	v_add_co_u32_e32 v6, vcc, s24, v18
	v_xor_b32_e32 v4, 0x80000000, v4
	v_xor_b32_e32 v5, 0x80000000, v5
	v_addc_co_u32_e32 v7, vcc, v7, v17, vcc
	global_store_dwordx2 v[6:7], v[4:5], off offset:-4
	s_or_b64 exec, exec, s[0:1]
	s_and_saveexec_b64 s[0:1], s[6:7]
	s_cbranch_execz .LBB324_3
.LBB324_19:                             ;   in Loop: Header=BB324_4 Depth=1
	s_waitcnt vmcnt(0)
	v_mov_b32_e32 v7, s25
	v_add_co_u32_e32 v6, vcc, s24, v2
	v_xor_b32_e32 v4, 0x80000000, v10
	v_xor_b32_e32 v5, 0x80000000, v11
	v_addc_co_u32_e32 v7, vcc, v7, v3, vcc
	global_store_dwordx2 v[6:7], v[4:5], off offset:-4
	s_branch .LBB324_3
.LBB324_20:
	s_cbranch_execz .LBB324_22
	s_branch .LBB324_25
.LBB324_21:
.LBB324_22:
	v_mov_b32_e32 v1, 0x10000
	v_mov_b32_e32 v2, 0
	v_cmp_lt_i64_e32 vcc, s[14:15], v[1:2]
	v_mov_b32_e32 v2, 0
	s_and_b64 s[0:1], vcc, exec
	s_cselect_b32 s1, s15, 0
	s_cselect_b32 s0, s14, 0x10000
	v_lshlrev_b32_e32 v1, 2, v0
	v_cmp_gt_i64_e32 vcc, s[0:1], v[1:2]
	s_and_saveexec_b64 s[2:3], vcc
	s_cbranch_execz .LBB324_25
; %bb.23:
	s_load_dword s2, s[4:5], 0xd3c
	v_mov_b32_e32 v1, v2
	v_lshlrev_b32_e32 v2, 5, v0
	s_waitcnt lgkmcnt(0)
	s_and_b32 s4, s2, 0xffff
	s_add_u32 s2, s10, s12
	s_addc_u32 s3, s11, s13
	v_mov_b32_e32 v3, s3
	v_add_co_u32_e32 v2, vcc, s2, v2
	v_addc_co_u32_e32 v3, vcc, 0, v3, vcc
	s_lshl_b32 s5, s4, 5
	s_mov_b64 s[2:3], 0
.LBB324_24:                             ; =>This Inner Loop Header: Depth=1
	global_load_dwordx4 v[4:7], v[2:3], off
	global_load_dwordx4 v[8:11], v[2:3], off offset:16
	v_add_co_u32_e32 v0, vcc, s4, v0
	v_addc_co_u32_e32 v1, vcc, 0, v1, vcc
	v_lshlrev_b64 v[12:13], 2, v[0:1]
	v_cmp_le_i64_e32 vcc, s[0:1], v[12:13]
	s_or_b64 s[2:3], vcc, s[2:3]
	s_waitcnt vmcnt(1)
	v_xor_b32_e32 v4, 0x80000000, v4
	v_xor_b32_e32 v5, 0x80000000, v5
	;; [unrolled: 1-line block ×4, first 2 shown]
	s_waitcnt vmcnt(0)
	v_xor_b32_e32 v8, 0x80000000, v8
	v_xor_b32_e32 v9, 0x80000000, v9
	;; [unrolled: 1-line block ×4, first 2 shown]
	global_store_dwordx4 v[2:3], v[4:7], off
	global_store_dwordx4 v[2:3], v[8:11], off offset:16
	v_add_co_u32_e32 v2, vcc, s5, v2
	v_addc_co_u32_e32 v3, vcc, 0, v3, vcc
	s_andn2_b64 exec, exec, s[2:3]
	s_cbranch_execnz .LBB324_24
.LBB324_25:
	s_endpgm
	.section	.rodata,"a",@progbits
	.p2align	6, 0x0
	.amdhsa_kernel _ZN2at6native12_GLOBAL__N_125multi_tensor_apply_kernelINS1_18TensorListMetadataILi1EEENS1_14UnaryOpFunctorIN3c107complexIfEELi1ELi1ELi0EEEJSt6negateIS8_EEEEvT_T0_DpT1_
		.amdhsa_group_segment_fixed_size 0
		.amdhsa_private_segment_fixed_size 0
		.amdhsa_kernarg_size 3632
		.amdhsa_user_sgpr_count 6
		.amdhsa_user_sgpr_private_segment_buffer 1
		.amdhsa_user_sgpr_dispatch_ptr 0
		.amdhsa_user_sgpr_queue_ptr 0
		.amdhsa_user_sgpr_kernarg_segment_ptr 1
		.amdhsa_user_sgpr_dispatch_id 0
		.amdhsa_user_sgpr_flat_scratch_init 0
		.amdhsa_user_sgpr_private_segment_size 0
		.amdhsa_uses_dynamic_stack 0
		.amdhsa_system_sgpr_private_segment_wavefront_offset 0
		.amdhsa_system_sgpr_workgroup_id_x 1
		.amdhsa_system_sgpr_workgroup_id_y 0
		.amdhsa_system_sgpr_workgroup_id_z 0
		.amdhsa_system_sgpr_workgroup_info 0
		.amdhsa_system_vgpr_workitem_id 0
		.amdhsa_next_free_vgpr 23
		.amdhsa_next_free_sgpr 28
		.amdhsa_reserve_vcc 1
		.amdhsa_reserve_flat_scratch 0
		.amdhsa_float_round_mode_32 0
		.amdhsa_float_round_mode_16_64 0
		.amdhsa_float_denorm_mode_32 3
		.amdhsa_float_denorm_mode_16_64 3
		.amdhsa_dx10_clamp 1
		.amdhsa_ieee_mode 1
		.amdhsa_fp16_overflow 0
		.amdhsa_exception_fp_ieee_invalid_op 0
		.amdhsa_exception_fp_denorm_src 0
		.amdhsa_exception_fp_ieee_div_zero 0
		.amdhsa_exception_fp_ieee_overflow 0
		.amdhsa_exception_fp_ieee_underflow 0
		.amdhsa_exception_fp_ieee_inexact 0
		.amdhsa_exception_int_div_zero 0
	.end_amdhsa_kernel
	.section	.text._ZN2at6native12_GLOBAL__N_125multi_tensor_apply_kernelINS1_18TensorListMetadataILi1EEENS1_14UnaryOpFunctorIN3c107complexIfEELi1ELi1ELi0EEEJSt6negateIS8_EEEEvT_T0_DpT1_,"axG",@progbits,_ZN2at6native12_GLOBAL__N_125multi_tensor_apply_kernelINS1_18TensorListMetadataILi1EEENS1_14UnaryOpFunctorIN3c107complexIfEELi1ELi1ELi0EEEJSt6negateIS8_EEEEvT_T0_DpT1_,comdat
.Lfunc_end324:
	.size	_ZN2at6native12_GLOBAL__N_125multi_tensor_apply_kernelINS1_18TensorListMetadataILi1EEENS1_14UnaryOpFunctorIN3c107complexIfEELi1ELi1ELi0EEEJSt6negateIS8_EEEEvT_T0_DpT1_, .Lfunc_end324-_ZN2at6native12_GLOBAL__N_125multi_tensor_apply_kernelINS1_18TensorListMetadataILi1EEENS1_14UnaryOpFunctorIN3c107complexIfEELi1ELi1ELi0EEEJSt6negateIS8_EEEEvT_T0_DpT1_
                                        ; -- End function
	.set _ZN2at6native12_GLOBAL__N_125multi_tensor_apply_kernelINS1_18TensorListMetadataILi1EEENS1_14UnaryOpFunctorIN3c107complexIfEELi1ELi1ELi0EEEJSt6negateIS8_EEEEvT_T0_DpT1_.num_vgpr, 23
	.set _ZN2at6native12_GLOBAL__N_125multi_tensor_apply_kernelINS1_18TensorListMetadataILi1EEENS1_14UnaryOpFunctorIN3c107complexIfEELi1ELi1ELi0EEEJSt6negateIS8_EEEEvT_T0_DpT1_.num_agpr, 0
	.set _ZN2at6native12_GLOBAL__N_125multi_tensor_apply_kernelINS1_18TensorListMetadataILi1EEENS1_14UnaryOpFunctorIN3c107complexIfEELi1ELi1ELi0EEEJSt6negateIS8_EEEEvT_T0_DpT1_.numbered_sgpr, 28
	.set _ZN2at6native12_GLOBAL__N_125multi_tensor_apply_kernelINS1_18TensorListMetadataILi1EEENS1_14UnaryOpFunctorIN3c107complexIfEELi1ELi1ELi0EEEJSt6negateIS8_EEEEvT_T0_DpT1_.num_named_barrier, 0
	.set _ZN2at6native12_GLOBAL__N_125multi_tensor_apply_kernelINS1_18TensorListMetadataILi1EEENS1_14UnaryOpFunctorIN3c107complexIfEELi1ELi1ELi0EEEJSt6negateIS8_EEEEvT_T0_DpT1_.private_seg_size, 0
	.set _ZN2at6native12_GLOBAL__N_125multi_tensor_apply_kernelINS1_18TensorListMetadataILi1EEENS1_14UnaryOpFunctorIN3c107complexIfEELi1ELi1ELi0EEEJSt6negateIS8_EEEEvT_T0_DpT1_.uses_vcc, 1
	.set _ZN2at6native12_GLOBAL__N_125multi_tensor_apply_kernelINS1_18TensorListMetadataILi1EEENS1_14UnaryOpFunctorIN3c107complexIfEELi1ELi1ELi0EEEJSt6negateIS8_EEEEvT_T0_DpT1_.uses_flat_scratch, 0
	.set _ZN2at6native12_GLOBAL__N_125multi_tensor_apply_kernelINS1_18TensorListMetadataILi1EEENS1_14UnaryOpFunctorIN3c107complexIfEELi1ELi1ELi0EEEJSt6negateIS8_EEEEvT_T0_DpT1_.has_dyn_sized_stack, 0
	.set _ZN2at6native12_GLOBAL__N_125multi_tensor_apply_kernelINS1_18TensorListMetadataILi1EEENS1_14UnaryOpFunctorIN3c107complexIfEELi1ELi1ELi0EEEJSt6negateIS8_EEEEvT_T0_DpT1_.has_recursion, 0
	.set _ZN2at6native12_GLOBAL__N_125multi_tensor_apply_kernelINS1_18TensorListMetadataILi1EEENS1_14UnaryOpFunctorIN3c107complexIfEELi1ELi1ELi0EEEJSt6negateIS8_EEEEvT_T0_DpT1_.has_indirect_call, 0
	.section	.AMDGPU.csdata,"",@progbits
; Kernel info:
; codeLenInByte = 1180
; TotalNumSgprs: 32
; NumVgprs: 23
; ScratchSize: 0
; MemoryBound: 0
; FloatMode: 240
; IeeeMode: 1
; LDSByteSize: 0 bytes/workgroup (compile time only)
; SGPRBlocks: 3
; VGPRBlocks: 5
; NumSGPRsForWavesPerEU: 32
; NumVGPRsForWavesPerEU: 23
; Occupancy: 10
; WaveLimiterHint : 0
; COMPUTE_PGM_RSRC2:SCRATCH_EN: 0
; COMPUTE_PGM_RSRC2:USER_SGPR: 6
; COMPUTE_PGM_RSRC2:TRAP_HANDLER: 0
; COMPUTE_PGM_RSRC2:TGID_X_EN: 1
; COMPUTE_PGM_RSRC2:TGID_Y_EN: 0
; COMPUTE_PGM_RSRC2:TGID_Z_EN: 0
; COMPUTE_PGM_RSRC2:TIDIG_COMP_CNT: 0
	.section	.text._ZN2at6native12_GLOBAL__N_125multi_tensor_apply_kernelINS1_18TensorListMetadataILi1EEENS1_14UnaryOpFunctorIN3c104HalfELi1ELi1ELi0EEEJSt6negateIfEEEEvT_T0_DpT1_,"axG",@progbits,_ZN2at6native12_GLOBAL__N_125multi_tensor_apply_kernelINS1_18TensorListMetadataILi1EEENS1_14UnaryOpFunctorIN3c104HalfELi1ELi1ELi0EEEJSt6negateIfEEEEvT_T0_DpT1_,comdat
	.globl	_ZN2at6native12_GLOBAL__N_125multi_tensor_apply_kernelINS1_18TensorListMetadataILi1EEENS1_14UnaryOpFunctorIN3c104HalfELi1ELi1ELi0EEEJSt6negateIfEEEEvT_T0_DpT1_ ; -- Begin function _ZN2at6native12_GLOBAL__N_125multi_tensor_apply_kernelINS1_18TensorListMetadataILi1EEENS1_14UnaryOpFunctorIN3c104HalfELi1ELi1ELi0EEEJSt6negateIfEEEEvT_T0_DpT1_
	.p2align	8
	.type	_ZN2at6native12_GLOBAL__N_125multi_tensor_apply_kernelINS1_18TensorListMetadataILi1EEENS1_14UnaryOpFunctorIN3c104HalfELi1ELi1ELi0EEEJSt6negateIfEEEEvT_T0_DpT1_,@function
_ZN2at6native12_GLOBAL__N_125multi_tensor_apply_kernelINS1_18TensorListMetadataILi1EEENS1_14UnaryOpFunctorIN3c104HalfELi1ELi1ELi0EEEJSt6negateIfEEEEvT_T0_DpT1_: ; @_ZN2at6native12_GLOBAL__N_125multi_tensor_apply_kernelINS1_18TensorListMetadataILi1EEENS1_14UnaryOpFunctorIN3c104HalfELi1ELi1ELi0EEEJSt6negateIfEEEEvT_T0_DpT1_
; %bb.0:
	v_mov_b32_e32 v1, s6
	global_load_ubyte v1, v1, s[4:5] offset:1760
	s_add_u32 s0, s4, s6
	s_mul_hi_u32 s1, s6, 3
	s_mul_i32 s6, s6, 3
	s_addc_u32 s2, s5, 0
	s_add_u32 s0, s0, s6
	s_addc_u32 s1, s2, s1
	s_load_dword s0, s[0:1], 0x820
	s_mov_b32 s7, 0
	s_waitcnt vmcnt(0)
	v_readfirstlane_b32 s1, v1
	s_lshl_b32 s1, s1, 3
	s_load_dwordx2 s[2:3], s[4:5], s1 offset:0x370
	s_load_dwordx2 s[10:11], s[4:5], s1 offset:0x0
	s_waitcnt lgkmcnt(0)
	s_ashr_i32 s1, s0, 31
	s_lshl_b64 s[12:13], s[0:1], 17
	s_lshl_b64 s[0:1], s[0:1], 16
	s_and_b32 s6, s10, 7
	s_sub_u32 s14, s2, s0
	s_subb_u32 s15, s3, s1
	s_and_b32 s0, s2, 3
	s_mov_b32 s1, s7
	s_or_b64 s[0:1], s[6:7], s[0:1]
	s_cmp_eq_u64 s[0:1], 0
	s_cbranch_scc1 .LBB325_21
; %bb.1:
	v_cmp_lt_i64_e64 s[0:1], s[14:15], 1
	s_and_b64 vcc, exec, s[0:1]
	s_cbranch_vccnz .LBB325_20
; %bb.2:
	v_mov_b32_e32 v1, 0x10000
	s_load_dword s2, s[4:5], 0xd3c
	v_mov_b32_e32 v2, 0
	v_cmp_lt_i64_e32 vcc, s[14:15], v[1:2]
	s_mov_b64 s[20:21], 0
	s_and_b64 s[0:1], vcc, exec
	v_cmp_lt_u64_e32 vcc, s[14:15], v[1:2]
	s_cselect_b32 s17, s15, 0
	s_cselect_b32 s16, s14, 0x10000
	s_waitcnt lgkmcnt(0)
	s_and_b32 s2, s2, 0xffff
	s_and_b64 s[0:1], vcc, exec
	s_cselect_b32 s19, s15, 0
	s_cselect_b32 s18, s14, 0x10000
	s_lshl_b32 s3, s2, 1
	s_lshl_b32 s24, s2, 2
	s_add_u32 s6, s10, s12
	v_lshlrev_b32_e32 v1, 1, v0
	s_addc_u32 s7, s11, s13
	v_mov_b32_e32 v2, s7
	v_add_co_u32_e32 v1, vcc, s6, v1
	s_mul_i32 s0, s2, 3
	v_addc_co_u32_e32 v2, vcc, 0, v2, vcc
	v_add_co_u32_e32 v5, vcc, s0, v0
	v_addc_co_u32_e64 v6, s[0:1], 0, 0, vcc
	v_add_co_u32_e32 v7, vcc, s3, v0
	v_addc_co_u32_e64 v8, s[0:1], 0, 0, vcc
	v_add_co_u32_e32 v9, vcc, s2, v0
	v_lshlrev_b32_e32 v3, 1, v9
	v_addc_co_u32_e64 v10, s[0:1], 0, 0, vcc
	v_mov_b32_e32 v4, s7
	v_add_co_u32_e32 v3, vcc, s6, v3
	s_lshl_b32 s25, s2, 3
	s_mul_i32 s26, s2, 6
	v_addc_co_u32_e32 v4, vcc, 0, v4, vcc
	s_branch .LBB325_4
.LBB325_3:                              ;   in Loop: Header=BB325_4 Depth=1
	s_or_b64 exec, exec, s[0:1]
	s_add_u32 s20, s20, s24
	v_add_co_u32_e32 v1, vcc, s25, v1
	s_waitcnt vmcnt(0)
	v_mov_b32_e32 v11, s16
	s_addc_u32 s21, s21, 0
	v_addc_co_u32_e32 v2, vcc, 0, v2, vcc
	v_mov_b32_e32 v12, s17
	v_cmp_lt_i64_e32 vcc, s[20:21], v[11:12]
	v_add_co_u32_e64 v3, s[0:1], s25, v3
	v_addc_co_u32_e64 v4, s[0:1], 0, v4, s[0:1]
	s_cbranch_vccz .LBB325_20
.LBB325_4:                              ; =>This Inner Loop Header: Depth=1
	v_mov_b32_e32 v12, s21
	v_add_co_u32_e32 v11, vcc, s20, v0
	v_addc_co_u32_e32 v12, vcc, 0, v12, vcc
	v_cmp_gt_u64_e32 vcc, s[18:19], v[11:12]
	v_mov_b32_e32 v11, 0
	s_and_saveexec_b64 s[0:1], vcc
	s_cbranch_execz .LBB325_6
; %bb.5:                                ;   in Loop: Header=BB325_4 Depth=1
	global_load_ushort v11, v[1:2], off
.LBB325_6:                              ;   in Loop: Header=BB325_4 Depth=1
	s_or_b64 exec, exec, s[0:1]
	v_mov_b32_e32 v13, s21
	v_add_co_u32_e64 v12, s[0:1], s20, v9
	v_addc_co_u32_e64 v13, s[0:1], v10, v13, s[0:1]
	v_cmp_gt_u64_e64 s[0:1], s[18:19], v[12:13]
	v_mov_b32_e32 v12, 0
	v_mov_b32_e32 v13, 0
	s_and_saveexec_b64 s[2:3], s[0:1]
	s_cbranch_execz .LBB325_8
; %bb.7:                                ;   in Loop: Header=BB325_4 Depth=1
	global_load_ushort v13, v[3:4], off
.LBB325_8:                              ;   in Loop: Header=BB325_4 Depth=1
	s_or_b64 exec, exec, s[2:3]
	v_mov_b32_e32 v15, s21
	v_add_co_u32_e64 v14, s[2:3], s20, v7
	v_addc_co_u32_e64 v15, s[2:3], v8, v15, s[2:3]
	v_cmp_gt_u64_e64 s[2:3], s[18:19], v[14:15]
	s_and_saveexec_b64 s[8:9], s[2:3]
	s_cbranch_execz .LBB325_10
; %bb.9:                                ;   in Loop: Header=BB325_4 Depth=1
	v_add_co_u32_e64 v14, s[6:7], s24, v1
	v_addc_co_u32_e64 v15, s[6:7], 0, v2, s[6:7]
	global_load_ushort v12, v[14:15], off
.LBB325_10:                             ;   in Loop: Header=BB325_4 Depth=1
	s_or_b64 exec, exec, s[8:9]
	v_mov_b32_e32 v15, s21
	v_add_co_u32_e64 v14, s[6:7], s20, v5
	v_addc_co_u32_e64 v15, s[6:7], v6, v15, s[6:7]
	v_cmp_gt_u64_e64 s[6:7], s[18:19], v[14:15]
	v_mov_b32_e32 v14, 0
	s_and_saveexec_b64 s[22:23], s[6:7]
	s_cbranch_execnz .LBB325_15
; %bb.11:                               ;   in Loop: Header=BB325_4 Depth=1
	s_or_b64 exec, exec, s[22:23]
	s_and_saveexec_b64 s[8:9], vcc
	s_cbranch_execnz .LBB325_16
.LBB325_12:                             ;   in Loop: Header=BB325_4 Depth=1
	s_or_b64 exec, exec, s[8:9]
	s_and_saveexec_b64 s[8:9], s[0:1]
	s_cbranch_execnz .LBB325_17
.LBB325_13:                             ;   in Loop: Header=BB325_4 Depth=1
	s_or_b64 exec, exec, s[8:9]
	s_and_saveexec_b64 s[0:1], s[2:3]
	s_cbranch_execnz .LBB325_18
.LBB325_14:                             ;   in Loop: Header=BB325_4 Depth=1
	s_or_b64 exec, exec, s[0:1]
	s_and_saveexec_b64 s[0:1], s[6:7]
	s_cbranch_execz .LBB325_3
	s_branch .LBB325_19
.LBB325_15:                             ;   in Loop: Header=BB325_4 Depth=1
	v_add_co_u32_e64 v14, s[8:9], s26, v1
	v_addc_co_u32_e64 v15, s[8:9], 0, v2, s[8:9]
	global_load_ushort v14, v[14:15], off
	s_or_b64 exec, exec, s[22:23]
	s_and_saveexec_b64 s[8:9], vcc
	s_cbranch_execz .LBB325_12
.LBB325_16:                             ;   in Loop: Header=BB325_4 Depth=1
	s_waitcnt vmcnt(0)
	v_xor_b32_e32 v11, 0x8000, v11
	global_store_short v[1:2], v11, off
	s_or_b64 exec, exec, s[8:9]
	s_and_saveexec_b64 s[8:9], s[0:1]
	s_cbranch_execz .LBB325_13
.LBB325_17:                             ;   in Loop: Header=BB325_4 Depth=1
	s_waitcnt vmcnt(0)
	v_xor_b32_e32 v11, 0x8000, v13
	global_store_short v[3:4], v11, off
	s_or_b64 exec, exec, s[8:9]
	s_and_saveexec_b64 s[0:1], s[2:3]
	s_cbranch_execz .LBB325_14
.LBB325_18:                             ;   in Loop: Header=BB325_4 Depth=1
	s_waitcnt vmcnt(0)
	v_add_co_u32_e32 v11, vcc, s24, v1
	v_xor_b32_e32 v13, 0x8000, v12
	v_addc_co_u32_e32 v12, vcc, 0, v2, vcc
	global_store_short v[11:12], v13, off
	s_or_b64 exec, exec, s[0:1]
	s_and_saveexec_b64 s[0:1], s[6:7]
	s_cbranch_execz .LBB325_3
.LBB325_19:                             ;   in Loop: Header=BB325_4 Depth=1
	s_waitcnt vmcnt(0)
	v_add_co_u32_e32 v11, vcc, s26, v1
	v_xor_b32_e32 v13, 0x8000, v14
	v_addc_co_u32_e32 v12, vcc, 0, v2, vcc
	global_store_short v[11:12], v13, off
	s_branch .LBB325_3
.LBB325_20:
	s_cbranch_execz .LBB325_22
	s_branch .LBB325_30
.LBB325_21:
.LBB325_22:
	v_mov_b32_e32 v1, 0x10000
	v_mov_b32_e32 v2, 0
	v_cmp_lt_i64_e32 vcc, s[14:15], v[1:2]
	v_mov_b32_e32 v3, 0
	s_and_b64 s[0:1], vcc, exec
	s_cselect_b32 s3, s15, 0
	s_cselect_b32 s2, s14, 0x10000
	v_lshlrev_b32_e32 v2, 2, v0
	v_cmp_gt_i64_e32 vcc, s[2:3], v[2:3]
	s_and_saveexec_b64 s[0:1], vcc
	s_cbranch_execz .LBB325_30
; %bb.23:
	v_add_u32_e32 v4, 4, v2
	v_mov_b32_e32 v5, v3
	v_cmp_gt_i64_e32 vcc, s[2:3], v[4:5]
	v_mov_b32_e32 v6, s3
	v_cndmask_b32_e32 v5, 0, v6, vcc
	v_mov_b32_e32 v6, s2
	v_cndmask_b32_e32 v4, v4, v6, vcc
	v_add_co_u32_e32 v4, vcc, -4, v4
	v_addc_co_u32_e32 v5, vcc, -1, v5, vcc
	v_cmp_ne_u64_e32 vcc, v[4:5], v[2:3]
	s_load_dword s0, s[4:5], 0xd3c
	v_cndmask_b32_e64 v6, 0, 1, vcc
	v_or_b32_e32 v2, v2, v6
	v_sub_co_u32_e32 v2, vcc, v4, v2
	v_mov_b32_e32 v1, v3
	v_subbrev_co_u32_e32 v3, vcc, 0, v5, vcc
	v_lshrrev_b64 v[2:3], 2, v[2:3]
	s_waitcnt lgkmcnt(0)
	s_and_b32 s8, s0, 0xffff
	v_add_co_u32_e32 v2, vcc, v2, v6
	v_addc_co_u32_e32 v3, vcc, 0, v3, vcc
	v_cmp_ne_u64_e32 vcc, 0, v[2:3]
	s_cmp_eq_u32 s8, 1
	s_cselect_b64 s[4:5], -1, 0
	s_mov_b64 s[0:1], 0
	s_and_b64 s[14:15], vcc, s[4:5]
	s_mov_b64 s[6:7], -1
	s_and_saveexec_b64 s[4:5], s[14:15]
	s_cbranch_execz .LBB325_27
; %bb.24:
	v_add_co_u32_e32 v1, vcc, 1, v2
	s_add_u32 s6, s10, s12
	v_addc_co_u32_e32 v2, vcc, 0, v3, vcc
	v_lshlrev_b32_e32 v5, 3, v0
	s_addc_u32 s7, s11, s13
	v_mov_b32_e32 v6, s7
	v_add_co_u32_e32 v5, vcc, s6, v5
	v_mov_b32_e32 v4, v2
	v_addc_co_u32_e32 v6, vcc, 0, v6, vcc
	v_and_b32_e32 v3, -2, v1
	v_add_co_u32_e32 v5, vcc, 8, v5
	v_mov_b32_e32 v8, v4
	v_addc_co_u32_e32 v6, vcc, 0, v6, vcc
	s_mov_b32 s6, 0x8000
	s_mov_b32 s7, 0x5040100
	v_mov_b32_e32 v7, v3
.LBB325_25:                             ; =>This Inner Loop Header: Depth=1
	global_load_dwordx4 v[9:12], v[5:6], off offset:-8
	v_add_co_u32_e32 v7, vcc, -2, v7
	v_addc_co_u32_e32 v8, vcc, -1, v8, vcc
	v_cmp_eq_u64_e32 vcc, 0, v[7:8]
	s_or_b64 s[0:1], vcc, s[0:1]
	s_waitcnt vmcnt(0)
	v_xor_b32_e32 v13, 0x8000, v11
	v_xor_b32_sdwa v11, s6, v11 dst_sel:DWORD dst_unused:UNUSED_PAD src0_sel:DWORD src1_sel:WORD_1
	v_xor_b32_e32 v14, 0x8000, v12
	v_xor_b32_sdwa v12, s6, v12 dst_sel:DWORD dst_unused:UNUSED_PAD src0_sel:DWORD src1_sel:WORD_1
	;; [unrolled: 2-line block ×4, first 2 shown]
	v_perm_b32 v11, v11, v13, s7
	v_perm_b32 v12, v12, v14, s7
	v_perm_b32 v10, v10, v15, s7
	v_perm_b32 v9, v9, v16, s7
	global_store_dwordx4 v[5:6], v[9:12], off offset:-8
	v_add_co_u32_e32 v5, vcc, 16, v5
	v_addc_co_u32_e32 v6, vcc, 0, v6, vcc
	s_andn2_b64 exec, exec, s[0:1]
	s_cbranch_execnz .LBB325_25
; %bb.26:
	s_or_b64 exec, exec, s[0:1]
	v_cmp_ne_u64_e32 vcc, v[1:2], v[3:4]
	v_add_co_u32_e64 v0, s[0:1], v3, v0
	v_addc_co_u32_e64 v1, s[0:1], 0, v4, s[0:1]
	s_orn2_b64 s[6:7], vcc, exec
.LBB325_27:
	s_or_b64 exec, exec, s[4:5]
	s_and_b64 exec, exec, s[6:7]
	s_cbranch_execz .LBB325_30
; %bb.28:
	v_lshlrev_b64 v[2:3], 3, v[0:1]
	s_add_u32 s0, s10, s12
	s_addc_u32 s1, s11, s13
	v_mov_b32_e32 v4, s1
	v_add_co_u32_e32 v2, vcc, s0, v2
	v_addc_co_u32_e32 v3, vcc, v4, v3, vcc
	v_add_co_u32_e32 v2, vcc, 4, v2
	v_addc_co_u32_e32 v3, vcc, 0, v3, vcc
	s_lshl_b32 s4, s8, 3
	s_mov_b64 s[0:1], 0
.LBB325_29:                             ; =>This Inner Loop Header: Depth=1
	global_load_dwordx2 v[4:5], v[2:3], off offset:-4
	v_add_co_u32_e32 v0, vcc, s8, v0
	v_addc_co_u32_e32 v1, vcc, 0, v1, vcc
	v_lshlrev_b64 v[6:7], 2, v[0:1]
	v_cmp_le_i64_e32 vcc, s[2:3], v[6:7]
	s_or_b64 s[0:1], vcc, s[0:1]
	s_waitcnt vmcnt(0)
	v_xor_b32_e32 v4, 0x80008000, v4
	v_xor_b32_e32 v5, 0x80008000, v5
	global_store_dwordx2 v[2:3], v[4:5], off offset:-4
	v_add_co_u32_e32 v2, vcc, s4, v2
	v_addc_co_u32_e32 v3, vcc, 0, v3, vcc
	s_andn2_b64 exec, exec, s[0:1]
	s_cbranch_execnz .LBB325_29
.LBB325_30:
	s_endpgm
	.section	.rodata,"a",@progbits
	.p2align	6, 0x0
	.amdhsa_kernel _ZN2at6native12_GLOBAL__N_125multi_tensor_apply_kernelINS1_18TensorListMetadataILi1EEENS1_14UnaryOpFunctorIN3c104HalfELi1ELi1ELi0EEEJSt6negateIfEEEEvT_T0_DpT1_
		.amdhsa_group_segment_fixed_size 0
		.amdhsa_private_segment_fixed_size 0
		.amdhsa_kernarg_size 3632
		.amdhsa_user_sgpr_count 6
		.amdhsa_user_sgpr_private_segment_buffer 1
		.amdhsa_user_sgpr_dispatch_ptr 0
		.amdhsa_user_sgpr_queue_ptr 0
		.amdhsa_user_sgpr_kernarg_segment_ptr 1
		.amdhsa_user_sgpr_dispatch_id 0
		.amdhsa_user_sgpr_flat_scratch_init 0
		.amdhsa_user_sgpr_private_segment_size 0
		.amdhsa_uses_dynamic_stack 0
		.amdhsa_system_sgpr_private_segment_wavefront_offset 0
		.amdhsa_system_sgpr_workgroup_id_x 1
		.amdhsa_system_sgpr_workgroup_id_y 0
		.amdhsa_system_sgpr_workgroup_id_z 0
		.amdhsa_system_sgpr_workgroup_info 0
		.amdhsa_system_vgpr_workitem_id 0
		.amdhsa_next_free_vgpr 17
		.amdhsa_next_free_sgpr 27
		.amdhsa_reserve_vcc 1
		.amdhsa_reserve_flat_scratch 0
		.amdhsa_float_round_mode_32 0
		.amdhsa_float_round_mode_16_64 0
		.amdhsa_float_denorm_mode_32 3
		.amdhsa_float_denorm_mode_16_64 3
		.amdhsa_dx10_clamp 1
		.amdhsa_ieee_mode 1
		.amdhsa_fp16_overflow 0
		.amdhsa_exception_fp_ieee_invalid_op 0
		.amdhsa_exception_fp_denorm_src 0
		.amdhsa_exception_fp_ieee_div_zero 0
		.amdhsa_exception_fp_ieee_overflow 0
		.amdhsa_exception_fp_ieee_underflow 0
		.amdhsa_exception_fp_ieee_inexact 0
		.amdhsa_exception_int_div_zero 0
	.end_amdhsa_kernel
	.section	.text._ZN2at6native12_GLOBAL__N_125multi_tensor_apply_kernelINS1_18TensorListMetadataILi1EEENS1_14UnaryOpFunctorIN3c104HalfELi1ELi1ELi0EEEJSt6negateIfEEEEvT_T0_DpT1_,"axG",@progbits,_ZN2at6native12_GLOBAL__N_125multi_tensor_apply_kernelINS1_18TensorListMetadataILi1EEENS1_14UnaryOpFunctorIN3c104HalfELi1ELi1ELi0EEEJSt6negateIfEEEEvT_T0_DpT1_,comdat
.Lfunc_end325:
	.size	_ZN2at6native12_GLOBAL__N_125multi_tensor_apply_kernelINS1_18TensorListMetadataILi1EEENS1_14UnaryOpFunctorIN3c104HalfELi1ELi1ELi0EEEJSt6negateIfEEEEvT_T0_DpT1_, .Lfunc_end325-_ZN2at6native12_GLOBAL__N_125multi_tensor_apply_kernelINS1_18TensorListMetadataILi1EEENS1_14UnaryOpFunctorIN3c104HalfELi1ELi1ELi0EEEJSt6negateIfEEEEvT_T0_DpT1_
                                        ; -- End function
	.set _ZN2at6native12_GLOBAL__N_125multi_tensor_apply_kernelINS1_18TensorListMetadataILi1EEENS1_14UnaryOpFunctorIN3c104HalfELi1ELi1ELi0EEEJSt6negateIfEEEEvT_T0_DpT1_.num_vgpr, 17
	.set _ZN2at6native12_GLOBAL__N_125multi_tensor_apply_kernelINS1_18TensorListMetadataILi1EEENS1_14UnaryOpFunctorIN3c104HalfELi1ELi1ELi0EEEJSt6negateIfEEEEvT_T0_DpT1_.num_agpr, 0
	.set _ZN2at6native12_GLOBAL__N_125multi_tensor_apply_kernelINS1_18TensorListMetadataILi1EEENS1_14UnaryOpFunctorIN3c104HalfELi1ELi1ELi0EEEJSt6negateIfEEEEvT_T0_DpT1_.numbered_sgpr, 27
	.set _ZN2at6native12_GLOBAL__N_125multi_tensor_apply_kernelINS1_18TensorListMetadataILi1EEENS1_14UnaryOpFunctorIN3c104HalfELi1ELi1ELi0EEEJSt6negateIfEEEEvT_T0_DpT1_.num_named_barrier, 0
	.set _ZN2at6native12_GLOBAL__N_125multi_tensor_apply_kernelINS1_18TensorListMetadataILi1EEENS1_14UnaryOpFunctorIN3c104HalfELi1ELi1ELi0EEEJSt6negateIfEEEEvT_T0_DpT1_.private_seg_size, 0
	.set _ZN2at6native12_GLOBAL__N_125multi_tensor_apply_kernelINS1_18TensorListMetadataILi1EEENS1_14UnaryOpFunctorIN3c104HalfELi1ELi1ELi0EEEJSt6negateIfEEEEvT_T0_DpT1_.uses_vcc, 1
	.set _ZN2at6native12_GLOBAL__N_125multi_tensor_apply_kernelINS1_18TensorListMetadataILi1EEENS1_14UnaryOpFunctorIN3c104HalfELi1ELi1ELi0EEEJSt6negateIfEEEEvT_T0_DpT1_.uses_flat_scratch, 0
	.set _ZN2at6native12_GLOBAL__N_125multi_tensor_apply_kernelINS1_18TensorListMetadataILi1EEENS1_14UnaryOpFunctorIN3c104HalfELi1ELi1ELi0EEEJSt6negateIfEEEEvT_T0_DpT1_.has_dyn_sized_stack, 0
	.set _ZN2at6native12_GLOBAL__N_125multi_tensor_apply_kernelINS1_18TensorListMetadataILi1EEENS1_14UnaryOpFunctorIN3c104HalfELi1ELi1ELi0EEEJSt6negateIfEEEEvT_T0_DpT1_.has_recursion, 0
	.set _ZN2at6native12_GLOBAL__N_125multi_tensor_apply_kernelINS1_18TensorListMetadataILi1EEENS1_14UnaryOpFunctorIN3c104HalfELi1ELi1ELi0EEEJSt6negateIfEEEEvT_T0_DpT1_.has_indirect_call, 0
	.section	.AMDGPU.csdata,"",@progbits
; Kernel info:
; codeLenInByte = 1372
; TotalNumSgprs: 31
; NumVgprs: 17
; ScratchSize: 0
; MemoryBound: 0
; FloatMode: 240
; IeeeMode: 1
; LDSByteSize: 0 bytes/workgroup (compile time only)
; SGPRBlocks: 3
; VGPRBlocks: 4
; NumSGPRsForWavesPerEU: 31
; NumVGPRsForWavesPerEU: 17
; Occupancy: 10
; WaveLimiterHint : 0
; COMPUTE_PGM_RSRC2:SCRATCH_EN: 0
; COMPUTE_PGM_RSRC2:USER_SGPR: 6
; COMPUTE_PGM_RSRC2:TRAP_HANDLER: 0
; COMPUTE_PGM_RSRC2:TGID_X_EN: 1
; COMPUTE_PGM_RSRC2:TGID_Y_EN: 0
; COMPUTE_PGM_RSRC2:TGID_Z_EN: 0
; COMPUTE_PGM_RSRC2:TIDIG_COMP_CNT: 0
	.section	.text._ZN2at6native12_GLOBAL__N_125multi_tensor_apply_kernelINS1_18TensorListMetadataILi1EEENS1_14UnaryOpFunctorIN3c108BFloat16ELi1ELi1ELi0EEEJSt6negateIfEEEEvT_T0_DpT1_,"axG",@progbits,_ZN2at6native12_GLOBAL__N_125multi_tensor_apply_kernelINS1_18TensorListMetadataILi1EEENS1_14UnaryOpFunctorIN3c108BFloat16ELi1ELi1ELi0EEEJSt6negateIfEEEEvT_T0_DpT1_,comdat
	.globl	_ZN2at6native12_GLOBAL__N_125multi_tensor_apply_kernelINS1_18TensorListMetadataILi1EEENS1_14UnaryOpFunctorIN3c108BFloat16ELi1ELi1ELi0EEEJSt6negateIfEEEEvT_T0_DpT1_ ; -- Begin function _ZN2at6native12_GLOBAL__N_125multi_tensor_apply_kernelINS1_18TensorListMetadataILi1EEENS1_14UnaryOpFunctorIN3c108BFloat16ELi1ELi1ELi0EEEJSt6negateIfEEEEvT_T0_DpT1_
	.p2align	8
	.type	_ZN2at6native12_GLOBAL__N_125multi_tensor_apply_kernelINS1_18TensorListMetadataILi1EEENS1_14UnaryOpFunctorIN3c108BFloat16ELi1ELi1ELi0EEEJSt6negateIfEEEEvT_T0_DpT1_,@function
_ZN2at6native12_GLOBAL__N_125multi_tensor_apply_kernelINS1_18TensorListMetadataILi1EEENS1_14UnaryOpFunctorIN3c108BFloat16ELi1ELi1ELi0EEEJSt6negateIfEEEEvT_T0_DpT1_: ; @_ZN2at6native12_GLOBAL__N_125multi_tensor_apply_kernelINS1_18TensorListMetadataILi1EEENS1_14UnaryOpFunctorIN3c108BFloat16ELi1ELi1ELi0EEEJSt6negateIfEEEEvT_T0_DpT1_
; %bb.0:
	v_mov_b32_e32 v1, s6
	global_load_ubyte v1, v1, s[4:5] offset:1760
	s_add_u32 s0, s4, s6
	s_mul_hi_u32 s1, s6, 3
	s_mul_i32 s6, s6, 3
	s_addc_u32 s2, s5, 0
	s_add_u32 s0, s0, s6
	s_addc_u32 s1, s2, s1
	s_load_dword s0, s[0:1], 0x820
	s_mov_b32 s7, 0
	s_waitcnt vmcnt(0)
	v_readfirstlane_b32 s1, v1
	s_lshl_b32 s1, s1, 3
	s_load_dwordx2 s[2:3], s[4:5], s1 offset:0x370
	s_load_dwordx2 s[10:11], s[4:5], s1 offset:0x0
	s_waitcnt lgkmcnt(0)
	s_ashr_i32 s1, s0, 31
	s_lshl_b64 s[12:13], s[0:1], 17
	s_lshl_b64 s[0:1], s[0:1], 16
	s_and_b32 s6, s10, 7
	s_sub_u32 s14, s2, s0
	s_subb_u32 s15, s3, s1
	s_and_b32 s0, s2, 3
	s_mov_b32 s1, s7
	s_or_b64 s[0:1], s[6:7], s[0:1]
	s_cmp_eq_u64 s[0:1], 0
	s_cbranch_scc1 .LBB326_21
; %bb.1:
	v_cmp_lt_i64_e64 s[0:1], s[14:15], 1
	s_and_b64 vcc, exec, s[0:1]
	s_cbranch_vccnz .LBB326_20
; %bb.2:
	v_mov_b32_e32 v1, 0x10000
	s_load_dword s2, s[4:5], 0xd3c
	v_mov_b32_e32 v2, 0
	v_cmp_lt_i64_e32 vcc, s[14:15], v[1:2]
	s_mov_b64 s[20:21], 0
	s_and_b64 s[0:1], vcc, exec
	v_cmp_lt_u64_e32 vcc, s[14:15], v[1:2]
	s_cselect_b32 s17, s15, 0
	s_cselect_b32 s16, s14, 0x10000
	s_waitcnt lgkmcnt(0)
	s_and_b32 s2, s2, 0xffff
	s_and_b64 s[0:1], vcc, exec
	s_cselect_b32 s19, s15, 0
	s_cselect_b32 s18, s14, 0x10000
	s_lshl_b32 s3, s2, 1
	s_lshl_b32 s24, s2, 2
	s_add_u32 s6, s10, s12
	v_lshlrev_b32_e32 v1, 1, v0
	s_addc_u32 s7, s11, s13
	v_mov_b32_e32 v2, s7
	v_add_co_u32_e32 v1, vcc, s6, v1
	s_mul_i32 s0, s2, 3
	v_addc_co_u32_e32 v2, vcc, 0, v2, vcc
	v_add_co_u32_e32 v5, vcc, s0, v0
	v_addc_co_u32_e64 v6, s[0:1], 0, 0, vcc
	v_add_co_u32_e32 v7, vcc, s3, v0
	v_addc_co_u32_e64 v8, s[0:1], 0, 0, vcc
	v_add_co_u32_e32 v9, vcc, s2, v0
	v_lshlrev_b32_e32 v3, 1, v9
	v_addc_co_u32_e64 v10, s[0:1], 0, 0, vcc
	v_mov_b32_e32 v4, s7
	v_add_co_u32_e32 v3, vcc, s6, v3
	s_lshl_b32 s25, s2, 3
	s_mul_i32 s26, s2, 6
	v_addc_co_u32_e32 v4, vcc, 0, v4, vcc
	s_movk_i32 s27, 0x7fff
	v_mov_b32_e32 v11, 0x7fc0
	s_branch .LBB326_4
.LBB326_3:                              ;   in Loop: Header=BB326_4 Depth=1
	s_or_b64 exec, exec, s[0:1]
	s_add_u32 s20, s20, s24
	v_add_co_u32_e32 v1, vcc, s25, v1
	v_mov_b32_e32 v12, s16
	s_addc_u32 s21, s21, 0
	v_addc_co_u32_e32 v2, vcc, 0, v2, vcc
	v_mov_b32_e32 v13, s17
	v_cmp_lt_i64_e32 vcc, s[20:21], v[12:13]
	v_add_co_u32_e64 v3, s[0:1], s25, v3
	v_addc_co_u32_e64 v4, s[0:1], 0, v4, s[0:1]
	s_cbranch_vccz .LBB326_20
.LBB326_4:                              ; =>This Inner Loop Header: Depth=1
	v_mov_b32_e32 v13, s21
	v_add_co_u32_e32 v12, vcc, s20, v0
	v_addc_co_u32_e32 v13, vcc, 0, v13, vcc
	v_cmp_gt_u64_e32 vcc, s[18:19], v[12:13]
	v_mov_b32_e32 v13, 0
	s_and_saveexec_b64 s[0:1], vcc
	s_cbranch_execz .LBB326_6
; %bb.5:                                ;   in Loop: Header=BB326_4 Depth=1
	global_load_ushort v12, v[1:2], off
	s_waitcnt vmcnt(0)
	v_lshlrev_b32_e32 v13, 16, v12
.LBB326_6:                              ;   in Loop: Header=BB326_4 Depth=1
	s_or_b64 exec, exec, s[0:1]
	v_mov_b32_e32 v12, s21
	v_add_co_u32_e64 v14, s[0:1], s20, v9
	v_addc_co_u32_e64 v15, s[0:1], v10, v12, s[0:1]
	v_cmp_gt_u64_e64 s[0:1], s[18:19], v[14:15]
	v_mov_b32_e32 v12, 0
	v_mov_b32_e32 v14, 0
	s_and_saveexec_b64 s[2:3], s[0:1]
	s_cbranch_execz .LBB326_8
; %bb.7:                                ;   in Loop: Header=BB326_4 Depth=1
	global_load_ushort v14, v[3:4], off
	s_waitcnt vmcnt(0)
	v_lshlrev_b32_e32 v14, 16, v14
.LBB326_8:                              ;   in Loop: Header=BB326_4 Depth=1
	s_or_b64 exec, exec, s[2:3]
	v_mov_b32_e32 v16, s21
	v_add_co_u32_e64 v15, s[2:3], s20, v7
	v_addc_co_u32_e64 v16, s[2:3], v8, v16, s[2:3]
	v_cmp_gt_u64_e64 s[2:3], s[18:19], v[15:16]
	s_and_saveexec_b64 s[8:9], s[2:3]
	s_cbranch_execz .LBB326_10
; %bb.9:                                ;   in Loop: Header=BB326_4 Depth=1
	v_add_co_u32_e64 v15, s[6:7], s24, v1
	v_addc_co_u32_e64 v16, s[6:7], 0, v2, s[6:7]
	global_load_ushort v12, v[15:16], off
	s_waitcnt vmcnt(0)
	v_lshlrev_b32_e32 v12, 16, v12
.LBB326_10:                             ;   in Loop: Header=BB326_4 Depth=1
	s_or_b64 exec, exec, s[8:9]
	v_mov_b32_e32 v16, s21
	v_add_co_u32_e64 v15, s[6:7], s20, v5
	v_addc_co_u32_e64 v16, s[6:7], v6, v16, s[6:7]
	v_cmp_gt_u64_e64 s[6:7], s[18:19], v[15:16]
	v_mov_b32_e32 v15, 0
	s_and_saveexec_b64 s[22:23], s[6:7]
	s_cbranch_execnz .LBB326_15
; %bb.11:                               ;   in Loop: Header=BB326_4 Depth=1
	s_or_b64 exec, exec, s[22:23]
	s_and_saveexec_b64 s[8:9], vcc
	s_cbranch_execnz .LBB326_16
.LBB326_12:                             ;   in Loop: Header=BB326_4 Depth=1
	s_or_b64 exec, exec, s[8:9]
	s_and_saveexec_b64 s[8:9], s[0:1]
	s_cbranch_execnz .LBB326_17
.LBB326_13:                             ;   in Loop: Header=BB326_4 Depth=1
	s_or_b64 exec, exec, s[8:9]
	s_and_saveexec_b64 s[0:1], s[2:3]
	s_cbranch_execnz .LBB326_18
.LBB326_14:                             ;   in Loop: Header=BB326_4 Depth=1
	s_or_b64 exec, exec, s[0:1]
	s_and_saveexec_b64 s[0:1], s[6:7]
	s_cbranch_execz .LBB326_3
	s_branch .LBB326_19
.LBB326_15:                             ;   in Loop: Header=BB326_4 Depth=1
	v_add_co_u32_e64 v15, s[8:9], s26, v1
	v_addc_co_u32_e64 v16, s[8:9], 0, v2, s[8:9]
	global_load_ushort v15, v[15:16], off
	s_waitcnt vmcnt(0)
	v_lshlrev_b32_e32 v15, 16, v15
	s_or_b64 exec, exec, s[22:23]
	s_and_saveexec_b64 s[8:9], vcc
	s_cbranch_execz .LBB326_12
.LBB326_16:                             ;   in Loop: Header=BB326_4 Depth=1
	v_xor_b32_e32 v16, 0x80000000, v13
	v_bfe_u32 v17, v16, 16, 1
	v_add3_u32 v16, v16, v17, s27
	v_cmp_o_f32_e32 vcc, v13, v13
	v_cndmask_b32_sdwa v13, v11, v16, vcc dst_sel:DWORD dst_unused:UNUSED_PAD src0_sel:DWORD src1_sel:WORD_1
	global_store_short v[1:2], v13, off
	s_or_b64 exec, exec, s[8:9]
	s_and_saveexec_b64 s[8:9], s[0:1]
	s_cbranch_execz .LBB326_13
.LBB326_17:                             ;   in Loop: Header=BB326_4 Depth=1
	v_xor_b32_e32 v13, 0x80000000, v14
	v_bfe_u32 v16, v13, 16, 1
	v_add3_u32 v13, v13, v16, s27
	v_cmp_o_f32_e32 vcc, v14, v14
	v_cndmask_b32_sdwa v13, v11, v13, vcc dst_sel:DWORD dst_unused:UNUSED_PAD src0_sel:DWORD src1_sel:WORD_1
	global_store_short v[3:4], v13, off
	s_or_b64 exec, exec, s[8:9]
	s_and_saveexec_b64 s[0:1], s[2:3]
	s_cbranch_execz .LBB326_14
.LBB326_18:                             ;   in Loop: Header=BB326_4 Depth=1
	v_xor_b32_e32 v13, 0x80000000, v12
	v_bfe_u32 v14, v13, 16, 1
	v_add3_u32 v13, v13, v14, s27
	v_cmp_o_f32_e32 vcc, v12, v12
	v_cndmask_b32_sdwa v14, v11, v13, vcc dst_sel:DWORD dst_unused:UNUSED_PAD src0_sel:DWORD src1_sel:WORD_1
	v_add_co_u32_e32 v12, vcc, s24, v1
	v_addc_co_u32_e32 v13, vcc, 0, v2, vcc
	global_store_short v[12:13], v14, off
	s_or_b64 exec, exec, s[0:1]
	s_and_saveexec_b64 s[0:1], s[6:7]
	s_cbranch_execz .LBB326_3
.LBB326_19:                             ;   in Loop: Header=BB326_4 Depth=1
	v_xor_b32_e32 v12, 0x80000000, v15
	v_bfe_u32 v13, v12, 16, 1
	v_add3_u32 v12, v12, v13, s27
	v_cmp_o_f32_e32 vcc, v15, v15
	v_cndmask_b32_sdwa v14, v11, v12, vcc dst_sel:DWORD dst_unused:UNUSED_PAD src0_sel:DWORD src1_sel:WORD_1
	v_add_co_u32_e32 v12, vcc, s26, v1
	v_addc_co_u32_e32 v13, vcc, 0, v2, vcc
	global_store_short v[12:13], v14, off
	s_branch .LBB326_3
.LBB326_20:
	s_cbranch_execz .LBB326_22
	s_branch .LBB326_25
.LBB326_21:
.LBB326_22:
	v_mov_b32_e32 v1, 0x10000
	v_mov_b32_e32 v2, 0
	v_cmp_lt_i64_e32 vcc, s[14:15], v[1:2]
	v_mov_b32_e32 v2, 0
	s_and_b64 s[0:1], vcc, exec
	s_cselect_b32 s1, s15, 0
	s_cselect_b32 s0, s14, 0x10000
	v_lshlrev_b32_e32 v1, 2, v0
	v_cmp_gt_i64_e32 vcc, s[0:1], v[1:2]
	s_and_saveexec_b64 s[2:3], vcc
	s_cbranch_execz .LBB326_25
; %bb.23:
	s_load_dword s2, s[4:5], 0xd3c
	v_mov_b32_e32 v1, v2
	v_lshlrev_b32_e32 v2, 3, v0
	s_movk_i32 s6, 0x7fff
	v_mov_b32_e32 v4, 0x7fc00000
	s_waitcnt lgkmcnt(0)
	s_and_b32 s4, s2, 0xffff
	s_add_u32 s2, s10, s12
	s_addc_u32 s3, s11, s13
	v_mov_b32_e32 v3, s3
	v_add_co_u32_e32 v2, vcc, s2, v2
	v_addc_co_u32_e32 v3, vcc, 0, v3, vcc
	s_lshl_b32 s5, s4, 3
	s_mov_b64 s[2:3], 0
	v_mov_b32_e32 v5, 0x7fc0
.LBB326_24:                             ; =>This Inner Loop Header: Depth=1
	global_load_dwordx2 v[6:7], v[2:3], off
	v_add_co_u32_e32 v0, vcc, s4, v0
	v_addc_co_u32_e32 v1, vcc, 0, v1, vcc
	v_lshlrev_b64 v[8:9], 2, v[0:1]
	v_cmp_le_i64_e32 vcc, s[0:1], v[8:9]
	s_or_b64 s[2:3], vcc, s[2:3]
	s_waitcnt vmcnt(0)
	v_and_b32_e32 v8, 0xffff0000, v6
	v_lshlrev_b32_e32 v9, 16, v6
	v_alignbit_b32 v6, v7, v6, 16
	v_and_b32_e32 v7, 0xffff0000, v7
	v_xor_b32_e32 v12, 0x80000000, v7
	v_xor_b32_e32 v11, 0x80000000, v8
	v_bfe_u32 v16, v12, 16, 1
	v_xor_b32_e32 v10, 0x80000000, v9
	v_and_b32_e32 v6, 0xffff0000, v6
	v_bfe_u32 v14, v11, 16, 1
	v_add3_u32 v12, v12, v16, s6
	v_bfe_u32 v13, v10, 16, 1
	v_xor_b32_e32 v15, 0x80000000, v6
	v_add3_u32 v11, v11, v14, s6
	v_and_b32_e32 v12, 0xffff0000, v12
	v_cmp_o_f32_e32 vcc, v7, v7
	v_add3_u32 v10, v10, v13, s6
	v_bfe_u32 v13, v15, 16, 1
	v_and_b32_e32 v11, 0xffff0000, v11
	v_cndmask_b32_e32 v7, v4, v12, vcc
	v_cmp_o_f32_e32 vcc, v8, v8
	v_lshrrev_b32_e32 v10, 16, v10
	v_add3_u32 v13, v15, v13, s6
	v_cndmask_b32_e32 v8, v4, v11, vcc
	v_cmp_o_f32_e32 vcc, v9, v9
	v_lshrrev_b32_e32 v13, 16, v13
	v_cndmask_b32_e32 v9, v5, v10, vcc
	v_cmp_o_f32_e32 vcc, v6, v6
	v_cndmask_b32_e32 v6, v5, v13, vcc
	v_or_b32_e32 v8, v9, v8
	v_or3_b32 v7, 0, v6, v7
	v_or3_b32 v6, v8, 0, 0
	global_store_dwordx2 v[2:3], v[6:7], off
	v_add_co_u32_e32 v2, vcc, s5, v2
	v_addc_co_u32_e32 v3, vcc, 0, v3, vcc
	s_andn2_b64 exec, exec, s[2:3]
	s_cbranch_execnz .LBB326_24
.LBB326_25:
	s_endpgm
	.section	.rodata,"a",@progbits
	.p2align	6, 0x0
	.amdhsa_kernel _ZN2at6native12_GLOBAL__N_125multi_tensor_apply_kernelINS1_18TensorListMetadataILi1EEENS1_14UnaryOpFunctorIN3c108BFloat16ELi1ELi1ELi0EEEJSt6negateIfEEEEvT_T0_DpT1_
		.amdhsa_group_segment_fixed_size 0
		.amdhsa_private_segment_fixed_size 0
		.amdhsa_kernarg_size 3632
		.amdhsa_user_sgpr_count 6
		.amdhsa_user_sgpr_private_segment_buffer 1
		.amdhsa_user_sgpr_dispatch_ptr 0
		.amdhsa_user_sgpr_queue_ptr 0
		.amdhsa_user_sgpr_kernarg_segment_ptr 1
		.amdhsa_user_sgpr_dispatch_id 0
		.amdhsa_user_sgpr_flat_scratch_init 0
		.amdhsa_user_sgpr_private_segment_size 0
		.amdhsa_uses_dynamic_stack 0
		.amdhsa_system_sgpr_private_segment_wavefront_offset 0
		.amdhsa_system_sgpr_workgroup_id_x 1
		.amdhsa_system_sgpr_workgroup_id_y 0
		.amdhsa_system_sgpr_workgroup_id_z 0
		.amdhsa_system_sgpr_workgroup_info 0
		.amdhsa_system_vgpr_workitem_id 0
		.amdhsa_next_free_vgpr 18
		.amdhsa_next_free_sgpr 28
		.amdhsa_reserve_vcc 1
		.amdhsa_reserve_flat_scratch 0
		.amdhsa_float_round_mode_32 0
		.amdhsa_float_round_mode_16_64 0
		.amdhsa_float_denorm_mode_32 3
		.amdhsa_float_denorm_mode_16_64 3
		.amdhsa_dx10_clamp 1
		.amdhsa_ieee_mode 1
		.amdhsa_fp16_overflow 0
		.amdhsa_exception_fp_ieee_invalid_op 0
		.amdhsa_exception_fp_denorm_src 0
		.amdhsa_exception_fp_ieee_div_zero 0
		.amdhsa_exception_fp_ieee_overflow 0
		.amdhsa_exception_fp_ieee_underflow 0
		.amdhsa_exception_fp_ieee_inexact 0
		.amdhsa_exception_int_div_zero 0
	.end_amdhsa_kernel
	.section	.text._ZN2at6native12_GLOBAL__N_125multi_tensor_apply_kernelINS1_18TensorListMetadataILi1EEENS1_14UnaryOpFunctorIN3c108BFloat16ELi1ELi1ELi0EEEJSt6negateIfEEEEvT_T0_DpT1_,"axG",@progbits,_ZN2at6native12_GLOBAL__N_125multi_tensor_apply_kernelINS1_18TensorListMetadataILi1EEENS1_14UnaryOpFunctorIN3c108BFloat16ELi1ELi1ELi0EEEJSt6negateIfEEEEvT_T0_DpT1_,comdat
.Lfunc_end326:
	.size	_ZN2at6native12_GLOBAL__N_125multi_tensor_apply_kernelINS1_18TensorListMetadataILi1EEENS1_14UnaryOpFunctorIN3c108BFloat16ELi1ELi1ELi0EEEJSt6negateIfEEEEvT_T0_DpT1_, .Lfunc_end326-_ZN2at6native12_GLOBAL__N_125multi_tensor_apply_kernelINS1_18TensorListMetadataILi1EEENS1_14UnaryOpFunctorIN3c108BFloat16ELi1ELi1ELi0EEEJSt6negateIfEEEEvT_T0_DpT1_
                                        ; -- End function
	.set _ZN2at6native12_GLOBAL__N_125multi_tensor_apply_kernelINS1_18TensorListMetadataILi1EEENS1_14UnaryOpFunctorIN3c108BFloat16ELi1ELi1ELi0EEEJSt6negateIfEEEEvT_T0_DpT1_.num_vgpr, 18
	.set _ZN2at6native12_GLOBAL__N_125multi_tensor_apply_kernelINS1_18TensorListMetadataILi1EEENS1_14UnaryOpFunctorIN3c108BFloat16ELi1ELi1ELi0EEEJSt6negateIfEEEEvT_T0_DpT1_.num_agpr, 0
	.set _ZN2at6native12_GLOBAL__N_125multi_tensor_apply_kernelINS1_18TensorListMetadataILi1EEENS1_14UnaryOpFunctorIN3c108BFloat16ELi1ELi1ELi0EEEJSt6negateIfEEEEvT_T0_DpT1_.numbered_sgpr, 28
	.set _ZN2at6native12_GLOBAL__N_125multi_tensor_apply_kernelINS1_18TensorListMetadataILi1EEENS1_14UnaryOpFunctorIN3c108BFloat16ELi1ELi1ELi0EEEJSt6negateIfEEEEvT_T0_DpT1_.num_named_barrier, 0
	.set _ZN2at6native12_GLOBAL__N_125multi_tensor_apply_kernelINS1_18TensorListMetadataILi1EEENS1_14UnaryOpFunctorIN3c108BFloat16ELi1ELi1ELi0EEEJSt6negateIfEEEEvT_T0_DpT1_.private_seg_size, 0
	.set _ZN2at6native12_GLOBAL__N_125multi_tensor_apply_kernelINS1_18TensorListMetadataILi1EEENS1_14UnaryOpFunctorIN3c108BFloat16ELi1ELi1ELi0EEEJSt6negateIfEEEEvT_T0_DpT1_.uses_vcc, 1
	.set _ZN2at6native12_GLOBAL__N_125multi_tensor_apply_kernelINS1_18TensorListMetadataILi1EEENS1_14UnaryOpFunctorIN3c108BFloat16ELi1ELi1ELi0EEEJSt6negateIfEEEEvT_T0_DpT1_.uses_flat_scratch, 0
	.set _ZN2at6native12_GLOBAL__N_125multi_tensor_apply_kernelINS1_18TensorListMetadataILi1EEENS1_14UnaryOpFunctorIN3c108BFloat16ELi1ELi1ELi0EEEJSt6negateIfEEEEvT_T0_DpT1_.has_dyn_sized_stack, 0
	.set _ZN2at6native12_GLOBAL__N_125multi_tensor_apply_kernelINS1_18TensorListMetadataILi1EEENS1_14UnaryOpFunctorIN3c108BFloat16ELi1ELi1ELi0EEEJSt6negateIfEEEEvT_T0_DpT1_.has_recursion, 0
	.set _ZN2at6native12_GLOBAL__N_125multi_tensor_apply_kernelINS1_18TensorListMetadataILi1EEENS1_14UnaryOpFunctorIN3c108BFloat16ELi1ELi1ELi0EEEJSt6negateIfEEEEvT_T0_DpT1_.has_indirect_call, 0
	.section	.AMDGPU.csdata,"",@progbits
; Kernel info:
; codeLenInByte = 1340
; TotalNumSgprs: 32
; NumVgprs: 18
; ScratchSize: 0
; MemoryBound: 0
; FloatMode: 240
; IeeeMode: 1
; LDSByteSize: 0 bytes/workgroup (compile time only)
; SGPRBlocks: 3
; VGPRBlocks: 4
; NumSGPRsForWavesPerEU: 32
; NumVGPRsForWavesPerEU: 18
; Occupancy: 10
; WaveLimiterHint : 0
; COMPUTE_PGM_RSRC2:SCRATCH_EN: 0
; COMPUTE_PGM_RSRC2:USER_SGPR: 6
; COMPUTE_PGM_RSRC2:TRAP_HANDLER: 0
; COMPUTE_PGM_RSRC2:TGID_X_EN: 1
; COMPUTE_PGM_RSRC2:TGID_Y_EN: 0
; COMPUTE_PGM_RSRC2:TGID_Z_EN: 0
; COMPUTE_PGM_RSRC2:TIDIG_COMP_CNT: 0
	.section	.text._ZN2at6native12_GLOBAL__N_125multi_tensor_apply_kernelINS1_18TensorListMetadataILi2EEENS1_14UnaryOpFunctorIhLi2ELi1ELi1EEEJNS0_3AbsIhEEEEEvT_T0_DpT1_,"axG",@progbits,_ZN2at6native12_GLOBAL__N_125multi_tensor_apply_kernelINS1_18TensorListMetadataILi2EEENS1_14UnaryOpFunctorIhLi2ELi1ELi1EEEJNS0_3AbsIhEEEEEvT_T0_DpT1_,comdat
	.globl	_ZN2at6native12_GLOBAL__N_125multi_tensor_apply_kernelINS1_18TensorListMetadataILi2EEENS1_14UnaryOpFunctorIhLi2ELi1ELi1EEEJNS0_3AbsIhEEEEEvT_T0_DpT1_ ; -- Begin function _ZN2at6native12_GLOBAL__N_125multi_tensor_apply_kernelINS1_18TensorListMetadataILi2EEENS1_14UnaryOpFunctorIhLi2ELi1ELi1EEEJNS0_3AbsIhEEEEEvT_T0_DpT1_
	.p2align	8
	.type	_ZN2at6native12_GLOBAL__N_125multi_tensor_apply_kernelINS1_18TensorListMetadataILi2EEENS1_14UnaryOpFunctorIhLi2ELi1ELi1EEEJNS0_3AbsIhEEEEEvT_T0_DpT1_,@function
_ZN2at6native12_GLOBAL__N_125multi_tensor_apply_kernelINS1_18TensorListMetadataILi2EEENS1_14UnaryOpFunctorIhLi2ELi1ELi1EEEJNS0_3AbsIhEEEEEvT_T0_DpT1_: ; @_ZN2at6native12_GLOBAL__N_125multi_tensor_apply_kernelINS1_18TensorListMetadataILi2EEENS1_14UnaryOpFunctorIhLi2ELi1ELi1EEEJNS0_3AbsIhEEEEEvT_T0_DpT1_
; %bb.0:
	v_mov_b32_e32 v1, s6
	global_load_ubyte v1, v1, s[4:5] offset:1536
	s_add_u32 s0, s4, s6
	s_mul_hi_u32 s1, s6, 3
	s_mul_i32 s6, s6, 3
	s_addc_u32 s2, s5, 0
	s_add_u32 s0, s0, s6
	s_addc_u32 s1, s2, s1
	s_load_dword s0, s[0:1], 0x740
	s_waitcnt vmcnt(0)
	v_readfirstlane_b32 s1, v1
	s_lshl_b32 s6, s1, 3
	s_load_dwordx2 s[2:3], s[4:5], s6 offset:0x0
	s_load_dwordx2 s[8:9], s[4:5], s6 offset:0x400
	s_waitcnt lgkmcnt(0)
	s_ashr_i32 s1, s0, 31
	s_load_dwordx2 s[6:7], s[4:5], s6 offset:0x200
	s_lshl_b64 s[12:13], s[0:1], 16
	s_add_u32 s0, s2, s12
	s_sub_u32 s10, s8, s12
	s_subb_u32 s11, s9, s13
	s_waitcnt lgkmcnt(0)
	s_or_b32 s1, s8, s6
	s_or_b32 s0, s1, s0
	s_and_b32 s0, s0, 3
	s_cmp_eq_u32 s0, 0
	s_mov_b64 s[0:1], -1
	s_cbranch_scc0 .LBB327_5
; %bb.1:
	v_mov_b32_e32 v1, 0x10000
	v_mov_b32_e32 v2, 0
	v_cmp_lt_i64_e32 vcc, s[10:11], v[1:2]
	v_mov_b32_e32 v3, 0
	s_and_b64 s[0:1], vcc, exec
	s_cselect_b32 s9, s11, 0
	s_cselect_b32 s8, s10, 0x10000
	v_lshlrev_b32_e32 v2, 2, v0
	v_cmp_gt_i64_e32 vcc, s[8:9], v[2:3]
	s_and_saveexec_b64 s[14:15], vcc
	s_cbranch_execz .LBB327_4
; %bb.2:
	s_load_dword s0, s[4:5], 0xc5c
	v_mov_b32_e32 v1, v3
	v_mov_b32_e32 v4, s13
	v_add_co_u32_e32 v3, vcc, s12, v2
	s_waitcnt lgkmcnt(0)
	s_and_b32 s18, s0, 0xffff
	v_mov_b32_e32 v2, v1
	v_addc_co_u32_e32 v4, vcc, 0, v4, vcc
	s_lshl_b32 s19, s18, 2
	s_mov_b64 s[16:17], 0
	v_mov_b32_e32 v5, s3
	v_mov_b32_e32 v6, s7
	;; [unrolled: 1-line block ×3, first 2 shown]
.LBB327_3:                              ; =>This Inner Loop Header: Depth=1
	v_add_co_u32_e32 v7, vcc, s2, v3
	v_addc_co_u32_e32 v8, vcc, v5, v4, vcc
	global_load_dword v11, v[7:8], off
	v_add_co_u32_e32 v7, vcc, s6, v3
	v_addc_co_u32_e32 v8, vcc, v6, v4, vcc
	v_add_co_u32_e32 v1, vcc, s18, v1
	v_addc_co_u32_e32 v2, vcc, 0, v2, vcc
	v_lshlrev_b64 v[9:10], 2, v[1:2]
	v_add_co_u32_e32 v3, vcc, s19, v3
	v_cmp_le_i64_e64 s[0:1], s[8:9], v[9:10]
	v_addc_co_u32_e32 v4, vcc, 0, v4, vcc
	s_or_b64 s[16:17], s[0:1], s[16:17]
	s_waitcnt vmcnt(0)
	global_store_dword v[7:8], v11, off
	s_andn2_b64 exec, exec, s[16:17]
	s_cbranch_execnz .LBB327_3
.LBB327_4:
	s_or_b64 exec, exec, s[14:15]
	s_mov_b64 s[0:1], 0
.LBB327_5:
	s_andn2_b64 vcc, exec, s[0:1]
	s_cbranch_vccnz .LBB327_25
; %bb.6:
	v_cmp_lt_i64_e64 s[0:1], s[10:11], 1
	s_and_b64 vcc, exec, s[0:1]
	s_cbranch_vccnz .LBB327_25
; %bb.7:
	v_mov_b32_e32 v1, 0x10000
	s_load_dword s4, s[4:5], 0xc5c
	v_mov_b32_e32 v2, 0
	v_cmp_lt_i64_e32 vcc, s[10:11], v[1:2]
	v_mov_b32_e32 v4, s7
	s_and_b64 s[0:1], vcc, exec
	v_cmp_lt_u64_e32 vcc, s[10:11], v[1:2]
	s_cselect_b32 s9, s11, 0
	s_cselect_b32 s8, s10, 0x10000
	s_waitcnt lgkmcnt(0)
	s_and_b32 s4, s4, 0xffff
	s_and_b64 s[0:1], vcc, exec
	v_mov_b32_e32 v1, s13
	v_add_co_u32_e32 v13, vcc, s12, v0
	v_addc_co_u32_e32 v14, vcc, 0, v1, vcc
	v_mov_b32_e32 v2, s3
	v_add_co_u32_e32 v1, vcc, s2, v13
	s_cselect_b32 s11, s11, 0
	s_cselect_b32 s10, s10, 0x10000
	s_lshl_b32 s5, s4, 1
	s_mul_i32 s0, s4, 3
	s_lshl_b32 s17, s4, 2
	v_addc_co_u32_e32 v2, vcc, v2, v14, vcc
	v_add_co_u32_e32 v3, vcc, s6, v13
	s_add_u32 s1, s12, s0
	v_addc_co_u32_e32 v4, vcc, v4, v14, vcc
	s_addc_u32 s14, s13, 0
	v_mov_b32_e32 v5, s14
	v_add_co_u32_e32 v7, vcc, s1, v0
	v_addc_co_u32_e32 v8, vcc, 0, v5, vcc
	v_mov_b32_e32 v6, s3
	v_add_co_u32_e32 v5, vcc, s2, v7
	v_addc_co_u32_e32 v6, vcc, v6, v8, vcc
	v_mov_b32_e32 v9, s7
	v_add_co_u32_e32 v7, vcc, s6, v7
	s_add_u32 s1, s12, s5
	v_addc_co_u32_e32 v8, vcc, v9, v8, vcc
	s_addc_u32 s12, s13, 0
	v_mov_b32_e32 v9, s12
	v_add_co_u32_e32 v11, vcc, s1, v0
	v_addc_co_u32_e32 v12, vcc, 0, v9, vcc
	v_mov_b32_e32 v10, s3
	v_add_co_u32_e32 v9, vcc, s2, v11
	v_addc_co_u32_e32 v10, vcc, v10, v12, vcc
	;; [unrolled: 3-line block ×3, first 2 shown]
	v_add_co_u32_e32 v15, vcc, s4, v13
	v_addc_co_u32_e32 v16, vcc, 0, v14, vcc
	v_mov_b32_e32 v14, s3
	v_add_co_u32_e32 v13, vcc, s2, v15
	v_addc_co_u32_e32 v14, vcc, v14, v16, vcc
	v_mov_b32_e32 v17, s7
	v_add_co_u32_e32 v15, vcc, s6, v15
	v_addc_co_u32_e32 v16, vcc, v17, v16, vcc
	v_add_co_u32_e32 v17, vcc, s0, v0
	v_addc_co_u32_e64 v18, s[0:1], 0, 0, vcc
	v_add_co_u32_e32 v19, vcc, s5, v0
	v_addc_co_u32_e64 v20, s[0:1], 0, 0, vcc
	v_add_co_u32_e32 v21, vcc, s4, v0
	v_mov_b32_e32 v23, 0
	s_mov_b32 s16, 0xffff
	s_mov_b64 s[12:13], 0
	s_mov_b32 s18, 0x3020104
	s_mov_b32 s19, 0x7060004
	;; [unrolled: 1-line block ×4, first 2 shown]
	v_addc_co_u32_e64 v22, s[0:1], 0, 0, vcc
	s_branch .LBB327_9
.LBB327_8:                              ;   in Loop: Header=BB327_9 Depth=1
	s_or_b64 exec, exec, s[0:1]
	s_add_u32 s12, s12, s17
	v_mov_b32_e32 v25, s9
	s_addc_u32 s13, s13, 0
	v_mov_b32_e32 v24, s8
	v_cmp_ge_i64_e32 vcc, s[12:13], v[24:25]
	s_cbranch_vccnz .LBB327_25
.LBB327_9:                              ; =>This Inner Loop Header: Depth=1
	v_mov_b32_e32 v25, s13
	v_add_co_u32_e32 v24, vcc, s12, v0
	v_addc_co_u32_e32 v25, vcc, 0, v25, vcc
	v_cmp_gt_u64_e32 vcc, s[10:11], v[24:25]
	v_and_b32_e32 v23, 0xffffff00, v23
	s_and_saveexec_b64 s[2:3], vcc
	s_cbranch_execz .LBB327_11
; %bb.10:                               ;   in Loop: Header=BB327_9 Depth=1
	v_mov_b32_e32 v25, s13
	v_add_co_u32_e64 v24, s[0:1], s12, v1
	v_addc_co_u32_e64 v25, s[0:1], v2, v25, s[0:1]
	global_load_ubyte v24, v[24:25], off
	s_waitcnt vmcnt(0)
	v_perm_b32 v23, v24, v23, s18
.LBB327_11:                             ;   in Loop: Header=BB327_9 Depth=1
	s_or_b64 exec, exec, s[2:3]
	v_mov_b32_e32 v25, s13
	v_add_co_u32_e64 v24, s[0:1], s12, v21
	v_addc_co_u32_e64 v25, s[0:1], v22, v25, s[0:1]
	v_cmp_gt_u64_e64 s[0:1], s[10:11], v[24:25]
	v_and_b32_e32 v23, 0xffff00ff, v23
	s_and_saveexec_b64 s[4:5], s[0:1]
	s_cbranch_execz .LBB327_13
; %bb.12:                               ;   in Loop: Header=BB327_9 Depth=1
	v_mov_b32_e32 v25, s13
	v_add_co_u32_e64 v24, s[2:3], s12, v13
	v_addc_co_u32_e64 v25, s[2:3], v14, v25, s[2:3]
	global_load_ubyte v24, v[24:25], off
	s_waitcnt vmcnt(0)
	v_perm_b32 v23, v23, v24, s19
.LBB327_13:                             ;   in Loop: Header=BB327_9 Depth=1
	s_or_b64 exec, exec, s[4:5]
	v_mov_b32_e32 v25, s13
	v_add_co_u32_e64 v24, s[2:3], s12, v19
	v_addc_co_u32_e64 v25, s[2:3], v20, v25, s[2:3]
	v_cmp_gt_u64_e64 s[2:3], s[10:11], v[24:25]
	v_lshrrev_b32_e32 v24, 24, v23
	v_perm_b32 v23, v24, v23, s20
	s_and_saveexec_b64 s[6:7], s[2:3]
	s_cbranch_execz .LBB327_15
; %bb.14:                               ;   in Loop: Header=BB327_9 Depth=1
	v_mov_b32_e32 v25, s13
	v_add_co_u32_e64 v24, s[4:5], s12, v9
	v_addc_co_u32_e64 v25, s[4:5], v10, v25, s[4:5]
	global_load_ubyte v24, v[24:25], off
	s_waitcnt vmcnt(0)
	v_perm_b32 v23, v23, v24, s21
.LBB327_15:                             ;   in Loop: Header=BB327_9 Depth=1
	s_or_b64 exec, exec, s[6:7]
	v_mov_b32_e32 v25, s13
	v_add_co_u32_e64 v24, s[4:5], s12, v17
	v_addc_co_u32_e64 v25, s[4:5], v18, v25, s[4:5]
	v_cmp_gt_u64_e64 s[4:5], s[10:11], v[24:25]
	v_and_b32_e32 v23, 0xffffff, v23
	s_and_saveexec_b64 s[14:15], s[4:5]
	s_cbranch_execnz .LBB327_20
; %bb.16:                               ;   in Loop: Header=BB327_9 Depth=1
	s_or_b64 exec, exec, s[14:15]
	s_and_saveexec_b64 s[6:7], vcc
	s_cbranch_execnz .LBB327_21
.LBB327_17:                             ;   in Loop: Header=BB327_9 Depth=1
	s_or_b64 exec, exec, s[6:7]
	s_and_saveexec_b64 s[6:7], s[0:1]
	s_cbranch_execnz .LBB327_22
.LBB327_18:                             ;   in Loop: Header=BB327_9 Depth=1
	s_or_b64 exec, exec, s[6:7]
	s_and_saveexec_b64 s[0:1], s[2:3]
	s_cbranch_execnz .LBB327_23
.LBB327_19:                             ;   in Loop: Header=BB327_9 Depth=1
	s_or_b64 exec, exec, s[0:1]
	s_and_saveexec_b64 s[0:1], s[4:5]
	s_cbranch_execz .LBB327_8
	s_branch .LBB327_24
.LBB327_20:                             ;   in Loop: Header=BB327_9 Depth=1
	v_mov_b32_e32 v25, s13
	v_add_co_u32_e64 v24, s[6:7], s12, v5
	v_addc_co_u32_e64 v25, s[6:7], v6, v25, s[6:7]
	global_load_ubyte v24, v[24:25], off
	s_waitcnt vmcnt(0)
	v_lshlrev_b16_e32 v24, 8, v24
	v_or_b32_sdwa v24, v23, v24 dst_sel:WORD_1 dst_unused:UNUSED_PAD src0_sel:WORD_1 src1_sel:DWORD
	v_and_or_b32 v23, v23, s16, v24
	s_or_b64 exec, exec, s[14:15]
	s_and_saveexec_b64 s[6:7], vcc
	s_cbranch_execz .LBB327_17
.LBB327_21:                             ;   in Loop: Header=BB327_9 Depth=1
	v_mov_b32_e32 v25, s13
	v_add_co_u32_e32 v24, vcc, s12, v3
	v_addc_co_u32_e32 v25, vcc, v4, v25, vcc
	global_store_byte v[24:25], v23, off
	s_or_b64 exec, exec, s[6:7]
	s_and_saveexec_b64 s[6:7], s[0:1]
	s_cbranch_execz .LBB327_18
.LBB327_22:                             ;   in Loop: Header=BB327_9 Depth=1
	v_mov_b32_e32 v25, s13
	v_add_co_u32_e32 v24, vcc, s12, v15
	v_addc_co_u32_e32 v25, vcc, v16, v25, vcc
	v_lshrrev_b32_e32 v26, 8, v23
	global_store_byte v[24:25], v26, off
	s_or_b64 exec, exec, s[6:7]
	s_and_saveexec_b64 s[0:1], s[2:3]
	s_cbranch_execz .LBB327_19
.LBB327_23:                             ;   in Loop: Header=BB327_9 Depth=1
	v_mov_b32_e32 v25, s13
	v_add_co_u32_e32 v24, vcc, s12, v11
	v_addc_co_u32_e32 v25, vcc, v12, v25, vcc
	global_store_byte_d16_hi v[24:25], v23, off
	s_or_b64 exec, exec, s[0:1]
	s_and_saveexec_b64 s[0:1], s[4:5]
	s_cbranch_execz .LBB327_8
.LBB327_24:                             ;   in Loop: Header=BB327_9 Depth=1
	v_mov_b32_e32 v25, s13
	v_add_co_u32_e32 v24, vcc, s12, v7
	v_addc_co_u32_e32 v25, vcc, v8, v25, vcc
	v_lshrrev_b32_e32 v26, 24, v23
	global_store_byte v[24:25], v26, off
	s_branch .LBB327_8
.LBB327_25:
	s_endpgm
	.section	.rodata,"a",@progbits
	.p2align	6, 0x0
	.amdhsa_kernel _ZN2at6native12_GLOBAL__N_125multi_tensor_apply_kernelINS1_18TensorListMetadataILi2EEENS1_14UnaryOpFunctorIhLi2ELi1ELi1EEEJNS0_3AbsIhEEEEEvT_T0_DpT1_
		.amdhsa_group_segment_fixed_size 0
		.amdhsa_private_segment_fixed_size 0
		.amdhsa_kernarg_size 3408
		.amdhsa_user_sgpr_count 6
		.amdhsa_user_sgpr_private_segment_buffer 1
		.amdhsa_user_sgpr_dispatch_ptr 0
		.amdhsa_user_sgpr_queue_ptr 0
		.amdhsa_user_sgpr_kernarg_segment_ptr 1
		.amdhsa_user_sgpr_dispatch_id 0
		.amdhsa_user_sgpr_flat_scratch_init 0
		.amdhsa_user_sgpr_private_segment_size 0
		.amdhsa_uses_dynamic_stack 0
		.amdhsa_system_sgpr_private_segment_wavefront_offset 0
		.amdhsa_system_sgpr_workgroup_id_x 1
		.amdhsa_system_sgpr_workgroup_id_y 0
		.amdhsa_system_sgpr_workgroup_id_z 0
		.amdhsa_system_sgpr_workgroup_info 0
		.amdhsa_system_vgpr_workitem_id 0
		.amdhsa_next_free_vgpr 27
		.amdhsa_next_free_sgpr 22
		.amdhsa_reserve_vcc 1
		.amdhsa_reserve_flat_scratch 0
		.amdhsa_float_round_mode_32 0
		.amdhsa_float_round_mode_16_64 0
		.amdhsa_float_denorm_mode_32 3
		.amdhsa_float_denorm_mode_16_64 3
		.amdhsa_dx10_clamp 1
		.amdhsa_ieee_mode 1
		.amdhsa_fp16_overflow 0
		.amdhsa_exception_fp_ieee_invalid_op 0
		.amdhsa_exception_fp_denorm_src 0
		.amdhsa_exception_fp_ieee_div_zero 0
		.amdhsa_exception_fp_ieee_overflow 0
		.amdhsa_exception_fp_ieee_underflow 0
		.amdhsa_exception_fp_ieee_inexact 0
		.amdhsa_exception_int_div_zero 0
	.end_amdhsa_kernel
	.section	.text._ZN2at6native12_GLOBAL__N_125multi_tensor_apply_kernelINS1_18TensorListMetadataILi2EEENS1_14UnaryOpFunctorIhLi2ELi1ELi1EEEJNS0_3AbsIhEEEEEvT_T0_DpT1_,"axG",@progbits,_ZN2at6native12_GLOBAL__N_125multi_tensor_apply_kernelINS1_18TensorListMetadataILi2EEENS1_14UnaryOpFunctorIhLi2ELi1ELi1EEEJNS0_3AbsIhEEEEEvT_T0_DpT1_,comdat
.Lfunc_end327:
	.size	_ZN2at6native12_GLOBAL__N_125multi_tensor_apply_kernelINS1_18TensorListMetadataILi2EEENS1_14UnaryOpFunctorIhLi2ELi1ELi1EEEJNS0_3AbsIhEEEEEvT_T0_DpT1_, .Lfunc_end327-_ZN2at6native12_GLOBAL__N_125multi_tensor_apply_kernelINS1_18TensorListMetadataILi2EEENS1_14UnaryOpFunctorIhLi2ELi1ELi1EEEJNS0_3AbsIhEEEEEvT_T0_DpT1_
                                        ; -- End function
	.set _ZN2at6native12_GLOBAL__N_125multi_tensor_apply_kernelINS1_18TensorListMetadataILi2EEENS1_14UnaryOpFunctorIhLi2ELi1ELi1EEEJNS0_3AbsIhEEEEEvT_T0_DpT1_.num_vgpr, 27
	.set _ZN2at6native12_GLOBAL__N_125multi_tensor_apply_kernelINS1_18TensorListMetadataILi2EEENS1_14UnaryOpFunctorIhLi2ELi1ELi1EEEJNS0_3AbsIhEEEEEvT_T0_DpT1_.num_agpr, 0
	.set _ZN2at6native12_GLOBAL__N_125multi_tensor_apply_kernelINS1_18TensorListMetadataILi2EEENS1_14UnaryOpFunctorIhLi2ELi1ELi1EEEJNS0_3AbsIhEEEEEvT_T0_DpT1_.numbered_sgpr, 22
	.set _ZN2at6native12_GLOBAL__N_125multi_tensor_apply_kernelINS1_18TensorListMetadataILi2EEENS1_14UnaryOpFunctorIhLi2ELi1ELi1EEEJNS0_3AbsIhEEEEEvT_T0_DpT1_.num_named_barrier, 0
	.set _ZN2at6native12_GLOBAL__N_125multi_tensor_apply_kernelINS1_18TensorListMetadataILi2EEENS1_14UnaryOpFunctorIhLi2ELi1ELi1EEEJNS0_3AbsIhEEEEEvT_T0_DpT1_.private_seg_size, 0
	.set _ZN2at6native12_GLOBAL__N_125multi_tensor_apply_kernelINS1_18TensorListMetadataILi2EEENS1_14UnaryOpFunctorIhLi2ELi1ELi1EEEJNS0_3AbsIhEEEEEvT_T0_DpT1_.uses_vcc, 1
	.set _ZN2at6native12_GLOBAL__N_125multi_tensor_apply_kernelINS1_18TensorListMetadataILi2EEENS1_14UnaryOpFunctorIhLi2ELi1ELi1EEEJNS0_3AbsIhEEEEEvT_T0_DpT1_.uses_flat_scratch, 0
	.set _ZN2at6native12_GLOBAL__N_125multi_tensor_apply_kernelINS1_18TensorListMetadataILi2EEENS1_14UnaryOpFunctorIhLi2ELi1ELi1EEEJNS0_3AbsIhEEEEEvT_T0_DpT1_.has_dyn_sized_stack, 0
	.set _ZN2at6native12_GLOBAL__N_125multi_tensor_apply_kernelINS1_18TensorListMetadataILi2EEENS1_14UnaryOpFunctorIhLi2ELi1ELi1EEEJNS0_3AbsIhEEEEEvT_T0_DpT1_.has_recursion, 0
	.set _ZN2at6native12_GLOBAL__N_125multi_tensor_apply_kernelINS1_18TensorListMetadataILi2EEENS1_14UnaryOpFunctorIhLi2ELi1ELi1EEEJNS0_3AbsIhEEEEEvT_T0_DpT1_.has_indirect_call, 0
	.section	.AMDGPU.csdata,"",@progbits
; Kernel info:
; codeLenInByte = 1260
; TotalNumSgprs: 26
; NumVgprs: 27
; ScratchSize: 0
; MemoryBound: 0
; FloatMode: 240
; IeeeMode: 1
; LDSByteSize: 0 bytes/workgroup (compile time only)
; SGPRBlocks: 3
; VGPRBlocks: 6
; NumSGPRsForWavesPerEU: 26
; NumVGPRsForWavesPerEU: 27
; Occupancy: 9
; WaveLimiterHint : 0
; COMPUTE_PGM_RSRC2:SCRATCH_EN: 0
; COMPUTE_PGM_RSRC2:USER_SGPR: 6
; COMPUTE_PGM_RSRC2:TRAP_HANDLER: 0
; COMPUTE_PGM_RSRC2:TGID_X_EN: 1
; COMPUTE_PGM_RSRC2:TGID_Y_EN: 0
; COMPUTE_PGM_RSRC2:TGID_Z_EN: 0
; COMPUTE_PGM_RSRC2:TIDIG_COMP_CNT: 0
	.section	.text._ZN2at6native12_GLOBAL__N_125multi_tensor_apply_kernelINS1_18TensorListMetadataILi2EEENS1_14UnaryOpFunctorIaLi2ELi1ELi1EEEJNS0_3AbsIaEEEEEvT_T0_DpT1_,"axG",@progbits,_ZN2at6native12_GLOBAL__N_125multi_tensor_apply_kernelINS1_18TensorListMetadataILi2EEENS1_14UnaryOpFunctorIaLi2ELi1ELi1EEEJNS0_3AbsIaEEEEEvT_T0_DpT1_,comdat
	.globl	_ZN2at6native12_GLOBAL__N_125multi_tensor_apply_kernelINS1_18TensorListMetadataILi2EEENS1_14UnaryOpFunctorIaLi2ELi1ELi1EEEJNS0_3AbsIaEEEEEvT_T0_DpT1_ ; -- Begin function _ZN2at6native12_GLOBAL__N_125multi_tensor_apply_kernelINS1_18TensorListMetadataILi2EEENS1_14UnaryOpFunctorIaLi2ELi1ELi1EEEJNS0_3AbsIaEEEEEvT_T0_DpT1_
	.p2align	8
	.type	_ZN2at6native12_GLOBAL__N_125multi_tensor_apply_kernelINS1_18TensorListMetadataILi2EEENS1_14UnaryOpFunctorIaLi2ELi1ELi1EEEJNS0_3AbsIaEEEEEvT_T0_DpT1_,@function
_ZN2at6native12_GLOBAL__N_125multi_tensor_apply_kernelINS1_18TensorListMetadataILi2EEENS1_14UnaryOpFunctorIaLi2ELi1ELi1EEEJNS0_3AbsIaEEEEEvT_T0_DpT1_: ; @_ZN2at6native12_GLOBAL__N_125multi_tensor_apply_kernelINS1_18TensorListMetadataILi2EEENS1_14UnaryOpFunctorIaLi2ELi1ELi1EEEJNS0_3AbsIaEEEEEvT_T0_DpT1_
; %bb.0:
	v_mov_b32_e32 v1, s6
	global_load_ubyte v1, v1, s[4:5] offset:1536
	s_add_u32 s0, s4, s6
	s_mul_hi_u32 s1, s6, 3
	s_mul_i32 s6, s6, 3
	s_addc_u32 s2, s5, 0
	s_add_u32 s0, s0, s6
	s_addc_u32 s1, s2, s1
	s_load_dword s6, s[0:1], 0x740
	s_waitcnt lgkmcnt(0)
	s_ashr_i32 s7, s6, 31
	s_lshl_b64 s[6:7], s[6:7], 16
	s_waitcnt vmcnt(0)
	v_readfirstlane_b32 s0, v1
	s_lshl_b32 s2, s0, 3
	s_load_dwordx2 s[0:1], s[4:5], s2 offset:0x0
	s_load_dwordx2 s[8:9], s[4:5], s2 offset:0x400
	s_waitcnt lgkmcnt(0)
	s_add_u32 s12, s0, s6
	s_load_dwordx2 s[2:3], s[4:5], s2 offset:0x200
	s_sub_u32 s10, s8, s6
	s_subb_u32 s11, s9, s7
	s_waitcnt lgkmcnt(0)
	s_or_b32 s8, s8, s2
	s_or_b32 s8, s8, s12
	s_and_b32 s8, s8, 3
	s_cmp_eq_u32 s8, 0
	s_mov_b64 s[8:9], -1
	s_cbranch_scc0 .LBB328_5
; %bb.1:
	v_mov_b32_e32 v1, 0x10000
	v_mov_b32_e32 v2, 0
	v_cmp_lt_i64_e32 vcc, s[10:11], v[1:2]
	v_mov_b32_e32 v3, 0
	s_and_b64 s[8:9], vcc, exec
	s_cselect_b32 s9, s11, 0
	s_cselect_b32 s8, s10, 0x10000
	v_lshlrev_b32_e32 v2, 2, v0
	v_cmp_gt_i64_e32 vcc, s[8:9], v[2:3]
	s_and_saveexec_b64 s[12:13], vcc
	s_cbranch_execz .LBB328_4
; %bb.2:
	s_load_dword s14, s[4:5], 0xc5c
	v_mov_b32_e32 v1, v3
	v_mov_b32_e32 v5, s7
	v_add_co_u32_e32 v4, vcc, s6, v2
	s_waitcnt lgkmcnt(0)
	s_and_b32 s16, s14, 0xffff
	v_mov_b32_e32 v2, v1
	v_addc_co_u32_e32 v5, vcc, 0, v5, vcc
	s_lshl_b32 s17, s16, 2
	s_mov_b64 s[14:15], 0
	v_mov_b32_e32 v6, s1
	v_mov_b32_e32 v7, s3
	;; [unrolled: 1-line block ×3, first 2 shown]
.LBB328_3:                              ; =>This Inner Loop Header: Depth=1
	v_add_co_u32_e32 v8, vcc, s0, v4
	v_addc_co_u32_e32 v9, vcc, v6, v5, vcc
	global_load_dword v12, v[8:9], off
	v_add_co_u32_e32 v8, vcc, s2, v4
	v_addc_co_u32_e32 v9, vcc, v7, v5, vcc
	v_add_co_u32_e32 v1, vcc, s16, v1
	v_addc_co_u32_e32 v2, vcc, 0, v2, vcc
	v_add_co_u32_e32 v4, vcc, s17, v4
	v_lshlrev_b64 v[10:11], 2, v[1:2]
	v_addc_co_u32_e32 v5, vcc, 0, v5, vcc
	v_cmp_le_i64_e32 vcc, s[8:9], v[10:11]
	s_or_b64 s[14:15], vcc, s[14:15]
	s_waitcnt vmcnt(0)
	v_lshrrev_b32_e32 v10, 16, v12
	v_sub_u16_sdwa v11, v3, sext(v12) dst_sel:DWORD dst_unused:UNUSED_PAD src0_sel:DWORD src1_sel:BYTE_0
	v_sub_u16_sdwa v13, v3, sext(v12) dst_sel:DWORD dst_unused:UNUSED_PAD src0_sel:DWORD src1_sel:BYTE_1
	v_max_i16_sdwa v11, sext(v12), v11 dst_sel:DWORD dst_unused:UNUSED_PAD src0_sel:BYTE_0 src1_sel:DWORD
	v_max_i16_sdwa v12, sext(v12), v13 dst_sel:BYTE_1 dst_unused:UNUSED_PAD src0_sel:BYTE_1 src1_sel:DWORD
	v_sub_u16_sdwa v13, v3, sext(v10) dst_sel:DWORD dst_unused:UNUSED_PAD src0_sel:DWORD src1_sel:BYTE_0
	v_sub_u16_sdwa v14, v3, sext(v10) dst_sel:DWORD dst_unused:UNUSED_PAD src0_sel:DWORD src1_sel:BYTE_1
	v_or_b32_e32 v11, v11, v12
	v_max_i16_sdwa v12, sext(v10), v13 dst_sel:DWORD dst_unused:UNUSED_PAD src0_sel:BYTE_0 src1_sel:DWORD
	v_max_i16_sdwa v10, sext(v10), v14 dst_sel:BYTE_1 dst_unused:UNUSED_PAD src0_sel:BYTE_1 src1_sel:DWORD
	v_or_b32_sdwa v10, v12, v10 dst_sel:WORD_1 dst_unused:UNUSED_PAD src0_sel:DWORD src1_sel:DWORD
	v_or_b32_sdwa v10, v11, v10 dst_sel:DWORD dst_unused:UNUSED_PAD src0_sel:WORD_0 src1_sel:DWORD
	global_store_dword v[8:9], v10, off
	s_andn2_b64 exec, exec, s[14:15]
	s_cbranch_execnz .LBB328_3
.LBB328_4:
	s_or_b64 exec, exec, s[12:13]
	s_mov_b64 s[8:9], 0
.LBB328_5:
	s_andn2_b64 vcc, exec, s[8:9]
	s_cbranch_vccnz .LBB328_25
; %bb.6:
	v_cmp_lt_i64_e64 s[8:9], s[10:11], 1
	s_and_b64 vcc, exec, s[8:9]
	s_cbranch_vccnz .LBB328_25
; %bb.7:
	v_mov_b32_e32 v2, 0x10000
	s_load_dword s12, s[4:5], 0xc5c
	v_mov_b32_e32 v3, 0
	v_cmp_lt_i64_e32 vcc, s[10:11], v[2:3]
	v_mov_b32_e32 v5, s3
	s_and_b64 s[4:5], vcc, exec
	v_cmp_lt_u64_e32 vcc, s[10:11], v[2:3]
	s_cselect_b32 s9, s11, 0
	s_cselect_b32 s8, s10, 0x10000
	s_waitcnt lgkmcnt(0)
	s_and_b32 s14, s12, 0xffff
	s_and_b64 s[4:5], vcc, exec
	v_mov_b32_e32 v2, s7
	v_add_co_u32_e32 v14, vcc, s6, v0
	v_addc_co_u32_e32 v15, vcc, 0, v2, vcc
	v_mov_b32_e32 v3, s1
	v_add_co_u32_e32 v2, vcc, s0, v14
	s_cselect_b32 s11, s11, 0
	s_cselect_b32 s10, s10, 0x10000
	s_lshl_b32 s4, s14, 1
	s_mul_i32 s5, s14, 3
	s_lshl_b32 s17, s14, 2
	v_addc_co_u32_e32 v3, vcc, v3, v15, vcc
	v_add_co_u32_e32 v4, vcc, s2, v14
	s_add_u32 s12, s6, s5
	v_addc_co_u32_e32 v5, vcc, v5, v15, vcc
	s_addc_u32 s13, s7, 0
	v_mov_b32_e32 v6, s13
	v_add_co_u32_e32 v8, vcc, s12, v0
	v_addc_co_u32_e32 v9, vcc, 0, v6, vcc
	v_mov_b32_e32 v7, s1
	v_add_co_u32_e32 v6, vcc, s0, v8
	v_addc_co_u32_e32 v7, vcc, v7, v9, vcc
	v_mov_b32_e32 v10, s3
	v_add_co_u32_e32 v8, vcc, s2, v8
	s_add_u32 s6, s6, s4
	v_addc_co_u32_e32 v9, vcc, v10, v9, vcc
	s_addc_u32 s7, s7, 0
	v_mov_b32_e32 v10, s7
	v_add_co_u32_e32 v12, vcc, s6, v0
	v_addc_co_u32_e32 v13, vcc, 0, v10, vcc
	v_mov_b32_e32 v11, s1
	v_add_co_u32_e32 v10, vcc, s0, v12
	v_addc_co_u32_e32 v11, vcc, v11, v13, vcc
	;; [unrolled: 3-line block ×3, first 2 shown]
	v_add_co_u32_e32 v16, vcc, s14, v14
	v_addc_co_u32_e32 v17, vcc, 0, v15, vcc
	v_mov_b32_e32 v15, s1
	v_add_co_u32_e32 v14, vcc, s0, v16
	v_addc_co_u32_e32 v15, vcc, v15, v17, vcc
	v_mov_b32_e32 v18, s3
	v_add_co_u32_e32 v16, vcc, s2, v16
	v_addc_co_u32_e32 v17, vcc, v18, v17, vcc
	v_add_co_u32_e32 v18, vcc, s5, v0
	v_addc_co_u32_e64 v19, s[0:1], 0, 0, vcc
	v_add_co_u32_e32 v20, vcc, s4, v0
	v_addc_co_u32_e64 v21, s[0:1], 0, 0, vcc
	v_add_co_u32_e32 v22, vcc, s14, v0
	v_mov_b32_e32 v1, 0
	s_mov_b32 s16, 0xffff
	s_mov_b64 s[12:13], 0
	s_mov_b32 s18, 0x3020104
	s_mov_b32 s19, 0x7060004
	;; [unrolled: 1-line block ×4, first 2 shown]
	v_addc_co_u32_e64 v23, s[0:1], 0, 0, vcc
	v_mov_b32_e32 v24, 0
	s_branch .LBB328_9
.LBB328_8:                              ;   in Loop: Header=BB328_9 Depth=1
	s_or_b64 exec, exec, s[0:1]
	s_add_u32 s12, s12, s17
	v_mov_b32_e32 v26, s9
	s_addc_u32 s13, s13, 0
	v_mov_b32_e32 v25, s8
	v_cmp_ge_i64_e32 vcc, s[12:13], v[25:26]
	s_cbranch_vccnz .LBB328_25
.LBB328_9:                              ; =>This Inner Loop Header: Depth=1
	v_mov_b32_e32 v26, s13
	v_add_co_u32_e32 v25, vcc, s12, v0
	v_addc_co_u32_e32 v26, vcc, 0, v26, vcc
	v_cmp_gt_u64_e32 vcc, s[10:11], v[25:26]
	v_and_b32_e32 v24, 0xffffff00, v24
	s_and_saveexec_b64 s[2:3], vcc
	s_cbranch_execz .LBB328_11
; %bb.10:                               ;   in Loop: Header=BB328_9 Depth=1
	v_mov_b32_e32 v26, s13
	v_add_co_u32_e64 v25, s[0:1], s12, v2
	v_addc_co_u32_e64 v26, s[0:1], v3, v26, s[0:1]
	global_load_ubyte v25, v[25:26], off
	s_waitcnt vmcnt(0)
	v_perm_b32 v24, v25, v24, s18
.LBB328_11:                             ;   in Loop: Header=BB328_9 Depth=1
	s_or_b64 exec, exec, s[2:3]
	v_mov_b32_e32 v26, s13
	v_add_co_u32_e64 v25, s[0:1], s12, v22
	v_addc_co_u32_e64 v26, s[0:1], v23, v26, s[0:1]
	v_cmp_gt_u64_e64 s[0:1], s[10:11], v[25:26]
	v_and_b32_e32 v24, 0xffff00ff, v24
	s_and_saveexec_b64 s[4:5], s[0:1]
	s_cbranch_execz .LBB328_13
; %bb.12:                               ;   in Loop: Header=BB328_9 Depth=1
	v_mov_b32_e32 v26, s13
	v_add_co_u32_e64 v25, s[2:3], s12, v14
	v_addc_co_u32_e64 v26, s[2:3], v15, v26, s[2:3]
	global_load_ubyte v25, v[25:26], off
	s_waitcnt vmcnt(0)
	v_perm_b32 v24, v24, v25, s19
.LBB328_13:                             ;   in Loop: Header=BB328_9 Depth=1
	s_or_b64 exec, exec, s[4:5]
	v_mov_b32_e32 v26, s13
	v_add_co_u32_e64 v25, s[2:3], s12, v20
	v_addc_co_u32_e64 v26, s[2:3], v21, v26, s[2:3]
	v_cmp_gt_u64_e64 s[2:3], s[10:11], v[25:26]
	v_lshrrev_b32_e32 v25, 24, v24
	v_perm_b32 v24, v25, v24, s20
	s_and_saveexec_b64 s[6:7], s[2:3]
	s_cbranch_execz .LBB328_15
; %bb.14:                               ;   in Loop: Header=BB328_9 Depth=1
	v_mov_b32_e32 v26, s13
	v_add_co_u32_e64 v25, s[4:5], s12, v10
	v_addc_co_u32_e64 v26, s[4:5], v11, v26, s[4:5]
	global_load_ubyte v25, v[25:26], off
	s_waitcnt vmcnt(0)
	v_perm_b32 v24, v24, v25, s21
.LBB328_15:                             ;   in Loop: Header=BB328_9 Depth=1
	s_or_b64 exec, exec, s[6:7]
	v_mov_b32_e32 v26, s13
	v_add_co_u32_e64 v25, s[4:5], s12, v18
	v_addc_co_u32_e64 v26, s[4:5], v19, v26, s[4:5]
	v_cmp_gt_u64_e64 s[4:5], s[10:11], v[25:26]
	v_and_b32_e32 v24, 0xffffff, v24
	s_and_saveexec_b64 s[14:15], s[4:5]
	s_cbranch_execz .LBB328_17
; %bb.16:                               ;   in Loop: Header=BB328_9 Depth=1
	v_mov_b32_e32 v26, s13
	v_add_co_u32_e64 v25, s[6:7], s12, v6
	v_addc_co_u32_e64 v26, s[6:7], v7, v26, s[6:7]
	global_load_ubyte v25, v[25:26], off
	s_waitcnt vmcnt(0)
	v_lshlrev_b16_e32 v25, 8, v25
	v_or_b32_sdwa v25, v24, v25 dst_sel:WORD_1 dst_unused:UNUSED_PAD src0_sel:WORD_1 src1_sel:DWORD
	v_and_or_b32 v24, v24, s16, v25
.LBB328_17:                             ;   in Loop: Header=BB328_9 Depth=1
	s_or_b64 exec, exec, s[14:15]
	v_lshrrev_b32_e32 v25, 16, v24
	v_sub_u16_sdwa v26, v1, sext(v24) dst_sel:DWORD dst_unused:UNUSED_PAD src0_sel:DWORD src1_sel:BYTE_3
	v_sub_u16_sdwa v27, v1, sext(v25) dst_sel:DWORD dst_unused:UNUSED_PAD src0_sel:DWORD src1_sel:BYTE_0
	v_max_i16_sdwa v26, sext(v24), v26 dst_sel:BYTE_1 dst_unused:UNUSED_PAD src0_sel:BYTE_3 src1_sel:DWORD
	v_max_i16_sdwa v25, sext(v25), v27 dst_sel:DWORD dst_unused:UNUSED_PAD src0_sel:BYTE_0 src1_sel:DWORD
	v_or_b32_sdwa v25, v25, v26 dst_sel:WORD_1 dst_unused:UNUSED_PAD src0_sel:DWORD src1_sel:DWORD
	v_sub_u16_sdwa v26, v1, sext(v24) dst_sel:DWORD dst_unused:UNUSED_PAD src0_sel:DWORD src1_sel:BYTE_1
	v_sub_u16_sdwa v27, v1, sext(v24) dst_sel:DWORD dst_unused:UNUSED_PAD src0_sel:DWORD src1_sel:BYTE_0
	v_max_i16_sdwa v26, sext(v24), v26 dst_sel:BYTE_1 dst_unused:UNUSED_PAD src0_sel:BYTE_1 src1_sel:DWORD
	v_max_i16_sdwa v24, sext(v24), v27 dst_sel:DWORD dst_unused:UNUSED_PAD src0_sel:BYTE_0 src1_sel:DWORD
	v_or_b32_e32 v24, v24, v26
	v_or_b32_sdwa v24, v24, v25 dst_sel:DWORD dst_unused:UNUSED_PAD src0_sel:WORD_0 src1_sel:DWORD
	s_and_saveexec_b64 s[6:7], vcc
	s_cbranch_execnz .LBB328_21
; %bb.18:                               ;   in Loop: Header=BB328_9 Depth=1
	s_or_b64 exec, exec, s[6:7]
	s_and_saveexec_b64 s[6:7], s[0:1]
	s_cbranch_execnz .LBB328_22
.LBB328_19:                             ;   in Loop: Header=BB328_9 Depth=1
	s_or_b64 exec, exec, s[6:7]
	s_and_saveexec_b64 s[0:1], s[2:3]
	s_cbranch_execnz .LBB328_23
.LBB328_20:                             ;   in Loop: Header=BB328_9 Depth=1
	s_or_b64 exec, exec, s[0:1]
	s_and_saveexec_b64 s[0:1], s[4:5]
	s_cbranch_execz .LBB328_8
	s_branch .LBB328_24
.LBB328_21:                             ;   in Loop: Header=BB328_9 Depth=1
	v_mov_b32_e32 v26, s13
	v_add_co_u32_e32 v25, vcc, s12, v4
	v_addc_co_u32_e32 v26, vcc, v5, v26, vcc
	global_store_byte v[25:26], v24, off
	s_or_b64 exec, exec, s[6:7]
	s_and_saveexec_b64 s[6:7], s[0:1]
	s_cbranch_execz .LBB328_19
.LBB328_22:                             ;   in Loop: Header=BB328_9 Depth=1
	v_mov_b32_e32 v26, s13
	v_add_co_u32_e32 v25, vcc, s12, v16
	v_addc_co_u32_e32 v26, vcc, v17, v26, vcc
	v_lshrrev_b32_e32 v27, 8, v24
	global_store_byte v[25:26], v27, off
	s_or_b64 exec, exec, s[6:7]
	s_and_saveexec_b64 s[0:1], s[2:3]
	s_cbranch_execz .LBB328_20
.LBB328_23:                             ;   in Loop: Header=BB328_9 Depth=1
	v_mov_b32_e32 v26, s13
	v_add_co_u32_e32 v25, vcc, s12, v12
	v_addc_co_u32_e32 v26, vcc, v13, v26, vcc
	global_store_byte_d16_hi v[25:26], v24, off
	s_or_b64 exec, exec, s[0:1]
	s_and_saveexec_b64 s[0:1], s[4:5]
	s_cbranch_execz .LBB328_8
.LBB328_24:                             ;   in Loop: Header=BB328_9 Depth=1
	v_mov_b32_e32 v26, s13
	v_add_co_u32_e32 v25, vcc, s12, v8
	v_addc_co_u32_e32 v26, vcc, v9, v26, vcc
	v_lshrrev_b32_e32 v27, 24, v24
	global_store_byte v[25:26], v27, off
	s_branch .LBB328_8
.LBB328_25:
	s_endpgm
	.section	.rodata,"a",@progbits
	.p2align	6, 0x0
	.amdhsa_kernel _ZN2at6native12_GLOBAL__N_125multi_tensor_apply_kernelINS1_18TensorListMetadataILi2EEENS1_14UnaryOpFunctorIaLi2ELi1ELi1EEEJNS0_3AbsIaEEEEEvT_T0_DpT1_
		.amdhsa_group_segment_fixed_size 0
		.amdhsa_private_segment_fixed_size 0
		.amdhsa_kernarg_size 3408
		.amdhsa_user_sgpr_count 6
		.amdhsa_user_sgpr_private_segment_buffer 1
		.amdhsa_user_sgpr_dispatch_ptr 0
		.amdhsa_user_sgpr_queue_ptr 0
		.amdhsa_user_sgpr_kernarg_segment_ptr 1
		.amdhsa_user_sgpr_dispatch_id 0
		.amdhsa_user_sgpr_flat_scratch_init 0
		.amdhsa_user_sgpr_private_segment_size 0
		.amdhsa_uses_dynamic_stack 0
		.amdhsa_system_sgpr_private_segment_wavefront_offset 0
		.amdhsa_system_sgpr_workgroup_id_x 1
		.amdhsa_system_sgpr_workgroup_id_y 0
		.amdhsa_system_sgpr_workgroup_id_z 0
		.amdhsa_system_sgpr_workgroup_info 0
		.amdhsa_system_vgpr_workitem_id 0
		.amdhsa_next_free_vgpr 28
		.amdhsa_next_free_sgpr 22
		.amdhsa_reserve_vcc 1
		.amdhsa_reserve_flat_scratch 0
		.amdhsa_float_round_mode_32 0
		.amdhsa_float_round_mode_16_64 0
		.amdhsa_float_denorm_mode_32 3
		.amdhsa_float_denorm_mode_16_64 3
		.amdhsa_dx10_clamp 1
		.amdhsa_ieee_mode 1
		.amdhsa_fp16_overflow 0
		.amdhsa_exception_fp_ieee_invalid_op 0
		.amdhsa_exception_fp_denorm_src 0
		.amdhsa_exception_fp_ieee_div_zero 0
		.amdhsa_exception_fp_ieee_overflow 0
		.amdhsa_exception_fp_ieee_underflow 0
		.amdhsa_exception_fp_ieee_inexact 0
		.amdhsa_exception_int_div_zero 0
	.end_amdhsa_kernel
	.section	.text._ZN2at6native12_GLOBAL__N_125multi_tensor_apply_kernelINS1_18TensorListMetadataILi2EEENS1_14UnaryOpFunctorIaLi2ELi1ELi1EEEJNS0_3AbsIaEEEEEvT_T0_DpT1_,"axG",@progbits,_ZN2at6native12_GLOBAL__N_125multi_tensor_apply_kernelINS1_18TensorListMetadataILi2EEENS1_14UnaryOpFunctorIaLi2ELi1ELi1EEEJNS0_3AbsIaEEEEEvT_T0_DpT1_,comdat
.Lfunc_end328:
	.size	_ZN2at6native12_GLOBAL__N_125multi_tensor_apply_kernelINS1_18TensorListMetadataILi2EEENS1_14UnaryOpFunctorIaLi2ELi1ELi1EEEJNS0_3AbsIaEEEEEvT_T0_DpT1_, .Lfunc_end328-_ZN2at6native12_GLOBAL__N_125multi_tensor_apply_kernelINS1_18TensorListMetadataILi2EEENS1_14UnaryOpFunctorIaLi2ELi1ELi1EEEJNS0_3AbsIaEEEEEvT_T0_DpT1_
                                        ; -- End function
	.set _ZN2at6native12_GLOBAL__N_125multi_tensor_apply_kernelINS1_18TensorListMetadataILi2EEENS1_14UnaryOpFunctorIaLi2ELi1ELi1EEEJNS0_3AbsIaEEEEEvT_T0_DpT1_.num_vgpr, 28
	.set _ZN2at6native12_GLOBAL__N_125multi_tensor_apply_kernelINS1_18TensorListMetadataILi2EEENS1_14UnaryOpFunctorIaLi2ELi1ELi1EEEJNS0_3AbsIaEEEEEvT_T0_DpT1_.num_agpr, 0
	.set _ZN2at6native12_GLOBAL__N_125multi_tensor_apply_kernelINS1_18TensorListMetadataILi2EEENS1_14UnaryOpFunctorIaLi2ELi1ELi1EEEJNS0_3AbsIaEEEEEvT_T0_DpT1_.numbered_sgpr, 22
	.set _ZN2at6native12_GLOBAL__N_125multi_tensor_apply_kernelINS1_18TensorListMetadataILi2EEENS1_14UnaryOpFunctorIaLi2ELi1ELi1EEEJNS0_3AbsIaEEEEEvT_T0_DpT1_.num_named_barrier, 0
	.set _ZN2at6native12_GLOBAL__N_125multi_tensor_apply_kernelINS1_18TensorListMetadataILi2EEENS1_14UnaryOpFunctorIaLi2ELi1ELi1EEEJNS0_3AbsIaEEEEEvT_T0_DpT1_.private_seg_size, 0
	.set _ZN2at6native12_GLOBAL__N_125multi_tensor_apply_kernelINS1_18TensorListMetadataILi2EEENS1_14UnaryOpFunctorIaLi2ELi1ELi1EEEJNS0_3AbsIaEEEEEvT_T0_DpT1_.uses_vcc, 1
	.set _ZN2at6native12_GLOBAL__N_125multi_tensor_apply_kernelINS1_18TensorListMetadataILi2EEENS1_14UnaryOpFunctorIaLi2ELi1ELi1EEEJNS0_3AbsIaEEEEEvT_T0_DpT1_.uses_flat_scratch, 0
	.set _ZN2at6native12_GLOBAL__N_125multi_tensor_apply_kernelINS1_18TensorListMetadataILi2EEENS1_14UnaryOpFunctorIaLi2ELi1ELi1EEEJNS0_3AbsIaEEEEEvT_T0_DpT1_.has_dyn_sized_stack, 0
	.set _ZN2at6native12_GLOBAL__N_125multi_tensor_apply_kernelINS1_18TensorListMetadataILi2EEENS1_14UnaryOpFunctorIaLi2ELi1ELi1EEEJNS0_3AbsIaEEEEEvT_T0_DpT1_.has_recursion, 0
	.set _ZN2at6native12_GLOBAL__N_125multi_tensor_apply_kernelINS1_18TensorListMetadataILi2EEENS1_14UnaryOpFunctorIaLi2ELi1ELi1EEEJNS0_3AbsIaEEEEEvT_T0_DpT1_.has_indirect_call, 0
	.section	.AMDGPU.csdata,"",@progbits
; Kernel info:
; codeLenInByte = 1428
; TotalNumSgprs: 26
; NumVgprs: 28
; ScratchSize: 0
; MemoryBound: 0
; FloatMode: 240
; IeeeMode: 1
; LDSByteSize: 0 bytes/workgroup (compile time only)
; SGPRBlocks: 3
; VGPRBlocks: 6
; NumSGPRsForWavesPerEU: 26
; NumVGPRsForWavesPerEU: 28
; Occupancy: 9
; WaveLimiterHint : 0
; COMPUTE_PGM_RSRC2:SCRATCH_EN: 0
; COMPUTE_PGM_RSRC2:USER_SGPR: 6
; COMPUTE_PGM_RSRC2:TRAP_HANDLER: 0
; COMPUTE_PGM_RSRC2:TGID_X_EN: 1
; COMPUTE_PGM_RSRC2:TGID_Y_EN: 0
; COMPUTE_PGM_RSRC2:TGID_Z_EN: 0
; COMPUTE_PGM_RSRC2:TIDIG_COMP_CNT: 0
	.section	.text._ZN2at6native12_GLOBAL__N_125multi_tensor_apply_kernelINS1_18TensorListMetadataILi2EEENS1_14UnaryOpFunctorIiLi2ELi1ELi1EEEJNS0_3AbsIiEEEEEvT_T0_DpT1_,"axG",@progbits,_ZN2at6native12_GLOBAL__N_125multi_tensor_apply_kernelINS1_18TensorListMetadataILi2EEENS1_14UnaryOpFunctorIiLi2ELi1ELi1EEEJNS0_3AbsIiEEEEEvT_T0_DpT1_,comdat
	.globl	_ZN2at6native12_GLOBAL__N_125multi_tensor_apply_kernelINS1_18TensorListMetadataILi2EEENS1_14UnaryOpFunctorIiLi2ELi1ELi1EEEJNS0_3AbsIiEEEEEvT_T0_DpT1_ ; -- Begin function _ZN2at6native12_GLOBAL__N_125multi_tensor_apply_kernelINS1_18TensorListMetadataILi2EEENS1_14UnaryOpFunctorIiLi2ELi1ELi1EEEJNS0_3AbsIiEEEEEvT_T0_DpT1_
	.p2align	8
	.type	_ZN2at6native12_GLOBAL__N_125multi_tensor_apply_kernelINS1_18TensorListMetadataILi2EEENS1_14UnaryOpFunctorIiLi2ELi1ELi1EEEJNS0_3AbsIiEEEEEvT_T0_DpT1_,@function
_ZN2at6native12_GLOBAL__N_125multi_tensor_apply_kernelINS1_18TensorListMetadataILi2EEENS1_14UnaryOpFunctorIiLi2ELi1ELi1EEEJNS0_3AbsIiEEEEEvT_T0_DpT1_: ; @_ZN2at6native12_GLOBAL__N_125multi_tensor_apply_kernelINS1_18TensorListMetadataILi2EEENS1_14UnaryOpFunctorIiLi2ELi1ELi1EEEJNS0_3AbsIiEEEEEvT_T0_DpT1_
; %bb.0:
	v_mov_b32_e32 v1, s6
	global_load_ubyte v1, v1, s[4:5] offset:1536
	s_add_u32 s0, s4, s6
	s_mul_hi_u32 s1, s6, 3
	s_mul_i32 s6, s6, 3
	s_addc_u32 s2, s5, 0
	s_add_u32 s0, s0, s6
	s_addc_u32 s1, s2, s1
	s_load_dword s6, s[0:1], 0x740
	s_mov_b32 s11, 0
	s_mov_b32 s13, s11
	s_waitcnt vmcnt(0)
	v_readfirstlane_b32 s0, v1
	s_lshl_b32 s7, s0, 3
	s_load_dwordx2 s[14:15], s[4:5], s7 offset:0x400
	s_load_dwordx2 s[2:3], s[4:5], s7 offset:0x0
	;; [unrolled: 1-line block ×3, first 2 shown]
	s_waitcnt lgkmcnt(0)
	s_ashr_i32 s7, s6, 31
	s_lshl_b64 s[8:9], s[6:7], 18
	s_lshl_b64 s[6:7], s[6:7], 16
	s_add_u32 s10, s2, s8
	s_and_b32 s12, s0, 15
	s_and_b32 s10, s10, 15
	s_sub_u32 s6, s14, s6
	s_subb_u32 s7, s15, s7
	s_and_b32 s14, s14, 3
	s_mov_b32 s15, s11
	s_or_b64 s[12:13], s[12:13], s[14:15]
	s_or_b64 s[10:11], s[12:13], s[10:11]
	s_cmp_eq_u64 s[10:11], 0
	s_mov_b64 s[10:11], -1
	s_cbranch_scc0 .LBB329_5
; %bb.1:
	v_mov_b32_e32 v1, 0x10000
	v_mov_b32_e32 v2, 0
	v_cmp_lt_i64_e32 vcc, s[6:7], v[1:2]
	v_mov_b32_e32 v2, 0
	s_and_b64 s[10:11], vcc, exec
	s_cselect_b32 s11, s7, 0
	s_cselect_b32 s10, s6, 0x10000
	v_lshlrev_b32_e32 v1, 2, v0
	v_cmp_gt_i64_e32 vcc, s[10:11], v[1:2]
	s_and_saveexec_b64 s[12:13], vcc
	s_cbranch_execz .LBB329_4
; %bb.2:
	s_load_dword s14, s[4:5], 0xc5c
	v_mov_b32_e32 v1, v2
	v_lshlrev_b32_e32 v2, 4, v0
	v_mov_b32_e32 v4, s9
	v_add_co_u32_e32 v3, vcc, s8, v2
	s_waitcnt lgkmcnt(0)
	s_and_b32 s16, s14, 0xffff
	v_mov_b32_e32 v2, v1
	v_addc_co_u32_e32 v4, vcc, 0, v4, vcc
	s_lshl_b32 s17, s16, 4
	s_mov_b64 s[14:15], 0
	v_mov_b32_e32 v5, s3
	v_mov_b32_e32 v6, s1
	;; [unrolled: 1-line block ×3, first 2 shown]
.LBB329_3:                              ; =>This Inner Loop Header: Depth=1
	v_add_co_u32_e32 v7, vcc, s2, v3
	v_addc_co_u32_e32 v8, vcc, v5, v4, vcc
	global_load_dwordx4 v[7:10], v[7:8], off
	v_add_co_u32_e32 v11, vcc, s0, v3
	v_addc_co_u32_e32 v12, vcc, v6, v4, vcc
	v_add_co_u32_e32 v1, vcc, s16, v1
	v_addc_co_u32_e32 v2, vcc, 0, v2, vcc
	v_add_co_u32_e32 v3, vcc, s17, v3
	v_lshlrev_b64 v[13:14], 2, v[1:2]
	v_addc_co_u32_e32 v4, vcc, 0, v4, vcc
	v_cmp_le_i64_e32 vcc, s[10:11], v[13:14]
	s_or_b64 s[14:15], vcc, s[14:15]
	s_waitcnt vmcnt(0)
	v_sub_u32_e32 v13, 0, v7
	v_sub_u32_e32 v14, 0, v8
	;; [unrolled: 1-line block ×4, first 2 shown]
	v_max_i32_e32 v7, v7, v13
	v_max_i32_e32 v8, v8, v14
	v_max_i32_e32 v9, v9, v15
	v_max_i32_e32 v10, v10, v16
	global_store_dwordx4 v[11:12], v[7:10], off
	s_andn2_b64 exec, exec, s[14:15]
	s_cbranch_execnz .LBB329_3
.LBB329_4:
	s_or_b64 exec, exec, s[12:13]
	s_mov_b64 s[10:11], 0
.LBB329_5:
	s_andn2_b64 vcc, exec, s[10:11]
	s_cbranch_vccnz .LBB329_25
; %bb.6:
	v_cmp_lt_i64_e64 s[10:11], s[6:7], 1
	s_and_b64 vcc, exec, s[10:11]
	s_cbranch_vccnz .LBB329_25
; %bb.7:
	v_mov_b32_e32 v1, 0x10000
	s_load_dword s12, s[4:5], 0xc5c
	v_mov_b32_e32 v2, 0
	v_cmp_lt_i64_e32 vcc, s[6:7], v[1:2]
	v_mov_b32_e32 v10, 0
	s_and_b64 s[4:5], vcc, exec
	v_cmp_lt_u64_e32 vcc, s[6:7], v[1:2]
	s_cselect_b32 s11, s7, 0
	s_cselect_b32 s10, s6, 0x10000
	s_waitcnt lgkmcnt(0)
	s_and_b32 s14, s12, 0xffff
	v_lshlrev_b32_e32 v9, 2, v0
	s_and_b64 s[4:5], vcc, exec
	v_mov_b32_e32 v2, s3
	v_add_co_u32_e32 v1, vcc, s2, v9
	v_mad_u64_u32 v[7:8], s[4:5], s14, 12, v[9:10]
	v_addc_co_u32_e32 v2, vcc, 0, v2, vcc
	v_mov_b32_e32 v4, s1
	v_add_co_u32_e32 v3, vcc, s0, v9
	v_addc_co_u32_e32 v4, vcc, 0, v4, vcc
	v_mov_b32_e32 v6, s3
	v_add_co_u32_e32 v5, vcc, s2, v7
	;; [unrolled: 3-line block ×3, first 2 shown]
	s_cselect_b32 s13, s7, 0
	s_cselect_b32 s12, s6, 0x10000
	v_addc_co_u32_e32 v8, vcc, v10, v8, vcc
	s_lshl_b32 s4, s14, 3
	v_add_co_u32_e32 v11, vcc, s4, v9
	v_addc_co_u32_e64 v12, s[4:5], 0, 0, vcc
	v_mov_b32_e32 v10, s3
	v_add_co_u32_e32 v9, vcc, s2, v11
	v_addc_co_u32_e32 v10, vcc, v10, v12, vcc
	v_mov_b32_e32 v13, s1
	v_add_co_u32_e32 v11, vcc, s0, v11
	v_addc_co_u32_e32 v12, vcc, v13, v12, vcc
	v_add_co_u32_e32 v13, vcc, s14, v0
	v_lshlrev_b32_e32 v17, 2, v13
	v_addc_co_u32_e64 v14, s[4:5], 0, 0, vcc
	v_mov_b32_e32 v16, s3
	v_add_co_u32_e32 v15, vcc, s2, v17
	v_addc_co_u32_e32 v16, vcc, 0, v16, vcc
	v_mov_b32_e32 v18, s1
	v_add_co_u32_e32 v17, vcc, s0, v17
	s_mul_i32 s7, s14, 3
	v_addc_co_u32_e32 v18, vcc, 0, v18, vcc
	s_lshl_b32 s6, s14, 1
	v_add_co_u32_e32 v19, vcc, s7, v0
	v_addc_co_u32_e64 v20, s[0:1], 0, 0, vcc
	v_add_co_u32_e32 v21, vcc, s6, v0
	s_lshl_b32 s18, s14, 2
	s_lshl_b32 s19, s14, 4
	s_mov_b64 s[14:15], 0
	v_addc_co_u32_e64 v22, s[0:1], 0, 0, vcc
	s_branch .LBB329_9
.LBB329_8:                              ;   in Loop: Header=BB329_9 Depth=1
	s_or_b64 exec, exec, s[0:1]
	v_add_co_u32_e32 v1, vcc, s19, v1
	v_addc_co_u32_e32 v2, vcc, 0, v2, vcc
	v_add_co_u32_e32 v3, vcc, s19, v3
	v_addc_co_u32_e32 v4, vcc, 0, v4, vcc
	;; [unrolled: 2-line block ×6, first 2 shown]
	s_add_u32 s14, s14, s18
	v_add_co_u32_e32 v15, vcc, s19, v15
	v_mov_b32_e32 v24, s11
	s_addc_u32 s15, s15, 0
	v_addc_co_u32_e32 v16, vcc, 0, v16, vcc
	v_mov_b32_e32 v23, s10
	v_cmp_ge_i64_e32 vcc, s[14:15], v[23:24]
	v_add_co_u32_e64 v17, s[0:1], s19, v17
	v_addc_co_u32_e64 v18, s[0:1], 0, v18, s[0:1]
	s_cbranch_vccnz .LBB329_25
.LBB329_9:                              ; =>This Inner Loop Header: Depth=1
	v_mov_b32_e32 v24, s15
	v_add_co_u32_e32 v23, vcc, s14, v0
	v_addc_co_u32_e32 v24, vcc, 0, v24, vcc
	v_cmp_gt_u64_e32 vcc, s[12:13], v[23:24]
	v_mov_b32_e32 v24, 0
	s_and_saveexec_b64 s[2:3], vcc
	s_cbranch_execz .LBB329_11
; %bb.10:                               ;   in Loop: Header=BB329_9 Depth=1
	v_mov_b32_e32 v24, s9
	v_add_co_u32_e64 v23, s[0:1], s8, v1
	v_addc_co_u32_e64 v24, s[0:1], v2, v24, s[0:1]
	global_load_dword v23, v[23:24], off
	s_waitcnt vmcnt(0)
	v_sub_u32_e32 v24, 0, v23
	v_max_i32_e32 v24, v23, v24
.LBB329_11:                             ;   in Loop: Header=BB329_9 Depth=1
	s_or_b64 exec, exec, s[2:3]
	v_mov_b32_e32 v23, s15
	v_add_co_u32_e64 v25, s[0:1], s14, v13
	v_addc_co_u32_e64 v26, s[0:1], v14, v23, s[0:1]
	v_cmp_gt_u64_e64 s[0:1], s[12:13], v[25:26]
	v_mov_b32_e32 v23, 0
	v_mov_b32_e32 v25, 0
	s_and_saveexec_b64 s[4:5], s[0:1]
	s_cbranch_execz .LBB329_13
; %bb.12:                               ;   in Loop: Header=BB329_9 Depth=1
	v_mov_b32_e32 v26, s9
	v_add_co_u32_e64 v25, s[2:3], s8, v15
	v_addc_co_u32_e64 v26, s[2:3], v16, v26, s[2:3]
	global_load_dword v25, v[25:26], off
	s_waitcnt vmcnt(0)
	v_sub_u32_e32 v26, 0, v25
	v_max_i32_e32 v25, v25, v26
.LBB329_13:                             ;   in Loop: Header=BB329_9 Depth=1
	s_or_b64 exec, exec, s[4:5]
	v_mov_b32_e32 v27, s15
	v_add_co_u32_e64 v26, s[2:3], s14, v21
	v_addc_co_u32_e64 v27, s[2:3], v22, v27, s[2:3]
	v_cmp_gt_u64_e64 s[2:3], s[12:13], v[26:27]
	s_and_saveexec_b64 s[6:7], s[2:3]
	s_cbranch_execz .LBB329_15
; %bb.14:                               ;   in Loop: Header=BB329_9 Depth=1
	v_mov_b32_e32 v23, s9
	v_add_co_u32_e64 v26, s[4:5], s8, v9
	v_addc_co_u32_e64 v27, s[4:5], v10, v23, s[4:5]
	global_load_dword v23, v[26:27], off
	s_waitcnt vmcnt(0)
	v_sub_u32_e32 v26, 0, v23
	v_max_i32_e32 v23, v23, v26
.LBB329_15:                             ;   in Loop: Header=BB329_9 Depth=1
	s_or_b64 exec, exec, s[6:7]
	v_mov_b32_e32 v27, s15
	v_add_co_u32_e64 v26, s[4:5], s14, v19
	v_addc_co_u32_e64 v27, s[4:5], v20, v27, s[4:5]
	v_cmp_gt_u64_e64 s[4:5], s[12:13], v[26:27]
	v_mov_b32_e32 v26, 0
	s_and_saveexec_b64 s[16:17], s[4:5]
	s_cbranch_execnz .LBB329_20
; %bb.16:                               ;   in Loop: Header=BB329_9 Depth=1
	s_or_b64 exec, exec, s[16:17]
	s_and_saveexec_b64 s[6:7], vcc
	s_cbranch_execnz .LBB329_21
.LBB329_17:                             ;   in Loop: Header=BB329_9 Depth=1
	s_or_b64 exec, exec, s[6:7]
	s_and_saveexec_b64 s[6:7], s[0:1]
	s_cbranch_execnz .LBB329_22
.LBB329_18:                             ;   in Loop: Header=BB329_9 Depth=1
	s_or_b64 exec, exec, s[6:7]
	s_and_saveexec_b64 s[0:1], s[2:3]
	s_cbranch_execnz .LBB329_23
.LBB329_19:                             ;   in Loop: Header=BB329_9 Depth=1
	s_or_b64 exec, exec, s[0:1]
	s_and_saveexec_b64 s[0:1], s[4:5]
	s_cbranch_execz .LBB329_8
	s_branch .LBB329_24
.LBB329_20:                             ;   in Loop: Header=BB329_9 Depth=1
	v_mov_b32_e32 v27, s9
	v_add_co_u32_e64 v26, s[6:7], s8, v5
	v_addc_co_u32_e64 v27, s[6:7], v6, v27, s[6:7]
	global_load_dword v26, v[26:27], off
	s_waitcnt vmcnt(0)
	v_sub_u32_e32 v27, 0, v26
	v_max_i32_e32 v26, v26, v27
	s_or_b64 exec, exec, s[16:17]
	s_and_saveexec_b64 s[6:7], vcc
	s_cbranch_execz .LBB329_17
.LBB329_21:                             ;   in Loop: Header=BB329_9 Depth=1
	v_mov_b32_e32 v28, s9
	v_add_co_u32_e32 v27, vcc, s8, v3
	v_addc_co_u32_e32 v28, vcc, v4, v28, vcc
	global_store_dword v[27:28], v24, off
	s_or_b64 exec, exec, s[6:7]
	s_and_saveexec_b64 s[6:7], s[0:1]
	s_cbranch_execz .LBB329_18
.LBB329_22:                             ;   in Loop: Header=BB329_9 Depth=1
	v_mov_b32_e32 v24, s9
	v_add_co_u32_e32 v27, vcc, s8, v17
	v_addc_co_u32_e32 v28, vcc, v18, v24, vcc
	global_store_dword v[27:28], v25, off
	s_or_b64 exec, exec, s[6:7]
	s_and_saveexec_b64 s[0:1], s[2:3]
	s_cbranch_execz .LBB329_19
.LBB329_23:                             ;   in Loop: Header=BB329_9 Depth=1
	v_mov_b32_e32 v25, s9
	v_add_co_u32_e32 v24, vcc, s8, v11
	v_addc_co_u32_e32 v25, vcc, v12, v25, vcc
	global_store_dword v[24:25], v23, off
	s_or_b64 exec, exec, s[0:1]
	s_and_saveexec_b64 s[0:1], s[4:5]
	s_cbranch_execz .LBB329_8
.LBB329_24:                             ;   in Loop: Header=BB329_9 Depth=1
	v_mov_b32_e32 v24, s9
	v_add_co_u32_e32 v23, vcc, s8, v7
	v_addc_co_u32_e32 v24, vcc, v8, v24, vcc
	global_store_dword v[23:24], v26, off
	s_branch .LBB329_8
.LBB329_25:
	s_endpgm
	.section	.rodata,"a",@progbits
	.p2align	6, 0x0
	.amdhsa_kernel _ZN2at6native12_GLOBAL__N_125multi_tensor_apply_kernelINS1_18TensorListMetadataILi2EEENS1_14UnaryOpFunctorIiLi2ELi1ELi1EEEJNS0_3AbsIiEEEEEvT_T0_DpT1_
		.amdhsa_group_segment_fixed_size 0
		.amdhsa_private_segment_fixed_size 0
		.amdhsa_kernarg_size 3408
		.amdhsa_user_sgpr_count 6
		.amdhsa_user_sgpr_private_segment_buffer 1
		.amdhsa_user_sgpr_dispatch_ptr 0
		.amdhsa_user_sgpr_queue_ptr 0
		.amdhsa_user_sgpr_kernarg_segment_ptr 1
		.amdhsa_user_sgpr_dispatch_id 0
		.amdhsa_user_sgpr_flat_scratch_init 0
		.amdhsa_user_sgpr_private_segment_size 0
		.amdhsa_uses_dynamic_stack 0
		.amdhsa_system_sgpr_private_segment_wavefront_offset 0
		.amdhsa_system_sgpr_workgroup_id_x 1
		.amdhsa_system_sgpr_workgroup_id_y 0
		.amdhsa_system_sgpr_workgroup_id_z 0
		.amdhsa_system_sgpr_workgroup_info 0
		.amdhsa_system_vgpr_workitem_id 0
		.amdhsa_next_free_vgpr 29
		.amdhsa_next_free_sgpr 20
		.amdhsa_reserve_vcc 1
		.amdhsa_reserve_flat_scratch 0
		.amdhsa_float_round_mode_32 0
		.amdhsa_float_round_mode_16_64 0
		.amdhsa_float_denorm_mode_32 3
		.amdhsa_float_denorm_mode_16_64 3
		.amdhsa_dx10_clamp 1
		.amdhsa_ieee_mode 1
		.amdhsa_fp16_overflow 0
		.amdhsa_exception_fp_ieee_invalid_op 0
		.amdhsa_exception_fp_denorm_src 0
		.amdhsa_exception_fp_ieee_div_zero 0
		.amdhsa_exception_fp_ieee_overflow 0
		.amdhsa_exception_fp_ieee_underflow 0
		.amdhsa_exception_fp_ieee_inexact 0
		.amdhsa_exception_int_div_zero 0
	.end_amdhsa_kernel
	.section	.text._ZN2at6native12_GLOBAL__N_125multi_tensor_apply_kernelINS1_18TensorListMetadataILi2EEENS1_14UnaryOpFunctorIiLi2ELi1ELi1EEEJNS0_3AbsIiEEEEEvT_T0_DpT1_,"axG",@progbits,_ZN2at6native12_GLOBAL__N_125multi_tensor_apply_kernelINS1_18TensorListMetadataILi2EEENS1_14UnaryOpFunctorIiLi2ELi1ELi1EEEJNS0_3AbsIiEEEEEvT_T0_DpT1_,comdat
.Lfunc_end329:
	.size	_ZN2at6native12_GLOBAL__N_125multi_tensor_apply_kernelINS1_18TensorListMetadataILi2EEENS1_14UnaryOpFunctorIiLi2ELi1ELi1EEEJNS0_3AbsIiEEEEEvT_T0_DpT1_, .Lfunc_end329-_ZN2at6native12_GLOBAL__N_125multi_tensor_apply_kernelINS1_18TensorListMetadataILi2EEENS1_14UnaryOpFunctorIiLi2ELi1ELi1EEEJNS0_3AbsIiEEEEEvT_T0_DpT1_
                                        ; -- End function
	.set _ZN2at6native12_GLOBAL__N_125multi_tensor_apply_kernelINS1_18TensorListMetadataILi2EEENS1_14UnaryOpFunctorIiLi2ELi1ELi1EEEJNS0_3AbsIiEEEEEvT_T0_DpT1_.num_vgpr, 29
	.set _ZN2at6native12_GLOBAL__N_125multi_tensor_apply_kernelINS1_18TensorListMetadataILi2EEENS1_14UnaryOpFunctorIiLi2ELi1ELi1EEEJNS0_3AbsIiEEEEEvT_T0_DpT1_.num_agpr, 0
	.set _ZN2at6native12_GLOBAL__N_125multi_tensor_apply_kernelINS1_18TensorListMetadataILi2EEENS1_14UnaryOpFunctorIiLi2ELi1ELi1EEEJNS0_3AbsIiEEEEEvT_T0_DpT1_.numbered_sgpr, 20
	.set _ZN2at6native12_GLOBAL__N_125multi_tensor_apply_kernelINS1_18TensorListMetadataILi2EEENS1_14UnaryOpFunctorIiLi2ELi1ELi1EEEJNS0_3AbsIiEEEEEvT_T0_DpT1_.num_named_barrier, 0
	.set _ZN2at6native12_GLOBAL__N_125multi_tensor_apply_kernelINS1_18TensorListMetadataILi2EEENS1_14UnaryOpFunctorIiLi2ELi1ELi1EEEJNS0_3AbsIiEEEEEvT_T0_DpT1_.private_seg_size, 0
	.set _ZN2at6native12_GLOBAL__N_125multi_tensor_apply_kernelINS1_18TensorListMetadataILi2EEENS1_14UnaryOpFunctorIiLi2ELi1ELi1EEEJNS0_3AbsIiEEEEEvT_T0_DpT1_.uses_vcc, 1
	.set _ZN2at6native12_GLOBAL__N_125multi_tensor_apply_kernelINS1_18TensorListMetadataILi2EEENS1_14UnaryOpFunctorIiLi2ELi1ELi1EEEJNS0_3AbsIiEEEEEvT_T0_DpT1_.uses_flat_scratch, 0
	.set _ZN2at6native12_GLOBAL__N_125multi_tensor_apply_kernelINS1_18TensorListMetadataILi2EEENS1_14UnaryOpFunctorIiLi2ELi1ELi1EEEJNS0_3AbsIiEEEEEvT_T0_DpT1_.has_dyn_sized_stack, 0
	.set _ZN2at6native12_GLOBAL__N_125multi_tensor_apply_kernelINS1_18TensorListMetadataILi2EEENS1_14UnaryOpFunctorIiLi2ELi1ELi1EEEJNS0_3AbsIiEEEEEvT_T0_DpT1_.has_recursion, 0
	.set _ZN2at6native12_GLOBAL__N_125multi_tensor_apply_kernelINS1_18TensorListMetadataILi2EEENS1_14UnaryOpFunctorIiLi2ELi1ELi1EEEJNS0_3AbsIiEEEEEvT_T0_DpT1_.has_indirect_call, 0
	.section	.AMDGPU.csdata,"",@progbits
; Kernel info:
; codeLenInByte = 1280
; TotalNumSgprs: 24
; NumVgprs: 29
; ScratchSize: 0
; MemoryBound: 0
; FloatMode: 240
; IeeeMode: 1
; LDSByteSize: 0 bytes/workgroup (compile time only)
; SGPRBlocks: 2
; VGPRBlocks: 7
; NumSGPRsForWavesPerEU: 24
; NumVGPRsForWavesPerEU: 29
; Occupancy: 8
; WaveLimiterHint : 0
; COMPUTE_PGM_RSRC2:SCRATCH_EN: 0
; COMPUTE_PGM_RSRC2:USER_SGPR: 6
; COMPUTE_PGM_RSRC2:TRAP_HANDLER: 0
; COMPUTE_PGM_RSRC2:TGID_X_EN: 1
; COMPUTE_PGM_RSRC2:TGID_Y_EN: 0
; COMPUTE_PGM_RSRC2:TGID_Z_EN: 0
; COMPUTE_PGM_RSRC2:TIDIG_COMP_CNT: 0
	.section	.text._ZN2at6native12_GLOBAL__N_125multi_tensor_apply_kernelINS1_18TensorListMetadataILi2EEENS1_14UnaryOpFunctorIlLi2ELi1ELi1EEEJNS0_3AbsIlEEEEEvT_T0_DpT1_,"axG",@progbits,_ZN2at6native12_GLOBAL__N_125multi_tensor_apply_kernelINS1_18TensorListMetadataILi2EEENS1_14UnaryOpFunctorIlLi2ELi1ELi1EEEJNS0_3AbsIlEEEEEvT_T0_DpT1_,comdat
	.globl	_ZN2at6native12_GLOBAL__N_125multi_tensor_apply_kernelINS1_18TensorListMetadataILi2EEENS1_14UnaryOpFunctorIlLi2ELi1ELi1EEEJNS0_3AbsIlEEEEEvT_T0_DpT1_ ; -- Begin function _ZN2at6native12_GLOBAL__N_125multi_tensor_apply_kernelINS1_18TensorListMetadataILi2EEENS1_14UnaryOpFunctorIlLi2ELi1ELi1EEEJNS0_3AbsIlEEEEEvT_T0_DpT1_
	.p2align	8
	.type	_ZN2at6native12_GLOBAL__N_125multi_tensor_apply_kernelINS1_18TensorListMetadataILi2EEENS1_14UnaryOpFunctorIlLi2ELi1ELi1EEEJNS0_3AbsIlEEEEEvT_T0_DpT1_,@function
_ZN2at6native12_GLOBAL__N_125multi_tensor_apply_kernelINS1_18TensorListMetadataILi2EEENS1_14UnaryOpFunctorIlLi2ELi1ELi1EEEJNS0_3AbsIlEEEEEvT_T0_DpT1_: ; @_ZN2at6native12_GLOBAL__N_125multi_tensor_apply_kernelINS1_18TensorListMetadataILi2EEENS1_14UnaryOpFunctorIlLi2ELi1ELi1EEEJNS0_3AbsIlEEEEEvT_T0_DpT1_
; %bb.0:
	v_mov_b32_e32 v1, s6
	global_load_ubyte v1, v1, s[4:5] offset:1536
	s_add_u32 s0, s4, s6
	s_mul_hi_u32 s1, s6, 3
	s_mul_i32 s6, s6, 3
	s_addc_u32 s2, s5, 0
	s_add_u32 s0, s0, s6
	s_addc_u32 s1, s2, s1
	s_load_dword s6, s[0:1], 0x740
	s_mov_b32 s11, 0
	s_mov_b32 s13, s11
	s_waitcnt vmcnt(0)
	v_readfirstlane_b32 s0, v1
	s_lshl_b32 s7, s0, 3
	s_load_dwordx2 s[14:15], s[4:5], s7 offset:0x400
	s_load_dwordx2 s[2:3], s[4:5], s7 offset:0x0
	;; [unrolled: 1-line block ×3, first 2 shown]
	s_waitcnt lgkmcnt(0)
	s_ashr_i32 s7, s6, 31
	s_lshl_b64 s[8:9], s[6:7], 19
	s_lshl_b64 s[6:7], s[6:7], 16
	s_add_u32 s10, s2, s8
	s_and_b32 s12, s0, 31
	s_and_b32 s10, s10, 31
	s_sub_u32 s6, s14, s6
	s_subb_u32 s7, s15, s7
	s_and_b32 s14, s14, 3
	s_mov_b32 s15, s11
	s_or_b64 s[12:13], s[12:13], s[14:15]
	s_or_b64 s[10:11], s[12:13], s[10:11]
	s_cmp_eq_u64 s[10:11], 0
	s_mov_b64 s[10:11], -1
	s_cbranch_scc0 .LBB330_5
; %bb.1:
	v_mov_b32_e32 v1, 0x10000
	v_mov_b32_e32 v2, 0
	v_cmp_lt_i64_e32 vcc, s[6:7], v[1:2]
	v_mov_b32_e32 v2, 0
	s_and_b64 s[10:11], vcc, exec
	s_cselect_b32 s11, s7, 0
	s_cselect_b32 s10, s6, 0x10000
	v_lshlrev_b32_e32 v1, 2, v0
	v_cmp_gt_i64_e32 vcc, s[10:11], v[1:2]
	s_and_saveexec_b64 s[12:13], vcc
	s_cbranch_execz .LBB330_4
; %bb.2:
	s_load_dword s14, s[4:5], 0xc5c
	v_mov_b32_e32 v1, v2
	v_lshlrev_b32_e32 v2, 5, v0
	v_mov_b32_e32 v4, s9
	v_add_co_u32_e32 v3, vcc, s8, v2
	s_waitcnt lgkmcnt(0)
	s_and_b32 s16, s14, 0xffff
	v_mov_b32_e32 v2, v1
	v_addc_co_u32_e32 v4, vcc, 0, v4, vcc
	s_lshl_b32 s17, s16, 5
	s_mov_b64 s[14:15], 0
	v_mov_b32_e32 v5, s3
	v_mov_b32_e32 v6, s1
	;; [unrolled: 1-line block ×3, first 2 shown]
.LBB330_3:                              ; =>This Inner Loop Header: Depth=1
	v_add_co_u32_e32 v15, vcc, s2, v3
	v_addc_co_u32_e32 v16, vcc, v5, v4, vcc
	global_load_dwordx4 v[7:10], v[15:16], off
	global_load_dwordx4 v[11:14], v[15:16], off offset:16
	v_add_co_u32_e32 v1, vcc, s16, v1
	v_addc_co_u32_e32 v2, vcc, 0, v2, vcc
	v_add_co_u32_e32 v15, vcc, s0, v3
	v_addc_co_u32_e32 v16, vcc, v6, v4, vcc
	v_add_co_u32_e32 v3, vcc, s17, v3
	v_lshlrev_b64 v[17:18], 2, v[1:2]
	v_addc_co_u32_e32 v4, vcc, 0, v4, vcc
	v_cmp_le_i64_e32 vcc, s[10:11], v[17:18]
	s_or_b64 s[14:15], vcc, s[14:15]
	s_waitcnt vmcnt(1)
	v_ashrrev_i32_e32 v17, 31, v8
	v_xor_b32_e32 v7, v7, v17
	v_ashrrev_i32_e32 v18, 31, v10
	v_xor_b32_e32 v8, v8, v17
	v_sub_co_u32_e32 v7, vcc, v7, v17
	v_xor_b32_e32 v9, v9, v18
	v_subb_co_u32_e32 v8, vcc, v8, v17, vcc
	s_waitcnt vmcnt(0)
	v_ashrrev_i32_e32 v19, 31, v12
	v_xor_b32_e32 v10, v10, v18
	v_sub_co_u32_e32 v9, vcc, v9, v18
	v_xor_b32_e32 v11, v11, v19
	v_subb_co_u32_e32 v10, vcc, v10, v18, vcc
	v_ashrrev_i32_e32 v20, 31, v14
	v_xor_b32_e32 v12, v12, v19
	v_sub_co_u32_e32 v11, vcc, v11, v19
	v_xor_b32_e32 v13, v13, v20
	v_subb_co_u32_e32 v12, vcc, v12, v19, vcc
	v_xor_b32_e32 v14, v14, v20
	v_sub_co_u32_e32 v13, vcc, v13, v20
	v_subb_co_u32_e32 v14, vcc, v14, v20, vcc
	global_store_dwordx4 v[15:16], v[7:10], off
	global_store_dwordx4 v[15:16], v[11:14], off offset:16
	s_andn2_b64 exec, exec, s[14:15]
	s_cbranch_execnz .LBB330_3
.LBB330_4:
	s_or_b64 exec, exec, s[12:13]
	s_mov_b64 s[10:11], 0
.LBB330_5:
	s_andn2_b64 vcc, exec, s[10:11]
	s_cbranch_vccnz .LBB330_25
; %bb.6:
	v_cmp_lt_i64_e64 s[10:11], s[6:7], 1
	s_and_b64 vcc, exec, s[10:11]
	s_cbranch_vccnz .LBB330_25
; %bb.7:
	v_mov_b32_e32 v1, 0x10000
	s_load_dword s12, s[4:5], 0xc5c
	v_mov_b32_e32 v2, 0
	v_cmp_lt_i64_e32 vcc, s[6:7], v[1:2]
	v_mov_b32_e32 v3, 0
	s_and_b64 s[4:5], vcc, exec
	v_cmp_lt_u64_e32 vcc, s[6:7], v[1:2]
	s_cselect_b32 s11, s7, 0
	s_cselect_b32 s10, s6, 0x10000
	s_waitcnt lgkmcnt(0)
	s_and_b32 s14, s12, 0xffff
	v_lshlrev_b32_e32 v2, 3, v0
	s_and_b64 s[4:5], vcc, exec
	v_mov_b32_e32 v1, s3
	v_add_co_u32_e32 v9, vcc, s2, v2
	v_mad_u64_u32 v[3:4], s[4:5], s14, 24, v[2:3]
	v_addc_co_u32_e32 v10, vcc, 0, v1, vcc
	v_mov_b32_e32 v1, s1
	v_add_co_u32_e32 v11, vcc, s0, v2
	v_addc_co_u32_e32 v12, vcc, 0, v1, vcc
	v_mov_b32_e32 v1, s3
	v_add_co_u32_e32 v13, vcc, s2, v3
	;; [unrolled: 3-line block ×3, first 2 shown]
	s_cselect_b32 s13, s7, 0
	s_cselect_b32 s12, s6, 0x10000
	v_addc_co_u32_e32 v16, vcc, v1, v4, vcc
	s_lshl_b32 s4, s14, 4
	v_add_co_u32_e32 v1, vcc, s4, v2
	v_addc_co_u32_e64 v2, s[4:5], 0, 0, vcc
	v_mov_b32_e32 v3, s3
	v_add_co_u32_e32 v17, vcc, s2, v1
	v_addc_co_u32_e32 v18, vcc, v3, v2, vcc
	v_mov_b32_e32 v3, s1
	v_add_co_u32_e32 v19, vcc, s0, v1
	v_addc_co_u32_e32 v20, vcc, v3, v2, vcc
	v_add_co_u32_e32 v21, vcc, s14, v0
	v_lshlrev_b32_e32 v1, 3, v21
	v_addc_co_u32_e64 v22, s[4:5], 0, 0, vcc
	v_mov_b32_e32 v2, s3
	v_add_co_u32_e32 v23, vcc, s2, v1
	v_addc_co_u32_e32 v24, vcc, 0, v2, vcc
	v_mov_b32_e32 v2, s1
	v_add_co_u32_e32 v25, vcc, s0, v1
	s_mul_i32 s7, s14, 3
	v_addc_co_u32_e32 v26, vcc, 0, v2, vcc
	s_lshl_b32 s6, s14, 1
	v_add_co_u32_e32 v27, vcc, s7, v0
	v_addc_co_u32_e64 v28, s[0:1], 0, 0, vcc
	v_add_co_u32_e32 v29, vcc, s6, v0
	s_lshl_b32 s18, s14, 2
	s_lshl_b32 s19, s14, 5
	s_mov_b64 s[14:15], 0
	v_addc_co_u32_e64 v30, s[0:1], 0, 0, vcc
	s_branch .LBB330_9
.LBB330_8:                              ;   in Loop: Header=BB330_9 Depth=1
	s_or_b64 exec, exec, s[0:1]
	v_add_co_u32_e32 v9, vcc, s19, v9
	v_addc_co_u32_e32 v10, vcc, 0, v10, vcc
	v_add_co_u32_e32 v11, vcc, s19, v11
	v_addc_co_u32_e32 v12, vcc, 0, v12, vcc
	;; [unrolled: 2-line block ×6, first 2 shown]
	s_add_u32 s14, s14, s18
	v_add_co_u32_e32 v23, vcc, s19, v23
	v_mov_b32_e32 v1, s10
	s_addc_u32 s15, s15, 0
	v_addc_co_u32_e32 v24, vcc, 0, v24, vcc
	v_mov_b32_e32 v2, s11
	v_cmp_ge_i64_e32 vcc, s[14:15], v[1:2]
	v_add_co_u32_e64 v25, s[0:1], s19, v25
	v_addc_co_u32_e64 v26, s[0:1], 0, v26, s[0:1]
	s_cbranch_vccnz .LBB330_25
.LBB330_9:                              ; =>This Inner Loop Header: Depth=1
	v_mov_b32_e32 v2, s15
	v_add_co_u32_e32 v1, vcc, s14, v0
	v_addc_co_u32_e32 v2, vcc, 0, v2, vcc
	v_cmp_gt_u64_e32 vcc, s[12:13], v[1:2]
	v_mov_b32_e32 v1, 0
	v_mov_b32_e32 v3, 0
	;; [unrolled: 1-line block ×4, first 2 shown]
	s_and_saveexec_b64 s[2:3], vcc
	s_cbranch_execz .LBB330_11
; %bb.10:                               ;   in Loop: Header=BB330_9 Depth=1
	v_mov_b32_e32 v4, s9
	v_add_co_u32_e64 v3, s[0:1], s8, v9
	v_addc_co_u32_e64 v4, s[0:1], v10, v4, s[0:1]
	global_load_dwordx2 v[3:4], v[3:4], off
	s_waitcnt vmcnt(0)
	v_ashrrev_i32_e32 v5, 31, v4
	v_xor_b32_e32 v3, v3, v5
	v_xor_b32_e32 v4, v4, v5
	v_sub_co_u32_e64 v3, s[0:1], v3, v5
	v_subb_co_u32_e64 v4, s[0:1], v4, v5, s[0:1]
.LBB330_11:                             ;   in Loop: Header=BB330_9 Depth=1
	s_or_b64 exec, exec, s[2:3]
	v_mov_b32_e32 v6, s15
	v_add_co_u32_e64 v5, s[0:1], s14, v21
	v_addc_co_u32_e64 v6, s[0:1], v22, v6, s[0:1]
	v_cmp_gt_u64_e64 s[0:1], s[12:13], v[5:6]
	s_and_saveexec_b64 s[4:5], s[0:1]
	s_cbranch_execz .LBB330_13
; %bb.12:                               ;   in Loop: Header=BB330_9 Depth=1
	v_mov_b32_e32 v2, s9
	v_add_co_u32_e64 v1, s[2:3], s8, v23
	v_addc_co_u32_e64 v2, s[2:3], v24, v2, s[2:3]
	global_load_dwordx2 v[1:2], v[1:2], off
	s_waitcnt vmcnt(0)
	v_ashrrev_i32_e32 v5, 31, v2
	v_xor_b32_e32 v1, v1, v5
	v_xor_b32_e32 v2, v2, v5
	v_sub_co_u32_e64 v1, s[2:3], v1, v5
	v_subb_co_u32_e64 v2, s[2:3], v2, v5, s[2:3]
.LBB330_13:                             ;   in Loop: Header=BB330_9 Depth=1
	s_or_b64 exec, exec, s[4:5]
	v_mov_b32_e32 v6, s15
	v_add_co_u32_e64 v5, s[2:3], s14, v29
	v_addc_co_u32_e64 v6, s[2:3], v30, v6, s[2:3]
	v_cmp_gt_u64_e64 s[2:3], s[12:13], v[5:6]
	v_mov_b32_e32 v5, 0
	v_mov_b32_e32 v7, 0
	v_mov_b32_e32 v6, 0
	v_mov_b32_e32 v8, 0
	s_and_saveexec_b64 s[6:7], s[2:3]
	s_cbranch_execz .LBB330_15
; %bb.14:                               ;   in Loop: Header=BB330_9 Depth=1
	v_mov_b32_e32 v8, s9
	v_add_co_u32_e64 v7, s[4:5], s8, v17
	v_addc_co_u32_e64 v8, s[4:5], v18, v8, s[4:5]
	global_load_dwordx2 v[7:8], v[7:8], off
	s_waitcnt vmcnt(0)
	v_ashrrev_i32_e32 v31, 31, v8
	v_xor_b32_e32 v7, v7, v31
	v_xor_b32_e32 v8, v8, v31
	v_sub_co_u32_e64 v7, s[4:5], v7, v31
	v_subb_co_u32_e64 v8, s[4:5], v8, v31, s[4:5]
.LBB330_15:                             ;   in Loop: Header=BB330_9 Depth=1
	s_or_b64 exec, exec, s[6:7]
	v_mov_b32_e32 v32, s15
	v_add_co_u32_e64 v31, s[4:5], s14, v27
	v_addc_co_u32_e64 v32, s[4:5], v28, v32, s[4:5]
	v_cmp_gt_u64_e64 s[4:5], s[12:13], v[31:32]
	s_and_saveexec_b64 s[16:17], s[4:5]
	s_cbranch_execnz .LBB330_20
; %bb.16:                               ;   in Loop: Header=BB330_9 Depth=1
	s_or_b64 exec, exec, s[16:17]
	s_and_saveexec_b64 s[6:7], vcc
	s_cbranch_execnz .LBB330_21
.LBB330_17:                             ;   in Loop: Header=BB330_9 Depth=1
	s_or_b64 exec, exec, s[6:7]
	s_and_saveexec_b64 s[6:7], s[0:1]
	s_cbranch_execnz .LBB330_22
.LBB330_18:                             ;   in Loop: Header=BB330_9 Depth=1
	s_or_b64 exec, exec, s[6:7]
	s_and_saveexec_b64 s[0:1], s[2:3]
	s_cbranch_execnz .LBB330_23
.LBB330_19:                             ;   in Loop: Header=BB330_9 Depth=1
	s_or_b64 exec, exec, s[0:1]
	s_and_saveexec_b64 s[0:1], s[4:5]
	s_cbranch_execz .LBB330_8
	s_branch .LBB330_24
.LBB330_20:                             ;   in Loop: Header=BB330_9 Depth=1
	v_mov_b32_e32 v6, s9
	v_add_co_u32_e64 v5, s[6:7], s8, v13
	v_addc_co_u32_e64 v6, s[6:7], v14, v6, s[6:7]
	global_load_dwordx2 v[5:6], v[5:6], off
	s_waitcnt vmcnt(0)
	v_ashrrev_i32_e32 v31, 31, v6
	v_xor_b32_e32 v5, v5, v31
	v_xor_b32_e32 v6, v6, v31
	v_sub_co_u32_e64 v5, s[6:7], v5, v31
	v_subb_co_u32_e64 v6, s[6:7], v6, v31, s[6:7]
	s_or_b64 exec, exec, s[16:17]
	s_and_saveexec_b64 s[6:7], vcc
	s_cbranch_execz .LBB330_17
.LBB330_21:                             ;   in Loop: Header=BB330_9 Depth=1
	v_mov_b32_e32 v32, s9
	v_add_co_u32_e32 v31, vcc, s8, v11
	v_addc_co_u32_e32 v32, vcc, v12, v32, vcc
	global_store_dwordx2 v[31:32], v[3:4], off
	s_or_b64 exec, exec, s[6:7]
	s_and_saveexec_b64 s[6:7], s[0:1]
	s_cbranch_execz .LBB330_18
.LBB330_22:                             ;   in Loop: Header=BB330_9 Depth=1
	v_mov_b32_e32 v4, s9
	v_add_co_u32_e32 v3, vcc, s8, v25
	v_addc_co_u32_e32 v4, vcc, v26, v4, vcc
	global_store_dwordx2 v[3:4], v[1:2], off
	s_or_b64 exec, exec, s[6:7]
	s_and_saveexec_b64 s[0:1], s[2:3]
	s_cbranch_execz .LBB330_19
.LBB330_23:                             ;   in Loop: Header=BB330_9 Depth=1
	v_mov_b32_e32 v2, s9
	v_add_co_u32_e32 v1, vcc, s8, v19
	v_addc_co_u32_e32 v2, vcc, v20, v2, vcc
	global_store_dwordx2 v[1:2], v[7:8], off
	s_or_b64 exec, exec, s[0:1]
	s_and_saveexec_b64 s[0:1], s[4:5]
	s_cbranch_execz .LBB330_8
.LBB330_24:                             ;   in Loop: Header=BB330_9 Depth=1
	v_mov_b32_e32 v2, s9
	v_add_co_u32_e32 v1, vcc, s8, v15
	v_addc_co_u32_e32 v2, vcc, v16, v2, vcc
	global_store_dwordx2 v[1:2], v[5:6], off
	s_branch .LBB330_8
.LBB330_25:
	s_endpgm
	.section	.rodata,"a",@progbits
	.p2align	6, 0x0
	.amdhsa_kernel _ZN2at6native12_GLOBAL__N_125multi_tensor_apply_kernelINS1_18TensorListMetadataILi2EEENS1_14UnaryOpFunctorIlLi2ELi1ELi1EEEJNS0_3AbsIlEEEEEvT_T0_DpT1_
		.amdhsa_group_segment_fixed_size 0
		.amdhsa_private_segment_fixed_size 0
		.amdhsa_kernarg_size 3408
		.amdhsa_user_sgpr_count 6
		.amdhsa_user_sgpr_private_segment_buffer 1
		.amdhsa_user_sgpr_dispatch_ptr 0
		.amdhsa_user_sgpr_queue_ptr 0
		.amdhsa_user_sgpr_kernarg_segment_ptr 1
		.amdhsa_user_sgpr_dispatch_id 0
		.amdhsa_user_sgpr_flat_scratch_init 0
		.amdhsa_user_sgpr_private_segment_size 0
		.amdhsa_uses_dynamic_stack 0
		.amdhsa_system_sgpr_private_segment_wavefront_offset 0
		.amdhsa_system_sgpr_workgroup_id_x 1
		.amdhsa_system_sgpr_workgroup_id_y 0
		.amdhsa_system_sgpr_workgroup_id_z 0
		.amdhsa_system_sgpr_workgroup_info 0
		.amdhsa_system_vgpr_workitem_id 0
		.amdhsa_next_free_vgpr 33
		.amdhsa_next_free_sgpr 20
		.amdhsa_reserve_vcc 1
		.amdhsa_reserve_flat_scratch 0
		.amdhsa_float_round_mode_32 0
		.amdhsa_float_round_mode_16_64 0
		.amdhsa_float_denorm_mode_32 3
		.amdhsa_float_denorm_mode_16_64 3
		.amdhsa_dx10_clamp 1
		.amdhsa_ieee_mode 1
		.amdhsa_fp16_overflow 0
		.amdhsa_exception_fp_ieee_invalid_op 0
		.amdhsa_exception_fp_denorm_src 0
		.amdhsa_exception_fp_ieee_div_zero 0
		.amdhsa_exception_fp_ieee_overflow 0
		.amdhsa_exception_fp_ieee_underflow 0
		.amdhsa_exception_fp_ieee_inexact 0
		.amdhsa_exception_int_div_zero 0
	.end_amdhsa_kernel
	.section	.text._ZN2at6native12_GLOBAL__N_125multi_tensor_apply_kernelINS1_18TensorListMetadataILi2EEENS1_14UnaryOpFunctorIlLi2ELi1ELi1EEEJNS0_3AbsIlEEEEEvT_T0_DpT1_,"axG",@progbits,_ZN2at6native12_GLOBAL__N_125multi_tensor_apply_kernelINS1_18TensorListMetadataILi2EEENS1_14UnaryOpFunctorIlLi2ELi1ELi1EEEJNS0_3AbsIlEEEEEvT_T0_DpT1_,comdat
.Lfunc_end330:
	.size	_ZN2at6native12_GLOBAL__N_125multi_tensor_apply_kernelINS1_18TensorListMetadataILi2EEENS1_14UnaryOpFunctorIlLi2ELi1ELi1EEEJNS0_3AbsIlEEEEEvT_T0_DpT1_, .Lfunc_end330-_ZN2at6native12_GLOBAL__N_125multi_tensor_apply_kernelINS1_18TensorListMetadataILi2EEENS1_14UnaryOpFunctorIlLi2ELi1ELi1EEEJNS0_3AbsIlEEEEEvT_T0_DpT1_
                                        ; -- End function
	.set _ZN2at6native12_GLOBAL__N_125multi_tensor_apply_kernelINS1_18TensorListMetadataILi2EEENS1_14UnaryOpFunctorIlLi2ELi1ELi1EEEJNS0_3AbsIlEEEEEvT_T0_DpT1_.num_vgpr, 33
	.set _ZN2at6native12_GLOBAL__N_125multi_tensor_apply_kernelINS1_18TensorListMetadataILi2EEENS1_14UnaryOpFunctorIlLi2ELi1ELi1EEEJNS0_3AbsIlEEEEEvT_T0_DpT1_.num_agpr, 0
	.set _ZN2at6native12_GLOBAL__N_125multi_tensor_apply_kernelINS1_18TensorListMetadataILi2EEENS1_14UnaryOpFunctorIlLi2ELi1ELi1EEEJNS0_3AbsIlEEEEEvT_T0_DpT1_.numbered_sgpr, 20
	.set _ZN2at6native12_GLOBAL__N_125multi_tensor_apply_kernelINS1_18TensorListMetadataILi2EEENS1_14UnaryOpFunctorIlLi2ELi1ELi1EEEJNS0_3AbsIlEEEEEvT_T0_DpT1_.num_named_barrier, 0
	.set _ZN2at6native12_GLOBAL__N_125multi_tensor_apply_kernelINS1_18TensorListMetadataILi2EEENS1_14UnaryOpFunctorIlLi2ELi1ELi1EEEJNS0_3AbsIlEEEEEvT_T0_DpT1_.private_seg_size, 0
	.set _ZN2at6native12_GLOBAL__N_125multi_tensor_apply_kernelINS1_18TensorListMetadataILi2EEENS1_14UnaryOpFunctorIlLi2ELi1ELi1EEEJNS0_3AbsIlEEEEEvT_T0_DpT1_.uses_vcc, 1
	.set _ZN2at6native12_GLOBAL__N_125multi_tensor_apply_kernelINS1_18TensorListMetadataILi2EEENS1_14UnaryOpFunctorIlLi2ELi1ELi1EEEJNS0_3AbsIlEEEEEvT_T0_DpT1_.uses_flat_scratch, 0
	.set _ZN2at6native12_GLOBAL__N_125multi_tensor_apply_kernelINS1_18TensorListMetadataILi2EEENS1_14UnaryOpFunctorIlLi2ELi1ELi1EEEJNS0_3AbsIlEEEEEvT_T0_DpT1_.has_dyn_sized_stack, 0
	.set _ZN2at6native12_GLOBAL__N_125multi_tensor_apply_kernelINS1_18TensorListMetadataILi2EEENS1_14UnaryOpFunctorIlLi2ELi1ELi1EEEJNS0_3AbsIlEEEEEvT_T0_DpT1_.has_recursion, 0
	.set _ZN2at6native12_GLOBAL__N_125multi_tensor_apply_kernelINS1_18TensorListMetadataILi2EEENS1_14UnaryOpFunctorIlLi2ELi1ELi1EEEJNS0_3AbsIlEEEEEvT_T0_DpT1_.has_indirect_call, 0
	.section	.AMDGPU.csdata,"",@progbits
; Kernel info:
; codeLenInByte = 1444
; TotalNumSgprs: 24
; NumVgprs: 33
; ScratchSize: 0
; MemoryBound: 0
; FloatMode: 240
; IeeeMode: 1
; LDSByteSize: 0 bytes/workgroup (compile time only)
; SGPRBlocks: 2
; VGPRBlocks: 8
; NumSGPRsForWavesPerEU: 24
; NumVGPRsForWavesPerEU: 33
; Occupancy: 7
; WaveLimiterHint : 0
; COMPUTE_PGM_RSRC2:SCRATCH_EN: 0
; COMPUTE_PGM_RSRC2:USER_SGPR: 6
; COMPUTE_PGM_RSRC2:TRAP_HANDLER: 0
; COMPUTE_PGM_RSRC2:TGID_X_EN: 1
; COMPUTE_PGM_RSRC2:TGID_Y_EN: 0
; COMPUTE_PGM_RSRC2:TGID_Z_EN: 0
; COMPUTE_PGM_RSRC2:TIDIG_COMP_CNT: 0
	.section	.text._ZN2at6native12_GLOBAL__N_125multi_tensor_apply_kernelINS1_18TensorListMetadataILi2EEENS1_14UnaryOpFunctorIsLi2ELi1ELi1EEEJNS0_3AbsIsEEEEEvT_T0_DpT1_,"axG",@progbits,_ZN2at6native12_GLOBAL__N_125multi_tensor_apply_kernelINS1_18TensorListMetadataILi2EEENS1_14UnaryOpFunctorIsLi2ELi1ELi1EEEJNS0_3AbsIsEEEEEvT_T0_DpT1_,comdat
	.globl	_ZN2at6native12_GLOBAL__N_125multi_tensor_apply_kernelINS1_18TensorListMetadataILi2EEENS1_14UnaryOpFunctorIsLi2ELi1ELi1EEEJNS0_3AbsIsEEEEEvT_T0_DpT1_ ; -- Begin function _ZN2at6native12_GLOBAL__N_125multi_tensor_apply_kernelINS1_18TensorListMetadataILi2EEENS1_14UnaryOpFunctorIsLi2ELi1ELi1EEEJNS0_3AbsIsEEEEEvT_T0_DpT1_
	.p2align	8
	.type	_ZN2at6native12_GLOBAL__N_125multi_tensor_apply_kernelINS1_18TensorListMetadataILi2EEENS1_14UnaryOpFunctorIsLi2ELi1ELi1EEEJNS0_3AbsIsEEEEEvT_T0_DpT1_,@function
_ZN2at6native12_GLOBAL__N_125multi_tensor_apply_kernelINS1_18TensorListMetadataILi2EEENS1_14UnaryOpFunctorIsLi2ELi1ELi1EEEJNS0_3AbsIsEEEEEvT_T0_DpT1_: ; @_ZN2at6native12_GLOBAL__N_125multi_tensor_apply_kernelINS1_18TensorListMetadataILi2EEENS1_14UnaryOpFunctorIsLi2ELi1ELi1EEEJNS0_3AbsIsEEEEEvT_T0_DpT1_
; %bb.0:
	v_mov_b32_e32 v1, s6
	global_load_ubyte v1, v1, s[4:5] offset:1536
	s_add_u32 s0, s4, s6
	s_mul_hi_u32 s1, s6, 3
	s_mul_i32 s6, s6, 3
	s_addc_u32 s2, s5, 0
	s_add_u32 s0, s0, s6
	s_addc_u32 s1, s2, s1
	s_load_dword s6, s[0:1], 0x740
	s_mov_b32 s11, 0
	s_mov_b32 s13, s11
	s_waitcnt vmcnt(0)
	v_readfirstlane_b32 s0, v1
	s_lshl_b32 s7, s0, 3
	s_load_dwordx2 s[14:15], s[4:5], s7 offset:0x400
	s_load_dwordx2 s[2:3], s[4:5], s7 offset:0x0
	;; [unrolled: 1-line block ×3, first 2 shown]
	s_waitcnt lgkmcnt(0)
	s_ashr_i32 s7, s6, 31
	s_lshl_b64 s[8:9], s[6:7], 17
	s_lshl_b64 s[6:7], s[6:7], 16
	s_add_u32 s10, s2, s8
	s_and_b32 s12, s0, 7
	s_and_b32 s10, s10, 7
	s_sub_u32 s6, s14, s6
	s_subb_u32 s7, s15, s7
	s_and_b32 s14, s14, 3
	s_mov_b32 s15, s11
	s_or_b64 s[12:13], s[12:13], s[14:15]
	s_or_b64 s[10:11], s[12:13], s[10:11]
	s_cmp_eq_u64 s[10:11], 0
	s_mov_b64 s[10:11], -1
	s_cbranch_scc0 .LBB331_5
; %bb.1:
	v_mov_b32_e32 v1, 0x10000
	v_mov_b32_e32 v2, 0
	v_cmp_lt_i64_e32 vcc, s[6:7], v[1:2]
	v_mov_b32_e32 v2, 0
	s_and_b64 s[10:11], vcc, exec
	s_cselect_b32 s11, s7, 0
	s_cselect_b32 s10, s6, 0x10000
	v_lshlrev_b32_e32 v1, 2, v0
	v_cmp_gt_i64_e32 vcc, s[10:11], v[1:2]
	s_and_saveexec_b64 s[12:13], vcc
	s_cbranch_execz .LBB331_4
; %bb.2:
	s_load_dword s14, s[4:5], 0xc5c
	v_mov_b32_e32 v1, v2
	v_lshlrev_b32_e32 v2, 3, v0
	v_mov_b32_e32 v4, s9
	v_add_co_u32_e32 v3, vcc, s8, v2
	s_waitcnt lgkmcnt(0)
	s_and_b32 s16, s14, 0xffff
	v_mov_b32_e32 v2, v1
	v_addc_co_u32_e32 v4, vcc, 0, v4, vcc
	s_lshl_b32 s17, s16, 3
	s_mov_b64 s[14:15], 0
	v_mov_b32_e32 v5, s3
	v_mov_b32_e32 v6, s1
	;; [unrolled: 1-line block ×3, first 2 shown]
.LBB331_3:                              ; =>This Inner Loop Header: Depth=1
	v_add_co_u32_e32 v7, vcc, s2, v3
	v_addc_co_u32_e32 v8, vcc, v5, v4, vcc
	global_load_dwordx2 v[7:8], v[7:8], off
	v_add_co_u32_e32 v9, vcc, s0, v3
	v_addc_co_u32_e32 v10, vcc, v6, v4, vcc
	v_add_co_u32_e32 v1, vcc, s16, v1
	v_addc_co_u32_e32 v2, vcc, 0, v2, vcc
	v_add_co_u32_e32 v3, vcc, s17, v3
	v_lshlrev_b64 v[11:12], 2, v[1:2]
	v_addc_co_u32_e32 v4, vcc, 0, v4, vcc
	v_cmp_le_i64_e32 vcc, s[10:11], v[11:12]
	s_or_b64 s[14:15], vcc, s[14:15]
	s_waitcnt vmcnt(0)
	v_pk_sub_i16 v11, 0, v8
	v_pk_sub_i16 v12, 0, v7
	v_pk_max_i16 v8, v8, v11
	v_pk_max_i16 v7, v7, v12
	global_store_dwordx2 v[9:10], v[7:8], off
	s_andn2_b64 exec, exec, s[14:15]
	s_cbranch_execnz .LBB331_3
.LBB331_4:
	s_or_b64 exec, exec, s[12:13]
	s_mov_b64 s[10:11], 0
.LBB331_5:
	s_andn2_b64 vcc, exec, s[10:11]
	s_cbranch_vccnz .LBB331_25
; %bb.6:
	v_cmp_lt_i64_e64 s[10:11], s[6:7], 1
	s_and_b64 vcc, exec, s[10:11]
	s_cbranch_vccnz .LBB331_25
; %bb.7:
	v_mov_b32_e32 v3, 0x10000
	s_load_dword s12, s[4:5], 0xc5c
	v_mov_b32_e32 v4, 0
	v_cmp_lt_i64_e32 vcc, s[6:7], v[3:4]
	v_mov_b32_e32 v2, 0
	s_and_b64 s[4:5], vcc, exec
	s_cselect_b32 s11, s7, 0
	s_cselect_b32 s10, s6, 0x10000
	s_waitcnt lgkmcnt(0)
	s_and_b32 s14, s12, 0xffff
	v_lshlrev_b32_e32 v1, 1, v0
	v_mad_u64_u32 v[5:6], s[4:5], s14, 6, v[1:2]
	v_cmp_lt_u64_e32 vcc, s[6:7], v[3:4]
	v_mov_b32_e32 v4, s3
	s_and_b64 s[4:5], vcc, exec
	v_add_co_u32_e32 v3, vcc, s2, v5
	v_addc_co_u32_e32 v4, vcc, v4, v6, vcc
	v_mov_b32_e32 v7, s1
	v_add_co_u32_e32 v5, vcc, s0, v5
	s_cselect_b32 s13, s7, 0
	s_cselect_b32 s12, s6, 0x10000
	s_lshl_b32 s19, s14, 2
	v_addc_co_u32_e32 v6, vcc, v7, v6, vcc
	v_add_co_u32_e32 v9, vcc, s19, v1
	v_addc_co_u32_e64 v10, s[4:5], 0, 0, vcc
	v_mov_b32_e32 v8, s3
	v_add_co_u32_e32 v7, vcc, s2, v9
	v_addc_co_u32_e32 v8, vcc, v8, v10, vcc
	v_mov_b32_e32 v11, s1
	v_add_co_u32_e32 v9, vcc, s0, v9
	v_addc_co_u32_e32 v10, vcc, v11, v10, vcc
	;; [unrolled: 3-line block ×4, first 2 shown]
	v_add_co_u32_e32 v14, vcc, s14, v0
	v_lshlrev_b32_e32 v18, 1, v14
	v_addc_co_u32_e64 v15, s[4:5], 0, 0, vcc
	v_mov_b32_e32 v17, s3
	v_add_co_u32_e32 v16, vcc, s2, v18
	v_addc_co_u32_e32 v17, vcc, 0, v17, vcc
	v_mov_b32_e32 v19, s1
	v_add_co_u32_e32 v18, vcc, s0, v18
	s_mul_i32 s7, s14, 3
	v_addc_co_u32_e32 v19, vcc, 0, v19, vcc
	s_lshl_b32 s6, s14, 1
	v_add_co_u32_e32 v20, vcc, s7, v0
	v_addc_co_u32_e64 v21, s[0:1], 0, 0, vcc
	v_add_co_u32_e32 v22, vcc, s6, v0
	s_mov_b32 s18, 0xffff
	s_lshl_b32 s20, s14, 3
	s_mov_b64 s[14:15], 0
	s_mov_b32 s21, 0x5040100
	v_addc_co_u32_e64 v23, s[0:1], 0, 0, vcc
	v_mov_b32_e32 v24, v2
	s_branch .LBB331_9
.LBB331_8:                              ;   in Loop: Header=BB331_9 Depth=1
	s_or_b64 exec, exec, s[0:1]
	v_add_co_u32_e32 v11, vcc, s20, v11
	v_addc_co_u32_e32 v12, vcc, 0, v12, vcc
	v_add_co_u32_e32 v1, vcc, s20, v1
	v_addc_co_u32_e32 v13, vcc, 0, v13, vcc
	;; [unrolled: 2-line block ×6, first 2 shown]
	s_add_u32 s14, s14, s19
	v_add_co_u32_e32 v16, vcc, s20, v16
	v_mov_b32_e32 v26, s11
	s_addc_u32 s15, s15, 0
	v_addc_co_u32_e32 v17, vcc, 0, v17, vcc
	v_mov_b32_e32 v25, s10
	v_cmp_ge_i64_e32 vcc, s[14:15], v[25:26]
	v_add_co_u32_e64 v18, s[0:1], s20, v18
	v_addc_co_u32_e64 v19, s[0:1], 0, v19, s[0:1]
	s_cbranch_vccnz .LBB331_25
.LBB331_9:                              ; =>This Inner Loop Header: Depth=1
	v_mov_b32_e32 v26, s15
	v_add_co_u32_e32 v25, vcc, s14, v0
	v_addc_co_u32_e32 v26, vcc, 0, v26, vcc
	v_cmp_gt_u64_e32 vcc, s[12:13], v[25:26]
	v_and_b32_e32 v2, 0xffff0000, v2
	s_and_saveexec_b64 s[2:3], vcc
	s_cbranch_execz .LBB331_11
; %bb.10:                               ;   in Loop: Header=BB331_9 Depth=1
	v_mov_b32_e32 v26, s9
	v_add_co_u32_e64 v25, s[0:1], s8, v11
	v_addc_co_u32_e64 v26, s[0:1], v12, v26, s[0:1]
	global_load_ushort v25, v[25:26], off
	s_waitcnt vmcnt(0)
	v_bfi_b32 v2, s18, v25, v2
.LBB331_11:                             ;   in Loop: Header=BB331_9 Depth=1
	s_or_b64 exec, exec, s[2:3]
	v_mov_b32_e32 v26, s15
	v_add_co_u32_e64 v25, s[0:1], s14, v14
	v_addc_co_u32_e64 v26, s[0:1], v15, v26, s[0:1]
	v_cmp_gt_u64_e64 s[0:1], s[12:13], v[25:26]
	v_and_b32_e32 v2, 0xffff, v2
	s_and_saveexec_b64 s[4:5], s[0:1]
	s_cbranch_execz .LBB331_13
; %bb.12:                               ;   in Loop: Header=BB331_9 Depth=1
	v_mov_b32_e32 v26, s9
	v_add_co_u32_e64 v25, s[2:3], s8, v16
	v_addc_co_u32_e64 v26, s[2:3], v17, v26, s[2:3]
	global_load_ushort v25, v[25:26], off
	s_waitcnt vmcnt(0)
	v_perm_b32 v2, v25, v2, s21
.LBB331_13:                             ;   in Loop: Header=BB331_9 Depth=1
	s_or_b64 exec, exec, s[4:5]
	v_mov_b32_e32 v26, s15
	v_add_co_u32_e64 v25, s[2:3], s14, v22
	v_addc_co_u32_e64 v26, s[2:3], v23, v26, s[2:3]
	v_cmp_gt_u64_e64 s[2:3], s[12:13], v[25:26]
	v_and_b32_e32 v24, 0xffff0000, v24
	s_and_saveexec_b64 s[6:7], s[2:3]
	s_cbranch_execz .LBB331_15
; %bb.14:                               ;   in Loop: Header=BB331_9 Depth=1
	v_mov_b32_e32 v26, s9
	v_add_co_u32_e64 v25, s[4:5], s8, v7
	v_addc_co_u32_e64 v26, s[4:5], v8, v26, s[4:5]
	global_load_ushort v25, v[25:26], off
	s_waitcnt vmcnt(0)
	v_bfi_b32 v24, s18, v25, v24
.LBB331_15:                             ;   in Loop: Header=BB331_9 Depth=1
	s_or_b64 exec, exec, s[6:7]
	v_mov_b32_e32 v26, s15
	v_add_co_u32_e64 v25, s[4:5], s14, v20
	v_addc_co_u32_e64 v26, s[4:5], v21, v26, s[4:5]
	v_cmp_gt_u64_e64 s[4:5], s[12:13], v[25:26]
	v_and_b32_e32 v24, 0xffff, v24
	s_and_saveexec_b64 s[16:17], s[4:5]
	s_cbranch_execz .LBB331_17
; %bb.16:                               ;   in Loop: Header=BB331_9 Depth=1
	v_mov_b32_e32 v26, s9
	v_add_co_u32_e64 v25, s[6:7], s8, v3
	v_addc_co_u32_e64 v26, s[6:7], v4, v26, s[6:7]
	global_load_ushort v25, v[25:26], off
	s_waitcnt vmcnt(0)
	v_perm_b32 v24, v25, v24, s21
.LBB331_17:                             ;   in Loop: Header=BB331_9 Depth=1
	s_or_b64 exec, exec, s[16:17]
	v_pk_sub_i16 v25, 0, v24
	v_pk_max_i16 v24, v24, v25
	v_pk_sub_i16 v25, 0, v2
	v_pk_max_i16 v2, v2, v25
	s_and_saveexec_b64 s[6:7], vcc
	s_cbranch_execnz .LBB331_21
; %bb.18:                               ;   in Loop: Header=BB331_9 Depth=1
	s_or_b64 exec, exec, s[6:7]
	s_and_saveexec_b64 s[6:7], s[0:1]
	s_cbranch_execnz .LBB331_22
.LBB331_19:                             ;   in Loop: Header=BB331_9 Depth=1
	s_or_b64 exec, exec, s[6:7]
	s_and_saveexec_b64 s[0:1], s[2:3]
	s_cbranch_execnz .LBB331_23
.LBB331_20:                             ;   in Loop: Header=BB331_9 Depth=1
	s_or_b64 exec, exec, s[0:1]
	s_and_saveexec_b64 s[0:1], s[4:5]
	s_cbranch_execz .LBB331_8
	s_branch .LBB331_24
.LBB331_21:                             ;   in Loop: Header=BB331_9 Depth=1
	v_mov_b32_e32 v26, s9
	v_add_co_u32_e32 v25, vcc, s8, v1
	v_addc_co_u32_e32 v26, vcc, v13, v26, vcc
	global_store_short v[25:26], v2, off
	s_or_b64 exec, exec, s[6:7]
	s_and_saveexec_b64 s[6:7], s[0:1]
	s_cbranch_execz .LBB331_19
.LBB331_22:                             ;   in Loop: Header=BB331_9 Depth=1
	v_mov_b32_e32 v26, s9
	v_add_co_u32_e32 v25, vcc, s8, v18
	v_addc_co_u32_e32 v26, vcc, v19, v26, vcc
	global_store_short_d16_hi v[25:26], v2, off
	s_or_b64 exec, exec, s[6:7]
	s_and_saveexec_b64 s[0:1], s[2:3]
	s_cbranch_execz .LBB331_20
.LBB331_23:                             ;   in Loop: Header=BB331_9 Depth=1
	v_mov_b32_e32 v26, s9
	v_add_co_u32_e32 v25, vcc, s8, v9
	v_addc_co_u32_e32 v26, vcc, v10, v26, vcc
	global_store_short v[25:26], v24, off
	s_or_b64 exec, exec, s[0:1]
	s_and_saveexec_b64 s[0:1], s[4:5]
	s_cbranch_execz .LBB331_8
.LBB331_24:                             ;   in Loop: Header=BB331_9 Depth=1
	v_mov_b32_e32 v26, s9
	v_add_co_u32_e32 v25, vcc, s8, v5
	v_addc_co_u32_e32 v26, vcc, v6, v26, vcc
	global_store_short_d16_hi v[25:26], v24, off
	s_branch .LBB331_8
.LBB331_25:
	s_endpgm
	.section	.rodata,"a",@progbits
	.p2align	6, 0x0
	.amdhsa_kernel _ZN2at6native12_GLOBAL__N_125multi_tensor_apply_kernelINS1_18TensorListMetadataILi2EEENS1_14UnaryOpFunctorIsLi2ELi1ELi1EEEJNS0_3AbsIsEEEEEvT_T0_DpT1_
		.amdhsa_group_segment_fixed_size 0
		.amdhsa_private_segment_fixed_size 0
		.amdhsa_kernarg_size 3408
		.amdhsa_user_sgpr_count 6
		.amdhsa_user_sgpr_private_segment_buffer 1
		.amdhsa_user_sgpr_dispatch_ptr 0
		.amdhsa_user_sgpr_queue_ptr 0
		.amdhsa_user_sgpr_kernarg_segment_ptr 1
		.amdhsa_user_sgpr_dispatch_id 0
		.amdhsa_user_sgpr_flat_scratch_init 0
		.amdhsa_user_sgpr_private_segment_size 0
		.amdhsa_uses_dynamic_stack 0
		.amdhsa_system_sgpr_private_segment_wavefront_offset 0
		.amdhsa_system_sgpr_workgroup_id_x 1
		.amdhsa_system_sgpr_workgroup_id_y 0
		.amdhsa_system_sgpr_workgroup_id_z 0
		.amdhsa_system_sgpr_workgroup_info 0
		.amdhsa_system_vgpr_workitem_id 0
		.amdhsa_next_free_vgpr 27
		.amdhsa_next_free_sgpr 22
		.amdhsa_reserve_vcc 1
		.amdhsa_reserve_flat_scratch 0
		.amdhsa_float_round_mode_32 0
		.amdhsa_float_round_mode_16_64 0
		.amdhsa_float_denorm_mode_32 3
		.amdhsa_float_denorm_mode_16_64 3
		.amdhsa_dx10_clamp 1
		.amdhsa_ieee_mode 1
		.amdhsa_fp16_overflow 0
		.amdhsa_exception_fp_ieee_invalid_op 0
		.amdhsa_exception_fp_denorm_src 0
		.amdhsa_exception_fp_ieee_div_zero 0
		.amdhsa_exception_fp_ieee_overflow 0
		.amdhsa_exception_fp_ieee_underflow 0
		.amdhsa_exception_fp_ieee_inexact 0
		.amdhsa_exception_int_div_zero 0
	.end_amdhsa_kernel
	.section	.text._ZN2at6native12_GLOBAL__N_125multi_tensor_apply_kernelINS1_18TensorListMetadataILi2EEENS1_14UnaryOpFunctorIsLi2ELi1ELi1EEEJNS0_3AbsIsEEEEEvT_T0_DpT1_,"axG",@progbits,_ZN2at6native12_GLOBAL__N_125multi_tensor_apply_kernelINS1_18TensorListMetadataILi2EEENS1_14UnaryOpFunctorIsLi2ELi1ELi1EEEJNS0_3AbsIsEEEEEvT_T0_DpT1_,comdat
.Lfunc_end331:
	.size	_ZN2at6native12_GLOBAL__N_125multi_tensor_apply_kernelINS1_18TensorListMetadataILi2EEENS1_14UnaryOpFunctorIsLi2ELi1ELi1EEEJNS0_3AbsIsEEEEEvT_T0_DpT1_, .Lfunc_end331-_ZN2at6native12_GLOBAL__N_125multi_tensor_apply_kernelINS1_18TensorListMetadataILi2EEENS1_14UnaryOpFunctorIsLi2ELi1ELi1EEEJNS0_3AbsIsEEEEEvT_T0_DpT1_
                                        ; -- End function
	.set _ZN2at6native12_GLOBAL__N_125multi_tensor_apply_kernelINS1_18TensorListMetadataILi2EEENS1_14UnaryOpFunctorIsLi2ELi1ELi1EEEJNS0_3AbsIsEEEEEvT_T0_DpT1_.num_vgpr, 27
	.set _ZN2at6native12_GLOBAL__N_125multi_tensor_apply_kernelINS1_18TensorListMetadataILi2EEENS1_14UnaryOpFunctorIsLi2ELi1ELi1EEEJNS0_3AbsIsEEEEEvT_T0_DpT1_.num_agpr, 0
	.set _ZN2at6native12_GLOBAL__N_125multi_tensor_apply_kernelINS1_18TensorListMetadataILi2EEENS1_14UnaryOpFunctorIsLi2ELi1ELi1EEEJNS0_3AbsIsEEEEEvT_T0_DpT1_.numbered_sgpr, 22
	.set _ZN2at6native12_GLOBAL__N_125multi_tensor_apply_kernelINS1_18TensorListMetadataILi2EEENS1_14UnaryOpFunctorIsLi2ELi1ELi1EEEJNS0_3AbsIsEEEEEvT_T0_DpT1_.num_named_barrier, 0
	.set _ZN2at6native12_GLOBAL__N_125multi_tensor_apply_kernelINS1_18TensorListMetadataILi2EEENS1_14UnaryOpFunctorIsLi2ELi1ELi1EEEJNS0_3AbsIsEEEEEvT_T0_DpT1_.private_seg_size, 0
	.set _ZN2at6native12_GLOBAL__N_125multi_tensor_apply_kernelINS1_18TensorListMetadataILi2EEENS1_14UnaryOpFunctorIsLi2ELi1ELi1EEEJNS0_3AbsIsEEEEEvT_T0_DpT1_.uses_vcc, 1
	.set _ZN2at6native12_GLOBAL__N_125multi_tensor_apply_kernelINS1_18TensorListMetadataILi2EEENS1_14UnaryOpFunctorIsLi2ELi1ELi1EEEJNS0_3AbsIsEEEEEvT_T0_DpT1_.uses_flat_scratch, 0
	.set _ZN2at6native12_GLOBAL__N_125multi_tensor_apply_kernelINS1_18TensorListMetadataILi2EEENS1_14UnaryOpFunctorIsLi2ELi1ELi1EEEJNS0_3AbsIsEEEEEvT_T0_DpT1_.has_dyn_sized_stack, 0
	.set _ZN2at6native12_GLOBAL__N_125multi_tensor_apply_kernelINS1_18TensorListMetadataILi2EEENS1_14UnaryOpFunctorIsLi2ELi1ELi1EEEJNS0_3AbsIsEEEEEvT_T0_DpT1_.has_recursion, 0
	.set _ZN2at6native12_GLOBAL__N_125multi_tensor_apply_kernelINS1_18TensorListMetadataILi2EEENS1_14UnaryOpFunctorIsLi2ELi1ELi1EEEJNS0_3AbsIsEEEEEvT_T0_DpT1_.has_indirect_call, 0
	.section	.AMDGPU.csdata,"",@progbits
; Kernel info:
; codeLenInByte = 1332
; TotalNumSgprs: 26
; NumVgprs: 27
; ScratchSize: 0
; MemoryBound: 0
; FloatMode: 240
; IeeeMode: 1
; LDSByteSize: 0 bytes/workgroup (compile time only)
; SGPRBlocks: 3
; VGPRBlocks: 6
; NumSGPRsForWavesPerEU: 26
; NumVGPRsForWavesPerEU: 27
; Occupancy: 9
; WaveLimiterHint : 0
; COMPUTE_PGM_RSRC2:SCRATCH_EN: 0
; COMPUTE_PGM_RSRC2:USER_SGPR: 6
; COMPUTE_PGM_RSRC2:TRAP_HANDLER: 0
; COMPUTE_PGM_RSRC2:TGID_X_EN: 1
; COMPUTE_PGM_RSRC2:TGID_Y_EN: 0
; COMPUTE_PGM_RSRC2:TGID_Z_EN: 0
; COMPUTE_PGM_RSRC2:TIDIG_COMP_CNT: 0
	.section	.text._ZN2at6native12_GLOBAL__N_125multi_tensor_apply_kernelINS1_18TensorListMetadataILi2EEENS1_14UnaryOpFunctorIdLi2ELi1ELi1EEEJNS0_3AbsIdEEEEEvT_T0_DpT1_,"axG",@progbits,_ZN2at6native12_GLOBAL__N_125multi_tensor_apply_kernelINS1_18TensorListMetadataILi2EEENS1_14UnaryOpFunctorIdLi2ELi1ELi1EEEJNS0_3AbsIdEEEEEvT_T0_DpT1_,comdat
	.globl	_ZN2at6native12_GLOBAL__N_125multi_tensor_apply_kernelINS1_18TensorListMetadataILi2EEENS1_14UnaryOpFunctorIdLi2ELi1ELi1EEEJNS0_3AbsIdEEEEEvT_T0_DpT1_ ; -- Begin function _ZN2at6native12_GLOBAL__N_125multi_tensor_apply_kernelINS1_18TensorListMetadataILi2EEENS1_14UnaryOpFunctorIdLi2ELi1ELi1EEEJNS0_3AbsIdEEEEEvT_T0_DpT1_
	.p2align	8
	.type	_ZN2at6native12_GLOBAL__N_125multi_tensor_apply_kernelINS1_18TensorListMetadataILi2EEENS1_14UnaryOpFunctorIdLi2ELi1ELi1EEEJNS0_3AbsIdEEEEEvT_T0_DpT1_,@function
_ZN2at6native12_GLOBAL__N_125multi_tensor_apply_kernelINS1_18TensorListMetadataILi2EEENS1_14UnaryOpFunctorIdLi2ELi1ELi1EEEJNS0_3AbsIdEEEEEvT_T0_DpT1_: ; @_ZN2at6native12_GLOBAL__N_125multi_tensor_apply_kernelINS1_18TensorListMetadataILi2EEENS1_14UnaryOpFunctorIdLi2ELi1ELi1EEEJNS0_3AbsIdEEEEEvT_T0_DpT1_
; %bb.0:
	v_mov_b32_e32 v1, s6
	global_load_ubyte v1, v1, s[4:5] offset:1536
	s_add_u32 s0, s4, s6
	s_mul_hi_u32 s1, s6, 3
	s_mul_i32 s6, s6, 3
	s_addc_u32 s2, s5, 0
	s_add_u32 s0, s0, s6
	s_addc_u32 s1, s2, s1
	s_load_dword s6, s[0:1], 0x740
	s_mov_b32 s11, 0
	s_mov_b32 s13, s11
	s_waitcnt vmcnt(0)
	v_readfirstlane_b32 s0, v1
	s_lshl_b32 s7, s0, 3
	s_load_dwordx2 s[14:15], s[4:5], s7 offset:0x400
	s_load_dwordx2 s[2:3], s[4:5], s7 offset:0x0
	;; [unrolled: 1-line block ×3, first 2 shown]
	s_waitcnt lgkmcnt(0)
	s_ashr_i32 s7, s6, 31
	s_lshl_b64 s[8:9], s[6:7], 19
	s_lshl_b64 s[6:7], s[6:7], 16
	s_add_u32 s10, s2, s8
	s_and_b32 s12, s0, 31
	s_and_b32 s10, s10, 31
	s_sub_u32 s6, s14, s6
	s_subb_u32 s7, s15, s7
	s_and_b32 s14, s14, 3
	s_mov_b32 s15, s11
	s_or_b64 s[12:13], s[12:13], s[14:15]
	s_or_b64 s[10:11], s[12:13], s[10:11]
	s_cmp_eq_u64 s[10:11], 0
	s_mov_b64 s[10:11], -1
	s_cbranch_scc0 .LBB332_5
; %bb.1:
	v_mov_b32_e32 v1, 0x10000
	v_mov_b32_e32 v2, 0
	v_cmp_lt_i64_e32 vcc, s[6:7], v[1:2]
	v_mov_b32_e32 v2, 0
	s_and_b64 s[10:11], vcc, exec
	s_cselect_b32 s11, s7, 0
	s_cselect_b32 s10, s6, 0x10000
	v_lshlrev_b32_e32 v1, 2, v0
	v_cmp_gt_i64_e32 vcc, s[10:11], v[1:2]
	s_and_saveexec_b64 s[12:13], vcc
	s_cbranch_execz .LBB332_4
; %bb.2:
	s_load_dword s14, s[4:5], 0xc5c
	v_mov_b32_e32 v1, v2
	v_lshlrev_b32_e32 v2, 5, v0
	v_mov_b32_e32 v4, s9
	v_add_co_u32_e32 v3, vcc, s8, v2
	s_waitcnt lgkmcnt(0)
	s_and_b32 s16, s14, 0xffff
	v_mov_b32_e32 v2, v1
	v_addc_co_u32_e32 v4, vcc, 0, v4, vcc
	s_lshl_b32 s17, s16, 5
	s_mov_b64 s[14:15], 0
	v_mov_b32_e32 v5, s3
	v_mov_b32_e32 v6, s1
	;; [unrolled: 1-line block ×3, first 2 shown]
.LBB332_3:                              ; =>This Inner Loop Header: Depth=1
	v_add_co_u32_e32 v15, vcc, s2, v3
	v_addc_co_u32_e32 v16, vcc, v5, v4, vcc
	global_load_dwordx4 v[7:10], v[15:16], off
	global_load_dwordx4 v[11:14], v[15:16], off offset:16
	v_add_co_u32_e32 v15, vcc, s0, v3
	v_addc_co_u32_e32 v16, vcc, v6, v4, vcc
	v_add_co_u32_e32 v1, vcc, s16, v1
	v_addc_co_u32_e32 v2, vcc, 0, v2, vcc
	v_add_co_u32_e32 v3, vcc, s17, v3
	v_lshlrev_b64 v[17:18], 2, v[1:2]
	v_addc_co_u32_e32 v4, vcc, 0, v4, vcc
	v_cmp_le_i64_e32 vcc, s[10:11], v[17:18]
	s_or_b64 s[14:15], vcc, s[14:15]
	s_waitcnt vmcnt(1)
	v_and_b32_e32 v8, 0x7fffffff, v8
	v_and_b32_e32 v10, 0x7fffffff, v10
	s_waitcnt vmcnt(0)
	v_and_b32_e32 v12, 0x7fffffff, v12
	v_and_b32_e32 v14, 0x7fffffff, v14
	global_store_dwordx4 v[15:16], v[7:10], off
	global_store_dwordx4 v[15:16], v[11:14], off offset:16
	s_andn2_b64 exec, exec, s[14:15]
	s_cbranch_execnz .LBB332_3
.LBB332_4:
	s_or_b64 exec, exec, s[12:13]
	s_mov_b64 s[10:11], 0
.LBB332_5:
	s_andn2_b64 vcc, exec, s[10:11]
	s_cbranch_vccnz .LBB332_25
; %bb.6:
	v_cmp_lt_i64_e64 s[10:11], s[6:7], 1
	s_and_b64 vcc, exec, s[10:11]
	s_cbranch_vccnz .LBB332_25
; %bb.7:
	v_mov_b32_e32 v1, 0x10000
	s_load_dword s12, s[4:5], 0xc5c
	v_mov_b32_e32 v2, 0
	v_cmp_lt_i64_e32 vcc, s[6:7], v[1:2]
	v_mov_b32_e32 v3, 0
	s_and_b64 s[4:5], vcc, exec
	v_cmp_lt_u64_e32 vcc, s[6:7], v[1:2]
	s_cselect_b32 s11, s7, 0
	s_cselect_b32 s10, s6, 0x10000
	s_waitcnt lgkmcnt(0)
	s_and_b32 s14, s12, 0xffff
	v_lshlrev_b32_e32 v2, 3, v0
	s_and_b64 s[4:5], vcc, exec
	v_mov_b32_e32 v1, s3
	v_add_co_u32_e32 v9, vcc, s2, v2
	v_mad_u64_u32 v[3:4], s[4:5], s14, 24, v[2:3]
	v_addc_co_u32_e32 v10, vcc, 0, v1, vcc
	v_mov_b32_e32 v1, s1
	v_add_co_u32_e32 v11, vcc, s0, v2
	v_addc_co_u32_e32 v12, vcc, 0, v1, vcc
	v_mov_b32_e32 v1, s3
	v_add_co_u32_e32 v13, vcc, s2, v3
	;; [unrolled: 3-line block ×3, first 2 shown]
	s_cselect_b32 s13, s7, 0
	s_cselect_b32 s12, s6, 0x10000
	v_addc_co_u32_e32 v16, vcc, v1, v4, vcc
	s_lshl_b32 s4, s14, 4
	v_add_co_u32_e32 v1, vcc, s4, v2
	v_addc_co_u32_e64 v2, s[4:5], 0, 0, vcc
	v_mov_b32_e32 v3, s3
	v_add_co_u32_e32 v17, vcc, s2, v1
	v_addc_co_u32_e32 v18, vcc, v3, v2, vcc
	v_mov_b32_e32 v3, s1
	v_add_co_u32_e32 v19, vcc, s0, v1
	v_addc_co_u32_e32 v20, vcc, v3, v2, vcc
	v_add_co_u32_e32 v21, vcc, s14, v0
	v_lshlrev_b32_e32 v1, 3, v21
	v_addc_co_u32_e64 v22, s[4:5], 0, 0, vcc
	v_mov_b32_e32 v2, s3
	v_add_co_u32_e32 v23, vcc, s2, v1
	v_addc_co_u32_e32 v24, vcc, 0, v2, vcc
	v_mov_b32_e32 v2, s1
	v_add_co_u32_e32 v25, vcc, s0, v1
	s_mul_i32 s7, s14, 3
	v_addc_co_u32_e32 v26, vcc, 0, v2, vcc
	s_lshl_b32 s6, s14, 1
	v_add_co_u32_e32 v27, vcc, s7, v0
	v_addc_co_u32_e64 v28, s[0:1], 0, 0, vcc
	v_add_co_u32_e32 v29, vcc, s6, v0
	s_lshl_b32 s18, s14, 2
	s_lshl_b32 s19, s14, 5
	s_mov_b64 s[14:15], 0
	v_addc_co_u32_e64 v30, s[0:1], 0, 0, vcc
	s_branch .LBB332_9
.LBB332_8:                              ;   in Loop: Header=BB332_9 Depth=1
	s_or_b64 exec, exec, s[0:1]
	v_add_co_u32_e32 v9, vcc, s19, v9
	v_addc_co_u32_e32 v10, vcc, 0, v10, vcc
	v_add_co_u32_e32 v11, vcc, s19, v11
	v_addc_co_u32_e32 v12, vcc, 0, v12, vcc
	;; [unrolled: 2-line block ×6, first 2 shown]
	s_add_u32 s14, s14, s18
	v_add_co_u32_e32 v23, vcc, s19, v23
	v_mov_b32_e32 v1, s10
	s_addc_u32 s15, s15, 0
	v_addc_co_u32_e32 v24, vcc, 0, v24, vcc
	v_mov_b32_e32 v2, s11
	v_cmp_ge_i64_e32 vcc, s[14:15], v[1:2]
	v_add_co_u32_e64 v25, s[0:1], s19, v25
	v_addc_co_u32_e64 v26, s[0:1], 0, v26, s[0:1]
	s_cbranch_vccnz .LBB332_25
.LBB332_9:                              ; =>This Inner Loop Header: Depth=1
	v_mov_b32_e32 v2, s15
	v_add_co_u32_e32 v1, vcc, s14, v0
	v_addc_co_u32_e32 v2, vcc, 0, v2, vcc
	v_cmp_gt_u64_e32 vcc, s[12:13], v[1:2]
	v_mov_b32_e32 v1, 0
	v_mov_b32_e32 v3, 0
	v_mov_b32_e32 v2, 0
	v_mov_b32_e32 v4, 0
	s_and_saveexec_b64 s[2:3], vcc
	s_cbranch_execz .LBB332_11
; %bb.10:                               ;   in Loop: Header=BB332_9 Depth=1
	v_mov_b32_e32 v4, s9
	v_add_co_u32_e64 v3, s[0:1], s8, v9
	v_addc_co_u32_e64 v4, s[0:1], v10, v4, s[0:1]
	global_load_dwordx2 v[3:4], v[3:4], off
	s_waitcnt vmcnt(0)
	v_and_b32_e32 v4, 0x7fffffff, v4
.LBB332_11:                             ;   in Loop: Header=BB332_9 Depth=1
	s_or_b64 exec, exec, s[2:3]
	v_mov_b32_e32 v6, s15
	v_add_co_u32_e64 v5, s[0:1], s14, v21
	v_addc_co_u32_e64 v6, s[0:1], v22, v6, s[0:1]
	v_cmp_gt_u64_e64 s[0:1], s[12:13], v[5:6]
	s_and_saveexec_b64 s[4:5], s[0:1]
	s_cbranch_execz .LBB332_13
; %bb.12:                               ;   in Loop: Header=BB332_9 Depth=1
	v_mov_b32_e32 v2, s9
	v_add_co_u32_e64 v1, s[2:3], s8, v23
	v_addc_co_u32_e64 v2, s[2:3], v24, v2, s[2:3]
	global_load_dwordx2 v[1:2], v[1:2], off
	s_waitcnt vmcnt(0)
	v_and_b32_e32 v2, 0x7fffffff, v2
.LBB332_13:                             ;   in Loop: Header=BB332_9 Depth=1
	s_or_b64 exec, exec, s[4:5]
	v_mov_b32_e32 v6, s15
	v_add_co_u32_e64 v5, s[2:3], s14, v29
	v_addc_co_u32_e64 v6, s[2:3], v30, v6, s[2:3]
	v_cmp_gt_u64_e64 s[2:3], s[12:13], v[5:6]
	v_mov_b32_e32 v5, 0
	v_mov_b32_e32 v7, 0
	;; [unrolled: 1-line block ×4, first 2 shown]
	s_and_saveexec_b64 s[6:7], s[2:3]
	s_cbranch_execz .LBB332_15
; %bb.14:                               ;   in Loop: Header=BB332_9 Depth=1
	v_mov_b32_e32 v8, s9
	v_add_co_u32_e64 v7, s[4:5], s8, v17
	v_addc_co_u32_e64 v8, s[4:5], v18, v8, s[4:5]
	global_load_dwordx2 v[7:8], v[7:8], off
	s_waitcnt vmcnt(0)
	v_and_b32_e32 v8, 0x7fffffff, v8
.LBB332_15:                             ;   in Loop: Header=BB332_9 Depth=1
	s_or_b64 exec, exec, s[6:7]
	v_mov_b32_e32 v32, s15
	v_add_co_u32_e64 v31, s[4:5], s14, v27
	v_addc_co_u32_e64 v32, s[4:5], v28, v32, s[4:5]
	v_cmp_gt_u64_e64 s[4:5], s[12:13], v[31:32]
	s_and_saveexec_b64 s[16:17], s[4:5]
	s_cbranch_execnz .LBB332_20
; %bb.16:                               ;   in Loop: Header=BB332_9 Depth=1
	s_or_b64 exec, exec, s[16:17]
	s_and_saveexec_b64 s[6:7], vcc
	s_cbranch_execnz .LBB332_21
.LBB332_17:                             ;   in Loop: Header=BB332_9 Depth=1
	s_or_b64 exec, exec, s[6:7]
	s_and_saveexec_b64 s[6:7], s[0:1]
	s_cbranch_execnz .LBB332_22
.LBB332_18:                             ;   in Loop: Header=BB332_9 Depth=1
	s_or_b64 exec, exec, s[6:7]
	s_and_saveexec_b64 s[0:1], s[2:3]
	s_cbranch_execnz .LBB332_23
.LBB332_19:                             ;   in Loop: Header=BB332_9 Depth=1
	s_or_b64 exec, exec, s[0:1]
	s_and_saveexec_b64 s[0:1], s[4:5]
	s_cbranch_execz .LBB332_8
	s_branch .LBB332_24
.LBB332_20:                             ;   in Loop: Header=BB332_9 Depth=1
	v_mov_b32_e32 v6, s9
	v_add_co_u32_e64 v5, s[6:7], s8, v13
	v_addc_co_u32_e64 v6, s[6:7], v14, v6, s[6:7]
	global_load_dwordx2 v[5:6], v[5:6], off
	s_waitcnt vmcnt(0)
	v_and_b32_e32 v6, 0x7fffffff, v6
	s_or_b64 exec, exec, s[16:17]
	s_and_saveexec_b64 s[6:7], vcc
	s_cbranch_execz .LBB332_17
.LBB332_21:                             ;   in Loop: Header=BB332_9 Depth=1
	v_mov_b32_e32 v32, s9
	v_add_co_u32_e32 v31, vcc, s8, v11
	v_addc_co_u32_e32 v32, vcc, v12, v32, vcc
	global_store_dwordx2 v[31:32], v[3:4], off
	s_or_b64 exec, exec, s[6:7]
	s_and_saveexec_b64 s[6:7], s[0:1]
	s_cbranch_execz .LBB332_18
.LBB332_22:                             ;   in Loop: Header=BB332_9 Depth=1
	v_mov_b32_e32 v4, s9
	v_add_co_u32_e32 v3, vcc, s8, v25
	v_addc_co_u32_e32 v4, vcc, v26, v4, vcc
	global_store_dwordx2 v[3:4], v[1:2], off
	s_or_b64 exec, exec, s[6:7]
	s_and_saveexec_b64 s[0:1], s[2:3]
	s_cbranch_execz .LBB332_19
.LBB332_23:                             ;   in Loop: Header=BB332_9 Depth=1
	v_mov_b32_e32 v2, s9
	v_add_co_u32_e32 v1, vcc, s8, v19
	v_addc_co_u32_e32 v2, vcc, v20, v2, vcc
	global_store_dwordx2 v[1:2], v[7:8], off
	s_or_b64 exec, exec, s[0:1]
	s_and_saveexec_b64 s[0:1], s[4:5]
	s_cbranch_execz .LBB332_8
.LBB332_24:                             ;   in Loop: Header=BB332_9 Depth=1
	v_mov_b32_e32 v2, s9
	v_add_co_u32_e32 v1, vcc, s8, v15
	v_addc_co_u32_e32 v2, vcc, v16, v2, vcc
	global_store_dwordx2 v[1:2], v[5:6], off
	s_branch .LBB332_8
.LBB332_25:
	s_endpgm
	.section	.rodata,"a",@progbits
	.p2align	6, 0x0
	.amdhsa_kernel _ZN2at6native12_GLOBAL__N_125multi_tensor_apply_kernelINS1_18TensorListMetadataILi2EEENS1_14UnaryOpFunctorIdLi2ELi1ELi1EEEJNS0_3AbsIdEEEEEvT_T0_DpT1_
		.amdhsa_group_segment_fixed_size 0
		.amdhsa_private_segment_fixed_size 0
		.amdhsa_kernarg_size 3408
		.amdhsa_user_sgpr_count 6
		.amdhsa_user_sgpr_private_segment_buffer 1
		.amdhsa_user_sgpr_dispatch_ptr 0
		.amdhsa_user_sgpr_queue_ptr 0
		.amdhsa_user_sgpr_kernarg_segment_ptr 1
		.amdhsa_user_sgpr_dispatch_id 0
		.amdhsa_user_sgpr_flat_scratch_init 0
		.amdhsa_user_sgpr_private_segment_size 0
		.amdhsa_uses_dynamic_stack 0
		.amdhsa_system_sgpr_private_segment_wavefront_offset 0
		.amdhsa_system_sgpr_workgroup_id_x 1
		.amdhsa_system_sgpr_workgroup_id_y 0
		.amdhsa_system_sgpr_workgroup_id_z 0
		.amdhsa_system_sgpr_workgroup_info 0
		.amdhsa_system_vgpr_workitem_id 0
		.amdhsa_next_free_vgpr 33
		.amdhsa_next_free_sgpr 20
		.amdhsa_reserve_vcc 1
		.amdhsa_reserve_flat_scratch 0
		.amdhsa_float_round_mode_32 0
		.amdhsa_float_round_mode_16_64 0
		.amdhsa_float_denorm_mode_32 3
		.amdhsa_float_denorm_mode_16_64 3
		.amdhsa_dx10_clamp 1
		.amdhsa_ieee_mode 1
		.amdhsa_fp16_overflow 0
		.amdhsa_exception_fp_ieee_invalid_op 0
		.amdhsa_exception_fp_denorm_src 0
		.amdhsa_exception_fp_ieee_div_zero 0
		.amdhsa_exception_fp_ieee_overflow 0
		.amdhsa_exception_fp_ieee_underflow 0
		.amdhsa_exception_fp_ieee_inexact 0
		.amdhsa_exception_int_div_zero 0
	.end_amdhsa_kernel
	.section	.text._ZN2at6native12_GLOBAL__N_125multi_tensor_apply_kernelINS1_18TensorListMetadataILi2EEENS1_14UnaryOpFunctorIdLi2ELi1ELi1EEEJNS0_3AbsIdEEEEEvT_T0_DpT1_,"axG",@progbits,_ZN2at6native12_GLOBAL__N_125multi_tensor_apply_kernelINS1_18TensorListMetadataILi2EEENS1_14UnaryOpFunctorIdLi2ELi1ELi1EEEJNS0_3AbsIdEEEEEvT_T0_DpT1_,comdat
.Lfunc_end332:
	.size	_ZN2at6native12_GLOBAL__N_125multi_tensor_apply_kernelINS1_18TensorListMetadataILi2EEENS1_14UnaryOpFunctorIdLi2ELi1ELi1EEEJNS0_3AbsIdEEEEEvT_T0_DpT1_, .Lfunc_end332-_ZN2at6native12_GLOBAL__N_125multi_tensor_apply_kernelINS1_18TensorListMetadataILi2EEENS1_14UnaryOpFunctorIdLi2ELi1ELi1EEEJNS0_3AbsIdEEEEEvT_T0_DpT1_
                                        ; -- End function
	.set _ZN2at6native12_GLOBAL__N_125multi_tensor_apply_kernelINS1_18TensorListMetadataILi2EEENS1_14UnaryOpFunctorIdLi2ELi1ELi1EEEJNS0_3AbsIdEEEEEvT_T0_DpT1_.num_vgpr, 33
	.set _ZN2at6native12_GLOBAL__N_125multi_tensor_apply_kernelINS1_18TensorListMetadataILi2EEENS1_14UnaryOpFunctorIdLi2ELi1ELi1EEEJNS0_3AbsIdEEEEEvT_T0_DpT1_.num_agpr, 0
	.set _ZN2at6native12_GLOBAL__N_125multi_tensor_apply_kernelINS1_18TensorListMetadataILi2EEENS1_14UnaryOpFunctorIdLi2ELi1ELi1EEEJNS0_3AbsIdEEEEEvT_T0_DpT1_.numbered_sgpr, 20
	.set _ZN2at6native12_GLOBAL__N_125multi_tensor_apply_kernelINS1_18TensorListMetadataILi2EEENS1_14UnaryOpFunctorIdLi2ELi1ELi1EEEJNS0_3AbsIdEEEEEvT_T0_DpT1_.num_named_barrier, 0
	.set _ZN2at6native12_GLOBAL__N_125multi_tensor_apply_kernelINS1_18TensorListMetadataILi2EEENS1_14UnaryOpFunctorIdLi2ELi1ELi1EEEJNS0_3AbsIdEEEEEvT_T0_DpT1_.private_seg_size, 0
	.set _ZN2at6native12_GLOBAL__N_125multi_tensor_apply_kernelINS1_18TensorListMetadataILi2EEENS1_14UnaryOpFunctorIdLi2ELi1ELi1EEEJNS0_3AbsIdEEEEEvT_T0_DpT1_.uses_vcc, 1
	.set _ZN2at6native12_GLOBAL__N_125multi_tensor_apply_kernelINS1_18TensorListMetadataILi2EEENS1_14UnaryOpFunctorIdLi2ELi1ELi1EEEJNS0_3AbsIdEEEEEvT_T0_DpT1_.uses_flat_scratch, 0
	.set _ZN2at6native12_GLOBAL__N_125multi_tensor_apply_kernelINS1_18TensorListMetadataILi2EEENS1_14UnaryOpFunctorIdLi2ELi1ELi1EEEJNS0_3AbsIdEEEEEvT_T0_DpT1_.has_dyn_sized_stack, 0
	.set _ZN2at6native12_GLOBAL__N_125multi_tensor_apply_kernelINS1_18TensorListMetadataILi2EEENS1_14UnaryOpFunctorIdLi2ELi1ELi1EEEJNS0_3AbsIdEEEEEvT_T0_DpT1_.has_recursion, 0
	.set _ZN2at6native12_GLOBAL__N_125multi_tensor_apply_kernelINS1_18TensorListMetadataILi2EEENS1_14UnaryOpFunctorIdLi2ELi1ELi1EEEJNS0_3AbsIdEEEEEvT_T0_DpT1_.has_indirect_call, 0
	.section	.AMDGPU.csdata,"",@progbits
; Kernel info:
; codeLenInByte = 1316
; TotalNumSgprs: 24
; NumVgprs: 33
; ScratchSize: 0
; MemoryBound: 0
; FloatMode: 240
; IeeeMode: 1
; LDSByteSize: 0 bytes/workgroup (compile time only)
; SGPRBlocks: 2
; VGPRBlocks: 8
; NumSGPRsForWavesPerEU: 24
; NumVGPRsForWavesPerEU: 33
; Occupancy: 7
; WaveLimiterHint : 0
; COMPUTE_PGM_RSRC2:SCRATCH_EN: 0
; COMPUTE_PGM_RSRC2:USER_SGPR: 6
; COMPUTE_PGM_RSRC2:TRAP_HANDLER: 0
; COMPUTE_PGM_RSRC2:TGID_X_EN: 1
; COMPUTE_PGM_RSRC2:TGID_Y_EN: 0
; COMPUTE_PGM_RSRC2:TGID_Z_EN: 0
; COMPUTE_PGM_RSRC2:TIDIG_COMP_CNT: 0
	.section	.text._ZN2at6native12_GLOBAL__N_125multi_tensor_apply_kernelINS1_18TensorListMetadataILi2EEENS1_14UnaryOpFunctorIfLi2ELi1ELi1EEEJNS0_3AbsIfEEEEEvT_T0_DpT1_,"axG",@progbits,_ZN2at6native12_GLOBAL__N_125multi_tensor_apply_kernelINS1_18TensorListMetadataILi2EEENS1_14UnaryOpFunctorIfLi2ELi1ELi1EEEJNS0_3AbsIfEEEEEvT_T0_DpT1_,comdat
	.globl	_ZN2at6native12_GLOBAL__N_125multi_tensor_apply_kernelINS1_18TensorListMetadataILi2EEENS1_14UnaryOpFunctorIfLi2ELi1ELi1EEEJNS0_3AbsIfEEEEEvT_T0_DpT1_ ; -- Begin function _ZN2at6native12_GLOBAL__N_125multi_tensor_apply_kernelINS1_18TensorListMetadataILi2EEENS1_14UnaryOpFunctorIfLi2ELi1ELi1EEEJNS0_3AbsIfEEEEEvT_T0_DpT1_
	.p2align	8
	.type	_ZN2at6native12_GLOBAL__N_125multi_tensor_apply_kernelINS1_18TensorListMetadataILi2EEENS1_14UnaryOpFunctorIfLi2ELi1ELi1EEEJNS0_3AbsIfEEEEEvT_T0_DpT1_,@function
_ZN2at6native12_GLOBAL__N_125multi_tensor_apply_kernelINS1_18TensorListMetadataILi2EEENS1_14UnaryOpFunctorIfLi2ELi1ELi1EEEJNS0_3AbsIfEEEEEvT_T0_DpT1_: ; @_ZN2at6native12_GLOBAL__N_125multi_tensor_apply_kernelINS1_18TensorListMetadataILi2EEENS1_14UnaryOpFunctorIfLi2ELi1ELi1EEEJNS0_3AbsIfEEEEEvT_T0_DpT1_
; %bb.0:
	v_mov_b32_e32 v1, s6
	global_load_ubyte v1, v1, s[4:5] offset:1536
	s_add_u32 s0, s4, s6
	s_mul_hi_u32 s1, s6, 3
	s_mul_i32 s6, s6, 3
	s_addc_u32 s2, s5, 0
	s_add_u32 s0, s0, s6
	s_addc_u32 s1, s2, s1
	s_load_dword s6, s[0:1], 0x740
	s_mov_b32 s11, 0
	s_mov_b32 s13, s11
	s_waitcnt vmcnt(0)
	v_readfirstlane_b32 s0, v1
	s_lshl_b32 s7, s0, 3
	s_load_dwordx2 s[14:15], s[4:5], s7 offset:0x400
	s_load_dwordx2 s[2:3], s[4:5], s7 offset:0x0
	;; [unrolled: 1-line block ×3, first 2 shown]
	s_waitcnt lgkmcnt(0)
	s_ashr_i32 s7, s6, 31
	s_lshl_b64 s[8:9], s[6:7], 18
	s_lshl_b64 s[6:7], s[6:7], 16
	s_add_u32 s10, s2, s8
	s_and_b32 s12, s0, 15
	s_and_b32 s10, s10, 15
	s_sub_u32 s6, s14, s6
	s_subb_u32 s7, s15, s7
	s_and_b32 s14, s14, 3
	s_mov_b32 s15, s11
	s_or_b64 s[12:13], s[12:13], s[14:15]
	s_or_b64 s[10:11], s[12:13], s[10:11]
	s_cmp_eq_u64 s[10:11], 0
	s_mov_b64 s[10:11], -1
	s_cbranch_scc0 .LBB333_5
; %bb.1:
	v_mov_b32_e32 v1, 0x10000
	v_mov_b32_e32 v2, 0
	v_cmp_lt_i64_e32 vcc, s[6:7], v[1:2]
	v_mov_b32_e32 v2, 0
	s_and_b64 s[10:11], vcc, exec
	s_cselect_b32 s11, s7, 0
	s_cselect_b32 s10, s6, 0x10000
	v_lshlrev_b32_e32 v1, 2, v0
	v_cmp_gt_i64_e32 vcc, s[10:11], v[1:2]
	s_and_saveexec_b64 s[12:13], vcc
	s_cbranch_execz .LBB333_4
; %bb.2:
	s_load_dword s14, s[4:5], 0xc5c
	v_mov_b32_e32 v1, v2
	v_lshlrev_b32_e32 v2, 4, v0
	v_mov_b32_e32 v4, s9
	v_add_co_u32_e32 v3, vcc, s8, v2
	s_waitcnt lgkmcnt(0)
	s_and_b32 s16, s14, 0xffff
	v_mov_b32_e32 v2, v1
	v_addc_co_u32_e32 v4, vcc, 0, v4, vcc
	s_lshl_b32 s17, s16, 4
	s_mov_b64 s[14:15], 0
	v_mov_b32_e32 v5, s3
	v_mov_b32_e32 v6, s1
	;; [unrolled: 1-line block ×3, first 2 shown]
.LBB333_3:                              ; =>This Inner Loop Header: Depth=1
	v_add_co_u32_e32 v7, vcc, s2, v3
	v_addc_co_u32_e32 v8, vcc, v5, v4, vcc
	global_load_dwordx4 v[7:10], v[7:8], off
	v_add_co_u32_e32 v11, vcc, s0, v3
	v_addc_co_u32_e32 v12, vcc, v6, v4, vcc
	v_add_co_u32_e32 v1, vcc, s16, v1
	v_addc_co_u32_e32 v2, vcc, 0, v2, vcc
	v_add_co_u32_e32 v3, vcc, s17, v3
	v_lshlrev_b64 v[13:14], 2, v[1:2]
	v_addc_co_u32_e32 v4, vcc, 0, v4, vcc
	v_cmp_le_i64_e32 vcc, s[10:11], v[13:14]
	s_or_b64 s[14:15], vcc, s[14:15]
	s_waitcnt vmcnt(0)
	v_and_b32_e32 v7, 0x7fffffff, v7
	v_and_b32_e32 v8, 0x7fffffff, v8
	;; [unrolled: 1-line block ×4, first 2 shown]
	global_store_dwordx4 v[11:12], v[7:10], off
	s_andn2_b64 exec, exec, s[14:15]
	s_cbranch_execnz .LBB333_3
.LBB333_4:
	s_or_b64 exec, exec, s[12:13]
	s_mov_b64 s[10:11], 0
.LBB333_5:
	s_andn2_b64 vcc, exec, s[10:11]
	s_cbranch_vccnz .LBB333_25
; %bb.6:
	v_cmp_lt_i64_e64 s[10:11], s[6:7], 1
	s_and_b64 vcc, exec, s[10:11]
	s_cbranch_vccnz .LBB333_25
; %bb.7:
	v_mov_b32_e32 v1, 0x10000
	s_load_dword s12, s[4:5], 0xc5c
	v_mov_b32_e32 v2, 0
	v_cmp_lt_i64_e32 vcc, s[6:7], v[1:2]
	v_mov_b32_e32 v10, 0
	s_and_b64 s[4:5], vcc, exec
	v_cmp_lt_u64_e32 vcc, s[6:7], v[1:2]
	s_cselect_b32 s11, s7, 0
	s_cselect_b32 s10, s6, 0x10000
	s_waitcnt lgkmcnt(0)
	s_and_b32 s14, s12, 0xffff
	v_lshlrev_b32_e32 v9, 2, v0
	s_and_b64 s[4:5], vcc, exec
	v_mov_b32_e32 v2, s3
	v_add_co_u32_e32 v1, vcc, s2, v9
	v_mad_u64_u32 v[7:8], s[4:5], s14, 12, v[9:10]
	v_addc_co_u32_e32 v2, vcc, 0, v2, vcc
	v_mov_b32_e32 v4, s1
	v_add_co_u32_e32 v3, vcc, s0, v9
	v_addc_co_u32_e32 v4, vcc, 0, v4, vcc
	v_mov_b32_e32 v6, s3
	v_add_co_u32_e32 v5, vcc, s2, v7
	;; [unrolled: 3-line block ×3, first 2 shown]
	s_cselect_b32 s13, s7, 0
	s_cselect_b32 s12, s6, 0x10000
	v_addc_co_u32_e32 v8, vcc, v10, v8, vcc
	s_lshl_b32 s4, s14, 3
	v_add_co_u32_e32 v11, vcc, s4, v9
	v_addc_co_u32_e64 v12, s[4:5], 0, 0, vcc
	v_mov_b32_e32 v10, s3
	v_add_co_u32_e32 v9, vcc, s2, v11
	v_addc_co_u32_e32 v10, vcc, v10, v12, vcc
	v_mov_b32_e32 v13, s1
	v_add_co_u32_e32 v11, vcc, s0, v11
	v_addc_co_u32_e32 v12, vcc, v13, v12, vcc
	v_add_co_u32_e32 v13, vcc, s14, v0
	v_lshlrev_b32_e32 v17, 2, v13
	v_addc_co_u32_e64 v14, s[4:5], 0, 0, vcc
	v_mov_b32_e32 v16, s3
	v_add_co_u32_e32 v15, vcc, s2, v17
	v_addc_co_u32_e32 v16, vcc, 0, v16, vcc
	v_mov_b32_e32 v18, s1
	v_add_co_u32_e32 v17, vcc, s0, v17
	s_mul_i32 s7, s14, 3
	v_addc_co_u32_e32 v18, vcc, 0, v18, vcc
	s_lshl_b32 s6, s14, 1
	v_add_co_u32_e32 v19, vcc, s7, v0
	v_addc_co_u32_e64 v20, s[0:1], 0, 0, vcc
	v_add_co_u32_e32 v21, vcc, s6, v0
	s_lshl_b32 s18, s14, 2
	s_lshl_b32 s19, s14, 4
	s_mov_b64 s[14:15], 0
	v_addc_co_u32_e64 v22, s[0:1], 0, 0, vcc
	s_branch .LBB333_9
.LBB333_8:                              ;   in Loop: Header=BB333_9 Depth=1
	s_or_b64 exec, exec, s[0:1]
	v_add_co_u32_e32 v1, vcc, s19, v1
	v_addc_co_u32_e32 v2, vcc, 0, v2, vcc
	v_add_co_u32_e32 v3, vcc, s19, v3
	v_addc_co_u32_e32 v4, vcc, 0, v4, vcc
	;; [unrolled: 2-line block ×6, first 2 shown]
	s_add_u32 s14, s14, s18
	v_add_co_u32_e32 v15, vcc, s19, v15
	v_mov_b32_e32 v24, s11
	s_addc_u32 s15, s15, 0
	v_addc_co_u32_e32 v16, vcc, 0, v16, vcc
	v_mov_b32_e32 v23, s10
	v_cmp_ge_i64_e32 vcc, s[14:15], v[23:24]
	v_add_co_u32_e64 v17, s[0:1], s19, v17
	v_addc_co_u32_e64 v18, s[0:1], 0, v18, s[0:1]
	s_cbranch_vccnz .LBB333_25
.LBB333_9:                              ; =>This Inner Loop Header: Depth=1
	v_mov_b32_e32 v24, s15
	v_add_co_u32_e32 v23, vcc, s14, v0
	v_addc_co_u32_e32 v24, vcc, 0, v24, vcc
	v_cmp_gt_u64_e32 vcc, s[12:13], v[23:24]
	v_mov_b32_e32 v24, 0
	s_and_saveexec_b64 s[2:3], vcc
	s_cbranch_execz .LBB333_11
; %bb.10:                               ;   in Loop: Header=BB333_9 Depth=1
	v_mov_b32_e32 v24, s9
	v_add_co_u32_e64 v23, s[0:1], s8, v1
	v_addc_co_u32_e64 v24, s[0:1], v2, v24, s[0:1]
	global_load_dword v23, v[23:24], off
	s_waitcnt vmcnt(0)
	v_and_b32_e32 v24, 0x7fffffff, v23
.LBB333_11:                             ;   in Loop: Header=BB333_9 Depth=1
	s_or_b64 exec, exec, s[2:3]
	v_mov_b32_e32 v23, s15
	v_add_co_u32_e64 v25, s[0:1], s14, v13
	v_addc_co_u32_e64 v26, s[0:1], v14, v23, s[0:1]
	v_cmp_gt_u64_e64 s[0:1], s[12:13], v[25:26]
	v_mov_b32_e32 v23, 0
	v_mov_b32_e32 v25, 0
	s_and_saveexec_b64 s[4:5], s[0:1]
	s_cbranch_execz .LBB333_13
; %bb.12:                               ;   in Loop: Header=BB333_9 Depth=1
	v_mov_b32_e32 v26, s9
	v_add_co_u32_e64 v25, s[2:3], s8, v15
	v_addc_co_u32_e64 v26, s[2:3], v16, v26, s[2:3]
	global_load_dword v25, v[25:26], off
	s_waitcnt vmcnt(0)
	v_and_b32_e32 v25, 0x7fffffff, v25
.LBB333_13:                             ;   in Loop: Header=BB333_9 Depth=1
	s_or_b64 exec, exec, s[4:5]
	v_mov_b32_e32 v27, s15
	v_add_co_u32_e64 v26, s[2:3], s14, v21
	v_addc_co_u32_e64 v27, s[2:3], v22, v27, s[2:3]
	v_cmp_gt_u64_e64 s[2:3], s[12:13], v[26:27]
	s_and_saveexec_b64 s[6:7], s[2:3]
	s_cbranch_execz .LBB333_15
; %bb.14:                               ;   in Loop: Header=BB333_9 Depth=1
	v_mov_b32_e32 v23, s9
	v_add_co_u32_e64 v26, s[4:5], s8, v9
	v_addc_co_u32_e64 v27, s[4:5], v10, v23, s[4:5]
	global_load_dword v23, v[26:27], off
	s_waitcnt vmcnt(0)
	v_and_b32_e32 v23, 0x7fffffff, v23
.LBB333_15:                             ;   in Loop: Header=BB333_9 Depth=1
	s_or_b64 exec, exec, s[6:7]
	v_mov_b32_e32 v27, s15
	v_add_co_u32_e64 v26, s[4:5], s14, v19
	v_addc_co_u32_e64 v27, s[4:5], v20, v27, s[4:5]
	v_cmp_gt_u64_e64 s[4:5], s[12:13], v[26:27]
	v_mov_b32_e32 v26, 0
	s_and_saveexec_b64 s[16:17], s[4:5]
	s_cbranch_execnz .LBB333_20
; %bb.16:                               ;   in Loop: Header=BB333_9 Depth=1
	s_or_b64 exec, exec, s[16:17]
	s_and_saveexec_b64 s[6:7], vcc
	s_cbranch_execnz .LBB333_21
.LBB333_17:                             ;   in Loop: Header=BB333_9 Depth=1
	s_or_b64 exec, exec, s[6:7]
	s_and_saveexec_b64 s[6:7], s[0:1]
	s_cbranch_execnz .LBB333_22
.LBB333_18:                             ;   in Loop: Header=BB333_9 Depth=1
	s_or_b64 exec, exec, s[6:7]
	s_and_saveexec_b64 s[0:1], s[2:3]
	s_cbranch_execnz .LBB333_23
.LBB333_19:                             ;   in Loop: Header=BB333_9 Depth=1
	s_or_b64 exec, exec, s[0:1]
	s_and_saveexec_b64 s[0:1], s[4:5]
	s_cbranch_execz .LBB333_8
	s_branch .LBB333_24
.LBB333_20:                             ;   in Loop: Header=BB333_9 Depth=1
	v_mov_b32_e32 v27, s9
	v_add_co_u32_e64 v26, s[6:7], s8, v5
	v_addc_co_u32_e64 v27, s[6:7], v6, v27, s[6:7]
	global_load_dword v26, v[26:27], off
	s_waitcnt vmcnt(0)
	v_and_b32_e32 v26, 0x7fffffff, v26
	s_or_b64 exec, exec, s[16:17]
	s_and_saveexec_b64 s[6:7], vcc
	s_cbranch_execz .LBB333_17
.LBB333_21:                             ;   in Loop: Header=BB333_9 Depth=1
	v_mov_b32_e32 v28, s9
	v_add_co_u32_e32 v27, vcc, s8, v3
	v_addc_co_u32_e32 v28, vcc, v4, v28, vcc
	global_store_dword v[27:28], v24, off
	s_or_b64 exec, exec, s[6:7]
	s_and_saveexec_b64 s[6:7], s[0:1]
	s_cbranch_execz .LBB333_18
.LBB333_22:                             ;   in Loop: Header=BB333_9 Depth=1
	v_mov_b32_e32 v24, s9
	v_add_co_u32_e32 v27, vcc, s8, v17
	v_addc_co_u32_e32 v28, vcc, v18, v24, vcc
	global_store_dword v[27:28], v25, off
	s_or_b64 exec, exec, s[6:7]
	s_and_saveexec_b64 s[0:1], s[2:3]
	s_cbranch_execz .LBB333_19
.LBB333_23:                             ;   in Loop: Header=BB333_9 Depth=1
	v_mov_b32_e32 v25, s9
	v_add_co_u32_e32 v24, vcc, s8, v11
	v_addc_co_u32_e32 v25, vcc, v12, v25, vcc
	global_store_dword v[24:25], v23, off
	s_or_b64 exec, exec, s[0:1]
	s_and_saveexec_b64 s[0:1], s[4:5]
	s_cbranch_execz .LBB333_8
.LBB333_24:                             ;   in Loop: Header=BB333_9 Depth=1
	v_mov_b32_e32 v24, s9
	v_add_co_u32_e32 v23, vcc, s8, v7
	v_addc_co_u32_e32 v24, vcc, v8, v24, vcc
	global_store_dword v[23:24], v26, off
	s_branch .LBB333_8
.LBB333_25:
	s_endpgm
	.section	.rodata,"a",@progbits
	.p2align	6, 0x0
	.amdhsa_kernel _ZN2at6native12_GLOBAL__N_125multi_tensor_apply_kernelINS1_18TensorListMetadataILi2EEENS1_14UnaryOpFunctorIfLi2ELi1ELi1EEEJNS0_3AbsIfEEEEEvT_T0_DpT1_
		.amdhsa_group_segment_fixed_size 0
		.amdhsa_private_segment_fixed_size 0
		.amdhsa_kernarg_size 3408
		.amdhsa_user_sgpr_count 6
		.amdhsa_user_sgpr_private_segment_buffer 1
		.amdhsa_user_sgpr_dispatch_ptr 0
		.amdhsa_user_sgpr_queue_ptr 0
		.amdhsa_user_sgpr_kernarg_segment_ptr 1
		.amdhsa_user_sgpr_dispatch_id 0
		.amdhsa_user_sgpr_flat_scratch_init 0
		.amdhsa_user_sgpr_private_segment_size 0
		.amdhsa_uses_dynamic_stack 0
		.amdhsa_system_sgpr_private_segment_wavefront_offset 0
		.amdhsa_system_sgpr_workgroup_id_x 1
		.amdhsa_system_sgpr_workgroup_id_y 0
		.amdhsa_system_sgpr_workgroup_id_z 0
		.amdhsa_system_sgpr_workgroup_info 0
		.amdhsa_system_vgpr_workitem_id 0
		.amdhsa_next_free_vgpr 29
		.amdhsa_next_free_sgpr 20
		.amdhsa_reserve_vcc 1
		.amdhsa_reserve_flat_scratch 0
		.amdhsa_float_round_mode_32 0
		.amdhsa_float_round_mode_16_64 0
		.amdhsa_float_denorm_mode_32 3
		.amdhsa_float_denorm_mode_16_64 3
		.amdhsa_dx10_clamp 1
		.amdhsa_ieee_mode 1
		.amdhsa_fp16_overflow 0
		.amdhsa_exception_fp_ieee_invalid_op 0
		.amdhsa_exception_fp_denorm_src 0
		.amdhsa_exception_fp_ieee_div_zero 0
		.amdhsa_exception_fp_ieee_overflow 0
		.amdhsa_exception_fp_ieee_underflow 0
		.amdhsa_exception_fp_ieee_inexact 0
		.amdhsa_exception_int_div_zero 0
	.end_amdhsa_kernel
	.section	.text._ZN2at6native12_GLOBAL__N_125multi_tensor_apply_kernelINS1_18TensorListMetadataILi2EEENS1_14UnaryOpFunctorIfLi2ELi1ELi1EEEJNS0_3AbsIfEEEEEvT_T0_DpT1_,"axG",@progbits,_ZN2at6native12_GLOBAL__N_125multi_tensor_apply_kernelINS1_18TensorListMetadataILi2EEENS1_14UnaryOpFunctorIfLi2ELi1ELi1EEEJNS0_3AbsIfEEEEEvT_T0_DpT1_,comdat
.Lfunc_end333:
	.size	_ZN2at6native12_GLOBAL__N_125multi_tensor_apply_kernelINS1_18TensorListMetadataILi2EEENS1_14UnaryOpFunctorIfLi2ELi1ELi1EEEJNS0_3AbsIfEEEEEvT_T0_DpT1_, .Lfunc_end333-_ZN2at6native12_GLOBAL__N_125multi_tensor_apply_kernelINS1_18TensorListMetadataILi2EEENS1_14UnaryOpFunctorIfLi2ELi1ELi1EEEJNS0_3AbsIfEEEEEvT_T0_DpT1_
                                        ; -- End function
	.set _ZN2at6native12_GLOBAL__N_125multi_tensor_apply_kernelINS1_18TensorListMetadataILi2EEENS1_14UnaryOpFunctorIfLi2ELi1ELi1EEEJNS0_3AbsIfEEEEEvT_T0_DpT1_.num_vgpr, 29
	.set _ZN2at6native12_GLOBAL__N_125multi_tensor_apply_kernelINS1_18TensorListMetadataILi2EEENS1_14UnaryOpFunctorIfLi2ELi1ELi1EEEJNS0_3AbsIfEEEEEvT_T0_DpT1_.num_agpr, 0
	.set _ZN2at6native12_GLOBAL__N_125multi_tensor_apply_kernelINS1_18TensorListMetadataILi2EEENS1_14UnaryOpFunctorIfLi2ELi1ELi1EEEJNS0_3AbsIfEEEEEvT_T0_DpT1_.numbered_sgpr, 20
	.set _ZN2at6native12_GLOBAL__N_125multi_tensor_apply_kernelINS1_18TensorListMetadataILi2EEENS1_14UnaryOpFunctorIfLi2ELi1ELi1EEEJNS0_3AbsIfEEEEEvT_T0_DpT1_.num_named_barrier, 0
	.set _ZN2at6native12_GLOBAL__N_125multi_tensor_apply_kernelINS1_18TensorListMetadataILi2EEENS1_14UnaryOpFunctorIfLi2ELi1ELi1EEEJNS0_3AbsIfEEEEEvT_T0_DpT1_.private_seg_size, 0
	.set _ZN2at6native12_GLOBAL__N_125multi_tensor_apply_kernelINS1_18TensorListMetadataILi2EEENS1_14UnaryOpFunctorIfLi2ELi1ELi1EEEJNS0_3AbsIfEEEEEvT_T0_DpT1_.uses_vcc, 1
	.set _ZN2at6native12_GLOBAL__N_125multi_tensor_apply_kernelINS1_18TensorListMetadataILi2EEENS1_14UnaryOpFunctorIfLi2ELi1ELi1EEEJNS0_3AbsIfEEEEEvT_T0_DpT1_.uses_flat_scratch, 0
	.set _ZN2at6native12_GLOBAL__N_125multi_tensor_apply_kernelINS1_18TensorListMetadataILi2EEENS1_14UnaryOpFunctorIfLi2ELi1ELi1EEEJNS0_3AbsIfEEEEEvT_T0_DpT1_.has_dyn_sized_stack, 0
	.set _ZN2at6native12_GLOBAL__N_125multi_tensor_apply_kernelINS1_18TensorListMetadataILi2EEENS1_14UnaryOpFunctorIfLi2ELi1ELi1EEEJNS0_3AbsIfEEEEEvT_T0_DpT1_.has_recursion, 0
	.set _ZN2at6native12_GLOBAL__N_125multi_tensor_apply_kernelINS1_18TensorListMetadataILi2EEENS1_14UnaryOpFunctorIfLi2ELi1ELi1EEEJNS0_3AbsIfEEEEEvT_T0_DpT1_.has_indirect_call, 0
	.section	.AMDGPU.csdata,"",@progbits
; Kernel info:
; codeLenInByte = 1280
; TotalNumSgprs: 24
; NumVgprs: 29
; ScratchSize: 0
; MemoryBound: 0
; FloatMode: 240
; IeeeMode: 1
; LDSByteSize: 0 bytes/workgroup (compile time only)
; SGPRBlocks: 2
; VGPRBlocks: 7
; NumSGPRsForWavesPerEU: 24
; NumVGPRsForWavesPerEU: 29
; Occupancy: 8
; WaveLimiterHint : 0
; COMPUTE_PGM_RSRC2:SCRATCH_EN: 0
; COMPUTE_PGM_RSRC2:USER_SGPR: 6
; COMPUTE_PGM_RSRC2:TRAP_HANDLER: 0
; COMPUTE_PGM_RSRC2:TGID_X_EN: 1
; COMPUTE_PGM_RSRC2:TGID_Y_EN: 0
; COMPUTE_PGM_RSRC2:TGID_Z_EN: 0
; COMPUTE_PGM_RSRC2:TIDIG_COMP_CNT: 0
	.section	.text._ZN2at6native12_GLOBAL__N_125multi_tensor_apply_kernelINS1_18TensorListMetadataILi2EEENS1_14UnaryOpFunctorIN3c107complexIdEELi2ELi1ELi1EEEJNS0_3AbsIS8_EEEEEvT_T0_DpT1_,"axG",@progbits,_ZN2at6native12_GLOBAL__N_125multi_tensor_apply_kernelINS1_18TensorListMetadataILi2EEENS1_14UnaryOpFunctorIN3c107complexIdEELi2ELi1ELi1EEEJNS0_3AbsIS8_EEEEEvT_T0_DpT1_,comdat
	.globl	_ZN2at6native12_GLOBAL__N_125multi_tensor_apply_kernelINS1_18TensorListMetadataILi2EEENS1_14UnaryOpFunctorIN3c107complexIdEELi2ELi1ELi1EEEJNS0_3AbsIS8_EEEEEvT_T0_DpT1_ ; -- Begin function _ZN2at6native12_GLOBAL__N_125multi_tensor_apply_kernelINS1_18TensorListMetadataILi2EEENS1_14UnaryOpFunctorIN3c107complexIdEELi2ELi1ELi1EEEJNS0_3AbsIS8_EEEEEvT_T0_DpT1_
	.p2align	8
	.type	_ZN2at6native12_GLOBAL__N_125multi_tensor_apply_kernelINS1_18TensorListMetadataILi2EEENS1_14UnaryOpFunctorIN3c107complexIdEELi2ELi1ELi1EEEJNS0_3AbsIS8_EEEEEvT_T0_DpT1_,@function
_ZN2at6native12_GLOBAL__N_125multi_tensor_apply_kernelINS1_18TensorListMetadataILi2EEENS1_14UnaryOpFunctorIN3c107complexIdEELi2ELi1ELi1EEEJNS0_3AbsIS8_EEEEEvT_T0_DpT1_: ; @_ZN2at6native12_GLOBAL__N_125multi_tensor_apply_kernelINS1_18TensorListMetadataILi2EEENS1_14UnaryOpFunctorIN3c107complexIdEELi2ELi1ELi1EEEJNS0_3AbsIS8_EEEEEvT_T0_DpT1_
; %bb.0:
	v_mov_b32_e32 v1, s6
	global_load_ubyte v1, v1, s[4:5] offset:1536
	s_add_u32 s0, s4, s6
	s_mul_hi_u32 s1, s6, 3
	s_mul_i32 s6, s6, 3
	s_addc_u32 s2, s5, 0
	s_add_u32 s0, s0, s6
	s_addc_u32 s1, s2, s1
	s_load_dword s8, s[0:1], 0x740
	s_mov_b32 s3, 0
	s_mov_b32 s7, s3
	s_waitcnt lgkmcnt(0)
	s_ashr_i32 s9, s8, 31
	s_waitcnt vmcnt(0)
	v_readfirstlane_b32 s0, v1
	s_lshl_b32 s0, s0, 3
	s_load_dwordx2 s[12:13], s[4:5], s0 offset:0x0
	s_load_dwordx2 s[16:17], s[4:5], s0 offset:0x400
	;; [unrolled: 1-line block ×3, first 2 shown]
	s_lshl_b64 s[0:1], s[8:9], 20
	s_waitcnt lgkmcnt(0)
	s_add_u32 s22, s12, s0
	s_addc_u32 s23, s13, s1
	s_and_b32 s2, s22, 63
	s_add_u32 s24, s14, s0
	s_addc_u32 s25, s15, s1
	s_lshl_b64 s[8:9], s[8:9], 16
	s_and_b32 s6, s24, 63
	s_sub_u32 s10, s16, s8
	s_subb_u32 s11, s17, s9
	s_and_b32 s8, s16, 3
	s_mov_b32 s9, s3
	s_or_b64 s[6:7], s[6:7], s[8:9]
	s_or_b64 s[2:3], s[6:7], s[2:3]
	s_cmp_eq_u64 s[2:3], 0
	s_mov_b64 s[2:3], -1
	s_cbranch_scc0 .LBB334_5
; %bb.1:
	v_mov_b32_e32 v1, 0x10000
	v_mov_b32_e32 v2, 0
	v_cmp_lt_i64_e32 vcc, s[10:11], v[1:2]
	v_mov_b32_e32 v3, 0
	s_and_b64 s[2:3], vcc, exec
	s_cselect_b32 s17, s11, 0
	s_cselect_b32 s16, s10, 0x10000
	v_lshlrev_b32_e32 v2, 2, v0
	v_cmp_gt_i64_e32 vcc, s[16:17], v[2:3]
	s_and_saveexec_b64 s[18:19], vcc
	s_cbranch_execz .LBB334_4
; %bb.2:
	s_load_dword s2, s[4:5], 0xc5c
	v_mov_b32_e32 v1, v3
	v_lshlrev_b32_e32 v2, 6, v0
	v_mov_b32_e32 v4, s1
	v_add_co_u32_e32 v23, vcc, s0, v2
	s_waitcnt lgkmcnt(0)
	s_and_b32 s26, s2, 0xffff
	v_mov_b32_e32 v22, v1
	v_addc_co_u32_e32 v24, vcc, 0, v4, vcc
	s_lshl_b32 s27, s26, 6
	s_mov_b64 s[20:21], 0
	v_mov_b32_e32 v25, s13
	v_mov_b32_e32 v26, 0x7ff80000
	s_movk_i32 s13, 0x204
	v_mov_b32_e32 v27, 0x7ff00000
	v_mov_b32_e32 v28, s15
	;; [unrolled: 1-line block ×3, first 2 shown]
.LBB334_3:                              ; =>This Inner Loop Header: Depth=1
	v_add_co_u32_e32 v1, vcc, s12, v23
	v_addc_co_u32_e32 v2, vcc, v25, v24, vcc
	global_load_dwordx4 v[5:8], v[1:2], off
	global_load_dwordx4 v[9:12], v[1:2], off offset:16
	global_load_dwordx4 v[13:16], v[1:2], off offset:32
	;; [unrolled: 1-line block ×3, first 2 shown]
	v_add_co_u32_e64 v21, s[0:1], s26, v21
	v_addc_co_u32_e64 v22, s[0:1], 0, v22, s[0:1]
	s_waitcnt vmcnt(3)
	v_max_f64 v[1:2], |v[7:8]|, |v[7:8]|
	v_max_f64 v[29:30], |v[5:6]|, |v[5:6]|
	s_waitcnt vmcnt(2)
	v_max_f64 v[31:32], |v[11:12]|, |v[11:12]|
	v_max_f64 v[33:34], |v[9:10]|, |v[9:10]|
	;; [unrolled: 3-line block ×3, first 2 shown]
	v_cmp_class_f64_e64 s[36:37], v[15:16], s13
	v_cmp_o_f64_e64 s[0:1], v[13:14], v[15:16]
	v_cmp_class_f64_e64 s[28:29], v[9:10], s13
	v_max_f64 v[1:2], v[29:30], v[1:2]
	v_cmp_class_f64_e64 s[30:31], v[11:12], s13
	v_max_f64 v[29:30], v[33:34], v[31:32]
	;; [unrolled: 2-line block ×3, first 2 shown]
	v_cmp_class_f64_e64 s[38:39], v[5:6], s13
	v_cmp_class_f64_e64 s[40:41], v[7:8], s13
	s_waitcnt vmcnt(0)
	v_cmp_class_f64_e64 s[42:43], v[17:18], s13
	v_frexp_exp_i32_f64_e32 v47, v[1:2]
	v_cmp_class_f64_e64 s[44:45], v[19:20], s13
	v_frexp_exp_i32_f64_e32 v48, v[29:30]
	v_cmp_o_f64_e64 s[8:9], v[17:18], v[19:20]
	v_frexp_exp_i32_f64_e32 v49, v[31:32]
	v_sub_u32_e32 v4, 0, v47
	v_ldexp_f64 v[1:2], |v[7:8]|, v4
	v_sub_u32_e32 v33, 0, v48
	v_ldexp_f64 v[29:30], |v[5:6]|, v4
	v_ldexp_f64 v[31:32], |v[11:12]|, v33
	;; [unrolled: 1-line block ×3, first 2 shown]
	v_sub_u32_e32 v39, 0, v49
	v_mul_f64 v[1:2], v[1:2], v[1:2]
	v_mul_f64 v[31:32], v[31:32], v[31:32]
	v_fma_f64 v[1:2], v[29:30], v[29:30], v[1:2]
	v_fma_f64 v[29:30], v[33:34], v[33:34], v[31:32]
	v_rsq_f64_e32 v[31:32], v[1:2]
	v_cmp_eq_f64_e32 vcc, 0, v[1:2]
	v_rsq_f64_e32 v[33:34], v[29:30]
	v_mul_f64 v[35:36], v[1:2], v[31:32]
	v_mul_f64 v[31:32], v[31:32], 0.5
	v_fma_f64 v[37:38], -v[31:32], v[35:36], 0.5
	v_fma_f64 v[35:36], v[35:36], v[37:38], v[35:36]
	v_fma_f64 v[31:32], v[31:32], v[37:38], v[31:32]
	v_fma_f64 v[37:38], -v[35:36], v[35:36], v[1:2]
	v_fma_f64 v[31:32], v[37:38], v[31:32], v[35:36]
	v_mul_f64 v[35:36], v[29:30], v[33:34]
	v_mul_f64 v[33:34], v[33:34], 0.5
	v_cndmask_b32_e32 v2, v32, v2, vcc
	v_cndmask_b32_e32 v1, v31, v1, vcc
	v_fma_f64 v[37:38], -v[33:34], v[35:36], 0.5
	v_cmp_eq_f64_e32 vcc, 0, v[29:30]
	v_ldexp_f64 v[1:2], v[1:2], v47
	v_mov_b32_e32 v31, v3
	v_mov_b32_e32 v32, v3
	v_fma_f64 v[35:36], v[35:36], v[37:38], v[35:36]
	v_fma_f64 v[33:34], v[33:34], v[37:38], v[33:34]
	v_fma_f64 v[37:38], -v[35:36], v[35:36], v[29:30]
	v_fma_f64 v[33:34], v[37:38], v[33:34], v[35:36]
	v_ldexp_f64 v[35:36], |v[15:16]|, v39
	v_ldexp_f64 v[37:38], |v[13:14]|, v39
	v_lshlrev_b64 v[15:16], 2, v[21:22]
	v_mov_b32_e32 v13, v3
	v_cmp_le_i64_e64 s[2:3], s[16:17], v[15:16]
	v_add_co_u32_e64 v15, s[6:7], s14, v23
	v_cndmask_b32_e32 v30, v34, v30, vcc
	v_mul_f64 v[35:36], v[35:36], v[35:36]
	v_cndmask_b32_e32 v29, v33, v29, vcc
	v_addc_co_u32_e64 v16, s[6:7], v28, v24, s[6:7]
	v_add_co_u32_e64 v23, s[6:7], s27, v23
	v_addc_co_u32_e64 v24, s[6:7], 0, v24, s[6:7]
	v_fma_f64 v[35:36], v[37:38], v[37:38], v[35:36]
	v_ldexp_f64 v[29:30], v[29:30], v48
	v_cmp_o_f64_e64 s[6:7], v[5:6], v[7:8]
	v_mov_b32_e32 v14, v3
	v_rsq_f64_e32 v[37:38], v[35:36]
	v_cmp_eq_f64_e32 vcc, 0, v[35:36]
	v_cndmask_b32_e64 v1, 0, v1, s[6:7]
	v_cndmask_b32_e64 v2, v26, v2, s[6:7]
	s_or_b64 s[6:7], s[38:39], s[40:41]
	v_cndmask_b32_e64 v2, v2, v27, s[6:7]
	v_cndmask_b32_e64 v1, v1, 0, s[6:7]
	v_mul_f64 v[39:40], v[35:36], v[37:38]
	v_mul_f64 v[37:38], v[37:38], 0.5
	v_fma_f64 v[41:42], -v[37:38], v[39:40], 0.5
	v_fma_f64 v[39:40], v[39:40], v[41:42], v[39:40]
	v_fma_f64 v[37:38], v[37:38], v[41:42], v[37:38]
	v_fma_f64 v[41:42], -v[39:40], v[39:40], v[35:36]
	v_fma_f64 v[37:38], v[41:42], v[37:38], v[39:40]
	v_max_f64 v[39:40], |v[19:20]|, |v[19:20]|
	v_max_f64 v[41:42], |v[17:18]|, |v[17:18]|
	v_cndmask_b32_e32 v34, v38, v36, vcc
	v_cndmask_b32_e32 v33, v37, v35, vcc
	v_max_f64 v[39:40], v[41:42], v[39:40]
	v_frexp_exp_i32_f64_e32 v50, v[39:40]
	v_sub_u32_e32 v4, 0, v50
	v_ldexp_f64 v[39:40], |v[19:20]|, v4
	v_ldexp_f64 v[41:42], |v[17:18]|, v4
	v_mov_b32_e32 v4, v3
	v_mul_f64 v[39:40], v[39:40], v[39:40]
	v_fma_f64 v[39:40], v[41:42], v[41:42], v[39:40]
	v_rsq_f64_e32 v[41:42], v[39:40]
	v_cmp_eq_f64_e32 vcc, 0, v[39:40]
	v_mul_f64 v[43:44], v[39:40], v[41:42]
	v_mul_f64 v[41:42], v[41:42], 0.5
	v_fma_f64 v[45:46], -v[41:42], v[43:44], 0.5
	v_fma_f64 v[43:44], v[43:44], v[45:46], v[43:44]
	v_fma_f64 v[41:42], v[41:42], v[45:46], v[41:42]
	v_fma_f64 v[45:46], -v[43:44], v[43:44], v[39:40]
	v_fma_f64 v[41:42], v[45:46], v[41:42], v[43:44]
	v_cndmask_b32_e32 v36, v42, v40, vcc
	v_cndmask_b32_e32 v35, v41, v39, vcc
	v_cmp_o_f64_e32 vcc, v[9:10], v[11:12]
	v_ldexp_f64 v[11:12], v[33:34], v49
	v_ldexp_f64 v[5:6], v[35:36], v50
	v_mov_b32_e32 v9, v3
	v_mov_b32_e32 v10, v3
	v_cndmask_b32_e32 v7, 0, v29, vcc
	v_cndmask_b32_e32 v8, v26, v30, vcc
	s_or_b64 vcc, s[28:29], s[30:31]
	v_cndmask_b32_e64 v11, 0, v11, s[0:1]
	v_cndmask_b32_e64 v12, v26, v12, s[0:1]
	s_or_b64 s[0:1], s[34:35], s[36:37]
	v_cndmask_b32_e64 v5, 0, v5, s[8:9]
	v_cndmask_b32_e64 v6, v26, v6, s[8:9]
	s_or_b64 s[8:9], s[42:43], s[44:45]
	s_or_b64 s[20:21], s[2:3], s[20:21]
	v_cndmask_b32_e32 v30, v8, v27, vcc
	v_cndmask_b32_e64 v29, v7, 0, vcc
	v_cndmask_b32_e64 v8, v12, v27, s[0:1]
	v_cndmask_b32_e64 v7, v11, 0, s[0:1]
	;; [unrolled: 1-line block ×4, first 2 shown]
	global_store_dwordx4 v[15:16], v[29:32], off offset:16
	global_store_dwordx4 v[15:16], v[7:10], off offset:32
	global_store_dwordx4 v[15:16], v[1:4], off
	global_store_dwordx4 v[15:16], v[11:14], off offset:48
	s_andn2_b64 exec, exec, s[20:21]
	s_cbranch_execnz .LBB334_3
.LBB334_4:
	s_or_b64 exec, exec, s[18:19]
	s_mov_b64 s[2:3], 0
.LBB334_5:
	s_andn2_b64 vcc, exec, s[2:3]
	s_cbranch_vccnz .LBB334_25
; %bb.6:
	v_cmp_lt_i64_e64 s[0:1], s[10:11], 1
	s_and_b64 vcc, exec, s[0:1]
	s_cbranch_vccnz .LBB334_25
; %bb.7:
	v_mov_b32_e32 v1, 0x10000
	s_load_dword s2, s[4:5], 0xc5c
	v_mov_b32_e32 v2, 0
	v_cmp_lt_i64_e32 vcc, s[10:11], v[1:2]
	v_mov_b32_e32 v3, 0
	s_and_b64 s[0:1], vcc, exec
	v_cmp_lt_u64_e32 vcc, s[10:11], v[1:2]
	s_cselect_b32 s9, s11, 0
	s_cselect_b32 s8, s10, 0x10000
	s_waitcnt lgkmcnt(0)
	s_and_b32 s16, s2, 0xffff
	s_and_b64 s[0:1], vcc, exec
	s_cselect_b32 s11, s11, 0
	s_cselect_b32 s10, s10, 0x10000
	s_lshl_b32 s17, s16, 1
	s_mul_i32 s18, s16, 3
	s_lshl_b32 s19, s16, 2
	s_mov_b64 s[12:13], 0
	s_movk_i32 s20, 0x204
	v_mov_b32_e32 v27, 0x7ff80000
	v_mov_b32_e32 v28, 0x7ff00000
	s_branch .LBB334_9
.LBB334_8:                              ;   in Loop: Header=BB334_9 Depth=1
	s_or_b64 exec, exec, s[2:3]
	s_add_u32 s12, s12, s19
	v_mov_b32_e32 v1, s8
	s_addc_u32 s13, s13, 0
	v_mov_b32_e32 v2, s9
	v_cmp_ge_i64_e32 vcc, s[12:13], v[1:2]
	s_cbranch_vccnz .LBB334_25
.LBB334_9:                              ; =>This Inner Loop Header: Depth=1
	v_mov_b32_e32 v2, s13
	v_add_co_u32_e32 v1, vcc, s12, v0
	v_addc_co_u32_e32 v2, vcc, 0, v2, vcc
	v_cmp_gt_u64_e64 s[4:5], s[10:11], v[1:2]
	s_waitcnt vmcnt(0)
	v_mov_b32_e32 v11, 0
	v_mov_b32_e32 v19, 0
	;; [unrolled: 1-line block ×6, first 2 shown]
	s_and_saveexec_b64 s[0:1], s[4:5]
	s_cbranch_execz .LBB334_11
; %bb.10:                               ;   in Loop: Header=BB334_9 Depth=1
	v_lshlrev_b64 v[4:5], 4, v[1:2]
	v_mov_b32_e32 v6, s23
	v_add_co_u32_e32 v4, vcc, s22, v4
	v_addc_co_u32_e32 v5, vcc, v6, v5, vcc
	global_load_dwordx4 v[17:20], v[4:5], off
.LBB334_11:                             ;   in Loop: Header=BB334_9 Depth=1
	s_or_b64 exec, exec, s[0:1]
	v_add_co_u32_e32 v25, vcc, s16, v1
	v_addc_co_u32_e32 v26, vcc, 0, v2, vcc
	v_cmp_gt_u64_e64 s[2:3], s[10:11], v[25:26]
	v_mov_b32_e32 v9, 0
	v_mov_b32_e32 v10, 0
	s_and_saveexec_b64 s[0:1], s[2:3]
	s_cbranch_execz .LBB334_13
; %bb.12:                               ;   in Loop: Header=BB334_9 Depth=1
	v_lshlrev_b64 v[4:5], 4, v[25:26]
	v_mov_b32_e32 v6, s23
	v_add_co_u32_e32 v4, vcc, s22, v4
	v_addc_co_u32_e32 v5, vcc, v6, v5, vcc
	global_load_dwordx4 v[9:12], v[4:5], off
.LBB334_13:                             ;   in Loop: Header=BB334_9 Depth=1
	s_or_b64 exec, exec, s[0:1]
	v_add_co_u32_e32 v23, vcc, s17, v1
	v_addc_co_u32_e32 v24, vcc, 0, v2, vcc
	v_cmp_gt_u64_e64 s[0:1], s[10:11], v[23:24]
	v_mov_b32_e32 v7, 0
	v_mov_b32_e32 v15, 0
	;; [unrolled: 1-line block ×6, first 2 shown]
	s_and_saveexec_b64 s[6:7], s[0:1]
	s_cbranch_execz .LBB334_15
; %bb.14:                               ;   in Loop: Header=BB334_9 Depth=1
	v_lshlrev_b64 v[4:5], 4, v[23:24]
	v_mov_b32_e32 v6, s23
	v_add_co_u32_e32 v4, vcc, s22, v4
	v_addc_co_u32_e32 v5, vcc, v6, v5, vcc
	global_load_dwordx4 v[13:16], v[4:5], off
.LBB334_15:                             ;   in Loop: Header=BB334_9 Depth=1
	s_or_b64 exec, exec, s[6:7]
	v_add_co_u32_e32 v21, vcc, s18, v1
	v_addc_co_u32_e32 v22, vcc, 0, v2, vcc
	v_cmp_gt_u64_e32 vcc, s[10:11], v[21:22]
	v_mov_b32_e32 v5, 0
	v_mov_b32_e32 v6, 0
	s_and_saveexec_b64 s[14:15], vcc
	s_cbranch_execnz .LBB334_20
; %bb.16:                               ;   in Loop: Header=BB334_9 Depth=1
	s_or_b64 exec, exec, s[14:15]
	s_and_saveexec_b64 s[14:15], s[4:5]
	s_cbranch_execnz .LBB334_21
.LBB334_17:                             ;   in Loop: Header=BB334_9 Depth=1
	s_or_b64 exec, exec, s[14:15]
	s_and_saveexec_b64 s[6:7], s[2:3]
	s_cbranch_execnz .LBB334_22
.LBB334_18:                             ;   in Loop: Header=BB334_9 Depth=1
	s_or_b64 exec, exec, s[6:7]
	s_and_saveexec_b64 s[4:5], s[0:1]
	s_cbranch_execnz .LBB334_23
.LBB334_19:                             ;   in Loop: Header=BB334_9 Depth=1
	s_or_b64 exec, exec, s[4:5]
	s_and_saveexec_b64 s[2:3], vcc
	s_cbranch_execz .LBB334_8
	s_branch .LBB334_24
.LBB334_20:                             ;   in Loop: Header=BB334_9 Depth=1
	v_lshlrev_b64 v[4:5], 4, v[21:22]
	v_mov_b32_e32 v6, s23
	v_add_co_u32_e64 v4, s[6:7], s22, v4
	v_addc_co_u32_e64 v5, s[6:7], v6, v5, s[6:7]
	global_load_dwordx4 v[5:8], v[4:5], off
	s_or_b64 exec, exec, s[14:15]
	s_and_saveexec_b64 s[14:15], s[4:5]
	s_cbranch_execz .LBB334_17
.LBB334_21:                             ;   in Loop: Header=BB334_9 Depth=1
	s_waitcnt vmcnt(0)
	v_max_f64 v[29:30], |v[19:20]|, |v[19:20]|
	v_max_f64 v[31:32], |v[17:18]|, |v[17:18]|
	v_cmp_class_f64_e64 s[26:27], v[17:18], s20
	v_cmp_class_f64_e64 s[28:29], v[19:20], s20
	v_lshlrev_b64 v[1:2], 4, v[1:2]
	v_max_f64 v[29:30], v[31:32], v[29:30]
	v_frexp_exp_i32_f64_e32 v4, v[29:30]
	v_sub_u32_e32 v31, 0, v4
	v_ldexp_f64 v[29:30], |v[19:20]|, v31
	v_ldexp_f64 v[31:32], |v[17:18]|, v31
	v_mul_f64 v[29:30], v[29:30], v[29:30]
	v_fma_f64 v[29:30], v[31:32], v[31:32], v[29:30]
	v_rsq_f64_e32 v[31:32], v[29:30]
	v_cmp_eq_f64_e64 s[4:5], 0, v[29:30]
	v_mul_f64 v[33:34], v[29:30], v[31:32]
	v_mul_f64 v[31:32], v[31:32], 0.5
	v_fma_f64 v[35:36], -v[31:32], v[33:34], 0.5
	v_fma_f64 v[33:34], v[33:34], v[35:36], v[33:34]
	v_fma_f64 v[31:32], v[31:32], v[35:36], v[31:32]
	v_fma_f64 v[35:36], -v[33:34], v[33:34], v[29:30]
	v_fma_f64 v[31:32], v[35:36], v[31:32], v[33:34]
	v_cndmask_b32_e64 v30, v32, v30, s[4:5]
	v_cndmask_b32_e64 v29, v31, v29, s[4:5]
	v_ldexp_f64 v[29:30], v[29:30], v4
	v_cmp_o_f64_e64 s[4:5], v[17:18], v[19:20]
	v_mov_b32_e32 v4, s25
	v_add_co_u32_e64 v17, s[6:7], s24, v1
	v_addc_co_u32_e64 v18, s[6:7], v4, v2, s[6:7]
	v_mov_b32_e32 v4, v3
	v_cndmask_b32_e64 v1, 0, v29, s[4:5]
	v_cndmask_b32_e64 v2, v27, v30, s[4:5]
	s_or_b64 s[4:5], s[28:29], s[26:27]
	v_cndmask_b32_e64 v2, v2, v28, s[4:5]
	v_cndmask_b32_e64 v1, v1, 0, s[4:5]
	global_store_dwordx4 v[17:18], v[1:4], off
	s_or_b64 exec, exec, s[14:15]
	s_and_saveexec_b64 s[6:7], s[2:3]
	s_cbranch_execz .LBB334_18
.LBB334_22:                             ;   in Loop: Header=BB334_9 Depth=1
	s_waitcnt vmcnt(0)
	v_max_f64 v[1:2], |v[11:12]|, |v[11:12]|
	v_max_f64 v[17:18], |v[9:10]|, |v[9:10]|
	v_cmp_class_f64_e64 s[14:15], v[9:10], s20
	v_cmp_class_f64_e64 s[26:27], v[11:12], s20
	v_max_f64 v[1:2], v[17:18], v[1:2]
	v_frexp_exp_i32_f64_e32 v4, v[1:2]
	v_sub_u32_e32 v17, 0, v4
	v_ldexp_f64 v[1:2], |v[11:12]|, v17
	v_ldexp_f64 v[17:18], |v[9:10]|, v17
	v_mul_f64 v[1:2], v[1:2], v[1:2]
	v_fma_f64 v[1:2], v[17:18], v[17:18], v[1:2]
	v_rsq_f64_e32 v[17:18], v[1:2]
	v_cmp_eq_f64_e64 s[2:3], 0, v[1:2]
	v_mul_f64 v[19:20], v[1:2], v[17:18]
	v_mul_f64 v[17:18], v[17:18], 0.5
	v_fma_f64 v[29:30], -v[17:18], v[19:20], 0.5
	v_fma_f64 v[19:20], v[19:20], v[29:30], v[19:20]
	v_fma_f64 v[17:18], v[17:18], v[29:30], v[17:18]
	v_fma_f64 v[29:30], -v[19:20], v[19:20], v[1:2]
	v_fma_f64 v[17:18], v[29:30], v[17:18], v[19:20]
	v_cndmask_b32_e64 v2, v18, v2, s[2:3]
	v_cndmask_b32_e64 v1, v17, v1, s[2:3]
	v_ldexp_f64 v[1:2], v[1:2], v4
	v_cmp_o_f64_e64 s[2:3], v[9:10], v[11:12]
	v_lshlrev_b64 v[9:10], 4, v[25:26]
	v_mov_b32_e32 v4, s25
	v_add_co_u32_e64 v9, s[4:5], s24, v9
	v_addc_co_u32_e64 v10, s[4:5], v4, v10, s[4:5]
	v_mov_b32_e32 v4, v3
	v_cndmask_b32_e64 v1, 0, v1, s[2:3]
	v_cndmask_b32_e64 v2, v27, v2, s[2:3]
	s_or_b64 s[2:3], s[26:27], s[14:15]
	v_cndmask_b32_e64 v2, v2, v28, s[2:3]
	v_cndmask_b32_e64 v1, v1, 0, s[2:3]
	global_store_dwordx4 v[9:10], v[1:4], off
	s_or_b64 exec, exec, s[6:7]
	s_and_saveexec_b64 s[4:5], s[0:1]
	s_cbranch_execz .LBB334_19
.LBB334_23:                             ;   in Loop: Header=BB334_9 Depth=1
	s_waitcnt vmcnt(0)
	v_max_f64 v[1:2], |v[15:16]|, |v[15:16]|
	v_max_f64 v[9:10], |v[13:14]|, |v[13:14]|
	v_cmp_class_f64_e64 s[6:7], v[13:14], s20
	v_cmp_class_f64_e64 s[14:15], v[15:16], s20
	v_max_f64 v[1:2], v[9:10], v[1:2]
	v_frexp_exp_i32_f64_e32 v4, v[1:2]
	v_sub_u32_e32 v9, 0, v4
	v_ldexp_f64 v[1:2], |v[15:16]|, v9
	v_ldexp_f64 v[9:10], |v[13:14]|, v9
	v_mul_f64 v[1:2], v[1:2], v[1:2]
	v_fma_f64 v[1:2], v[9:10], v[9:10], v[1:2]
	v_rsq_f64_e32 v[9:10], v[1:2]
	v_cmp_eq_f64_e64 s[0:1], 0, v[1:2]
	v_mul_f64 v[11:12], v[1:2], v[9:10]
	v_mul_f64 v[9:10], v[9:10], 0.5
	v_fma_f64 v[17:18], -v[9:10], v[11:12], 0.5
	v_fma_f64 v[11:12], v[11:12], v[17:18], v[11:12]
	v_fma_f64 v[9:10], v[9:10], v[17:18], v[9:10]
	v_fma_f64 v[17:18], -v[11:12], v[11:12], v[1:2]
	v_fma_f64 v[9:10], v[17:18], v[9:10], v[11:12]
	v_cndmask_b32_e64 v2, v10, v2, s[0:1]
	v_cndmask_b32_e64 v1, v9, v1, s[0:1]
	v_ldexp_f64 v[1:2], v[1:2], v4
	v_cmp_o_f64_e64 s[0:1], v[13:14], v[15:16]
	v_lshlrev_b64 v[9:10], 4, v[23:24]
	v_mov_b32_e32 v4, s25
	v_add_co_u32_e64 v9, s[2:3], s24, v9
	v_addc_co_u32_e64 v10, s[2:3], v4, v10, s[2:3]
	v_mov_b32_e32 v4, v3
	v_cndmask_b32_e64 v1, 0, v1, s[0:1]
	v_cndmask_b32_e64 v2, v27, v2, s[0:1]
	s_or_b64 s[0:1], s[14:15], s[6:7]
	v_cndmask_b32_e64 v2, v2, v28, s[0:1]
	v_cndmask_b32_e64 v1, v1, 0, s[0:1]
	global_store_dwordx4 v[9:10], v[1:4], off
	s_or_b64 exec, exec, s[4:5]
	s_and_saveexec_b64 s[2:3], vcc
	s_cbranch_execz .LBB334_8
.LBB334_24:                             ;   in Loop: Header=BB334_9 Depth=1
	s_waitcnt vmcnt(0)
	v_max_f64 v[1:2], |v[7:8]|, |v[7:8]|
	v_max_f64 v[9:10], |v[5:6]|, |v[5:6]|
	v_cmp_class_f64_e64 s[4:5], v[5:6], s20
	v_cmp_class_f64_e64 s[6:7], v[7:8], s20
	v_max_f64 v[1:2], v[9:10], v[1:2]
	v_frexp_exp_i32_f64_e32 v4, v[1:2]
	v_sub_u32_e32 v9, 0, v4
	v_ldexp_f64 v[1:2], |v[7:8]|, v9
	v_ldexp_f64 v[9:10], |v[5:6]|, v9
	v_mul_f64 v[1:2], v[1:2], v[1:2]
	v_fma_f64 v[1:2], v[9:10], v[9:10], v[1:2]
	v_rsq_f64_e32 v[9:10], v[1:2]
	v_cmp_eq_f64_e32 vcc, 0, v[1:2]
	v_mul_f64 v[11:12], v[1:2], v[9:10]
	v_mul_f64 v[9:10], v[9:10], 0.5
	v_fma_f64 v[13:14], -v[9:10], v[11:12], 0.5
	v_fma_f64 v[11:12], v[11:12], v[13:14], v[11:12]
	v_fma_f64 v[9:10], v[9:10], v[13:14], v[9:10]
	v_fma_f64 v[13:14], -v[11:12], v[11:12], v[1:2]
	v_fma_f64 v[9:10], v[13:14], v[9:10], v[11:12]
	v_cndmask_b32_e32 v2, v10, v2, vcc
	v_cndmask_b32_e32 v1, v9, v1, vcc
	v_ldexp_f64 v[1:2], v[1:2], v4
	v_cmp_o_f64_e32 vcc, v[5:6], v[7:8]
	v_lshlrev_b64 v[4:5], 4, v[21:22]
	v_mov_b32_e32 v7, s25
	v_add_co_u32_e64 v6, s[0:1], s24, v4
	v_addc_co_u32_e64 v7, s[0:1], v7, v5, s[0:1]
	v_mov_b32_e32 v4, v3
	v_cndmask_b32_e32 v1, 0, v1, vcc
	v_cndmask_b32_e32 v2, v27, v2, vcc
	s_or_b64 vcc, s[6:7], s[4:5]
	v_cndmask_b32_e32 v2, v2, v28, vcc
	v_cndmask_b32_e64 v1, v1, 0, vcc
	global_store_dwordx4 v[6:7], v[1:4], off
	s_branch .LBB334_8
.LBB334_25:
	s_endpgm
	.section	.rodata,"a",@progbits
	.p2align	6, 0x0
	.amdhsa_kernel _ZN2at6native12_GLOBAL__N_125multi_tensor_apply_kernelINS1_18TensorListMetadataILi2EEENS1_14UnaryOpFunctorIN3c107complexIdEELi2ELi1ELi1EEEJNS0_3AbsIS8_EEEEEvT_T0_DpT1_
		.amdhsa_group_segment_fixed_size 0
		.amdhsa_private_segment_fixed_size 0
		.amdhsa_kernarg_size 3408
		.amdhsa_user_sgpr_count 6
		.amdhsa_user_sgpr_private_segment_buffer 1
		.amdhsa_user_sgpr_dispatch_ptr 0
		.amdhsa_user_sgpr_queue_ptr 0
		.amdhsa_user_sgpr_kernarg_segment_ptr 1
		.amdhsa_user_sgpr_dispatch_id 0
		.amdhsa_user_sgpr_flat_scratch_init 0
		.amdhsa_user_sgpr_private_segment_size 0
		.amdhsa_uses_dynamic_stack 0
		.amdhsa_system_sgpr_private_segment_wavefront_offset 0
		.amdhsa_system_sgpr_workgroup_id_x 1
		.amdhsa_system_sgpr_workgroup_id_y 0
		.amdhsa_system_sgpr_workgroup_id_z 0
		.amdhsa_system_sgpr_workgroup_info 0
		.amdhsa_system_vgpr_workitem_id 0
		.amdhsa_next_free_vgpr 51
		.amdhsa_next_free_sgpr 46
		.amdhsa_reserve_vcc 1
		.amdhsa_reserve_flat_scratch 0
		.amdhsa_float_round_mode_32 0
		.amdhsa_float_round_mode_16_64 0
		.amdhsa_float_denorm_mode_32 3
		.amdhsa_float_denorm_mode_16_64 3
		.amdhsa_dx10_clamp 1
		.amdhsa_ieee_mode 1
		.amdhsa_fp16_overflow 0
		.amdhsa_exception_fp_ieee_invalid_op 0
		.amdhsa_exception_fp_denorm_src 0
		.amdhsa_exception_fp_ieee_div_zero 0
		.amdhsa_exception_fp_ieee_overflow 0
		.amdhsa_exception_fp_ieee_underflow 0
		.amdhsa_exception_fp_ieee_inexact 0
		.amdhsa_exception_int_div_zero 0
	.end_amdhsa_kernel
	.section	.text._ZN2at6native12_GLOBAL__N_125multi_tensor_apply_kernelINS1_18TensorListMetadataILi2EEENS1_14UnaryOpFunctorIN3c107complexIdEELi2ELi1ELi1EEEJNS0_3AbsIS8_EEEEEvT_T0_DpT1_,"axG",@progbits,_ZN2at6native12_GLOBAL__N_125multi_tensor_apply_kernelINS1_18TensorListMetadataILi2EEENS1_14UnaryOpFunctorIN3c107complexIdEELi2ELi1ELi1EEEJNS0_3AbsIS8_EEEEEvT_T0_DpT1_,comdat
.Lfunc_end334:
	.size	_ZN2at6native12_GLOBAL__N_125multi_tensor_apply_kernelINS1_18TensorListMetadataILi2EEENS1_14UnaryOpFunctorIN3c107complexIdEELi2ELi1ELi1EEEJNS0_3AbsIS8_EEEEEvT_T0_DpT1_, .Lfunc_end334-_ZN2at6native12_GLOBAL__N_125multi_tensor_apply_kernelINS1_18TensorListMetadataILi2EEENS1_14UnaryOpFunctorIN3c107complexIdEELi2ELi1ELi1EEEJNS0_3AbsIS8_EEEEEvT_T0_DpT1_
                                        ; -- End function
	.set _ZN2at6native12_GLOBAL__N_125multi_tensor_apply_kernelINS1_18TensorListMetadataILi2EEENS1_14UnaryOpFunctorIN3c107complexIdEELi2ELi1ELi1EEEJNS0_3AbsIS8_EEEEEvT_T0_DpT1_.num_vgpr, 51
	.set _ZN2at6native12_GLOBAL__N_125multi_tensor_apply_kernelINS1_18TensorListMetadataILi2EEENS1_14UnaryOpFunctorIN3c107complexIdEELi2ELi1ELi1EEEJNS0_3AbsIS8_EEEEEvT_T0_DpT1_.num_agpr, 0
	.set _ZN2at6native12_GLOBAL__N_125multi_tensor_apply_kernelINS1_18TensorListMetadataILi2EEENS1_14UnaryOpFunctorIN3c107complexIdEELi2ELi1ELi1EEEJNS0_3AbsIS8_EEEEEvT_T0_DpT1_.numbered_sgpr, 46
	.set _ZN2at6native12_GLOBAL__N_125multi_tensor_apply_kernelINS1_18TensorListMetadataILi2EEENS1_14UnaryOpFunctorIN3c107complexIdEELi2ELi1ELi1EEEJNS0_3AbsIS8_EEEEEvT_T0_DpT1_.num_named_barrier, 0
	.set _ZN2at6native12_GLOBAL__N_125multi_tensor_apply_kernelINS1_18TensorListMetadataILi2EEENS1_14UnaryOpFunctorIN3c107complexIdEELi2ELi1ELi1EEEJNS0_3AbsIS8_EEEEEvT_T0_DpT1_.private_seg_size, 0
	.set _ZN2at6native12_GLOBAL__N_125multi_tensor_apply_kernelINS1_18TensorListMetadataILi2EEENS1_14UnaryOpFunctorIN3c107complexIdEELi2ELi1ELi1EEEJNS0_3AbsIS8_EEEEEvT_T0_DpT1_.uses_vcc, 1
	.set _ZN2at6native12_GLOBAL__N_125multi_tensor_apply_kernelINS1_18TensorListMetadataILi2EEENS1_14UnaryOpFunctorIN3c107complexIdEELi2ELi1ELi1EEEJNS0_3AbsIS8_EEEEEvT_T0_DpT1_.uses_flat_scratch, 0
	.set _ZN2at6native12_GLOBAL__N_125multi_tensor_apply_kernelINS1_18TensorListMetadataILi2EEENS1_14UnaryOpFunctorIN3c107complexIdEELi2ELi1ELi1EEEJNS0_3AbsIS8_EEEEEvT_T0_DpT1_.has_dyn_sized_stack, 0
	.set _ZN2at6native12_GLOBAL__N_125multi_tensor_apply_kernelINS1_18TensorListMetadataILi2EEENS1_14UnaryOpFunctorIN3c107complexIdEELi2ELi1ELi1EEEJNS0_3AbsIS8_EEEEEvT_T0_DpT1_.has_recursion, 0
	.set _ZN2at6native12_GLOBAL__N_125multi_tensor_apply_kernelINS1_18TensorListMetadataILi2EEENS1_14UnaryOpFunctorIN3c107complexIdEELi2ELi1ELi1EEEJNS0_3AbsIS8_EEEEEvT_T0_DpT1_.has_indirect_call, 0
	.section	.AMDGPU.csdata,"",@progbits
; Kernel info:
; codeLenInByte = 2888
; TotalNumSgprs: 50
; NumVgprs: 51
; ScratchSize: 0
; MemoryBound: 1
; FloatMode: 240
; IeeeMode: 1
; LDSByteSize: 0 bytes/workgroup (compile time only)
; SGPRBlocks: 6
; VGPRBlocks: 12
; NumSGPRsForWavesPerEU: 50
; NumVGPRsForWavesPerEU: 51
; Occupancy: 4
; WaveLimiterHint : 0
; COMPUTE_PGM_RSRC2:SCRATCH_EN: 0
; COMPUTE_PGM_RSRC2:USER_SGPR: 6
; COMPUTE_PGM_RSRC2:TRAP_HANDLER: 0
; COMPUTE_PGM_RSRC2:TGID_X_EN: 1
; COMPUTE_PGM_RSRC2:TGID_Y_EN: 0
; COMPUTE_PGM_RSRC2:TGID_Z_EN: 0
; COMPUTE_PGM_RSRC2:TIDIG_COMP_CNT: 0
	.section	.text._ZN2at6native12_GLOBAL__N_125multi_tensor_apply_kernelINS1_18TensorListMetadataILi2EEENS1_14UnaryOpFunctorIN3c107complexIfEELi2ELi1ELi1EEEJNS0_3AbsIS8_EEEEEvT_T0_DpT1_,"axG",@progbits,_ZN2at6native12_GLOBAL__N_125multi_tensor_apply_kernelINS1_18TensorListMetadataILi2EEENS1_14UnaryOpFunctorIN3c107complexIfEELi2ELi1ELi1EEEJNS0_3AbsIS8_EEEEEvT_T0_DpT1_,comdat
	.globl	_ZN2at6native12_GLOBAL__N_125multi_tensor_apply_kernelINS1_18TensorListMetadataILi2EEENS1_14UnaryOpFunctorIN3c107complexIfEELi2ELi1ELi1EEEJNS0_3AbsIS8_EEEEEvT_T0_DpT1_ ; -- Begin function _ZN2at6native12_GLOBAL__N_125multi_tensor_apply_kernelINS1_18TensorListMetadataILi2EEENS1_14UnaryOpFunctorIN3c107complexIfEELi2ELi1ELi1EEEJNS0_3AbsIS8_EEEEEvT_T0_DpT1_
	.p2align	8
	.type	_ZN2at6native12_GLOBAL__N_125multi_tensor_apply_kernelINS1_18TensorListMetadataILi2EEENS1_14UnaryOpFunctorIN3c107complexIfEELi2ELi1ELi1EEEJNS0_3AbsIS8_EEEEEvT_T0_DpT1_,@function
_ZN2at6native12_GLOBAL__N_125multi_tensor_apply_kernelINS1_18TensorListMetadataILi2EEENS1_14UnaryOpFunctorIN3c107complexIfEELi2ELi1ELi1EEEJNS0_3AbsIS8_EEEEEvT_T0_DpT1_: ; @_ZN2at6native12_GLOBAL__N_125multi_tensor_apply_kernelINS1_18TensorListMetadataILi2EEENS1_14UnaryOpFunctorIN3c107complexIfEELi2ELi1ELi1EEEJNS0_3AbsIS8_EEEEEvT_T0_DpT1_
; %bb.0:
	v_mov_b32_e32 v1, s6
	global_load_ubyte v1, v1, s[4:5] offset:1536
	s_add_u32 s0, s4, s6
	s_mul_hi_u32 s1, s6, 3
	s_mul_i32 s6, s6, 3
	s_addc_u32 s2, s5, 0
	s_add_u32 s0, s0, s6
	s_addc_u32 s1, s2, s1
	s_load_dword s0, s[0:1], 0x740
	s_mov_b32 s3, 0
	s_mov_b32 s7, s3
	s_waitcnt vmcnt(0)
	v_readfirstlane_b32 s1, v1
	s_lshl_b32 s2, s1, 3
	s_load_dwordx2 s[8:9], s[4:5], s2 offset:0x0
	s_load_dwordx2 s[12:13], s[4:5], s2 offset:0x400
	;; [unrolled: 1-line block ×3, first 2 shown]
	s_waitcnt lgkmcnt(0)
	s_ashr_i32 s1, s0, 31
	s_lshl_b64 s[14:15], s[0:1], 19
	s_add_u32 s8, s8, s14
	s_addc_u32 s9, s9, s15
	s_and_b32 s2, s8, 31
	s_add_u32 s10, s10, s14
	s_addc_u32 s11, s11, s15
	s_lshl_b64 s[0:1], s[0:1], 16
	s_and_b32 s6, s10, 31
	s_sub_u32 s0, s12, s0
	s_subb_u32 s1, s13, s1
	s_and_b32 s12, s12, 3
	s_mov_b32 s13, s3
	s_or_b64 s[6:7], s[6:7], s[12:13]
	s_or_b64 s[2:3], s[6:7], s[2:3]
	s_cmp_eq_u64 s[2:3], 0
	s_mov_b64 s[2:3], -1
	s_cbranch_scc0 .LBB335_5
; %bb.1:
	v_mov_b32_e32 v1, 0x10000
	v_mov_b32_e32 v2, 0
	v_cmp_lt_i64_e32 vcc, s[0:1], v[1:2]
	v_mov_b32_e32 v2, 0
	s_and_b64 s[2:3], vcc, exec
	s_cselect_b32 s3, s1, 0
	s_cselect_b32 s2, s0, 0x10000
	v_lshlrev_b32_e32 v1, 2, v0
	v_cmp_gt_i64_e32 vcc, s[2:3], v[1:2]
	s_and_saveexec_b64 s[6:7], vcc
	s_cbranch_execz .LBB335_4
; %bb.2:
	s_load_dword s14, s[4:5], 0xc5c
	v_mov_b32_e32 v1, v2
	v_mov_b32_e32 v6, v1
	v_lshlrev_b32_e32 v7, 5, v0
	s_mov_b64 s[12:13], 0
	s_waitcnt lgkmcnt(0)
	s_and_b32 s19, s14, 0xffff
	s_mov_b32 s18, 0x7f800000
	s_lshl_b32 s20, s19, 5
	v_mov_b32_e32 v8, 0x7f800000
	s_mov_b64 s[14:15], s[8:9]
	s_mov_b64 s[16:17], s[10:11]
	v_mov_b32_e32 v5, v0
.LBB335_3:                              ; =>This Inner Loop Header: Depth=1
	v_add_co_u32_e32 v3, vcc, s14, v7
	v_mov_b32_e32 v1, s15
	v_addc_co_u32_e32 v4, vcc, 0, v1, vcc
	global_load_dwordx4 v[9:12], v[3:4], off offset:16
	global_load_dwordx4 v[13:16], v[3:4], off
	s_waitcnt vmcnt(0)
	v_max_f32_e64 v1, |v14|, |v14|
	v_max_f32_e64 v3, |v13|, |v13|
	v_max_f32_e32 v1, v3, v1
	v_cvt_f64_f32_e32 v[3:4], v1
	v_cmp_neq_f32_e32 vcc, s18, v1
	v_frexp_exp_i32_f64_e32 v3, v[3:4]
	v_sub_u32_e32 v4, 0, v3
	v_ldexp_f32 v13, |v13|, v4
	v_ldexp_f32 v4, |v14|, v4
	v_mul_f32_e32 v4, v4, v4
	v_fmac_f32_e32 v4, v13, v13
	v_sqrt_f32_e32 v4, v4
	v_ldexp_f32 v3, v4, v3
	v_cndmask_b32_e32 v1, v8, v3, vcc
	v_max_f32_e64 v3, |v16|, |v16|
	v_max_f32_e64 v4, |v15|, |v15|
	v_max_f32_e32 v13, v4, v3
	v_cvt_f64_f32_e32 v[3:4], v13
	v_cmp_neq_f32_e32 vcc, s18, v13
	v_max_f32_e64 v13, |v9|, |v9|
	v_frexp_exp_i32_f64_e32 v3, v[3:4]
	v_sub_u32_e32 v4, 0, v3
	v_ldexp_f32 v14, |v15|, v4
	v_ldexp_f32 v4, |v16|, v4
	v_mul_f32_e32 v4, v4, v4
	v_fmac_f32_e32 v4, v14, v14
	v_sqrt_f32_e32 v4, v4
	v_ldexp_f32 v3, v4, v3
	v_max_f32_e64 v4, |v10|, |v10|
	v_max_f32_e32 v4, v13, v4
	v_cvt_f64_f32_e32 v[13:14], v4
	v_cndmask_b32_e32 v3, v8, v3, vcc
	v_cmp_neq_f32_e32 vcc, s18, v4
	v_max_f32_e64 v4, |v12|, |v12|
	v_frexp_exp_i32_f64_e32 v13, v[13:14]
	v_sub_u32_e32 v14, 0, v13
	v_ldexp_f32 v10, |v10|, v14
	v_ldexp_f32 v9, |v9|, v14
	v_mul_f32_e32 v10, v10, v10
	v_fmac_f32_e32 v10, v9, v9
	v_sqrt_f32_e32 v9, v10
	v_max_f32_e64 v10, |v11|, |v11|
	v_max_f32_e32 v4, v10, v4
	v_ldexp_f32 v9, v9, v13
	v_cvt_f64_f32_e32 v[13:14], v4
	v_cndmask_b32_e32 v9, v8, v9, vcc
	v_cmp_neq_f32_e32 vcc, s18, v4
	v_mov_b32_e32 v4, s17
	v_frexp_exp_i32_f64_e32 v10, v[13:14]
	v_sub_u32_e32 v13, 0, v10
	v_ldexp_f32 v12, |v12|, v13
	v_ldexp_f32 v11, |v11|, v13
	v_mul_f32_e32 v12, v12, v12
	v_fmac_f32_e32 v12, v11, v11
	v_sqrt_f32_e32 v11, v12
	v_mov_b32_e32 v12, v2
	v_ldexp_f32 v10, v11, v10
	v_cndmask_b32_e32 v11, v8, v10, vcc
	v_add_co_u32_e32 v13, vcc, s16, v7
	v_addc_co_u32_e32 v14, vcc, 0, v4, vcc
	v_add_co_u32_e32 v5, vcc, s19, v5
	v_mov_b32_e32 v4, v2
	v_addc_co_u32_e32 v6, vcc, 0, v6, vcc
	global_store_dwordx4 v[13:14], v[1:4], off
	s_add_u32 s16, s16, s20
	v_lshlrev_b64 v[3:4], 2, v[5:6]
	s_addc_u32 s17, s17, 0
	s_add_u32 s14, s14, s20
	v_cmp_le_i64_e32 vcc, s[2:3], v[3:4]
	s_addc_u32 s15, s15, 0
	v_mov_b32_e32 v10, v2
	s_or_b64 s[12:13], vcc, s[12:13]
	global_store_dwordx4 v[13:14], v[9:12], off offset:16
	s_andn2_b64 exec, exec, s[12:13]
	s_cbranch_execnz .LBB335_3
.LBB335_4:
	s_or_b64 exec, exec, s[6:7]
	s_mov_b64 s[2:3], 0
.LBB335_5:
	s_andn2_b64 vcc, exec, s[2:3]
	s_cbranch_vccnz .LBB335_25
; %bb.6:
	v_cmp_lt_i64_e64 s[2:3], s[0:1], 1
	s_and_b64 vcc, exec, s[2:3]
	s_cbranch_vccnz .LBB335_25
; %bb.7:
	v_mov_b32_e32 v3, 0x10000
	s_load_dword s4, s[4:5], 0xc5c
	v_mov_b32_e32 v4, 0
	v_cmp_lt_i64_e32 vcc, s[0:1], v[3:4]
	v_mov_b32_e32 v2, 0
	s_and_b64 s[2:3], vcc, exec
	v_cmp_lt_u64_e32 vcc, s[0:1], v[3:4]
	s_cselect_b32 s13, s1, 0
	s_cselect_b32 s12, s0, 0x10000
	s_waitcnt lgkmcnt(0)
	s_and_b32 s20, s4, 0xffff
	s_and_b64 s[2:3], vcc, exec
	s_cselect_b32 s15, s1, 0
	s_cselect_b32 s14, s0, 0x10000
	s_lshl_b32 s21, s20, 1
	s_mul_i32 s22, s20, 3
	s_lshl_b32 s23, s20, 2
	s_mov_b64 s[16:17], 0
	s_mov_b32 s24, 0x7f800000
	v_mov_b32_e32 v11, 0x7f800000
	s_branch .LBB335_9
.LBB335_8:                              ;   in Loop: Header=BB335_9 Depth=1
	s_or_b64 exec, exec, s[0:1]
	s_add_u32 s16, s16, s23
	v_mov_b32_e32 v3, s12
	s_addc_u32 s17, s17, 0
	v_mov_b32_e32 v4, s13
	v_cmp_ge_i64_e32 vcc, s[16:17], v[3:4]
	s_cbranch_vccnz .LBB335_25
.LBB335_9:                              ; =>This Inner Loop Header: Depth=1
	v_mov_b32_e32 v1, s17
	v_add_co_u32_e32 v9, vcc, s16, v0
	v_addc_co_u32_e32 v10, vcc, 0, v1, vcc
	v_cmp_gt_u64_e64 s[4:5], s[14:15], v[9:10]
	v_mov_b32_e32 v1, 0
	v_mov_b32_e32 v18, 0
	s_and_saveexec_b64 s[0:1], s[4:5]
	s_cbranch_execz .LBB335_11
; %bb.10:                               ;   in Loop: Header=BB335_9 Depth=1
	v_lshlrev_b64 v[3:4], 3, v[9:10]
	v_mov_b32_e32 v1, s9
	v_add_co_u32_e32 v3, vcc, s8, v3
	v_addc_co_u32_e32 v4, vcc, v1, v4, vcc
	global_load_dwordx2 v[3:4], v[3:4], off
	s_waitcnt vmcnt(0)
	v_and_b32_e32 v18, 0x7fffffff, v3
	v_and_b32_e32 v1, 0x7fffffff, v4
.LBB335_11:                             ;   in Loop: Header=BB335_9 Depth=1
	s_or_b64 exec, exec, s[0:1]
	v_add_co_u32_e32 v7, vcc, s20, v9
	v_addc_co_u32_e32 v8, vcc, 0, v10, vcc
	v_cmp_gt_u64_e64 s[2:3], s[14:15], v[7:8]
	v_mov_b32_e32 v12, 0
	v_mov_b32_e32 v16, 0
	;; [unrolled: 1-line block ×3, first 2 shown]
	s_and_saveexec_b64 s[0:1], s[2:3]
	s_cbranch_execz .LBB335_13
; %bb.12:                               ;   in Loop: Header=BB335_9 Depth=1
	v_lshlrev_b64 v[3:4], 3, v[7:8]
	v_mov_b32_e32 v5, s9
	v_add_co_u32_e32 v3, vcc, s8, v3
	v_addc_co_u32_e32 v4, vcc, v5, v4, vcc
	global_load_dwordx2 v[3:4], v[3:4], off
	s_waitcnt vmcnt(0)
	v_and_b32_e32 v17, 0x7fffffff, v3
	v_and_b32_e32 v16, 0x7fffffff, v4
.LBB335_13:                             ;   in Loop: Header=BB335_9 Depth=1
	s_or_b64 exec, exec, s[0:1]
	v_add_co_u32_e32 v5, vcc, s21, v9
	v_addc_co_u32_e32 v6, vcc, 0, v10, vcc
	v_cmp_gt_u64_e64 s[0:1], s[14:15], v[5:6]
	v_mov_b32_e32 v15, 0
	s_and_saveexec_b64 s[6:7], s[0:1]
	s_cbranch_execz .LBB335_15
; %bb.14:                               ;   in Loop: Header=BB335_9 Depth=1
	v_lshlrev_b64 v[3:4], 3, v[5:6]
	v_mov_b32_e32 v12, s9
	v_add_co_u32_e32 v3, vcc, s8, v3
	v_addc_co_u32_e32 v4, vcc, v12, v4, vcc
	global_load_dwordx2 v[3:4], v[3:4], off
	s_waitcnt vmcnt(0)
	v_and_b32_e32 v15, 0x7fffffff, v3
	v_and_b32_e32 v12, 0x7fffffff, v4
.LBB335_15:                             ;   in Loop: Header=BB335_9 Depth=1
	s_or_b64 exec, exec, s[6:7]
	v_add_co_u32_e32 v3, vcc, s22, v9
	v_addc_co_u32_e32 v4, vcc, 0, v10, vcc
	v_cmp_gt_u64_e32 vcc, s[14:15], v[3:4]
	v_mov_b32_e32 v13, 0
	v_mov_b32_e32 v14, 0
	s_and_saveexec_b64 s[18:19], vcc
	s_cbranch_execnz .LBB335_20
; %bb.16:                               ;   in Loop: Header=BB335_9 Depth=1
	s_or_b64 exec, exec, s[18:19]
	s_and_saveexec_b64 s[6:7], s[4:5]
	s_cbranch_execnz .LBB335_21
.LBB335_17:                             ;   in Loop: Header=BB335_9 Depth=1
	s_or_b64 exec, exec, s[6:7]
	s_and_saveexec_b64 s[4:5], s[2:3]
	s_cbranch_execnz .LBB335_22
.LBB335_18:                             ;   in Loop: Header=BB335_9 Depth=1
	s_or_b64 exec, exec, s[4:5]
	s_and_saveexec_b64 s[2:3], s[0:1]
	s_cbranch_execnz .LBB335_23
.LBB335_19:                             ;   in Loop: Header=BB335_9 Depth=1
	s_or_b64 exec, exec, s[2:3]
	s_and_saveexec_b64 s[0:1], vcc
	s_cbranch_execz .LBB335_8
	s_branch .LBB335_24
.LBB335_20:                             ;   in Loop: Header=BB335_9 Depth=1
	v_lshlrev_b64 v[13:14], 3, v[3:4]
	v_mov_b32_e32 v19, s9
	v_add_co_u32_e64 v13, s[6:7], s8, v13
	v_addc_co_u32_e64 v14, s[6:7], v19, v14, s[6:7]
	global_load_dwordx2 v[19:20], v[13:14], off
	s_waitcnt vmcnt(0)
	v_and_b32_e32 v14, 0x7fffffff, v19
	v_and_b32_e32 v13, 0x7fffffff, v20
	s_or_b64 exec, exec, s[18:19]
	s_and_saveexec_b64 s[6:7], s[4:5]
	s_cbranch_execz .LBB335_17
.LBB335_21:                             ;   in Loop: Header=BB335_9 Depth=1
	v_max_f32_e32 v19, v1, v1
	v_max_f32_e32 v20, v18, v18
	;; [unrolled: 1-line block ×3, first 2 shown]
	v_cvt_f64_f32_e32 v[19:20], v21
	v_lshlrev_b64 v[9:10], 3, v[9:10]
	v_cmp_neq_f32_e64 s[4:5], s24, v21
	v_frexp_exp_i32_f64_e32 v19, v[19:20]
	v_sub_u32_e32 v20, 0, v19
	v_ldexp_f32 v1, v1, v20
	v_ldexp_f32 v18, v18, v20
	v_mul_f32_e32 v1, v1, v1
	v_fmac_f32_e32 v1, v18, v18
	v_sqrt_f32_e32 v1, v1
	v_mov_b32_e32 v18, s11
	v_ldexp_f32 v1, v1, v19
	v_cndmask_b32_e64 v1, v11, v1, s[4:5]
	v_add_co_u32_e64 v9, s[4:5], s10, v9
	v_addc_co_u32_e64 v10, s[4:5], v18, v10, s[4:5]
	global_store_dwordx2 v[9:10], v[1:2], off
	s_or_b64 exec, exec, s[6:7]
	s_and_saveexec_b64 s[4:5], s[2:3]
	s_cbranch_execz .LBB335_18
.LBB335_22:                             ;   in Loop: Header=BB335_9 Depth=1
	v_max_f32_e32 v1, v16, v16
	v_max_f32_e32 v9, v17, v17
	;; [unrolled: 1-line block ×3, first 2 shown]
	v_cvt_f64_f32_e32 v[9:10], v1
	v_lshlrev_b64 v[7:8], 3, v[7:8]
	v_cmp_neq_f32_e64 s[2:3], s24, v1
	v_frexp_exp_i32_f64_e32 v9, v[9:10]
	v_sub_u32_e32 v10, 0, v9
	v_ldexp_f32 v17, v17, v10
	v_ldexp_f32 v10, v16, v10
	v_mul_f32_e32 v10, v10, v10
	v_fmac_f32_e32 v10, v17, v17
	v_sqrt_f32_e32 v10, v10
	v_mov_b32_e32 v16, s11
	v_ldexp_f32 v9, v10, v9
	v_cndmask_b32_e64 v1, v11, v9, s[2:3]
	v_add_co_u32_e64 v7, s[2:3], s10, v7
	v_addc_co_u32_e64 v8, s[2:3], v16, v8, s[2:3]
	global_store_dwordx2 v[7:8], v[1:2], off
	s_or_b64 exec, exec, s[4:5]
	s_and_saveexec_b64 s[2:3], s[0:1]
	s_cbranch_execz .LBB335_19
.LBB335_23:                             ;   in Loop: Header=BB335_9 Depth=1
	v_max_f32_e32 v1, v12, v12
	v_max_f32_e32 v7, v15, v15
	;; [unrolled: 1-line block ×3, first 2 shown]
	v_cvt_f64_f32_e32 v[7:8], v1
	v_lshlrev_b64 v[5:6], 3, v[5:6]
	v_cmp_neq_f32_e64 s[0:1], s24, v1
	v_frexp_exp_i32_f64_e32 v7, v[7:8]
	v_sub_u32_e32 v8, 0, v7
	v_ldexp_f32 v9, v15, v8
	v_ldexp_f32 v8, v12, v8
	v_mul_f32_e32 v8, v8, v8
	v_fmac_f32_e32 v8, v9, v9
	v_sqrt_f32_e32 v8, v8
	v_mov_b32_e32 v9, s11
	v_ldexp_f32 v7, v8, v7
	v_cndmask_b32_e64 v1, v11, v7, s[0:1]
	v_add_co_u32_e64 v5, s[0:1], s10, v5
	v_addc_co_u32_e64 v6, s[0:1], v9, v6, s[0:1]
	global_store_dwordx2 v[5:6], v[1:2], off
	s_or_b64 exec, exec, s[2:3]
	s_and_saveexec_b64 s[0:1], vcc
	s_cbranch_execz .LBB335_8
.LBB335_24:                             ;   in Loop: Header=BB335_9 Depth=1
	v_max_f32_e32 v1, v13, v13
	v_max_f32_e32 v5, v14, v14
	;; [unrolled: 1-line block ×3, first 2 shown]
	v_cvt_f64_f32_e32 v[5:6], v1
	v_lshlrev_b64 v[3:4], 3, v[3:4]
	v_cmp_neq_f32_e32 vcc, s24, v1
	v_frexp_exp_i32_f64_e32 v5, v[5:6]
	v_sub_u32_e32 v6, 0, v5
	v_ldexp_f32 v7, v14, v6
	v_ldexp_f32 v6, v13, v6
	v_mul_f32_e32 v6, v6, v6
	v_fmac_f32_e32 v6, v7, v7
	v_sqrt_f32_e32 v6, v6
	v_mov_b32_e32 v7, s11
	v_ldexp_f32 v5, v6, v5
	v_cndmask_b32_e32 v1, v11, v5, vcc
	v_add_co_u32_e32 v3, vcc, s10, v3
	v_addc_co_u32_e32 v4, vcc, v7, v4, vcc
	global_store_dwordx2 v[3:4], v[1:2], off
	s_branch .LBB335_8
.LBB335_25:
	s_endpgm
	.section	.rodata,"a",@progbits
	.p2align	6, 0x0
	.amdhsa_kernel _ZN2at6native12_GLOBAL__N_125multi_tensor_apply_kernelINS1_18TensorListMetadataILi2EEENS1_14UnaryOpFunctorIN3c107complexIfEELi2ELi1ELi1EEEJNS0_3AbsIS8_EEEEEvT_T0_DpT1_
		.amdhsa_group_segment_fixed_size 0
		.amdhsa_private_segment_fixed_size 0
		.amdhsa_kernarg_size 3408
		.amdhsa_user_sgpr_count 6
		.amdhsa_user_sgpr_private_segment_buffer 1
		.amdhsa_user_sgpr_dispatch_ptr 0
		.amdhsa_user_sgpr_queue_ptr 0
		.amdhsa_user_sgpr_kernarg_segment_ptr 1
		.amdhsa_user_sgpr_dispatch_id 0
		.amdhsa_user_sgpr_flat_scratch_init 0
		.amdhsa_user_sgpr_private_segment_size 0
		.amdhsa_uses_dynamic_stack 0
		.amdhsa_system_sgpr_private_segment_wavefront_offset 0
		.amdhsa_system_sgpr_workgroup_id_x 1
		.amdhsa_system_sgpr_workgroup_id_y 0
		.amdhsa_system_sgpr_workgroup_id_z 0
		.amdhsa_system_sgpr_workgroup_info 0
		.amdhsa_system_vgpr_workitem_id 0
		.amdhsa_next_free_vgpr 22
		.amdhsa_next_free_sgpr 25
		.amdhsa_reserve_vcc 1
		.amdhsa_reserve_flat_scratch 0
		.amdhsa_float_round_mode_32 0
		.amdhsa_float_round_mode_16_64 0
		.amdhsa_float_denorm_mode_32 3
		.amdhsa_float_denorm_mode_16_64 3
		.amdhsa_dx10_clamp 1
		.amdhsa_ieee_mode 1
		.amdhsa_fp16_overflow 0
		.amdhsa_exception_fp_ieee_invalid_op 0
		.amdhsa_exception_fp_denorm_src 0
		.amdhsa_exception_fp_ieee_div_zero 0
		.amdhsa_exception_fp_ieee_overflow 0
		.amdhsa_exception_fp_ieee_underflow 0
		.amdhsa_exception_fp_ieee_inexact 0
		.amdhsa_exception_int_div_zero 0
	.end_amdhsa_kernel
	.section	.text._ZN2at6native12_GLOBAL__N_125multi_tensor_apply_kernelINS1_18TensorListMetadataILi2EEENS1_14UnaryOpFunctorIN3c107complexIfEELi2ELi1ELi1EEEJNS0_3AbsIS8_EEEEEvT_T0_DpT1_,"axG",@progbits,_ZN2at6native12_GLOBAL__N_125multi_tensor_apply_kernelINS1_18TensorListMetadataILi2EEENS1_14UnaryOpFunctorIN3c107complexIfEELi2ELi1ELi1EEEJNS0_3AbsIS8_EEEEEvT_T0_DpT1_,comdat
.Lfunc_end335:
	.size	_ZN2at6native12_GLOBAL__N_125multi_tensor_apply_kernelINS1_18TensorListMetadataILi2EEENS1_14UnaryOpFunctorIN3c107complexIfEELi2ELi1ELi1EEEJNS0_3AbsIS8_EEEEEvT_T0_DpT1_, .Lfunc_end335-_ZN2at6native12_GLOBAL__N_125multi_tensor_apply_kernelINS1_18TensorListMetadataILi2EEENS1_14UnaryOpFunctorIN3c107complexIfEELi2ELi1ELi1EEEJNS0_3AbsIS8_EEEEEvT_T0_DpT1_
                                        ; -- End function
	.set _ZN2at6native12_GLOBAL__N_125multi_tensor_apply_kernelINS1_18TensorListMetadataILi2EEENS1_14UnaryOpFunctorIN3c107complexIfEELi2ELi1ELi1EEEJNS0_3AbsIS8_EEEEEvT_T0_DpT1_.num_vgpr, 22
	.set _ZN2at6native12_GLOBAL__N_125multi_tensor_apply_kernelINS1_18TensorListMetadataILi2EEENS1_14UnaryOpFunctorIN3c107complexIfEELi2ELi1ELi1EEEJNS0_3AbsIS8_EEEEEvT_T0_DpT1_.num_agpr, 0
	.set _ZN2at6native12_GLOBAL__N_125multi_tensor_apply_kernelINS1_18TensorListMetadataILi2EEENS1_14UnaryOpFunctorIN3c107complexIfEELi2ELi1ELi1EEEJNS0_3AbsIS8_EEEEEvT_T0_DpT1_.numbered_sgpr, 25
	.set _ZN2at6native12_GLOBAL__N_125multi_tensor_apply_kernelINS1_18TensorListMetadataILi2EEENS1_14UnaryOpFunctorIN3c107complexIfEELi2ELi1ELi1EEEJNS0_3AbsIS8_EEEEEvT_T0_DpT1_.num_named_barrier, 0
	.set _ZN2at6native12_GLOBAL__N_125multi_tensor_apply_kernelINS1_18TensorListMetadataILi2EEENS1_14UnaryOpFunctorIN3c107complexIfEELi2ELi1ELi1EEEJNS0_3AbsIS8_EEEEEvT_T0_DpT1_.private_seg_size, 0
	.set _ZN2at6native12_GLOBAL__N_125multi_tensor_apply_kernelINS1_18TensorListMetadataILi2EEENS1_14UnaryOpFunctorIN3c107complexIfEELi2ELi1ELi1EEEJNS0_3AbsIS8_EEEEEvT_T0_DpT1_.uses_vcc, 1
	.set _ZN2at6native12_GLOBAL__N_125multi_tensor_apply_kernelINS1_18TensorListMetadataILi2EEENS1_14UnaryOpFunctorIN3c107complexIfEELi2ELi1ELi1EEEJNS0_3AbsIS8_EEEEEvT_T0_DpT1_.uses_flat_scratch, 0
	.set _ZN2at6native12_GLOBAL__N_125multi_tensor_apply_kernelINS1_18TensorListMetadataILi2EEENS1_14UnaryOpFunctorIN3c107complexIfEELi2ELi1ELi1EEEJNS0_3AbsIS8_EEEEEvT_T0_DpT1_.has_dyn_sized_stack, 0
	.set _ZN2at6native12_GLOBAL__N_125multi_tensor_apply_kernelINS1_18TensorListMetadataILi2EEENS1_14UnaryOpFunctorIN3c107complexIfEELi2ELi1ELi1EEEJNS0_3AbsIS8_EEEEEvT_T0_DpT1_.has_recursion, 0
	.set _ZN2at6native12_GLOBAL__N_125multi_tensor_apply_kernelINS1_18TensorListMetadataILi2EEENS1_14UnaryOpFunctorIN3c107complexIfEELi2ELi1ELi1EEEJNS0_3AbsIS8_EEEEEvT_T0_DpT1_.has_indirect_call, 0
	.section	.AMDGPU.csdata,"",@progbits
; Kernel info:
; codeLenInByte = 1760
; TotalNumSgprs: 29
; NumVgprs: 22
; ScratchSize: 0
; MemoryBound: 0
; FloatMode: 240
; IeeeMode: 1
; LDSByteSize: 0 bytes/workgroup (compile time only)
; SGPRBlocks: 3
; VGPRBlocks: 5
; NumSGPRsForWavesPerEU: 29
; NumVGPRsForWavesPerEU: 22
; Occupancy: 10
; WaveLimiterHint : 0
; COMPUTE_PGM_RSRC2:SCRATCH_EN: 0
; COMPUTE_PGM_RSRC2:USER_SGPR: 6
; COMPUTE_PGM_RSRC2:TRAP_HANDLER: 0
; COMPUTE_PGM_RSRC2:TGID_X_EN: 1
; COMPUTE_PGM_RSRC2:TGID_Y_EN: 0
; COMPUTE_PGM_RSRC2:TGID_Z_EN: 0
; COMPUTE_PGM_RSRC2:TIDIG_COMP_CNT: 0
	.section	.text._ZN2at6native12_GLOBAL__N_125multi_tensor_apply_kernelINS1_18TensorListMetadataILi2EEENS1_14UnaryOpFunctorIN3c104HalfELi2ELi1ELi1EEEJNS0_3AbsIfEEEEEvT_T0_DpT1_,"axG",@progbits,_ZN2at6native12_GLOBAL__N_125multi_tensor_apply_kernelINS1_18TensorListMetadataILi2EEENS1_14UnaryOpFunctorIN3c104HalfELi2ELi1ELi1EEEJNS0_3AbsIfEEEEEvT_T0_DpT1_,comdat
	.globl	_ZN2at6native12_GLOBAL__N_125multi_tensor_apply_kernelINS1_18TensorListMetadataILi2EEENS1_14UnaryOpFunctorIN3c104HalfELi2ELi1ELi1EEEJNS0_3AbsIfEEEEEvT_T0_DpT1_ ; -- Begin function _ZN2at6native12_GLOBAL__N_125multi_tensor_apply_kernelINS1_18TensorListMetadataILi2EEENS1_14UnaryOpFunctorIN3c104HalfELi2ELi1ELi1EEEJNS0_3AbsIfEEEEEvT_T0_DpT1_
	.p2align	8
	.type	_ZN2at6native12_GLOBAL__N_125multi_tensor_apply_kernelINS1_18TensorListMetadataILi2EEENS1_14UnaryOpFunctorIN3c104HalfELi2ELi1ELi1EEEJNS0_3AbsIfEEEEEvT_T0_DpT1_,@function
_ZN2at6native12_GLOBAL__N_125multi_tensor_apply_kernelINS1_18TensorListMetadataILi2EEENS1_14UnaryOpFunctorIN3c104HalfELi2ELi1ELi1EEEJNS0_3AbsIfEEEEEvT_T0_DpT1_: ; @_ZN2at6native12_GLOBAL__N_125multi_tensor_apply_kernelINS1_18TensorListMetadataILi2EEENS1_14UnaryOpFunctorIN3c104HalfELi2ELi1ELi1EEEJNS0_3AbsIfEEEEEvT_T0_DpT1_
; %bb.0:
	v_mov_b32_e32 v1, s6
	global_load_ubyte v1, v1, s[4:5] offset:1536
	s_add_u32 s0, s4, s6
	s_mul_hi_u32 s1, s6, 3
	s_mul_i32 s6, s6, 3
	s_addc_u32 s2, s5, 0
	s_add_u32 s0, s0, s6
	s_addc_u32 s1, s2, s1
	s_load_dword s6, s[0:1], 0x740
	s_mov_b32 s11, 0
	s_mov_b32 s13, s11
	s_waitcnt vmcnt(0)
	v_readfirstlane_b32 s0, v1
	s_lshl_b32 s7, s0, 3
	s_load_dwordx2 s[14:15], s[4:5], s7 offset:0x400
	s_load_dwordx2 s[2:3], s[4:5], s7 offset:0x0
	;; [unrolled: 1-line block ×3, first 2 shown]
	s_waitcnt lgkmcnt(0)
	s_ashr_i32 s7, s6, 31
	s_lshl_b64 s[8:9], s[6:7], 17
	s_lshl_b64 s[6:7], s[6:7], 16
	s_add_u32 s10, s2, s8
	s_and_b32 s12, s0, 7
	s_and_b32 s10, s10, 7
	s_sub_u32 s6, s14, s6
	s_subb_u32 s7, s15, s7
	s_and_b32 s14, s14, 3
	s_mov_b32 s15, s11
	s_or_b64 s[12:13], s[12:13], s[14:15]
	s_or_b64 s[10:11], s[12:13], s[10:11]
	s_cmp_eq_u64 s[10:11], 0
	s_mov_b64 s[10:11], -1
	s_cbranch_scc0 .LBB336_5
; %bb.1:
	v_mov_b32_e32 v1, 0x10000
	v_mov_b32_e32 v2, 0
	v_cmp_lt_i64_e32 vcc, s[6:7], v[1:2]
	v_mov_b32_e32 v2, 0
	s_and_b64 s[10:11], vcc, exec
	s_cselect_b32 s11, s7, 0
	s_cselect_b32 s10, s6, 0x10000
	v_lshlrev_b32_e32 v1, 2, v0
	v_cmp_gt_i64_e32 vcc, s[10:11], v[1:2]
	s_and_saveexec_b64 s[12:13], vcc
	s_cbranch_execz .LBB336_4
; %bb.2:
	s_load_dword s14, s[4:5], 0xc5c
	v_mov_b32_e32 v1, v2
	v_lshlrev_b32_e32 v2, 3, v0
	v_mov_b32_e32 v4, s9
	v_add_co_u32_e32 v3, vcc, s8, v2
	s_waitcnt lgkmcnt(0)
	s_and_b32 s16, s14, 0xffff
	s_lshl_b32 s17, s16, 3
	s_add_u32 s18, s2, 4
	s_addc_u32 s19, s3, 0
	v_mov_b32_e32 v2, v1
	v_addc_co_u32_e32 v4, vcc, 0, v4, vcc
	s_mov_b64 s[14:15], 0
	v_mov_b32_e32 v5, s19
	v_mov_b32_e32 v6, s1
	;; [unrolled: 1-line block ×3, first 2 shown]
.LBB336_3:                              ; =>This Inner Loop Header: Depth=1
	v_add_co_u32_e32 v7, vcc, s18, v3
	v_addc_co_u32_e32 v8, vcc, v5, v4, vcc
	global_load_dwordx2 v[7:8], v[7:8], off offset:-4
	v_add_co_u32_e32 v9, vcc, s0, v3
	v_addc_co_u32_e32 v10, vcc, v6, v4, vcc
	v_add_co_u32_e32 v1, vcc, s16, v1
	v_addc_co_u32_e32 v2, vcc, 0, v2, vcc
	v_add_co_u32_e32 v3, vcc, s17, v3
	v_lshlrev_b64 v[11:12], 2, v[1:2]
	v_addc_co_u32_e32 v4, vcc, 0, v4, vcc
	v_cmp_le_i64_e32 vcc, s[10:11], v[11:12]
	s_or_b64 s[14:15], vcc, s[14:15]
	s_waitcnt vmcnt(0)
	v_and_b32_e32 v7, 0x7fff7fff, v7
	v_and_b32_e32 v8, 0x7fff7fff, v8
	global_store_dwordx2 v[9:10], v[7:8], off
	s_andn2_b64 exec, exec, s[14:15]
	s_cbranch_execnz .LBB336_3
.LBB336_4:
	s_or_b64 exec, exec, s[12:13]
	s_mov_b64 s[10:11], 0
.LBB336_5:
	s_andn2_b64 vcc, exec, s[10:11]
	s_cbranch_vccnz .LBB336_25
; %bb.6:
	v_cmp_lt_i64_e64 s[10:11], s[6:7], 1
	s_and_b64 vcc, exec, s[10:11]
	s_cbranch_vccnz .LBB336_25
; %bb.7:
	v_mov_b32_e32 v1, 0x10000
	s_load_dword s12, s[4:5], 0xc5c
	v_mov_b32_e32 v2, 0
	v_cmp_lt_i64_e32 vcc, s[6:7], v[1:2]
	v_mov_b32_e32 v10, 0
	s_and_b64 s[4:5], vcc, exec
	v_cmp_lt_u64_e32 vcc, s[6:7], v[1:2]
	s_cselect_b32 s11, s7, 0
	s_cselect_b32 s10, s6, 0x10000
	s_waitcnt lgkmcnt(0)
	s_and_b32 s14, s12, 0xffff
	v_lshlrev_b32_e32 v9, 1, v0
	s_and_b64 s[4:5], vcc, exec
	v_mov_b32_e32 v2, s3
	v_add_co_u32_e32 v1, vcc, s2, v9
	v_mad_u64_u32 v[7:8], s[4:5], s14, 6, v[9:10]
	v_addc_co_u32_e32 v2, vcc, 0, v2, vcc
	v_mov_b32_e32 v4, s1
	v_add_co_u32_e32 v3, vcc, s0, v9
	v_addc_co_u32_e32 v4, vcc, 0, v4, vcc
	v_mov_b32_e32 v6, s3
	v_add_co_u32_e32 v5, vcc, s2, v7
	;; [unrolled: 3-line block ×3, first 2 shown]
	s_cselect_b32 s13, s7, 0
	s_cselect_b32 s12, s6, 0x10000
	s_lshl_b32 s18, s14, 2
	v_addc_co_u32_e32 v8, vcc, v10, v8, vcc
	v_add_co_u32_e32 v11, vcc, s18, v9
	v_addc_co_u32_e64 v12, s[4:5], 0, 0, vcc
	v_mov_b32_e32 v10, s3
	v_add_co_u32_e32 v9, vcc, s2, v11
	v_addc_co_u32_e32 v10, vcc, v10, v12, vcc
	v_mov_b32_e32 v13, s1
	v_add_co_u32_e32 v11, vcc, s0, v11
	v_addc_co_u32_e32 v12, vcc, v13, v12, vcc
	v_add_co_u32_e32 v13, vcc, s14, v0
	v_lshlrev_b32_e32 v17, 1, v13
	v_addc_co_u32_e64 v14, s[4:5], 0, 0, vcc
	v_mov_b32_e32 v16, s3
	v_add_co_u32_e32 v15, vcc, s2, v17
	v_addc_co_u32_e32 v16, vcc, 0, v16, vcc
	v_mov_b32_e32 v18, s1
	v_add_co_u32_e32 v17, vcc, s0, v17
	s_mul_i32 s7, s14, 3
	v_addc_co_u32_e32 v18, vcc, 0, v18, vcc
	s_lshl_b32 s6, s14, 1
	v_add_co_u32_e32 v19, vcc, s7, v0
	v_addc_co_u32_e64 v20, s[0:1], 0, 0, vcc
	v_add_co_u32_e32 v21, vcc, s6, v0
	s_lshl_b32 s19, s14, 3
	s_mov_b64 s[14:15], 0
	v_addc_co_u32_e64 v22, s[0:1], 0, 0, vcc
	s_branch .LBB336_9
.LBB336_8:                              ;   in Loop: Header=BB336_9 Depth=1
	s_or_b64 exec, exec, s[0:1]
	v_add_co_u32_e32 v1, vcc, s19, v1
	v_addc_co_u32_e32 v2, vcc, 0, v2, vcc
	v_add_co_u32_e32 v3, vcc, s19, v3
	v_addc_co_u32_e32 v4, vcc, 0, v4, vcc
	;; [unrolled: 2-line block ×6, first 2 shown]
	s_add_u32 s14, s14, s18
	v_add_co_u32_e32 v15, vcc, s19, v15
	v_mov_b32_e32 v24, s11
	s_addc_u32 s15, s15, 0
	v_addc_co_u32_e32 v16, vcc, 0, v16, vcc
	v_mov_b32_e32 v23, s10
	v_cmp_ge_i64_e32 vcc, s[14:15], v[23:24]
	v_add_co_u32_e64 v17, s[0:1], s19, v17
	v_addc_co_u32_e64 v18, s[0:1], 0, v18, s[0:1]
	s_cbranch_vccnz .LBB336_25
.LBB336_9:                              ; =>This Inner Loop Header: Depth=1
	v_mov_b32_e32 v24, s15
	v_add_co_u32_e32 v23, vcc, s14, v0
	v_addc_co_u32_e32 v24, vcc, 0, v24, vcc
	v_cmp_gt_u64_e32 vcc, s[12:13], v[23:24]
	v_mov_b32_e32 v24, 0
	s_and_saveexec_b64 s[2:3], vcc
	s_cbranch_execz .LBB336_11
; %bb.10:                               ;   in Loop: Header=BB336_9 Depth=1
	v_mov_b32_e32 v24, s9
	v_add_co_u32_e64 v23, s[0:1], s8, v1
	v_addc_co_u32_e64 v24, s[0:1], v2, v24, s[0:1]
	global_load_ushort v23, v[23:24], off
	s_waitcnt vmcnt(0)
	v_and_b32_e32 v24, 0x7fff, v23
.LBB336_11:                             ;   in Loop: Header=BB336_9 Depth=1
	s_or_b64 exec, exec, s[2:3]
	v_mov_b32_e32 v23, s15
	v_add_co_u32_e64 v25, s[0:1], s14, v13
	v_addc_co_u32_e64 v26, s[0:1], v14, v23, s[0:1]
	v_cmp_gt_u64_e64 s[0:1], s[12:13], v[25:26]
	v_mov_b32_e32 v23, 0
	v_mov_b32_e32 v25, 0
	s_and_saveexec_b64 s[4:5], s[0:1]
	s_cbranch_execz .LBB336_13
; %bb.12:                               ;   in Loop: Header=BB336_9 Depth=1
	v_mov_b32_e32 v26, s9
	v_add_co_u32_e64 v25, s[2:3], s8, v15
	v_addc_co_u32_e64 v26, s[2:3], v16, v26, s[2:3]
	global_load_ushort v25, v[25:26], off
	s_waitcnt vmcnt(0)
	v_and_b32_e32 v25, 0x7fff, v25
.LBB336_13:                             ;   in Loop: Header=BB336_9 Depth=1
	s_or_b64 exec, exec, s[4:5]
	v_mov_b32_e32 v27, s15
	v_add_co_u32_e64 v26, s[2:3], s14, v21
	v_addc_co_u32_e64 v27, s[2:3], v22, v27, s[2:3]
	v_cmp_gt_u64_e64 s[2:3], s[12:13], v[26:27]
	s_and_saveexec_b64 s[6:7], s[2:3]
	s_cbranch_execz .LBB336_15
; %bb.14:                               ;   in Loop: Header=BB336_9 Depth=1
	v_mov_b32_e32 v23, s9
	v_add_co_u32_e64 v26, s[4:5], s8, v9
	v_addc_co_u32_e64 v27, s[4:5], v10, v23, s[4:5]
	global_load_ushort v23, v[26:27], off
	s_waitcnt vmcnt(0)
	v_and_b32_e32 v23, 0x7fff, v23
.LBB336_15:                             ;   in Loop: Header=BB336_9 Depth=1
	s_or_b64 exec, exec, s[6:7]
	v_mov_b32_e32 v27, s15
	v_add_co_u32_e64 v26, s[4:5], s14, v19
	v_addc_co_u32_e64 v27, s[4:5], v20, v27, s[4:5]
	v_cmp_gt_u64_e64 s[4:5], s[12:13], v[26:27]
	v_mov_b32_e32 v26, 0
	s_and_saveexec_b64 s[16:17], s[4:5]
	s_cbranch_execnz .LBB336_20
; %bb.16:                               ;   in Loop: Header=BB336_9 Depth=1
	s_or_b64 exec, exec, s[16:17]
	s_and_saveexec_b64 s[6:7], vcc
	s_cbranch_execnz .LBB336_21
.LBB336_17:                             ;   in Loop: Header=BB336_9 Depth=1
	s_or_b64 exec, exec, s[6:7]
	s_and_saveexec_b64 s[6:7], s[0:1]
	s_cbranch_execnz .LBB336_22
.LBB336_18:                             ;   in Loop: Header=BB336_9 Depth=1
	s_or_b64 exec, exec, s[6:7]
	s_and_saveexec_b64 s[0:1], s[2:3]
	s_cbranch_execnz .LBB336_23
.LBB336_19:                             ;   in Loop: Header=BB336_9 Depth=1
	s_or_b64 exec, exec, s[0:1]
	s_and_saveexec_b64 s[0:1], s[4:5]
	s_cbranch_execz .LBB336_8
	s_branch .LBB336_24
.LBB336_20:                             ;   in Loop: Header=BB336_9 Depth=1
	v_mov_b32_e32 v27, s9
	v_add_co_u32_e64 v26, s[6:7], s8, v5
	v_addc_co_u32_e64 v27, s[6:7], v6, v27, s[6:7]
	global_load_ushort v26, v[26:27], off
	s_waitcnt vmcnt(0)
	v_and_b32_e32 v26, 0x7fff, v26
	s_or_b64 exec, exec, s[16:17]
	s_and_saveexec_b64 s[6:7], vcc
	s_cbranch_execz .LBB336_17
.LBB336_21:                             ;   in Loop: Header=BB336_9 Depth=1
	v_mov_b32_e32 v28, s9
	v_add_co_u32_e32 v27, vcc, s8, v3
	v_addc_co_u32_e32 v28, vcc, v4, v28, vcc
	global_store_short v[27:28], v24, off
	s_or_b64 exec, exec, s[6:7]
	s_and_saveexec_b64 s[6:7], s[0:1]
	s_cbranch_execz .LBB336_18
.LBB336_22:                             ;   in Loop: Header=BB336_9 Depth=1
	v_mov_b32_e32 v24, s9
	v_add_co_u32_e32 v27, vcc, s8, v17
	v_addc_co_u32_e32 v28, vcc, v18, v24, vcc
	global_store_short v[27:28], v25, off
	s_or_b64 exec, exec, s[6:7]
	s_and_saveexec_b64 s[0:1], s[2:3]
	s_cbranch_execz .LBB336_19
.LBB336_23:                             ;   in Loop: Header=BB336_9 Depth=1
	v_mov_b32_e32 v25, s9
	v_add_co_u32_e32 v24, vcc, s8, v11
	v_addc_co_u32_e32 v25, vcc, v12, v25, vcc
	global_store_short v[24:25], v23, off
	s_or_b64 exec, exec, s[0:1]
	s_and_saveexec_b64 s[0:1], s[4:5]
	s_cbranch_execz .LBB336_8
.LBB336_24:                             ;   in Loop: Header=BB336_9 Depth=1
	v_mov_b32_e32 v24, s9
	v_add_co_u32_e32 v23, vcc, s8, v7
	v_addc_co_u32_e32 v24, vcc, v8, v24, vcc
	global_store_short v[23:24], v26, off
	s_branch .LBB336_8
.LBB336_25:
	s_endpgm
	.section	.rodata,"a",@progbits
	.p2align	6, 0x0
	.amdhsa_kernel _ZN2at6native12_GLOBAL__N_125multi_tensor_apply_kernelINS1_18TensorListMetadataILi2EEENS1_14UnaryOpFunctorIN3c104HalfELi2ELi1ELi1EEEJNS0_3AbsIfEEEEEvT_T0_DpT1_
		.amdhsa_group_segment_fixed_size 0
		.amdhsa_private_segment_fixed_size 0
		.amdhsa_kernarg_size 3408
		.amdhsa_user_sgpr_count 6
		.amdhsa_user_sgpr_private_segment_buffer 1
		.amdhsa_user_sgpr_dispatch_ptr 0
		.amdhsa_user_sgpr_queue_ptr 0
		.amdhsa_user_sgpr_kernarg_segment_ptr 1
		.amdhsa_user_sgpr_dispatch_id 0
		.amdhsa_user_sgpr_flat_scratch_init 0
		.amdhsa_user_sgpr_private_segment_size 0
		.amdhsa_uses_dynamic_stack 0
		.amdhsa_system_sgpr_private_segment_wavefront_offset 0
		.amdhsa_system_sgpr_workgroup_id_x 1
		.amdhsa_system_sgpr_workgroup_id_y 0
		.amdhsa_system_sgpr_workgroup_id_z 0
		.amdhsa_system_sgpr_workgroup_info 0
		.amdhsa_system_vgpr_workitem_id 0
		.amdhsa_next_free_vgpr 29
		.amdhsa_next_free_sgpr 20
		.amdhsa_reserve_vcc 1
		.amdhsa_reserve_flat_scratch 0
		.amdhsa_float_round_mode_32 0
		.amdhsa_float_round_mode_16_64 0
		.amdhsa_float_denorm_mode_32 3
		.amdhsa_float_denorm_mode_16_64 3
		.amdhsa_dx10_clamp 1
		.amdhsa_ieee_mode 1
		.amdhsa_fp16_overflow 0
		.amdhsa_exception_fp_ieee_invalid_op 0
		.amdhsa_exception_fp_denorm_src 0
		.amdhsa_exception_fp_ieee_div_zero 0
		.amdhsa_exception_fp_ieee_overflow 0
		.amdhsa_exception_fp_ieee_underflow 0
		.amdhsa_exception_fp_ieee_inexact 0
		.amdhsa_exception_int_div_zero 0
	.end_amdhsa_kernel
	.section	.text._ZN2at6native12_GLOBAL__N_125multi_tensor_apply_kernelINS1_18TensorListMetadataILi2EEENS1_14UnaryOpFunctorIN3c104HalfELi2ELi1ELi1EEEJNS0_3AbsIfEEEEEvT_T0_DpT1_,"axG",@progbits,_ZN2at6native12_GLOBAL__N_125multi_tensor_apply_kernelINS1_18TensorListMetadataILi2EEENS1_14UnaryOpFunctorIN3c104HalfELi2ELi1ELi1EEEJNS0_3AbsIfEEEEEvT_T0_DpT1_,comdat
.Lfunc_end336:
	.size	_ZN2at6native12_GLOBAL__N_125multi_tensor_apply_kernelINS1_18TensorListMetadataILi2EEENS1_14UnaryOpFunctorIN3c104HalfELi2ELi1ELi1EEEJNS0_3AbsIfEEEEEvT_T0_DpT1_, .Lfunc_end336-_ZN2at6native12_GLOBAL__N_125multi_tensor_apply_kernelINS1_18TensorListMetadataILi2EEENS1_14UnaryOpFunctorIN3c104HalfELi2ELi1ELi1EEEJNS0_3AbsIfEEEEEvT_T0_DpT1_
                                        ; -- End function
	.set _ZN2at6native12_GLOBAL__N_125multi_tensor_apply_kernelINS1_18TensorListMetadataILi2EEENS1_14UnaryOpFunctorIN3c104HalfELi2ELi1ELi1EEEJNS0_3AbsIfEEEEEvT_T0_DpT1_.num_vgpr, 29
	.set _ZN2at6native12_GLOBAL__N_125multi_tensor_apply_kernelINS1_18TensorListMetadataILi2EEENS1_14UnaryOpFunctorIN3c104HalfELi2ELi1ELi1EEEJNS0_3AbsIfEEEEEvT_T0_DpT1_.num_agpr, 0
	.set _ZN2at6native12_GLOBAL__N_125multi_tensor_apply_kernelINS1_18TensorListMetadataILi2EEENS1_14UnaryOpFunctorIN3c104HalfELi2ELi1ELi1EEEJNS0_3AbsIfEEEEEvT_T0_DpT1_.numbered_sgpr, 20
	.set _ZN2at6native12_GLOBAL__N_125multi_tensor_apply_kernelINS1_18TensorListMetadataILi2EEENS1_14UnaryOpFunctorIN3c104HalfELi2ELi1ELi1EEEJNS0_3AbsIfEEEEEvT_T0_DpT1_.num_named_barrier, 0
	.set _ZN2at6native12_GLOBAL__N_125multi_tensor_apply_kernelINS1_18TensorListMetadataILi2EEENS1_14UnaryOpFunctorIN3c104HalfELi2ELi1ELi1EEEJNS0_3AbsIfEEEEEvT_T0_DpT1_.private_seg_size, 0
	.set _ZN2at6native12_GLOBAL__N_125multi_tensor_apply_kernelINS1_18TensorListMetadataILi2EEENS1_14UnaryOpFunctorIN3c104HalfELi2ELi1ELi1EEEJNS0_3AbsIfEEEEEvT_T0_DpT1_.uses_vcc, 1
	.set _ZN2at6native12_GLOBAL__N_125multi_tensor_apply_kernelINS1_18TensorListMetadataILi2EEENS1_14UnaryOpFunctorIN3c104HalfELi2ELi1ELi1EEEJNS0_3AbsIfEEEEEvT_T0_DpT1_.uses_flat_scratch, 0
	.set _ZN2at6native12_GLOBAL__N_125multi_tensor_apply_kernelINS1_18TensorListMetadataILi2EEENS1_14UnaryOpFunctorIN3c104HalfELi2ELi1ELi1EEEJNS0_3AbsIfEEEEEvT_T0_DpT1_.has_dyn_sized_stack, 0
	.set _ZN2at6native12_GLOBAL__N_125multi_tensor_apply_kernelINS1_18TensorListMetadataILi2EEENS1_14UnaryOpFunctorIN3c104HalfELi2ELi1ELi1EEEJNS0_3AbsIfEEEEEvT_T0_DpT1_.has_recursion, 0
	.set _ZN2at6native12_GLOBAL__N_125multi_tensor_apply_kernelINS1_18TensorListMetadataILi2EEENS1_14UnaryOpFunctorIN3c104HalfELi2ELi1ELi1EEEJNS0_3AbsIfEEEEEvT_T0_DpT1_.has_indirect_call, 0
	.section	.AMDGPU.csdata,"",@progbits
; Kernel info:
; codeLenInByte = 1268
; TotalNumSgprs: 24
; NumVgprs: 29
; ScratchSize: 0
; MemoryBound: 0
; FloatMode: 240
; IeeeMode: 1
; LDSByteSize: 0 bytes/workgroup (compile time only)
; SGPRBlocks: 2
; VGPRBlocks: 7
; NumSGPRsForWavesPerEU: 24
; NumVGPRsForWavesPerEU: 29
; Occupancy: 8
; WaveLimiterHint : 0
; COMPUTE_PGM_RSRC2:SCRATCH_EN: 0
; COMPUTE_PGM_RSRC2:USER_SGPR: 6
; COMPUTE_PGM_RSRC2:TRAP_HANDLER: 0
; COMPUTE_PGM_RSRC2:TGID_X_EN: 1
; COMPUTE_PGM_RSRC2:TGID_Y_EN: 0
; COMPUTE_PGM_RSRC2:TGID_Z_EN: 0
; COMPUTE_PGM_RSRC2:TIDIG_COMP_CNT: 0
	.section	.text._ZN2at6native12_GLOBAL__N_125multi_tensor_apply_kernelINS1_18TensorListMetadataILi2EEENS1_14UnaryOpFunctorIN3c108BFloat16ELi2ELi1ELi1EEEJNS0_3AbsIfEEEEEvT_T0_DpT1_,"axG",@progbits,_ZN2at6native12_GLOBAL__N_125multi_tensor_apply_kernelINS1_18TensorListMetadataILi2EEENS1_14UnaryOpFunctorIN3c108BFloat16ELi2ELi1ELi1EEEJNS0_3AbsIfEEEEEvT_T0_DpT1_,comdat
	.globl	_ZN2at6native12_GLOBAL__N_125multi_tensor_apply_kernelINS1_18TensorListMetadataILi2EEENS1_14UnaryOpFunctorIN3c108BFloat16ELi2ELi1ELi1EEEJNS0_3AbsIfEEEEEvT_T0_DpT1_ ; -- Begin function _ZN2at6native12_GLOBAL__N_125multi_tensor_apply_kernelINS1_18TensorListMetadataILi2EEENS1_14UnaryOpFunctorIN3c108BFloat16ELi2ELi1ELi1EEEJNS0_3AbsIfEEEEEvT_T0_DpT1_
	.p2align	8
	.type	_ZN2at6native12_GLOBAL__N_125multi_tensor_apply_kernelINS1_18TensorListMetadataILi2EEENS1_14UnaryOpFunctorIN3c108BFloat16ELi2ELi1ELi1EEEJNS0_3AbsIfEEEEEvT_T0_DpT1_,@function
_ZN2at6native12_GLOBAL__N_125multi_tensor_apply_kernelINS1_18TensorListMetadataILi2EEENS1_14UnaryOpFunctorIN3c108BFloat16ELi2ELi1ELi1EEEJNS0_3AbsIfEEEEEvT_T0_DpT1_: ; @_ZN2at6native12_GLOBAL__N_125multi_tensor_apply_kernelINS1_18TensorListMetadataILi2EEENS1_14UnaryOpFunctorIN3c108BFloat16ELi2ELi1ELi1EEEJNS0_3AbsIfEEEEEvT_T0_DpT1_
; %bb.0:
	v_mov_b32_e32 v1, s6
	global_load_ubyte v1, v1, s[4:5] offset:1536
	s_add_u32 s0, s4, s6
	s_mul_hi_u32 s2, s6, 3
	s_mul_i32 s6, s6, 3
	s_addc_u32 s7, s5, 0
	s_add_u32 s6, s0, s6
	s_addc_u32 s7, s7, s2
	s_load_dword s10, s[6:7], 0x740
	s_mov_b32 s1, 0
	s_mov_b32 s3, s1
	s_waitcnt lgkmcnt(0)
	s_ashr_i32 s11, s10, 31
	s_lshl_b64 s[8:9], s[10:11], 17
	s_lshl_b64 s[10:11], s[10:11], 16
	s_waitcnt vmcnt(0)
	v_readfirstlane_b32 s0, v1
	s_lshl_b32 s0, s0, 3
	s_load_dwordx2 s[16:17], s[4:5], s0 offset:0x400
	s_load_dwordx2 s[14:15], s[4:5], s0 offset:0x0
	;; [unrolled: 1-line block ×3, first 2 shown]
	s_waitcnt lgkmcnt(0)
	s_add_u32 s0, s14, s8
	s_and_b32 s2, s6, 7
	s_and_b32 s0, s0, 7
	s_sub_u32 s12, s16, s10
	s_subb_u32 s13, s17, s11
	s_and_b32 s10, s16, 3
	s_mov_b32 s11, s1
	s_or_b64 s[2:3], s[2:3], s[10:11]
	s_or_b64 s[0:1], s[2:3], s[0:1]
	s_cmp_eq_u64 s[0:1], 0
	s_mov_b64 s[0:1], -1
	s_cbranch_scc0 .LBB337_5
; %bb.1:
	v_mov_b32_e32 v1, 0x10000
	v_mov_b32_e32 v2, 0
	v_cmp_lt_i64_e32 vcc, s[12:13], v[1:2]
	v_mov_b32_e32 v2, 0
	s_and_b64 s[0:1], vcc, exec
	s_cselect_b32 s11, s13, 0
	s_cselect_b32 s10, s12, 0x10000
	v_lshlrev_b32_e32 v1, 2, v0
	v_cmp_gt_i64_e32 vcc, s[10:11], v[1:2]
	s_and_saveexec_b64 s[16:17], vcc
	s_cbranch_execz .LBB337_4
; %bb.2:
	s_load_dword s0, s[4:5], 0xc5c
	v_mov_b32_e32 v1, v2
	v_lshlrev_b32_e32 v2, 3, v0
	v_mov_b32_e32 v4, s9
	v_add_co_u32_e32 v3, vcc, s8, v2
	s_waitcnt lgkmcnt(0)
	s_and_b32 s20, s0, 0xffff
	v_mov_b32_e32 v2, v1
	v_addc_co_u32_e32 v4, vcc, 0, v4, vcc
	s_lshl_b32 s21, s20, 3
	s_mov_b64 s[18:19], 0
	v_mov_b32_e32 v5, s15
	s_movk_i32 s22, 0x7fff
	v_mov_b32_e32 v6, s7
	v_mov_b32_e32 v7, 0x7fc00000
	v_mov_b32_e32 v8, 0x7fc0
	v_mov_b32_e32 v1, v0
.LBB337_3:                              ; =>This Inner Loop Header: Depth=1
	v_add_co_u32_e32 v9, vcc, s14, v3
	v_addc_co_u32_e32 v10, vcc, v5, v4, vcc
	global_load_dwordx2 v[9:10], v[9:10], off
	v_add_co_u32_e32 v11, vcc, s6, v3
	v_addc_co_u32_e32 v12, vcc, v6, v4, vcc
	v_add_co_u32_e32 v1, vcc, s20, v1
	v_addc_co_u32_e32 v2, vcc, 0, v2, vcc
	v_add_co_u32_e32 v3, vcc, s21, v3
	v_lshlrev_b64 v[13:14], 2, v[1:2]
	v_addc_co_u32_e32 v4, vcc, 0, v4, vcc
	v_cmp_le_i64_e32 vcc, s[10:11], v[13:14]
	s_or_b64 s[18:19], vcc, s[18:19]
	s_waitcnt vmcnt(0)
	v_and_b32_e32 v13, 0xffff0000, v9
	v_lshlrev_b32_e32 v14, 16, v9
	v_alignbit_b32 v9, v10, v9, 16
	v_and_b32_e32 v10, 0xffff0000, v10
	v_and_b32_e32 v15, 0x7fffffff, v14
	;; [unrolled: 1-line block ×5, first 2 shown]
	v_bfe_u32 v18, v15, 16, 1
	v_bfe_u32 v19, v16, 16, 1
	v_and_b32_e32 v20, 0x7fffffff, v9
	v_bfe_u32 v21, v17, 16, 1
	v_add3_u32 v15, v15, v18, s22
	v_add3_u32 v16, v16, v19, s22
	v_bfe_u32 v18, v20, 16, 1
	v_add3_u32 v17, v17, v21, s22
	v_lshrrev_b32_e32 v15, 16, v15
	v_and_b32_e32 v16, 0xffff0000, v16
	v_add3_u32 v18, v20, v18, s22
	v_and_b32_e32 v17, 0xffff0000, v17
	v_cmp_o_f32_e32 vcc, v10, v10
	v_cmp_o_f32_e64 s[0:1], v13, v13
	v_cmp_o_f32_e64 s[2:3], v14, v14
	v_lshrrev_b32_e32 v10, 16, v18
	v_cndmask_b32_e32 v13, v7, v17, vcc
	v_cndmask_b32_e64 v14, v7, v16, s[0:1]
	v_cndmask_b32_e64 v15, v8, v15, s[2:3]
	v_cmp_o_f32_e32 vcc, v9, v9
	v_cndmask_b32_e32 v9, v8, v10, vcc
	v_or_b32_e32 v14, v15, v14
	v_or3_b32 v10, 0, v9, v13
	v_or3_b32 v9, v14, 0, 0
	global_store_dwordx2 v[11:12], v[9:10], off
	s_andn2_b64 exec, exec, s[18:19]
	s_cbranch_execnz .LBB337_3
.LBB337_4:
	s_or_b64 exec, exec, s[16:17]
	s_mov_b64 s[0:1], 0
.LBB337_5:
	s_andn2_b64 vcc, exec, s[0:1]
	s_cbranch_vccnz .LBB337_25
; %bb.6:
	v_cmp_lt_i64_e64 s[0:1], s[12:13], 1
	s_and_b64 vcc, exec, s[0:1]
	s_cbranch_vccnz .LBB337_25
; %bb.7:
	v_mov_b32_e32 v1, 0x10000
	s_load_dword s2, s[4:5], 0xc5c
	v_mov_b32_e32 v2, 0
	v_cmp_lt_i64_e32 vcc, s[12:13], v[1:2]
	v_mov_b32_e32 v10, 0
	s_and_b64 s[0:1], vcc, exec
	v_cmp_lt_u64_e32 vcc, s[12:13], v[1:2]
	s_cselect_b32 s11, s13, 0
	s_cselect_b32 s10, s12, 0x10000
	s_waitcnt lgkmcnt(0)
	s_and_b32 s2, s2, 0xffff
	v_lshlrev_b32_e32 v9, 1, v0
	s_and_b64 s[0:1], vcc, exec
	v_mov_b32_e32 v2, s15
	v_add_co_u32_e32 v1, vcc, s14, v9
	v_mad_u64_u32 v[7:8], s[0:1], s2, 6, v[9:10]
	v_addc_co_u32_e32 v2, vcc, 0, v2, vcc
	v_mov_b32_e32 v4, s7
	v_add_co_u32_e32 v3, vcc, s6, v9
	v_addc_co_u32_e32 v4, vcc, 0, v4, vcc
	v_mov_b32_e32 v6, s15
	v_add_co_u32_e32 v5, vcc, s14, v7
	;; [unrolled: 3-line block ×3, first 2 shown]
	s_cselect_b32 s13, s13, 0
	s_cselect_b32 s12, s12, 0x10000
	s_lshl_b32 s18, s2, 2
	v_addc_co_u32_e32 v8, vcc, v10, v8, vcc
	v_add_co_u32_e32 v11, vcc, s18, v9
	v_addc_co_u32_e64 v12, s[0:1], 0, 0, vcc
	v_mov_b32_e32 v10, s15
	v_add_co_u32_e32 v9, vcc, s14, v11
	v_addc_co_u32_e32 v10, vcc, v10, v12, vcc
	v_mov_b32_e32 v13, s7
	v_add_co_u32_e32 v11, vcc, s6, v11
	v_addc_co_u32_e32 v12, vcc, v13, v12, vcc
	v_add_co_u32_e32 v13, vcc, s2, v0
	v_lshlrev_b32_e32 v17, 1, v13
	v_addc_co_u32_e64 v14, s[0:1], 0, 0, vcc
	v_mov_b32_e32 v16, s15
	v_add_co_u32_e32 v15, vcc, s14, v17
	v_addc_co_u32_e32 v16, vcc, 0, v16, vcc
	v_mov_b32_e32 v18, s7
	v_add_co_u32_e32 v17, vcc, s6, v17
	s_mul_i32 s4, s2, 3
	v_addc_co_u32_e32 v18, vcc, 0, v18, vcc
	s_lshl_b32 s3, s2, 1
	v_add_co_u32_e32 v19, vcc, s4, v0
	v_addc_co_u32_e64 v20, s[0:1], 0, 0, vcc
	v_add_co_u32_e32 v21, vcc, s3, v0
	s_lshl_b32 s19, s2, 3
	s_mov_b64 s[14:15], 0
	s_movk_i32 s20, 0x7fff
	v_addc_co_u32_e64 v22, s[0:1], 0, 0, vcc
	v_mov_b32_e32 v23, 0x7fc0
	s_branch .LBB337_9
.LBB337_8:                              ;   in Loop: Header=BB337_9 Depth=1
	s_or_b64 exec, exec, s[0:1]
	v_add_co_u32_e32 v1, vcc, s19, v1
	v_addc_co_u32_e32 v2, vcc, 0, v2, vcc
	v_add_co_u32_e32 v3, vcc, s19, v3
	v_addc_co_u32_e32 v4, vcc, 0, v4, vcc
	;; [unrolled: 2-line block ×6, first 2 shown]
	s_add_u32 s14, s14, s18
	v_add_co_u32_e32 v15, vcc, s19, v15
	v_mov_b32_e32 v25, s11
	s_addc_u32 s15, s15, 0
	v_addc_co_u32_e32 v16, vcc, 0, v16, vcc
	v_mov_b32_e32 v24, s10
	v_cmp_ge_i64_e32 vcc, s[14:15], v[24:25]
	v_add_co_u32_e64 v17, s[0:1], s19, v17
	v_addc_co_u32_e64 v18, s[0:1], 0, v18, s[0:1]
	s_cbranch_vccnz .LBB337_25
.LBB337_9:                              ; =>This Inner Loop Header: Depth=1
	v_mov_b32_e32 v25, s15
	v_add_co_u32_e32 v24, vcc, s14, v0
	v_addc_co_u32_e32 v25, vcc, 0, v25, vcc
	v_cmp_gt_u64_e32 vcc, s[12:13], v[24:25]
	v_mov_b32_e32 v25, 0
	s_and_saveexec_b64 s[2:3], vcc
	s_cbranch_execz .LBB337_11
; %bb.10:                               ;   in Loop: Header=BB337_9 Depth=1
	v_mov_b32_e32 v25, s9
	v_add_co_u32_e64 v24, s[0:1], s8, v1
	v_addc_co_u32_e64 v25, s[0:1], v2, v25, s[0:1]
	global_load_ushort v24, v[24:25], off
	s_waitcnt vmcnt(0)
	v_lshlrev_b32_e32 v25, 16, v24
.LBB337_11:                             ;   in Loop: Header=BB337_9 Depth=1
	s_or_b64 exec, exec, s[2:3]
	v_mov_b32_e32 v24, s15
	v_add_co_u32_e64 v26, s[0:1], s14, v13
	v_addc_co_u32_e64 v27, s[0:1], v14, v24, s[0:1]
	v_cmp_gt_u64_e64 s[0:1], s[12:13], v[26:27]
	v_mov_b32_e32 v24, 0
	v_mov_b32_e32 v26, 0
	s_and_saveexec_b64 s[4:5], s[0:1]
	s_cbranch_execz .LBB337_13
; %bb.12:                               ;   in Loop: Header=BB337_9 Depth=1
	v_mov_b32_e32 v27, s9
	v_add_co_u32_e64 v26, s[2:3], s8, v15
	v_addc_co_u32_e64 v27, s[2:3], v16, v27, s[2:3]
	global_load_ushort v26, v[26:27], off
	s_waitcnt vmcnt(0)
	v_lshlrev_b32_e32 v26, 16, v26
.LBB337_13:                             ;   in Loop: Header=BB337_9 Depth=1
	s_or_b64 exec, exec, s[4:5]
	v_mov_b32_e32 v28, s15
	v_add_co_u32_e64 v27, s[2:3], s14, v21
	v_addc_co_u32_e64 v28, s[2:3], v22, v28, s[2:3]
	v_cmp_gt_u64_e64 s[2:3], s[12:13], v[27:28]
	s_and_saveexec_b64 s[6:7], s[2:3]
	s_cbranch_execz .LBB337_15
; %bb.14:                               ;   in Loop: Header=BB337_9 Depth=1
	v_mov_b32_e32 v24, s9
	v_add_co_u32_e64 v27, s[4:5], s8, v9
	v_addc_co_u32_e64 v28, s[4:5], v10, v24, s[4:5]
	global_load_ushort v24, v[27:28], off
	s_waitcnt vmcnt(0)
	v_lshlrev_b32_e32 v24, 16, v24
.LBB337_15:                             ;   in Loop: Header=BB337_9 Depth=1
	s_or_b64 exec, exec, s[6:7]
	v_mov_b32_e32 v28, s15
	v_add_co_u32_e64 v27, s[4:5], s14, v19
	v_addc_co_u32_e64 v28, s[4:5], v20, v28, s[4:5]
	v_cmp_gt_u64_e64 s[4:5], s[12:13], v[27:28]
	v_mov_b32_e32 v27, 0
	s_and_saveexec_b64 s[16:17], s[4:5]
	s_cbranch_execnz .LBB337_20
; %bb.16:                               ;   in Loop: Header=BB337_9 Depth=1
	s_or_b64 exec, exec, s[16:17]
	s_and_saveexec_b64 s[6:7], vcc
	s_cbranch_execnz .LBB337_21
.LBB337_17:                             ;   in Loop: Header=BB337_9 Depth=1
	s_or_b64 exec, exec, s[6:7]
	s_and_saveexec_b64 s[6:7], s[0:1]
	s_cbranch_execnz .LBB337_22
.LBB337_18:                             ;   in Loop: Header=BB337_9 Depth=1
	s_or_b64 exec, exec, s[6:7]
	s_and_saveexec_b64 s[0:1], s[2:3]
	s_cbranch_execnz .LBB337_23
.LBB337_19:                             ;   in Loop: Header=BB337_9 Depth=1
	s_or_b64 exec, exec, s[0:1]
	s_and_saveexec_b64 s[0:1], s[4:5]
	s_cbranch_execz .LBB337_8
	s_branch .LBB337_24
.LBB337_20:                             ;   in Loop: Header=BB337_9 Depth=1
	v_mov_b32_e32 v28, s9
	v_add_co_u32_e64 v27, s[6:7], s8, v5
	v_addc_co_u32_e64 v28, s[6:7], v6, v28, s[6:7]
	global_load_ushort v27, v[27:28], off
	s_waitcnt vmcnt(0)
	v_lshlrev_b32_e32 v27, 16, v27
	s_or_b64 exec, exec, s[16:17]
	s_and_saveexec_b64 s[6:7], vcc
	s_cbranch_execz .LBB337_17
.LBB337_21:                             ;   in Loop: Header=BB337_9 Depth=1
	v_and_b32_e32 v28, 0x7fffffff, v25
	v_bfe_u32 v29, v28, 16, 1
	v_add3_u32 v28, v28, v29, s20
	v_cmp_o_f32_e32 vcc, v25, v25
	v_cndmask_b32_sdwa v25, v23, v28, vcc dst_sel:DWORD dst_unused:UNUSED_PAD src0_sel:DWORD src1_sel:WORD_1
	v_mov_b32_e32 v29, s9
	v_add_co_u32_e32 v28, vcc, s8, v3
	v_addc_co_u32_e32 v29, vcc, v4, v29, vcc
	global_store_short v[28:29], v25, off
	s_or_b64 exec, exec, s[6:7]
	s_and_saveexec_b64 s[6:7], s[0:1]
	s_cbranch_execz .LBB337_18
.LBB337_22:                             ;   in Loop: Header=BB337_9 Depth=1
	v_and_b32_e32 v25, 0x7fffffff, v26
	v_bfe_u32 v28, v25, 16, 1
	v_add3_u32 v25, v25, v28, s20
	v_cmp_o_f32_e32 vcc, v26, v26
	v_cndmask_b32_sdwa v28, v23, v25, vcc dst_sel:DWORD dst_unused:UNUSED_PAD src0_sel:DWORD src1_sel:WORD_1
	v_mov_b32_e32 v26, s9
	v_add_co_u32_e32 v25, vcc, s8, v17
	v_addc_co_u32_e32 v26, vcc, v18, v26, vcc
	global_store_short v[25:26], v28, off
	s_or_b64 exec, exec, s[6:7]
	s_and_saveexec_b64 s[0:1], s[2:3]
	s_cbranch_execz .LBB337_19
.LBB337_23:                             ;   in Loop: Header=BB337_9 Depth=1
	v_and_b32_e32 v25, 0x7fffffff, v24
	v_bfe_u32 v26, v25, 16, 1
	v_add3_u32 v25, v25, v26, s20
	v_cmp_o_f32_e32 vcc, v24, v24
	v_cndmask_b32_sdwa v26, v23, v25, vcc dst_sel:DWORD dst_unused:UNUSED_PAD src0_sel:DWORD src1_sel:WORD_1
	v_mov_b32_e32 v25, s9
	v_add_co_u32_e32 v24, vcc, s8, v11
	v_addc_co_u32_e32 v25, vcc, v12, v25, vcc
	global_store_short v[24:25], v26, off
	s_or_b64 exec, exec, s[0:1]
	s_and_saveexec_b64 s[0:1], s[4:5]
	s_cbranch_execz .LBB337_8
.LBB337_24:                             ;   in Loop: Header=BB337_9 Depth=1
	v_and_b32_e32 v24, 0x7fffffff, v27
	v_bfe_u32 v25, v24, 16, 1
	v_add3_u32 v24, v24, v25, s20
	v_cmp_o_f32_e32 vcc, v27, v27
	v_cndmask_b32_sdwa v26, v23, v24, vcc dst_sel:DWORD dst_unused:UNUSED_PAD src0_sel:DWORD src1_sel:WORD_1
	v_mov_b32_e32 v25, s9
	v_add_co_u32_e32 v24, vcc, s8, v7
	v_addc_co_u32_e32 v25, vcc, v8, v25, vcc
	global_store_short v[24:25], v26, off
	s_branch .LBB337_8
.LBB337_25:
	s_endpgm
	.section	.rodata,"a",@progbits
	.p2align	6, 0x0
	.amdhsa_kernel _ZN2at6native12_GLOBAL__N_125multi_tensor_apply_kernelINS1_18TensorListMetadataILi2EEENS1_14UnaryOpFunctorIN3c108BFloat16ELi2ELi1ELi1EEEJNS0_3AbsIfEEEEEvT_T0_DpT1_
		.amdhsa_group_segment_fixed_size 0
		.amdhsa_private_segment_fixed_size 0
		.amdhsa_kernarg_size 3408
		.amdhsa_user_sgpr_count 6
		.amdhsa_user_sgpr_private_segment_buffer 1
		.amdhsa_user_sgpr_dispatch_ptr 0
		.amdhsa_user_sgpr_queue_ptr 0
		.amdhsa_user_sgpr_kernarg_segment_ptr 1
		.amdhsa_user_sgpr_dispatch_id 0
		.amdhsa_user_sgpr_flat_scratch_init 0
		.amdhsa_user_sgpr_private_segment_size 0
		.amdhsa_uses_dynamic_stack 0
		.amdhsa_system_sgpr_private_segment_wavefront_offset 0
		.amdhsa_system_sgpr_workgroup_id_x 1
		.amdhsa_system_sgpr_workgroup_id_y 0
		.amdhsa_system_sgpr_workgroup_id_z 0
		.amdhsa_system_sgpr_workgroup_info 0
		.amdhsa_system_vgpr_workitem_id 0
		.amdhsa_next_free_vgpr 30
		.amdhsa_next_free_sgpr 23
		.amdhsa_reserve_vcc 1
		.amdhsa_reserve_flat_scratch 0
		.amdhsa_float_round_mode_32 0
		.amdhsa_float_round_mode_16_64 0
		.amdhsa_float_denorm_mode_32 3
		.amdhsa_float_denorm_mode_16_64 3
		.amdhsa_dx10_clamp 1
		.amdhsa_ieee_mode 1
		.amdhsa_fp16_overflow 0
		.amdhsa_exception_fp_ieee_invalid_op 0
		.amdhsa_exception_fp_denorm_src 0
		.amdhsa_exception_fp_ieee_div_zero 0
		.amdhsa_exception_fp_ieee_overflow 0
		.amdhsa_exception_fp_ieee_underflow 0
		.amdhsa_exception_fp_ieee_inexact 0
		.amdhsa_exception_int_div_zero 0
	.end_amdhsa_kernel
	.section	.text._ZN2at6native12_GLOBAL__N_125multi_tensor_apply_kernelINS1_18TensorListMetadataILi2EEENS1_14UnaryOpFunctorIN3c108BFloat16ELi2ELi1ELi1EEEJNS0_3AbsIfEEEEEvT_T0_DpT1_,"axG",@progbits,_ZN2at6native12_GLOBAL__N_125multi_tensor_apply_kernelINS1_18TensorListMetadataILi2EEENS1_14UnaryOpFunctorIN3c108BFloat16ELi2ELi1ELi1EEEJNS0_3AbsIfEEEEEvT_T0_DpT1_,comdat
.Lfunc_end337:
	.size	_ZN2at6native12_GLOBAL__N_125multi_tensor_apply_kernelINS1_18TensorListMetadataILi2EEENS1_14UnaryOpFunctorIN3c108BFloat16ELi2ELi1ELi1EEEJNS0_3AbsIfEEEEEvT_T0_DpT1_, .Lfunc_end337-_ZN2at6native12_GLOBAL__N_125multi_tensor_apply_kernelINS1_18TensorListMetadataILi2EEENS1_14UnaryOpFunctorIN3c108BFloat16ELi2ELi1ELi1EEEJNS0_3AbsIfEEEEEvT_T0_DpT1_
                                        ; -- End function
	.set _ZN2at6native12_GLOBAL__N_125multi_tensor_apply_kernelINS1_18TensorListMetadataILi2EEENS1_14UnaryOpFunctorIN3c108BFloat16ELi2ELi1ELi1EEEJNS0_3AbsIfEEEEEvT_T0_DpT1_.num_vgpr, 30
	.set _ZN2at6native12_GLOBAL__N_125multi_tensor_apply_kernelINS1_18TensorListMetadataILi2EEENS1_14UnaryOpFunctorIN3c108BFloat16ELi2ELi1ELi1EEEJNS0_3AbsIfEEEEEvT_T0_DpT1_.num_agpr, 0
	.set _ZN2at6native12_GLOBAL__N_125multi_tensor_apply_kernelINS1_18TensorListMetadataILi2EEENS1_14UnaryOpFunctorIN3c108BFloat16ELi2ELi1ELi1EEEJNS0_3AbsIfEEEEEvT_T0_DpT1_.numbered_sgpr, 23
	.set _ZN2at6native12_GLOBAL__N_125multi_tensor_apply_kernelINS1_18TensorListMetadataILi2EEENS1_14UnaryOpFunctorIN3c108BFloat16ELi2ELi1ELi1EEEJNS0_3AbsIfEEEEEvT_T0_DpT1_.num_named_barrier, 0
	.set _ZN2at6native12_GLOBAL__N_125multi_tensor_apply_kernelINS1_18TensorListMetadataILi2EEENS1_14UnaryOpFunctorIN3c108BFloat16ELi2ELi1ELi1EEEJNS0_3AbsIfEEEEEvT_T0_DpT1_.private_seg_size, 0
	.set _ZN2at6native12_GLOBAL__N_125multi_tensor_apply_kernelINS1_18TensorListMetadataILi2EEENS1_14UnaryOpFunctorIN3c108BFloat16ELi2ELi1ELi1EEEJNS0_3AbsIfEEEEEvT_T0_DpT1_.uses_vcc, 1
	.set _ZN2at6native12_GLOBAL__N_125multi_tensor_apply_kernelINS1_18TensorListMetadataILi2EEENS1_14UnaryOpFunctorIN3c108BFloat16ELi2ELi1ELi1EEEJNS0_3AbsIfEEEEEvT_T0_DpT1_.uses_flat_scratch, 0
	.set _ZN2at6native12_GLOBAL__N_125multi_tensor_apply_kernelINS1_18TensorListMetadataILi2EEENS1_14UnaryOpFunctorIN3c108BFloat16ELi2ELi1ELi1EEEJNS0_3AbsIfEEEEEvT_T0_DpT1_.has_dyn_sized_stack, 0
	.set _ZN2at6native12_GLOBAL__N_125multi_tensor_apply_kernelINS1_18TensorListMetadataILi2EEENS1_14UnaryOpFunctorIN3c108BFloat16ELi2ELi1ELi1EEEJNS0_3AbsIfEEEEEvT_T0_DpT1_.has_recursion, 0
	.set _ZN2at6native12_GLOBAL__N_125multi_tensor_apply_kernelINS1_18TensorListMetadataILi2EEENS1_14UnaryOpFunctorIN3c108BFloat16ELi2ELi1ELi1EEEJNS0_3AbsIfEEEEEvT_T0_DpT1_.has_indirect_call, 0
	.section	.AMDGPU.csdata,"",@progbits
; Kernel info:
; codeLenInByte = 1632
; TotalNumSgprs: 27
; NumVgprs: 30
; ScratchSize: 0
; MemoryBound: 0
; FloatMode: 240
; IeeeMode: 1
; LDSByteSize: 0 bytes/workgroup (compile time only)
; SGPRBlocks: 3
; VGPRBlocks: 7
; NumSGPRsForWavesPerEU: 27
; NumVGPRsForWavesPerEU: 30
; Occupancy: 8
; WaveLimiterHint : 0
; COMPUTE_PGM_RSRC2:SCRATCH_EN: 0
; COMPUTE_PGM_RSRC2:USER_SGPR: 6
; COMPUTE_PGM_RSRC2:TRAP_HANDLER: 0
; COMPUTE_PGM_RSRC2:TGID_X_EN: 1
; COMPUTE_PGM_RSRC2:TGID_Y_EN: 0
; COMPUTE_PGM_RSRC2:TGID_Z_EN: 0
; COMPUTE_PGM_RSRC2:TIDIG_COMP_CNT: 0
	.section	.text._ZN2at6native12_GLOBAL__N_125multi_tensor_apply_kernelINS1_18TensorListMetadataILi2EEENS1_14UnaryOpFunctorIbLi2ELi1ELi1EEEJNS0_3AbsIbEEEEEvT_T0_DpT1_,"axG",@progbits,_ZN2at6native12_GLOBAL__N_125multi_tensor_apply_kernelINS1_18TensorListMetadataILi2EEENS1_14UnaryOpFunctorIbLi2ELi1ELi1EEEJNS0_3AbsIbEEEEEvT_T0_DpT1_,comdat
	.globl	_ZN2at6native12_GLOBAL__N_125multi_tensor_apply_kernelINS1_18TensorListMetadataILi2EEENS1_14UnaryOpFunctorIbLi2ELi1ELi1EEEJNS0_3AbsIbEEEEEvT_T0_DpT1_ ; -- Begin function _ZN2at6native12_GLOBAL__N_125multi_tensor_apply_kernelINS1_18TensorListMetadataILi2EEENS1_14UnaryOpFunctorIbLi2ELi1ELi1EEEJNS0_3AbsIbEEEEEvT_T0_DpT1_
	.p2align	8
	.type	_ZN2at6native12_GLOBAL__N_125multi_tensor_apply_kernelINS1_18TensorListMetadataILi2EEENS1_14UnaryOpFunctorIbLi2ELi1ELi1EEEJNS0_3AbsIbEEEEEvT_T0_DpT1_,@function
_ZN2at6native12_GLOBAL__N_125multi_tensor_apply_kernelINS1_18TensorListMetadataILi2EEENS1_14UnaryOpFunctorIbLi2ELi1ELi1EEEJNS0_3AbsIbEEEEEvT_T0_DpT1_: ; @_ZN2at6native12_GLOBAL__N_125multi_tensor_apply_kernelINS1_18TensorListMetadataILi2EEENS1_14UnaryOpFunctorIbLi2ELi1ELi1EEEJNS0_3AbsIbEEEEEvT_T0_DpT1_
; %bb.0:
	v_mov_b32_e32 v1, s6
	global_load_ubyte v1, v1, s[4:5] offset:1536
	s_add_u32 s0, s4, s6
	s_mul_hi_u32 s1, s6, 3
	s_mul_i32 s6, s6, 3
	s_addc_u32 s2, s5, 0
	s_add_u32 s0, s0, s6
	s_addc_u32 s1, s2, s1
	s_load_dword s6, s[0:1], 0x740
	s_waitcnt lgkmcnt(0)
	s_ashr_i32 s7, s6, 31
	s_lshl_b64 s[6:7], s[6:7], 16
	s_waitcnt vmcnt(0)
	v_readfirstlane_b32 s0, v1
	s_lshl_b32 s2, s0, 3
	s_load_dwordx2 s[0:1], s[4:5], s2 offset:0x0
	s_load_dwordx2 s[8:9], s[4:5], s2 offset:0x400
	s_waitcnt lgkmcnt(0)
	s_add_u32 s12, s0, s6
	s_load_dwordx2 s[2:3], s[4:5], s2 offset:0x200
	s_sub_u32 s10, s8, s6
	s_subb_u32 s11, s9, s7
	s_waitcnt lgkmcnt(0)
	s_or_b32 s8, s8, s2
	s_or_b32 s8, s8, s12
	s_and_b32 s8, s8, 3
	s_cmp_eq_u32 s8, 0
	s_mov_b64 s[8:9], -1
	s_cbranch_scc0 .LBB338_5
; %bb.1:
	v_mov_b32_e32 v1, 0x10000
	v_mov_b32_e32 v2, 0
	v_cmp_lt_i64_e32 vcc, s[10:11], v[1:2]
	v_mov_b32_e32 v3, 0
	s_and_b64 s[8:9], vcc, exec
	s_cselect_b32 s9, s11, 0
	s_cselect_b32 s8, s10, 0x10000
	v_lshlrev_b32_e32 v2, 2, v0
	v_cmp_gt_i64_e32 vcc, s[8:9], v[2:3]
	s_and_saveexec_b64 s[12:13], vcc
	s_cbranch_execz .LBB338_4
; %bb.2:
	s_load_dword s14, s[4:5], 0xc5c
	v_mov_b32_e32 v1, v3
	v_mov_b32_e32 v4, s7
	v_add_co_u32_e32 v3, vcc, s6, v2
	s_waitcnt lgkmcnt(0)
	s_and_b32 s16, s14, 0xffff
	v_mov_b32_e32 v2, v1
	v_addc_co_u32_e32 v4, vcc, 0, v4, vcc
	s_lshl_b32 s17, s16, 2
	s_mov_b64 s[14:15], 0
	v_mov_b32_e32 v5, s1
	v_mov_b32_e32 v6, s3
	;; [unrolled: 1-line block ×3, first 2 shown]
.LBB338_3:                              ; =>This Inner Loop Header: Depth=1
	v_add_co_u32_e32 v7, vcc, s0, v3
	v_addc_co_u32_e32 v8, vcc, v5, v4, vcc
	global_load_dword v11, v[7:8], off
	v_add_co_u32_e32 v7, vcc, s2, v3
	v_addc_co_u32_e32 v8, vcc, v6, v4, vcc
	v_add_co_u32_e32 v1, vcc, s16, v1
	v_addc_co_u32_e32 v2, vcc, 0, v2, vcc
	v_add_co_u32_e32 v3, vcc, s17, v3
	v_lshlrev_b64 v[9:10], 2, v[1:2]
	v_addc_co_u32_e32 v4, vcc, 0, v4, vcc
	v_cmp_le_i64_e32 vcc, s[8:9], v[9:10]
	s_or_b64 s[14:15], vcc, s[14:15]
	s_waitcnt vmcnt(0)
	v_and_b32_e32 v9, 0x1010101, v11
	global_store_dword v[7:8], v9, off
	s_andn2_b64 exec, exec, s[14:15]
	s_cbranch_execnz .LBB338_3
.LBB338_4:
	s_or_b64 exec, exec, s[12:13]
	s_mov_b64 s[8:9], 0
.LBB338_5:
	s_andn2_b64 vcc, exec, s[8:9]
	s_cbranch_vccnz .LBB338_25
; %bb.6:
	v_cmp_lt_i64_e64 s[8:9], s[10:11], 1
	s_and_b64 vcc, exec, s[8:9]
	s_cbranch_vccnz .LBB338_25
; %bb.7:
	v_mov_b32_e32 v1, 0x10000
	s_load_dword s12, s[4:5], 0xc5c
	v_mov_b32_e32 v2, 0
	v_cmp_lt_i64_e32 vcc, s[10:11], v[1:2]
	v_mov_b32_e32 v4, s3
	s_and_b64 s[4:5], vcc, exec
	v_cmp_lt_u64_e32 vcc, s[10:11], v[1:2]
	s_cselect_b32 s9, s11, 0
	s_cselect_b32 s8, s10, 0x10000
	s_waitcnt lgkmcnt(0)
	s_and_b32 s14, s12, 0xffff
	s_and_b64 s[4:5], vcc, exec
	v_mov_b32_e32 v1, s7
	v_add_co_u32_e32 v13, vcc, s6, v0
	v_addc_co_u32_e32 v14, vcc, 0, v1, vcc
	v_mov_b32_e32 v2, s1
	v_add_co_u32_e32 v1, vcc, s0, v13
	s_cselect_b32 s11, s11, 0
	s_cselect_b32 s10, s10, 0x10000
	s_lshl_b32 s4, s14, 1
	s_mul_i32 s5, s14, 3
	s_lshl_b32 s16, s14, 2
	v_addc_co_u32_e32 v2, vcc, v2, v14, vcc
	v_add_co_u32_e32 v3, vcc, s2, v13
	s_add_u32 s12, s6, s5
	v_addc_co_u32_e32 v4, vcc, v4, v14, vcc
	s_addc_u32 s13, s7, 0
	v_mov_b32_e32 v5, s13
	v_add_co_u32_e32 v7, vcc, s12, v0
	v_addc_co_u32_e32 v8, vcc, 0, v5, vcc
	v_mov_b32_e32 v6, s1
	v_add_co_u32_e32 v5, vcc, s0, v7
	v_addc_co_u32_e32 v6, vcc, v6, v8, vcc
	v_mov_b32_e32 v9, s3
	v_add_co_u32_e32 v7, vcc, s2, v7
	s_add_u32 s6, s6, s4
	v_addc_co_u32_e32 v8, vcc, v9, v8, vcc
	s_addc_u32 s7, s7, 0
	v_mov_b32_e32 v9, s7
	v_add_co_u32_e32 v11, vcc, s6, v0
	v_addc_co_u32_e32 v12, vcc, 0, v9, vcc
	v_mov_b32_e32 v10, s1
	v_add_co_u32_e32 v9, vcc, s0, v11
	v_addc_co_u32_e32 v10, vcc, v10, v12, vcc
	;; [unrolled: 3-line block ×3, first 2 shown]
	v_add_co_u32_e32 v15, vcc, s14, v13
	v_addc_co_u32_e32 v16, vcc, 0, v14, vcc
	v_mov_b32_e32 v14, s1
	v_add_co_u32_e32 v13, vcc, s0, v15
	v_addc_co_u32_e32 v14, vcc, v14, v16, vcc
	v_mov_b32_e32 v17, s3
	v_add_co_u32_e32 v15, vcc, s2, v15
	v_addc_co_u32_e32 v16, vcc, v17, v16, vcc
	v_add_co_u32_e32 v17, vcc, s5, v0
	v_addc_co_u32_e64 v18, s[0:1], 0, 0, vcc
	v_add_co_u32_e32 v19, vcc, s4, v0
	v_addc_co_u32_e64 v20, s[0:1], 0, 0, vcc
	v_add_co_u32_e32 v21, vcc, s14, v0
	s_mov_b64 s[12:13], 0
	v_addc_co_u32_e64 v22, s[0:1], 0, 0, vcc
	v_mov_b32_e32 v23, 1
	s_branch .LBB338_9
.LBB338_8:                              ;   in Loop: Header=BB338_9 Depth=1
	s_or_b64 exec, exec, s[0:1]
	s_add_u32 s12, s12, s16
	v_mov_b32_e32 v25, s9
	s_addc_u32 s13, s13, 0
	v_mov_b32_e32 v24, s8
	v_cmp_ge_i64_e32 vcc, s[12:13], v[24:25]
	s_cbranch_vccnz .LBB338_25
.LBB338_9:                              ; =>This Inner Loop Header: Depth=1
	v_mov_b32_e32 v25, s13
	v_add_co_u32_e32 v24, vcc, s12, v0
	v_addc_co_u32_e32 v25, vcc, 0, v25, vcc
	v_cmp_gt_u64_e32 vcc, s[10:11], v[24:25]
	v_mov_b32_e32 v24, 0
	s_and_saveexec_b64 s[2:3], vcc
	s_cbranch_execz .LBB338_11
; %bb.10:                               ;   in Loop: Header=BB338_9 Depth=1
	v_mov_b32_e32 v25, s13
	v_add_co_u32_e64 v24, s[0:1], s12, v1
	v_addc_co_u32_e64 v25, s[0:1], v2, v25, s[0:1]
	global_load_ubyte v24, v[24:25], off
.LBB338_11:                             ;   in Loop: Header=BB338_9 Depth=1
	s_or_b64 exec, exec, s[2:3]
	v_mov_b32_e32 v26, s13
	v_add_co_u32_e64 v25, s[0:1], s12, v21
	v_addc_co_u32_e64 v26, s[0:1], v22, v26, s[0:1]
	v_cmp_gt_u64_e64 s[0:1], s[10:11], v[25:26]
	v_mov_b32_e32 v25, 0
	v_mov_b32_e32 v26, 0
	s_and_saveexec_b64 s[4:5], s[0:1]
	s_cbranch_execz .LBB338_13
; %bb.12:                               ;   in Loop: Header=BB338_9 Depth=1
	v_mov_b32_e32 v27, s13
	v_add_co_u32_e64 v26, s[2:3], s12, v13
	v_addc_co_u32_e64 v27, s[2:3], v14, v27, s[2:3]
	global_load_ubyte v26, v[26:27], off
.LBB338_13:                             ;   in Loop: Header=BB338_9 Depth=1
	s_or_b64 exec, exec, s[4:5]
	v_mov_b32_e32 v28, s13
	v_add_co_u32_e64 v27, s[2:3], s12, v19
	v_addc_co_u32_e64 v28, s[2:3], v20, v28, s[2:3]
	v_cmp_gt_u64_e64 s[2:3], s[10:11], v[27:28]
	s_and_saveexec_b64 s[6:7], s[2:3]
	s_cbranch_execz .LBB338_15
; %bb.14:                               ;   in Loop: Header=BB338_9 Depth=1
	v_mov_b32_e32 v25, s13
	v_add_co_u32_e64 v27, s[4:5], s12, v9
	v_addc_co_u32_e64 v28, s[4:5], v10, v25, s[4:5]
	global_load_ubyte v25, v[27:28], off
.LBB338_15:                             ;   in Loop: Header=BB338_9 Depth=1
	s_or_b64 exec, exec, s[6:7]
	v_mov_b32_e32 v28, s13
	v_add_co_u32_e64 v27, s[4:5], s12, v17
	v_addc_co_u32_e64 v28, s[4:5], v18, v28, s[4:5]
	v_cmp_gt_u64_e64 s[4:5], s[10:11], v[27:28]
	v_mov_b32_e32 v27, 0
	s_and_saveexec_b64 s[14:15], s[4:5]
	s_cbranch_execz .LBB338_17
; %bb.16:                               ;   in Loop: Header=BB338_9 Depth=1
	v_mov_b32_e32 v28, s13
	v_add_co_u32_e64 v27, s[6:7], s12, v5
	v_addc_co_u32_e64 v28, s[6:7], v6, v28, s[6:7]
	global_load_ubyte v27, v[27:28], off
.LBB338_17:                             ;   in Loop: Header=BB338_9 Depth=1
	s_or_b64 exec, exec, s[14:15]
	s_waitcnt vmcnt(0)
	v_and_b32_e32 v24, 1, v24
	v_and_b32_sdwa v26, v26, v23 dst_sel:BYTE_1 dst_unused:UNUSED_PAD src0_sel:DWORD src1_sel:DWORD
	v_or_b32_e32 v24, v24, v26
	v_and_b32_e32 v25, 1, v25
	v_and_b32_sdwa v26, v27, v23 dst_sel:BYTE_1 dst_unused:UNUSED_PAD src0_sel:DWORD src1_sel:DWORD
	v_or_b32_sdwa v25, v25, v26 dst_sel:WORD_1 dst_unused:UNUSED_PAD src0_sel:DWORD src1_sel:DWORD
	v_or_b32_sdwa v24, v24, v25 dst_sel:DWORD dst_unused:UNUSED_PAD src0_sel:WORD_0 src1_sel:DWORD
	s_and_saveexec_b64 s[6:7], vcc
	s_cbranch_execnz .LBB338_21
; %bb.18:                               ;   in Loop: Header=BB338_9 Depth=1
	s_or_b64 exec, exec, s[6:7]
	s_and_saveexec_b64 s[6:7], s[0:1]
	s_cbranch_execnz .LBB338_22
.LBB338_19:                             ;   in Loop: Header=BB338_9 Depth=1
	s_or_b64 exec, exec, s[6:7]
	s_and_saveexec_b64 s[0:1], s[2:3]
	s_cbranch_execnz .LBB338_23
.LBB338_20:                             ;   in Loop: Header=BB338_9 Depth=1
	s_or_b64 exec, exec, s[0:1]
	s_and_saveexec_b64 s[0:1], s[4:5]
	s_cbranch_execz .LBB338_8
	s_branch .LBB338_24
.LBB338_21:                             ;   in Loop: Header=BB338_9 Depth=1
	v_mov_b32_e32 v26, s13
	v_add_co_u32_e32 v25, vcc, s12, v3
	v_addc_co_u32_e32 v26, vcc, v4, v26, vcc
	global_store_byte v[25:26], v24, off
	s_or_b64 exec, exec, s[6:7]
	s_and_saveexec_b64 s[6:7], s[0:1]
	s_cbranch_execz .LBB338_19
.LBB338_22:                             ;   in Loop: Header=BB338_9 Depth=1
	v_mov_b32_e32 v26, s13
	v_add_co_u32_e32 v25, vcc, s12, v15
	v_addc_co_u32_e32 v26, vcc, v16, v26, vcc
	v_lshrrev_b32_e32 v27, 8, v24
	global_store_byte v[25:26], v27, off
	s_or_b64 exec, exec, s[6:7]
	s_and_saveexec_b64 s[0:1], s[2:3]
	s_cbranch_execz .LBB338_20
.LBB338_23:                             ;   in Loop: Header=BB338_9 Depth=1
	v_mov_b32_e32 v26, s13
	v_add_co_u32_e32 v25, vcc, s12, v11
	v_addc_co_u32_e32 v26, vcc, v12, v26, vcc
	global_store_byte_d16_hi v[25:26], v24, off
	s_or_b64 exec, exec, s[0:1]
	s_and_saveexec_b64 s[0:1], s[4:5]
	s_cbranch_execz .LBB338_8
.LBB338_24:                             ;   in Loop: Header=BB338_9 Depth=1
	v_mov_b32_e32 v26, s13
	v_add_co_u32_e32 v25, vcc, s12, v7
	v_addc_co_u32_e32 v26, vcc, v8, v26, vcc
	v_lshrrev_b32_e32 v24, 24, v24
	global_store_byte v[25:26], v24, off
	s_branch .LBB338_8
.LBB338_25:
	s_endpgm
	.section	.rodata,"a",@progbits
	.p2align	6, 0x0
	.amdhsa_kernel _ZN2at6native12_GLOBAL__N_125multi_tensor_apply_kernelINS1_18TensorListMetadataILi2EEENS1_14UnaryOpFunctorIbLi2ELi1ELi1EEEJNS0_3AbsIbEEEEEvT_T0_DpT1_
		.amdhsa_group_segment_fixed_size 0
		.amdhsa_private_segment_fixed_size 0
		.amdhsa_kernarg_size 3408
		.amdhsa_user_sgpr_count 6
		.amdhsa_user_sgpr_private_segment_buffer 1
		.amdhsa_user_sgpr_dispatch_ptr 0
		.amdhsa_user_sgpr_queue_ptr 0
		.amdhsa_user_sgpr_kernarg_segment_ptr 1
		.amdhsa_user_sgpr_dispatch_id 0
		.amdhsa_user_sgpr_flat_scratch_init 0
		.amdhsa_user_sgpr_private_segment_size 0
		.amdhsa_uses_dynamic_stack 0
		.amdhsa_system_sgpr_private_segment_wavefront_offset 0
		.amdhsa_system_sgpr_workgroup_id_x 1
		.amdhsa_system_sgpr_workgroup_id_y 0
		.amdhsa_system_sgpr_workgroup_id_z 0
		.amdhsa_system_sgpr_workgroup_info 0
		.amdhsa_system_vgpr_workitem_id 0
		.amdhsa_next_free_vgpr 29
		.amdhsa_next_free_sgpr 18
		.amdhsa_reserve_vcc 1
		.amdhsa_reserve_flat_scratch 0
		.amdhsa_float_round_mode_32 0
		.amdhsa_float_round_mode_16_64 0
		.amdhsa_float_denorm_mode_32 3
		.amdhsa_float_denorm_mode_16_64 3
		.amdhsa_dx10_clamp 1
		.amdhsa_ieee_mode 1
		.amdhsa_fp16_overflow 0
		.amdhsa_exception_fp_ieee_invalid_op 0
		.amdhsa_exception_fp_denorm_src 0
		.amdhsa_exception_fp_ieee_div_zero 0
		.amdhsa_exception_fp_ieee_overflow 0
		.amdhsa_exception_fp_ieee_underflow 0
		.amdhsa_exception_fp_ieee_inexact 0
		.amdhsa_exception_int_div_zero 0
	.end_amdhsa_kernel
	.section	.text._ZN2at6native12_GLOBAL__N_125multi_tensor_apply_kernelINS1_18TensorListMetadataILi2EEENS1_14UnaryOpFunctorIbLi2ELi1ELi1EEEJNS0_3AbsIbEEEEEvT_T0_DpT1_,"axG",@progbits,_ZN2at6native12_GLOBAL__N_125multi_tensor_apply_kernelINS1_18TensorListMetadataILi2EEENS1_14UnaryOpFunctorIbLi2ELi1ELi1EEEJNS0_3AbsIbEEEEEvT_T0_DpT1_,comdat
.Lfunc_end338:
	.size	_ZN2at6native12_GLOBAL__N_125multi_tensor_apply_kernelINS1_18TensorListMetadataILi2EEENS1_14UnaryOpFunctorIbLi2ELi1ELi1EEEJNS0_3AbsIbEEEEEvT_T0_DpT1_, .Lfunc_end338-_ZN2at6native12_GLOBAL__N_125multi_tensor_apply_kernelINS1_18TensorListMetadataILi2EEENS1_14UnaryOpFunctorIbLi2ELi1ELi1EEEJNS0_3AbsIbEEEEEvT_T0_DpT1_
                                        ; -- End function
	.set _ZN2at6native12_GLOBAL__N_125multi_tensor_apply_kernelINS1_18TensorListMetadataILi2EEENS1_14UnaryOpFunctorIbLi2ELi1ELi1EEEJNS0_3AbsIbEEEEEvT_T0_DpT1_.num_vgpr, 29
	.set _ZN2at6native12_GLOBAL__N_125multi_tensor_apply_kernelINS1_18TensorListMetadataILi2EEENS1_14UnaryOpFunctorIbLi2ELi1ELi1EEEJNS0_3AbsIbEEEEEvT_T0_DpT1_.num_agpr, 0
	.set _ZN2at6native12_GLOBAL__N_125multi_tensor_apply_kernelINS1_18TensorListMetadataILi2EEENS1_14UnaryOpFunctorIbLi2ELi1ELi1EEEJNS0_3AbsIbEEEEEvT_T0_DpT1_.numbered_sgpr, 18
	.set _ZN2at6native12_GLOBAL__N_125multi_tensor_apply_kernelINS1_18TensorListMetadataILi2EEENS1_14UnaryOpFunctorIbLi2ELi1ELi1EEEJNS0_3AbsIbEEEEEvT_T0_DpT1_.num_named_barrier, 0
	.set _ZN2at6native12_GLOBAL__N_125multi_tensor_apply_kernelINS1_18TensorListMetadataILi2EEENS1_14UnaryOpFunctorIbLi2ELi1ELi1EEEJNS0_3AbsIbEEEEEvT_T0_DpT1_.private_seg_size, 0
	.set _ZN2at6native12_GLOBAL__N_125multi_tensor_apply_kernelINS1_18TensorListMetadataILi2EEENS1_14UnaryOpFunctorIbLi2ELi1ELi1EEEJNS0_3AbsIbEEEEEvT_T0_DpT1_.uses_vcc, 1
	.set _ZN2at6native12_GLOBAL__N_125multi_tensor_apply_kernelINS1_18TensorListMetadataILi2EEENS1_14UnaryOpFunctorIbLi2ELi1ELi1EEEJNS0_3AbsIbEEEEEvT_T0_DpT1_.uses_flat_scratch, 0
	.set _ZN2at6native12_GLOBAL__N_125multi_tensor_apply_kernelINS1_18TensorListMetadataILi2EEENS1_14UnaryOpFunctorIbLi2ELi1ELi1EEEJNS0_3AbsIbEEEEEvT_T0_DpT1_.has_dyn_sized_stack, 0
	.set _ZN2at6native12_GLOBAL__N_125multi_tensor_apply_kernelINS1_18TensorListMetadataILi2EEENS1_14UnaryOpFunctorIbLi2ELi1ELi1EEEJNS0_3AbsIbEEEEEvT_T0_DpT1_.has_recursion, 0
	.set _ZN2at6native12_GLOBAL__N_125multi_tensor_apply_kernelINS1_18TensorListMetadataILi2EEENS1_14UnaryOpFunctorIbLi2ELi1ELi1EEEJNS0_3AbsIbEEEEEvT_T0_DpT1_.has_indirect_call, 0
	.section	.AMDGPU.csdata,"",@progbits
; Kernel info:
; codeLenInByte = 1184
; TotalNumSgprs: 22
; NumVgprs: 29
; ScratchSize: 0
; MemoryBound: 0
; FloatMode: 240
; IeeeMode: 1
; LDSByteSize: 0 bytes/workgroup (compile time only)
; SGPRBlocks: 2
; VGPRBlocks: 7
; NumSGPRsForWavesPerEU: 22
; NumVGPRsForWavesPerEU: 29
; Occupancy: 8
; WaveLimiterHint : 0
; COMPUTE_PGM_RSRC2:SCRATCH_EN: 0
; COMPUTE_PGM_RSRC2:USER_SGPR: 6
; COMPUTE_PGM_RSRC2:TRAP_HANDLER: 0
; COMPUTE_PGM_RSRC2:TGID_X_EN: 1
; COMPUTE_PGM_RSRC2:TGID_Y_EN: 0
; COMPUTE_PGM_RSRC2:TGID_Z_EN: 0
; COMPUTE_PGM_RSRC2:TIDIG_COMP_CNT: 0
	.section	.text._ZN2at6native12_GLOBAL__N_125multi_tensor_apply_kernelINS1_18TensorListMetadataILi1EEENS1_14UnaryOpFunctorIhLi1ELi1ELi0EEEJNS0_3AbsIhEEEEEvT_T0_DpT1_,"axG",@progbits,_ZN2at6native12_GLOBAL__N_125multi_tensor_apply_kernelINS1_18TensorListMetadataILi1EEENS1_14UnaryOpFunctorIhLi1ELi1ELi0EEEJNS0_3AbsIhEEEEEvT_T0_DpT1_,comdat
	.globl	_ZN2at6native12_GLOBAL__N_125multi_tensor_apply_kernelINS1_18TensorListMetadataILi1EEENS1_14UnaryOpFunctorIhLi1ELi1ELi0EEEJNS0_3AbsIhEEEEEvT_T0_DpT1_ ; -- Begin function _ZN2at6native12_GLOBAL__N_125multi_tensor_apply_kernelINS1_18TensorListMetadataILi1EEENS1_14UnaryOpFunctorIhLi1ELi1ELi0EEEJNS0_3AbsIhEEEEEvT_T0_DpT1_
	.p2align	8
	.type	_ZN2at6native12_GLOBAL__N_125multi_tensor_apply_kernelINS1_18TensorListMetadataILi1EEENS1_14UnaryOpFunctorIhLi1ELi1ELi0EEEJNS0_3AbsIhEEEEEvT_T0_DpT1_,@function
_ZN2at6native12_GLOBAL__N_125multi_tensor_apply_kernelINS1_18TensorListMetadataILi1EEENS1_14UnaryOpFunctorIhLi1ELi1ELi0EEEJNS0_3AbsIhEEEEEvT_T0_DpT1_: ; @_ZN2at6native12_GLOBAL__N_125multi_tensor_apply_kernelINS1_18TensorListMetadataILi1EEENS1_14UnaryOpFunctorIhLi1ELi1ELi0EEEJNS0_3AbsIhEEEEEvT_T0_DpT1_
; %bb.0:
	v_mov_b32_e32 v1, s6
	global_load_ubyte v1, v1, s[4:5] offset:1760
	s_add_u32 s0, s4, s6
	s_mul_hi_u32 s1, s6, 3
	s_mul_i32 s6, s6, 3
	s_addc_u32 s3, s5, 0
	s_add_u32 s2, s0, s6
	s_addc_u32 s3, s3, s1
	s_waitcnt vmcnt(0)
	v_readfirstlane_b32 s0, v1
	s_lshl_b32 s8, s0, 3
	s_load_dwordx2 s[6:7], s[4:5], s8 offset:0x370
	s_load_dwordx2 s[0:1], s[4:5], s8 offset:0x0
	s_waitcnt lgkmcnt(0)
	s_or_b32 s8, s6, s0
	s_and_b32 s8, s8, 3
	s_cmp_eq_u32 s8, 0
	s_cbranch_scc1 .LBB339_20
; %bb.1:
	s_load_dword s2, s[2:3], 0x820
	s_waitcnt lgkmcnt(0)
	s_ashr_i32 s3, s2, 31
	s_lshl_b64 s[2:3], s[2:3], 16
	s_sub_u32 s6, s6, s2
	s_subb_u32 s7, s7, s3
	v_cmp_lt_i64_e64 s[8:9], s[6:7], 1
	s_and_b64 vcc, exec, s[8:9]
	s_cbranch_vccnz .LBB339_20
; %bb.2:
	v_mov_b32_e32 v1, 0x10000
	s_load_dword s10, s[4:5], 0xd3c
	v_mov_b32_e32 v2, 0
	v_cmp_lt_i64_e32 vcc, s[6:7], v[1:2]
	v_mov_b32_e32 v15, 0
	s_and_b64 s[4:5], vcc, exec
	v_cmp_lt_u64_e32 vcc, s[6:7], v[1:2]
	s_cselect_b32 s9, s7, 0
	s_cselect_b32 s8, s6, 0x10000
	s_waitcnt lgkmcnt(0)
	s_and_b32 s12, s10, 0xffff
	s_and_b64 s[4:5], vcc, exec
	s_cselect_b32 s11, s7, 0
	s_cselect_b32 s10, s6, 0x10000
	s_lshl_b32 s6, s12, 1
	s_mul_i32 s4, s12, 3
	s_lshl_b32 s17, s12, 2
	s_add_u32 s5, s2, s4
	v_mov_b32_e32 v1, s3
	v_add_co_u32_e32 v11, vcc, s2, v0
	s_addc_u32 s7, s3, 0
	v_addc_co_u32_e32 v12, vcc, 0, v1, vcc
	s_add_u32 s5, s0, s5
	v_mov_b32_e32 v2, s1
	v_add_co_u32_e32 v1, vcc, s0, v11
	s_addc_u32 s7, s1, s7
	v_addc_co_u32_e32 v2, vcc, v2, v12, vcc
	;; [unrolled: 5-line block ×3, first 2 shown]
	s_add_u32 s2, s0, s2
	v_add_co_u32_e32 v5, vcc, s4, v0
	s_addc_u32 s3, s1, s3
	v_addc_co_u32_e64 v6, s[4:5], 0, 0, vcc
	v_mov_b32_e32 v8, s3
	v_add_co_u32_e32 v7, vcc, s2, v0
	v_addc_co_u32_e32 v8, vcc, 0, v8, vcc
	s_add_u32 s0, s0, s12
	v_add_co_u32_e32 v9, vcc, s6, v0
	s_addc_u32 s1, s1, 0
	v_addc_co_u32_e64 v10, s[2:3], 0, 0, vcc
	v_mov_b32_e32 v13, s1
	v_add_co_u32_e32 v11, vcc, s0, v11
	v_addc_co_u32_e32 v12, vcc, v13, v12, vcc
	v_add_co_u32_e32 v13, vcc, s12, v0
	s_mov_b32 s16, 0xffff
	v_addc_co_u32_e64 v14, s[0:1], 0, 0, vcc
	s_mov_b64 s[12:13], 0
	s_mov_b32 s18, 0x3020104
	s_mov_b32 s19, 0x7060004
	;; [unrolled: 1-line block ×4, first 2 shown]
	s_branch .LBB339_4
.LBB339_3:                              ;   in Loop: Header=BB339_4 Depth=1
	s_or_b64 exec, exec, s[0:1]
	s_add_u32 s12, s12, s17
	v_mov_b32_e32 v17, s9
	s_addc_u32 s13, s13, 0
	v_mov_b32_e32 v16, s8
	v_cmp_lt_i64_e32 vcc, s[12:13], v[16:17]
	s_cbranch_vccz .LBB339_20
.LBB339_4:                              ; =>This Inner Loop Header: Depth=1
	v_mov_b32_e32 v17, s13
	v_add_co_u32_e32 v16, vcc, s12, v0
	v_addc_co_u32_e32 v17, vcc, 0, v17, vcc
	v_cmp_gt_u64_e32 vcc, s[10:11], v[16:17]
	v_and_b32_e32 v15, 0xffffff00, v15
	s_and_saveexec_b64 s[2:3], vcc
	s_cbranch_execz .LBB339_6
; %bb.5:                                ;   in Loop: Header=BB339_4 Depth=1
	v_mov_b32_e32 v17, s13
	v_add_co_u32_e64 v16, s[0:1], s12, v1
	v_addc_co_u32_e64 v17, s[0:1], v2, v17, s[0:1]
	global_load_ubyte v16, v[16:17], off
	s_waitcnt vmcnt(0)
	v_perm_b32 v15, v16, v15, s18
.LBB339_6:                              ;   in Loop: Header=BB339_4 Depth=1
	s_or_b64 exec, exec, s[2:3]
	v_mov_b32_e32 v17, s13
	v_add_co_u32_e64 v16, s[0:1], s12, v13
	v_addc_co_u32_e64 v17, s[0:1], v14, v17, s[0:1]
	v_cmp_gt_u64_e64 s[0:1], s[10:11], v[16:17]
	v_and_b32_e32 v15, 0xffff00ff, v15
	s_and_saveexec_b64 s[4:5], s[0:1]
	s_cbranch_execz .LBB339_8
; %bb.7:                                ;   in Loop: Header=BB339_4 Depth=1
	v_mov_b32_e32 v17, s13
	v_add_co_u32_e64 v16, s[2:3], s12, v11
	v_addc_co_u32_e64 v17, s[2:3], v12, v17, s[2:3]
	global_load_ubyte v16, v[16:17], off
	s_waitcnt vmcnt(0)
	v_perm_b32 v15, v15, v16, s19
.LBB339_8:                              ;   in Loop: Header=BB339_4 Depth=1
	s_or_b64 exec, exec, s[4:5]
	v_mov_b32_e32 v17, s13
	v_add_co_u32_e64 v16, s[2:3], s12, v9
	v_addc_co_u32_e64 v17, s[2:3], v10, v17, s[2:3]
	v_cmp_gt_u64_e64 s[2:3], s[10:11], v[16:17]
	v_lshrrev_b32_e32 v16, 24, v15
	v_perm_b32 v15, v16, v15, s20
	s_and_saveexec_b64 s[6:7], s[2:3]
	s_cbranch_execz .LBB339_10
; %bb.9:                                ;   in Loop: Header=BB339_4 Depth=1
	v_mov_b32_e32 v17, s13
	v_add_co_u32_e64 v16, s[4:5], s12, v7
	v_addc_co_u32_e64 v17, s[4:5], v8, v17, s[4:5]
	global_load_ubyte v16, v[16:17], off
	s_waitcnt vmcnt(0)
	v_perm_b32 v15, v15, v16, s21
.LBB339_10:                             ;   in Loop: Header=BB339_4 Depth=1
	s_or_b64 exec, exec, s[6:7]
	v_mov_b32_e32 v17, s13
	v_add_co_u32_e64 v16, s[4:5], s12, v5
	v_addc_co_u32_e64 v17, s[4:5], v6, v17, s[4:5]
	v_cmp_gt_u64_e64 s[4:5], s[10:11], v[16:17]
	v_and_b32_e32 v15, 0xffffff, v15
	s_and_saveexec_b64 s[14:15], s[4:5]
	s_cbranch_execnz .LBB339_15
; %bb.11:                               ;   in Loop: Header=BB339_4 Depth=1
	s_or_b64 exec, exec, s[14:15]
	s_and_saveexec_b64 s[6:7], vcc
	s_cbranch_execnz .LBB339_16
.LBB339_12:                             ;   in Loop: Header=BB339_4 Depth=1
	s_or_b64 exec, exec, s[6:7]
	s_and_saveexec_b64 s[6:7], s[0:1]
	s_cbranch_execnz .LBB339_17
.LBB339_13:                             ;   in Loop: Header=BB339_4 Depth=1
	s_or_b64 exec, exec, s[6:7]
	s_and_saveexec_b64 s[0:1], s[2:3]
	s_cbranch_execnz .LBB339_18
.LBB339_14:                             ;   in Loop: Header=BB339_4 Depth=1
	s_or_b64 exec, exec, s[0:1]
	s_and_saveexec_b64 s[0:1], s[4:5]
	s_cbranch_execz .LBB339_3
	s_branch .LBB339_19
.LBB339_15:                             ;   in Loop: Header=BB339_4 Depth=1
	v_mov_b32_e32 v17, s13
	v_add_co_u32_e64 v16, s[6:7], s12, v3
	v_addc_co_u32_e64 v17, s[6:7], v4, v17, s[6:7]
	global_load_ubyte v16, v[16:17], off
	s_waitcnt vmcnt(0)
	v_lshlrev_b16_e32 v16, 8, v16
	v_or_b32_sdwa v16, v15, v16 dst_sel:WORD_1 dst_unused:UNUSED_PAD src0_sel:WORD_1 src1_sel:DWORD
	v_and_or_b32 v15, v15, s16, v16
	s_or_b64 exec, exec, s[14:15]
	s_and_saveexec_b64 s[6:7], vcc
	s_cbranch_execz .LBB339_12
.LBB339_16:                             ;   in Loop: Header=BB339_4 Depth=1
	v_mov_b32_e32 v17, s13
	v_add_co_u32_e32 v16, vcc, s12, v1
	v_addc_co_u32_e32 v17, vcc, v2, v17, vcc
	global_store_byte v[16:17], v15, off
	s_or_b64 exec, exec, s[6:7]
	s_and_saveexec_b64 s[6:7], s[0:1]
	s_cbranch_execz .LBB339_13
.LBB339_17:                             ;   in Loop: Header=BB339_4 Depth=1
	v_mov_b32_e32 v17, s13
	v_add_co_u32_e32 v16, vcc, s12, v11
	v_addc_co_u32_e32 v17, vcc, v12, v17, vcc
	v_lshrrev_b32_e32 v18, 8, v15
	global_store_byte v[16:17], v18, off
	s_or_b64 exec, exec, s[6:7]
	s_and_saveexec_b64 s[0:1], s[2:3]
	s_cbranch_execz .LBB339_14
.LBB339_18:                             ;   in Loop: Header=BB339_4 Depth=1
	v_mov_b32_e32 v17, s13
	v_add_co_u32_e32 v16, vcc, s12, v7
	v_addc_co_u32_e32 v17, vcc, v8, v17, vcc
	global_store_byte_d16_hi v[16:17], v15, off
	s_or_b64 exec, exec, s[0:1]
	s_and_saveexec_b64 s[0:1], s[4:5]
	s_cbranch_execz .LBB339_3
.LBB339_19:                             ;   in Loop: Header=BB339_4 Depth=1
	v_mov_b32_e32 v17, s13
	v_add_co_u32_e32 v16, vcc, s12, v3
	v_addc_co_u32_e32 v17, vcc, v4, v17, vcc
	v_lshrrev_b32_e32 v18, 24, v15
	global_store_byte v[16:17], v18, off
	s_branch .LBB339_3
.LBB339_20:
	s_endpgm
	.section	.rodata,"a",@progbits
	.p2align	6, 0x0
	.amdhsa_kernel _ZN2at6native12_GLOBAL__N_125multi_tensor_apply_kernelINS1_18TensorListMetadataILi1EEENS1_14UnaryOpFunctorIhLi1ELi1ELi0EEEJNS0_3AbsIhEEEEEvT_T0_DpT1_
		.amdhsa_group_segment_fixed_size 0
		.amdhsa_private_segment_fixed_size 0
		.amdhsa_kernarg_size 3632
		.amdhsa_user_sgpr_count 6
		.amdhsa_user_sgpr_private_segment_buffer 1
		.amdhsa_user_sgpr_dispatch_ptr 0
		.amdhsa_user_sgpr_queue_ptr 0
		.amdhsa_user_sgpr_kernarg_segment_ptr 1
		.amdhsa_user_sgpr_dispatch_id 0
		.amdhsa_user_sgpr_flat_scratch_init 0
		.amdhsa_user_sgpr_private_segment_size 0
		.amdhsa_uses_dynamic_stack 0
		.amdhsa_system_sgpr_private_segment_wavefront_offset 0
		.amdhsa_system_sgpr_workgroup_id_x 1
		.amdhsa_system_sgpr_workgroup_id_y 0
		.amdhsa_system_sgpr_workgroup_id_z 0
		.amdhsa_system_sgpr_workgroup_info 0
		.amdhsa_system_vgpr_workitem_id 0
		.amdhsa_next_free_vgpr 19
		.amdhsa_next_free_sgpr 22
		.amdhsa_reserve_vcc 1
		.amdhsa_reserve_flat_scratch 0
		.amdhsa_float_round_mode_32 0
		.amdhsa_float_round_mode_16_64 0
		.amdhsa_float_denorm_mode_32 3
		.amdhsa_float_denorm_mode_16_64 3
		.amdhsa_dx10_clamp 1
		.amdhsa_ieee_mode 1
		.amdhsa_fp16_overflow 0
		.amdhsa_exception_fp_ieee_invalid_op 0
		.amdhsa_exception_fp_denorm_src 0
		.amdhsa_exception_fp_ieee_div_zero 0
		.amdhsa_exception_fp_ieee_overflow 0
		.amdhsa_exception_fp_ieee_underflow 0
		.amdhsa_exception_fp_ieee_inexact 0
		.amdhsa_exception_int_div_zero 0
	.end_amdhsa_kernel
	.section	.text._ZN2at6native12_GLOBAL__N_125multi_tensor_apply_kernelINS1_18TensorListMetadataILi1EEENS1_14UnaryOpFunctorIhLi1ELi1ELi0EEEJNS0_3AbsIhEEEEEvT_T0_DpT1_,"axG",@progbits,_ZN2at6native12_GLOBAL__N_125multi_tensor_apply_kernelINS1_18TensorListMetadataILi1EEENS1_14UnaryOpFunctorIhLi1ELi1ELi0EEEJNS0_3AbsIhEEEEEvT_T0_DpT1_,comdat
.Lfunc_end339:
	.size	_ZN2at6native12_GLOBAL__N_125multi_tensor_apply_kernelINS1_18TensorListMetadataILi1EEENS1_14UnaryOpFunctorIhLi1ELi1ELi0EEEJNS0_3AbsIhEEEEEvT_T0_DpT1_, .Lfunc_end339-_ZN2at6native12_GLOBAL__N_125multi_tensor_apply_kernelINS1_18TensorListMetadataILi1EEENS1_14UnaryOpFunctorIhLi1ELi1ELi0EEEJNS0_3AbsIhEEEEEvT_T0_DpT1_
                                        ; -- End function
	.set _ZN2at6native12_GLOBAL__N_125multi_tensor_apply_kernelINS1_18TensorListMetadataILi1EEENS1_14UnaryOpFunctorIhLi1ELi1ELi0EEEJNS0_3AbsIhEEEEEvT_T0_DpT1_.num_vgpr, 19
	.set _ZN2at6native12_GLOBAL__N_125multi_tensor_apply_kernelINS1_18TensorListMetadataILi1EEENS1_14UnaryOpFunctorIhLi1ELi1ELi0EEEJNS0_3AbsIhEEEEEvT_T0_DpT1_.num_agpr, 0
	.set _ZN2at6native12_GLOBAL__N_125multi_tensor_apply_kernelINS1_18TensorListMetadataILi1EEENS1_14UnaryOpFunctorIhLi1ELi1ELi0EEEJNS0_3AbsIhEEEEEvT_T0_DpT1_.numbered_sgpr, 22
	.set _ZN2at6native12_GLOBAL__N_125multi_tensor_apply_kernelINS1_18TensorListMetadataILi1EEENS1_14UnaryOpFunctorIhLi1ELi1ELi0EEEJNS0_3AbsIhEEEEEvT_T0_DpT1_.num_named_barrier, 0
	.set _ZN2at6native12_GLOBAL__N_125multi_tensor_apply_kernelINS1_18TensorListMetadataILi1EEENS1_14UnaryOpFunctorIhLi1ELi1ELi0EEEJNS0_3AbsIhEEEEEvT_T0_DpT1_.private_seg_size, 0
	.set _ZN2at6native12_GLOBAL__N_125multi_tensor_apply_kernelINS1_18TensorListMetadataILi1EEENS1_14UnaryOpFunctorIhLi1ELi1ELi0EEEJNS0_3AbsIhEEEEEvT_T0_DpT1_.uses_vcc, 1
	.set _ZN2at6native12_GLOBAL__N_125multi_tensor_apply_kernelINS1_18TensorListMetadataILi1EEENS1_14UnaryOpFunctorIhLi1ELi1ELi0EEEJNS0_3AbsIhEEEEEvT_T0_DpT1_.uses_flat_scratch, 0
	.set _ZN2at6native12_GLOBAL__N_125multi_tensor_apply_kernelINS1_18TensorListMetadataILi1EEENS1_14UnaryOpFunctorIhLi1ELi1ELi0EEEJNS0_3AbsIhEEEEEvT_T0_DpT1_.has_dyn_sized_stack, 0
	.set _ZN2at6native12_GLOBAL__N_125multi_tensor_apply_kernelINS1_18TensorListMetadataILi1EEENS1_14UnaryOpFunctorIhLi1ELi1ELi0EEEJNS0_3AbsIhEEEEEvT_T0_DpT1_.has_recursion, 0
	.set _ZN2at6native12_GLOBAL__N_125multi_tensor_apply_kernelINS1_18TensorListMetadataILi1EEENS1_14UnaryOpFunctorIhLi1ELi1ELi0EEEJNS0_3AbsIhEEEEEvT_T0_DpT1_.has_indirect_call, 0
	.section	.AMDGPU.csdata,"",@progbits
; Kernel info:
; codeLenInByte = 976
; TotalNumSgprs: 26
; NumVgprs: 19
; ScratchSize: 0
; MemoryBound: 0
; FloatMode: 240
; IeeeMode: 1
; LDSByteSize: 0 bytes/workgroup (compile time only)
; SGPRBlocks: 3
; VGPRBlocks: 4
; NumSGPRsForWavesPerEU: 26
; NumVGPRsForWavesPerEU: 19
; Occupancy: 10
; WaveLimiterHint : 0
; COMPUTE_PGM_RSRC2:SCRATCH_EN: 0
; COMPUTE_PGM_RSRC2:USER_SGPR: 6
; COMPUTE_PGM_RSRC2:TRAP_HANDLER: 0
; COMPUTE_PGM_RSRC2:TGID_X_EN: 1
; COMPUTE_PGM_RSRC2:TGID_Y_EN: 0
; COMPUTE_PGM_RSRC2:TGID_Z_EN: 0
; COMPUTE_PGM_RSRC2:TIDIG_COMP_CNT: 0
	.section	.text._ZN2at6native12_GLOBAL__N_125multi_tensor_apply_kernelINS1_18TensorListMetadataILi1EEENS1_14UnaryOpFunctorIaLi1ELi1ELi0EEEJNS0_3AbsIaEEEEEvT_T0_DpT1_,"axG",@progbits,_ZN2at6native12_GLOBAL__N_125multi_tensor_apply_kernelINS1_18TensorListMetadataILi1EEENS1_14UnaryOpFunctorIaLi1ELi1ELi0EEEJNS0_3AbsIaEEEEEvT_T0_DpT1_,comdat
	.globl	_ZN2at6native12_GLOBAL__N_125multi_tensor_apply_kernelINS1_18TensorListMetadataILi1EEENS1_14UnaryOpFunctorIaLi1ELi1ELi0EEEJNS0_3AbsIaEEEEEvT_T0_DpT1_ ; -- Begin function _ZN2at6native12_GLOBAL__N_125multi_tensor_apply_kernelINS1_18TensorListMetadataILi1EEENS1_14UnaryOpFunctorIaLi1ELi1ELi0EEEJNS0_3AbsIaEEEEEvT_T0_DpT1_
	.p2align	8
	.type	_ZN2at6native12_GLOBAL__N_125multi_tensor_apply_kernelINS1_18TensorListMetadataILi1EEENS1_14UnaryOpFunctorIaLi1ELi1ELi0EEEJNS0_3AbsIaEEEEEvT_T0_DpT1_,@function
_ZN2at6native12_GLOBAL__N_125multi_tensor_apply_kernelINS1_18TensorListMetadataILi1EEENS1_14UnaryOpFunctorIaLi1ELi1ELi0EEEJNS0_3AbsIaEEEEEvT_T0_DpT1_: ; @_ZN2at6native12_GLOBAL__N_125multi_tensor_apply_kernelINS1_18TensorListMetadataILi1EEENS1_14UnaryOpFunctorIaLi1ELi1ELi0EEEJNS0_3AbsIaEEEEEvT_T0_DpT1_
; %bb.0:
	v_mov_b32_e32 v1, s6
	global_load_ubyte v1, v1, s[4:5] offset:1760
	s_add_u32 s0, s4, s6
	s_mul_hi_u32 s1, s6, 3
	s_mul_i32 s6, s6, 3
	s_addc_u32 s2, s5, 0
	s_add_u32 s0, s0, s6
	s_addc_u32 s1, s2, s1
	s_load_dword s0, s[0:1], 0x820
	s_waitcnt vmcnt(0)
	v_readfirstlane_b32 s1, v1
	s_lshl_b32 s1, s1, 3
	s_load_dwordx2 s[2:3], s[4:5], s1 offset:0x370
	s_load_dwordx2 s[10:11], s[4:5], s1 offset:0x0
	s_waitcnt lgkmcnt(0)
	s_ashr_i32 s1, s0, 31
	s_lshl_b64 s[12:13], s[0:1], 16
	s_sub_u32 s14, s2, s12
	s_subb_u32 s15, s3, s13
	s_or_b32 s0, s2, s10
	s_and_b32 s0, s0, 3
	s_cmp_eq_u32 s0, 0
	s_cbranch_scc1 .LBB340_21
; %bb.1:
	v_cmp_lt_i64_e64 s[0:1], s[14:15], 1
	s_and_b64 vcc, exec, s[0:1]
	s_cbranch_vccnz .LBB340_20
; %bb.2:
	v_mov_b32_e32 v2, 0x10000
	s_load_dword s2, s[4:5], 0xd3c
	v_mov_b32_e32 v3, 0
	v_cmp_lt_i64_e32 vcc, s[14:15], v[2:3]
	v_mov_b32_e32 v1, 0
	s_and_b64 s[0:1], vcc, exec
	v_cmp_lt_u64_e32 vcc, s[14:15], v[2:3]
	s_cselect_b32 s17, s15, 0
	s_cselect_b32 s16, s14, 0x10000
	s_waitcnt lgkmcnt(0)
	s_and_b32 s2, s2, 0xffff
	s_and_b64 s[0:1], vcc, exec
	s_cselect_b32 s19, s15, 0
	s_cselect_b32 s18, s14, 0x10000
	s_lshl_b32 s3, s2, 1
	s_mul_i32 s0, s2, 3
	s_lshl_b32 s25, s2, 2
	v_mov_b32_e32 v2, s13
	v_add_co_u32_e32 v12, vcc, s12, v0
	s_add_u32 s1, s12, s0
	v_addc_co_u32_e32 v13, vcc, 0, v2, vcc
	s_addc_u32 s6, s13, 0
	v_mov_b32_e32 v3, s11
	v_add_co_u32_e32 v2, vcc, s10, v12
	s_add_u32 s1, s10, s1
	v_addc_co_u32_e32 v3, vcc, v3, v13, vcc
	s_addc_u32 s6, s11, s6
	v_mov_b32_e32 v5, s6
	v_add_co_u32_e32 v4, vcc, s1, v0
	v_addc_co_u32_e32 v5, vcc, 0, v5, vcc
	v_add_co_u32_e32 v6, vcc, s0, v0
	v_addc_co_u32_e64 v7, s[0:1], 0, 0, vcc
	s_add_u32 s0, s12, s3
	s_addc_u32 s1, s13, 0
	s_add_u32 s0, s10, s0
	s_addc_u32 s1, s11, s1
	v_mov_b32_e32 v9, s1
	v_add_co_u32_e32 v8, vcc, s0, v0
	v_addc_co_u32_e32 v9, vcc, 0, v9, vcc
	v_add_co_u32_e32 v10, vcc, s3, v0
	v_addc_co_u32_e64 v11, s[0:1], 0, 0, vcc
	s_add_u32 s0, s10, s2
	s_addc_u32 s1, s11, 0
	v_mov_b32_e32 v14, s1
	v_add_co_u32_e32 v12, vcc, s0, v12
	v_addc_co_u32_e32 v13, vcc, v14, v13, vcc
	v_add_co_u32_e32 v14, vcc, s2, v0
	s_mov_b32 s24, 0xffff
	v_addc_co_u32_e64 v15, s[0:1], 0, 0, vcc
	s_mov_b64 s[20:21], 0
	s_mov_b32 s26, 0x3020104
	s_mov_b32 s27, 0x7060004
	;; [unrolled: 1-line block ×4, first 2 shown]
	v_mov_b32_e32 v16, 0
	s_branch .LBB340_4
.LBB340_3:                              ;   in Loop: Header=BB340_4 Depth=1
	s_or_b64 exec, exec, s[0:1]
	s_add_u32 s20, s20, s25
	v_mov_b32_e32 v18, s17
	s_addc_u32 s21, s21, 0
	v_mov_b32_e32 v17, s16
	v_cmp_lt_i64_e32 vcc, s[20:21], v[17:18]
	s_cbranch_vccz .LBB340_20
.LBB340_4:                              ; =>This Inner Loop Header: Depth=1
	v_mov_b32_e32 v18, s21
	v_add_co_u32_e32 v17, vcc, s20, v0
	v_addc_co_u32_e32 v18, vcc, 0, v18, vcc
	v_cmp_gt_u64_e32 vcc, s[18:19], v[17:18]
	v_and_b32_e32 v16, 0xffffff00, v16
	s_and_saveexec_b64 s[2:3], vcc
	s_cbranch_execz .LBB340_6
; %bb.5:                                ;   in Loop: Header=BB340_4 Depth=1
	v_mov_b32_e32 v18, s21
	v_add_co_u32_e64 v17, s[0:1], s20, v2
	v_addc_co_u32_e64 v18, s[0:1], v3, v18, s[0:1]
	global_load_ubyte v17, v[17:18], off
	s_waitcnt vmcnt(0)
	v_perm_b32 v16, v17, v16, s26
.LBB340_6:                              ;   in Loop: Header=BB340_4 Depth=1
	s_or_b64 exec, exec, s[2:3]
	v_mov_b32_e32 v18, s21
	v_add_co_u32_e64 v17, s[0:1], s20, v14
	v_addc_co_u32_e64 v18, s[0:1], v15, v18, s[0:1]
	v_cmp_gt_u64_e64 s[0:1], s[18:19], v[17:18]
	v_and_b32_e32 v16, 0xffff00ff, v16
	s_and_saveexec_b64 s[6:7], s[0:1]
	s_cbranch_execz .LBB340_8
; %bb.7:                                ;   in Loop: Header=BB340_4 Depth=1
	v_mov_b32_e32 v18, s21
	v_add_co_u32_e64 v17, s[2:3], s20, v12
	v_addc_co_u32_e64 v18, s[2:3], v13, v18, s[2:3]
	global_load_ubyte v17, v[17:18], off
	s_waitcnt vmcnt(0)
	v_perm_b32 v16, v16, v17, s27
.LBB340_8:                              ;   in Loop: Header=BB340_4 Depth=1
	s_or_b64 exec, exec, s[6:7]
	v_mov_b32_e32 v18, s21
	v_add_co_u32_e64 v17, s[2:3], s20, v10
	v_addc_co_u32_e64 v18, s[2:3], v11, v18, s[2:3]
	v_cmp_gt_u64_e64 s[2:3], s[18:19], v[17:18]
	v_lshrrev_b32_e32 v17, 24, v16
	v_perm_b32 v16, v17, v16, s28
	s_and_saveexec_b64 s[8:9], s[2:3]
	s_cbranch_execz .LBB340_10
; %bb.9:                                ;   in Loop: Header=BB340_4 Depth=1
	v_mov_b32_e32 v18, s21
	v_add_co_u32_e64 v17, s[6:7], s20, v8
	v_addc_co_u32_e64 v18, s[6:7], v9, v18, s[6:7]
	global_load_ubyte v17, v[17:18], off
	s_waitcnt vmcnt(0)
	v_perm_b32 v16, v16, v17, s29
.LBB340_10:                             ;   in Loop: Header=BB340_4 Depth=1
	s_or_b64 exec, exec, s[8:9]
	v_mov_b32_e32 v18, s21
	v_add_co_u32_e64 v17, s[6:7], s20, v6
	v_addc_co_u32_e64 v18, s[6:7], v7, v18, s[6:7]
	v_cmp_gt_u64_e64 s[6:7], s[18:19], v[17:18]
	v_and_b32_e32 v16, 0xffffff, v16
	s_and_saveexec_b64 s[22:23], s[6:7]
	s_cbranch_execz .LBB340_12
; %bb.11:                               ;   in Loop: Header=BB340_4 Depth=1
	v_mov_b32_e32 v18, s21
	v_add_co_u32_e64 v17, s[8:9], s20, v4
	v_addc_co_u32_e64 v18, s[8:9], v5, v18, s[8:9]
	global_load_ubyte v17, v[17:18], off
	s_waitcnt vmcnt(0)
	v_lshlrev_b16_e32 v17, 8, v17
	v_or_b32_sdwa v17, v16, v17 dst_sel:WORD_1 dst_unused:UNUSED_PAD src0_sel:WORD_1 src1_sel:DWORD
	v_and_or_b32 v16, v16, s24, v17
.LBB340_12:                             ;   in Loop: Header=BB340_4 Depth=1
	s_or_b64 exec, exec, s[22:23]
	v_lshrrev_b32_e32 v17, 16, v16
	v_sub_u16_sdwa v18, v1, sext(v16) dst_sel:DWORD dst_unused:UNUSED_PAD src0_sel:DWORD src1_sel:BYTE_3
	v_sub_u16_sdwa v19, v1, sext(v17) dst_sel:DWORD dst_unused:UNUSED_PAD src0_sel:DWORD src1_sel:BYTE_0
	v_max_i16_sdwa v18, sext(v16), v18 dst_sel:BYTE_1 dst_unused:UNUSED_PAD src0_sel:BYTE_3 src1_sel:DWORD
	v_max_i16_sdwa v17, sext(v17), v19 dst_sel:DWORD dst_unused:UNUSED_PAD src0_sel:BYTE_0 src1_sel:DWORD
	v_or_b32_sdwa v17, v17, v18 dst_sel:WORD_1 dst_unused:UNUSED_PAD src0_sel:DWORD src1_sel:DWORD
	v_sub_u16_sdwa v18, v1, sext(v16) dst_sel:DWORD dst_unused:UNUSED_PAD src0_sel:DWORD src1_sel:BYTE_1
	v_sub_u16_sdwa v19, v1, sext(v16) dst_sel:DWORD dst_unused:UNUSED_PAD src0_sel:DWORD src1_sel:BYTE_0
	v_max_i16_sdwa v18, sext(v16), v18 dst_sel:BYTE_1 dst_unused:UNUSED_PAD src0_sel:BYTE_1 src1_sel:DWORD
	v_max_i16_sdwa v16, sext(v16), v19 dst_sel:DWORD dst_unused:UNUSED_PAD src0_sel:BYTE_0 src1_sel:DWORD
	v_or_b32_e32 v16, v16, v18
	v_or_b32_sdwa v16, v16, v17 dst_sel:DWORD dst_unused:UNUSED_PAD src0_sel:WORD_0 src1_sel:DWORD
	s_and_saveexec_b64 s[8:9], vcc
	s_cbranch_execnz .LBB340_16
; %bb.13:                               ;   in Loop: Header=BB340_4 Depth=1
	s_or_b64 exec, exec, s[8:9]
	s_and_saveexec_b64 s[8:9], s[0:1]
	s_cbranch_execnz .LBB340_17
.LBB340_14:                             ;   in Loop: Header=BB340_4 Depth=1
	s_or_b64 exec, exec, s[8:9]
	s_and_saveexec_b64 s[0:1], s[2:3]
	s_cbranch_execnz .LBB340_18
.LBB340_15:                             ;   in Loop: Header=BB340_4 Depth=1
	s_or_b64 exec, exec, s[0:1]
	s_and_saveexec_b64 s[0:1], s[6:7]
	s_cbranch_execz .LBB340_3
	s_branch .LBB340_19
.LBB340_16:                             ;   in Loop: Header=BB340_4 Depth=1
	v_mov_b32_e32 v18, s21
	v_add_co_u32_e32 v17, vcc, s20, v2
	v_addc_co_u32_e32 v18, vcc, v3, v18, vcc
	global_store_byte v[17:18], v16, off
	s_or_b64 exec, exec, s[8:9]
	s_and_saveexec_b64 s[8:9], s[0:1]
	s_cbranch_execz .LBB340_14
.LBB340_17:                             ;   in Loop: Header=BB340_4 Depth=1
	v_mov_b32_e32 v18, s21
	v_add_co_u32_e32 v17, vcc, s20, v12
	v_addc_co_u32_e32 v18, vcc, v13, v18, vcc
	v_lshrrev_b32_e32 v19, 8, v16
	global_store_byte v[17:18], v19, off
	s_or_b64 exec, exec, s[8:9]
	s_and_saveexec_b64 s[0:1], s[2:3]
	s_cbranch_execz .LBB340_15
.LBB340_18:                             ;   in Loop: Header=BB340_4 Depth=1
	v_mov_b32_e32 v18, s21
	v_add_co_u32_e32 v17, vcc, s20, v8
	v_addc_co_u32_e32 v18, vcc, v9, v18, vcc
	global_store_byte_d16_hi v[17:18], v16, off
	s_or_b64 exec, exec, s[0:1]
	s_and_saveexec_b64 s[0:1], s[6:7]
	s_cbranch_execz .LBB340_3
.LBB340_19:                             ;   in Loop: Header=BB340_4 Depth=1
	v_mov_b32_e32 v18, s21
	v_add_co_u32_e32 v17, vcc, s20, v4
	v_addc_co_u32_e32 v18, vcc, v5, v18, vcc
	v_lshrrev_b32_e32 v19, 24, v16
	global_store_byte v[17:18], v19, off
	s_branch .LBB340_3
.LBB340_20:
	s_cbranch_execz .LBB340_22
	s_branch .LBB340_25
.LBB340_21:
.LBB340_22:
	v_mov_b32_e32 v1, 0x10000
	v_mov_b32_e32 v2, 0
	v_cmp_lt_i64_e32 vcc, s[14:15], v[1:2]
	v_mov_b32_e32 v3, 0
	s_and_b64 s[0:1], vcc, exec
	s_cselect_b32 s1, s15, 0
	s_cselect_b32 s0, s14, 0x10000
	v_lshlrev_b32_e32 v2, 2, v0
	v_cmp_gt_i64_e32 vcc, s[0:1], v[2:3]
	s_and_saveexec_b64 s[2:3], vcc
	s_cbranch_execz .LBB340_25
; %bb.23:
	s_load_dword s2, s[4:5], 0xd3c
	v_mov_b32_e32 v1, v3
	s_waitcnt lgkmcnt(0)
	s_and_b32 s4, s2, 0xffff
	s_add_u32 s2, s10, s12
	s_addc_u32 s3, s11, s13
	v_mov_b32_e32 v5, s3
	v_add_co_u32_e32 v4, vcc, s2, v2
	v_addc_co_u32_e32 v5, vcc, 0, v5, vcc
	s_lshl_b32 s5, s4, 2
	s_mov_b64 s[2:3], 0
.LBB340_24:                             ; =>This Inner Loop Header: Depth=1
	global_load_dword v2, v[4:5], off
	v_add_co_u32_e32 v0, vcc, s4, v0
	v_addc_co_u32_e32 v1, vcc, 0, v1, vcc
	v_lshlrev_b64 v[6:7], 2, v[0:1]
	v_cmp_le_i64_e32 vcc, s[0:1], v[6:7]
	s_or_b64 s[2:3], vcc, s[2:3]
	s_waitcnt vmcnt(0)
	v_lshrrev_b32_e32 v6, 16, v2
	v_sub_u16_sdwa v7, v3, sext(v2) dst_sel:DWORD dst_unused:UNUSED_PAD src0_sel:DWORD src1_sel:BYTE_1
	v_sub_u16_sdwa v8, v3, sext(v2) dst_sel:DWORD dst_unused:UNUSED_PAD src0_sel:DWORD src1_sel:BYTE_0
	v_sub_u16_sdwa v9, v3, sext(v6) dst_sel:DWORD dst_unused:UNUSED_PAD src0_sel:DWORD src1_sel:BYTE_0
	v_sub_u16_sdwa v10, v3, sext(v6) dst_sel:DWORD dst_unused:UNUSED_PAD src0_sel:DWORD src1_sel:BYTE_1
	v_max_i16_sdwa v7, sext(v2), v7 dst_sel:BYTE_1 dst_unused:UNUSED_PAD src0_sel:BYTE_1 src1_sel:DWORD
	v_max_i16_sdwa v2, sext(v2), v8 dst_sel:DWORD dst_unused:UNUSED_PAD src0_sel:BYTE_0 src1_sel:DWORD
	v_max_i16_sdwa v8, sext(v6), v9 dst_sel:DWORD dst_unused:UNUSED_PAD src0_sel:BYTE_0 src1_sel:DWORD
	v_max_i16_sdwa v6, sext(v6), v10 dst_sel:BYTE_1 dst_unused:UNUSED_PAD src0_sel:BYTE_1 src1_sel:DWORD
	v_or_b32_e32 v2, v2, v7
	v_or_b32_sdwa v6, v8, v6 dst_sel:WORD_1 dst_unused:UNUSED_PAD src0_sel:DWORD src1_sel:DWORD
	v_or_b32_sdwa v2, v2, v6 dst_sel:DWORD dst_unused:UNUSED_PAD src0_sel:WORD_0 src1_sel:DWORD
	global_store_dword v[4:5], v2, off
	v_add_co_u32_e32 v4, vcc, s5, v4
	v_addc_co_u32_e32 v5, vcc, 0, v5, vcc
	s_andn2_b64 exec, exec, s[2:3]
	s_cbranch_execnz .LBB340_24
.LBB340_25:
	s_endpgm
	.section	.rodata,"a",@progbits
	.p2align	6, 0x0
	.amdhsa_kernel _ZN2at6native12_GLOBAL__N_125multi_tensor_apply_kernelINS1_18TensorListMetadataILi1EEENS1_14UnaryOpFunctorIaLi1ELi1ELi0EEEJNS0_3AbsIaEEEEEvT_T0_DpT1_
		.amdhsa_group_segment_fixed_size 0
		.amdhsa_private_segment_fixed_size 0
		.amdhsa_kernarg_size 3632
		.amdhsa_user_sgpr_count 6
		.amdhsa_user_sgpr_private_segment_buffer 1
		.amdhsa_user_sgpr_dispatch_ptr 0
		.amdhsa_user_sgpr_queue_ptr 0
		.amdhsa_user_sgpr_kernarg_segment_ptr 1
		.amdhsa_user_sgpr_dispatch_id 0
		.amdhsa_user_sgpr_flat_scratch_init 0
		.amdhsa_user_sgpr_private_segment_size 0
		.amdhsa_uses_dynamic_stack 0
		.amdhsa_system_sgpr_private_segment_wavefront_offset 0
		.amdhsa_system_sgpr_workgroup_id_x 1
		.amdhsa_system_sgpr_workgroup_id_y 0
		.amdhsa_system_sgpr_workgroup_id_z 0
		.amdhsa_system_sgpr_workgroup_info 0
		.amdhsa_system_vgpr_workitem_id 0
		.amdhsa_next_free_vgpr 20
		.amdhsa_next_free_sgpr 30
		.amdhsa_reserve_vcc 1
		.amdhsa_reserve_flat_scratch 0
		.amdhsa_float_round_mode_32 0
		.amdhsa_float_round_mode_16_64 0
		.amdhsa_float_denorm_mode_32 3
		.amdhsa_float_denorm_mode_16_64 3
		.amdhsa_dx10_clamp 1
		.amdhsa_ieee_mode 1
		.amdhsa_fp16_overflow 0
		.amdhsa_exception_fp_ieee_invalid_op 0
		.amdhsa_exception_fp_denorm_src 0
		.amdhsa_exception_fp_ieee_div_zero 0
		.amdhsa_exception_fp_ieee_overflow 0
		.amdhsa_exception_fp_ieee_underflow 0
		.amdhsa_exception_fp_ieee_inexact 0
		.amdhsa_exception_int_div_zero 0
	.end_amdhsa_kernel
	.section	.text._ZN2at6native12_GLOBAL__N_125multi_tensor_apply_kernelINS1_18TensorListMetadataILi1EEENS1_14UnaryOpFunctorIaLi1ELi1ELi0EEEJNS0_3AbsIaEEEEEvT_T0_DpT1_,"axG",@progbits,_ZN2at6native12_GLOBAL__N_125multi_tensor_apply_kernelINS1_18TensorListMetadataILi1EEENS1_14UnaryOpFunctorIaLi1ELi1ELi0EEEJNS0_3AbsIaEEEEEvT_T0_DpT1_,comdat
.Lfunc_end340:
	.size	_ZN2at6native12_GLOBAL__N_125multi_tensor_apply_kernelINS1_18TensorListMetadataILi1EEENS1_14UnaryOpFunctorIaLi1ELi1ELi0EEEJNS0_3AbsIaEEEEEvT_T0_DpT1_, .Lfunc_end340-_ZN2at6native12_GLOBAL__N_125multi_tensor_apply_kernelINS1_18TensorListMetadataILi1EEENS1_14UnaryOpFunctorIaLi1ELi1ELi0EEEJNS0_3AbsIaEEEEEvT_T0_DpT1_
                                        ; -- End function
	.set _ZN2at6native12_GLOBAL__N_125multi_tensor_apply_kernelINS1_18TensorListMetadataILi1EEENS1_14UnaryOpFunctorIaLi1ELi1ELi0EEEJNS0_3AbsIaEEEEEvT_T0_DpT1_.num_vgpr, 20
	.set _ZN2at6native12_GLOBAL__N_125multi_tensor_apply_kernelINS1_18TensorListMetadataILi1EEENS1_14UnaryOpFunctorIaLi1ELi1ELi0EEEJNS0_3AbsIaEEEEEvT_T0_DpT1_.num_agpr, 0
	.set _ZN2at6native12_GLOBAL__N_125multi_tensor_apply_kernelINS1_18TensorListMetadataILi1EEENS1_14UnaryOpFunctorIaLi1ELi1ELi0EEEJNS0_3AbsIaEEEEEvT_T0_DpT1_.numbered_sgpr, 30
	.set _ZN2at6native12_GLOBAL__N_125multi_tensor_apply_kernelINS1_18TensorListMetadataILi1EEENS1_14UnaryOpFunctorIaLi1ELi1ELi0EEEJNS0_3AbsIaEEEEEvT_T0_DpT1_.num_named_barrier, 0
	.set _ZN2at6native12_GLOBAL__N_125multi_tensor_apply_kernelINS1_18TensorListMetadataILi1EEENS1_14UnaryOpFunctorIaLi1ELi1ELi0EEEJNS0_3AbsIaEEEEEvT_T0_DpT1_.private_seg_size, 0
	.set _ZN2at6native12_GLOBAL__N_125multi_tensor_apply_kernelINS1_18TensorListMetadataILi1EEENS1_14UnaryOpFunctorIaLi1ELi1ELi0EEEJNS0_3AbsIaEEEEEvT_T0_DpT1_.uses_vcc, 1
	.set _ZN2at6native12_GLOBAL__N_125multi_tensor_apply_kernelINS1_18TensorListMetadataILi1EEENS1_14UnaryOpFunctorIaLi1ELi1ELi0EEEJNS0_3AbsIaEEEEEvT_T0_DpT1_.uses_flat_scratch, 0
	.set _ZN2at6native12_GLOBAL__N_125multi_tensor_apply_kernelINS1_18TensorListMetadataILi1EEENS1_14UnaryOpFunctorIaLi1ELi1ELi0EEEJNS0_3AbsIaEEEEEvT_T0_DpT1_.has_dyn_sized_stack, 0
	.set _ZN2at6native12_GLOBAL__N_125multi_tensor_apply_kernelINS1_18TensorListMetadataILi1EEENS1_14UnaryOpFunctorIaLi1ELi1ELi0EEEJNS0_3AbsIaEEEEEvT_T0_DpT1_.has_recursion, 0
	.set _ZN2at6native12_GLOBAL__N_125multi_tensor_apply_kernelINS1_18TensorListMetadataILi1EEENS1_14UnaryOpFunctorIaLi1ELi1ELi0EEEJNS0_3AbsIaEEEEEvT_T0_DpT1_.has_indirect_call, 0
	.section	.AMDGPU.csdata,"",@progbits
; Kernel info:
; codeLenInByte = 1312
; TotalNumSgprs: 34
; NumVgprs: 20
; ScratchSize: 0
; MemoryBound: 0
; FloatMode: 240
; IeeeMode: 1
; LDSByteSize: 0 bytes/workgroup (compile time only)
; SGPRBlocks: 4
; VGPRBlocks: 4
; NumSGPRsForWavesPerEU: 34
; NumVGPRsForWavesPerEU: 20
; Occupancy: 10
; WaveLimiterHint : 0
; COMPUTE_PGM_RSRC2:SCRATCH_EN: 0
; COMPUTE_PGM_RSRC2:USER_SGPR: 6
; COMPUTE_PGM_RSRC2:TRAP_HANDLER: 0
; COMPUTE_PGM_RSRC2:TGID_X_EN: 1
; COMPUTE_PGM_RSRC2:TGID_Y_EN: 0
; COMPUTE_PGM_RSRC2:TGID_Z_EN: 0
; COMPUTE_PGM_RSRC2:TIDIG_COMP_CNT: 0
	.section	.text._ZN2at6native12_GLOBAL__N_125multi_tensor_apply_kernelINS1_18TensorListMetadataILi1EEENS1_14UnaryOpFunctorIiLi1ELi1ELi0EEEJNS0_3AbsIiEEEEEvT_T0_DpT1_,"axG",@progbits,_ZN2at6native12_GLOBAL__N_125multi_tensor_apply_kernelINS1_18TensorListMetadataILi1EEENS1_14UnaryOpFunctorIiLi1ELi1ELi0EEEJNS0_3AbsIiEEEEEvT_T0_DpT1_,comdat
	.globl	_ZN2at6native12_GLOBAL__N_125multi_tensor_apply_kernelINS1_18TensorListMetadataILi1EEENS1_14UnaryOpFunctorIiLi1ELi1ELi0EEEJNS0_3AbsIiEEEEEvT_T0_DpT1_ ; -- Begin function _ZN2at6native12_GLOBAL__N_125multi_tensor_apply_kernelINS1_18TensorListMetadataILi1EEENS1_14UnaryOpFunctorIiLi1ELi1ELi0EEEJNS0_3AbsIiEEEEEvT_T0_DpT1_
	.p2align	8
	.type	_ZN2at6native12_GLOBAL__N_125multi_tensor_apply_kernelINS1_18TensorListMetadataILi1EEENS1_14UnaryOpFunctorIiLi1ELi1ELi0EEEJNS0_3AbsIiEEEEEvT_T0_DpT1_,@function
_ZN2at6native12_GLOBAL__N_125multi_tensor_apply_kernelINS1_18TensorListMetadataILi1EEENS1_14UnaryOpFunctorIiLi1ELi1ELi0EEEJNS0_3AbsIiEEEEEvT_T0_DpT1_: ; @_ZN2at6native12_GLOBAL__N_125multi_tensor_apply_kernelINS1_18TensorListMetadataILi1EEENS1_14UnaryOpFunctorIiLi1ELi1ELi0EEEJNS0_3AbsIiEEEEEvT_T0_DpT1_
; %bb.0:
	v_mov_b32_e32 v1, s6
	global_load_ubyte v1, v1, s[4:5] offset:1760
	s_add_u32 s0, s4, s6
	s_mul_hi_u32 s1, s6, 3
	s_mul_i32 s6, s6, 3
	s_addc_u32 s2, s5, 0
	s_add_u32 s0, s0, s6
	s_addc_u32 s1, s2, s1
	s_load_dword s0, s[0:1], 0x820
	s_mov_b32 s7, 0
	s_waitcnt vmcnt(0)
	v_readfirstlane_b32 s1, v1
	s_lshl_b32 s1, s1, 3
	s_load_dwordx2 s[2:3], s[4:5], s1 offset:0x370
	s_load_dwordx2 s[10:11], s[4:5], s1 offset:0x0
	s_waitcnt lgkmcnt(0)
	s_ashr_i32 s1, s0, 31
	s_lshl_b64 s[12:13], s[0:1], 18
	s_lshl_b64 s[0:1], s[0:1], 16
	s_and_b32 s6, s10, 15
	s_sub_u32 s14, s2, s0
	s_subb_u32 s15, s3, s1
	s_and_b32 s0, s2, 3
	s_mov_b32 s1, s7
	s_or_b64 s[0:1], s[6:7], s[0:1]
	s_cmp_eq_u64 s[0:1], 0
	s_cbranch_scc1 .LBB341_21
; %bb.1:
	v_cmp_lt_i64_e64 s[0:1], s[14:15], 1
	s_and_b64 vcc, exec, s[0:1]
	s_cbranch_vccnz .LBB341_20
; %bb.2:
	v_mov_b32_e32 v1, 0x10000
	s_load_dword s2, s[4:5], 0xd3c
	v_mov_b32_e32 v2, 0
	v_cmp_lt_i64_e32 vcc, s[14:15], v[1:2]
	s_mov_b64 s[20:21], 0
	s_and_b64 s[0:1], vcc, exec
	v_cmp_lt_u64_e32 vcc, s[14:15], v[1:2]
	s_cselect_b32 s17, s15, 0
	s_cselect_b32 s16, s14, 0x10000
	s_waitcnt lgkmcnt(0)
	s_and_b32 s2, s2, 0xffff
	s_and_b64 s[0:1], vcc, exec
	s_cselect_b32 s19, s15, 0
	s_cselect_b32 s18, s14, 0x10000
	s_lshl_b32 s3, s2, 1
	s_lshl_b32 s24, s2, 2
	s_add_u32 s6, s10, s12
	v_lshlrev_b32_e32 v1, 2, v0
	s_addc_u32 s7, s11, s13
	v_mov_b32_e32 v2, s7
	v_add_co_u32_e32 v1, vcc, s6, v1
	s_mul_i32 s0, s2, 3
	v_addc_co_u32_e32 v2, vcc, 0, v2, vcc
	v_add_co_u32_e32 v5, vcc, s0, v0
	v_addc_co_u32_e64 v6, s[0:1], 0, 0, vcc
	v_add_co_u32_e32 v7, vcc, s3, v0
	v_addc_co_u32_e64 v8, s[0:1], 0, 0, vcc
	v_add_co_u32_e32 v9, vcc, s2, v0
	v_lshlrev_b32_e32 v3, 2, v9
	v_addc_co_u32_e64 v10, s[0:1], 0, 0, vcc
	v_mov_b32_e32 v4, s7
	v_add_co_u32_e32 v3, vcc, s6, v3
	s_lshl_b32 s25, s2, 4
	s_mul_i32 s26, s2, 12
	s_lshl_b32 s27, s2, 3
	v_addc_co_u32_e32 v4, vcc, 0, v4, vcc
	s_branch .LBB341_4
.LBB341_3:                              ;   in Loop: Header=BB341_4 Depth=1
	s_or_b64 exec, exec, s[0:1]
	s_add_u32 s20, s20, s24
	v_add_co_u32_e32 v1, vcc, s25, v1
	v_mov_b32_e32 v11, s16
	s_addc_u32 s21, s21, 0
	v_addc_co_u32_e32 v2, vcc, 0, v2, vcc
	v_mov_b32_e32 v12, s17
	v_cmp_lt_i64_e32 vcc, s[20:21], v[11:12]
	v_add_co_u32_e64 v3, s[0:1], s25, v3
	v_addc_co_u32_e64 v4, s[0:1], 0, v4, s[0:1]
	s_cbranch_vccz .LBB341_20
.LBB341_4:                              ; =>This Inner Loop Header: Depth=1
	v_mov_b32_e32 v12, s21
	v_add_co_u32_e32 v11, vcc, s20, v0
	v_addc_co_u32_e32 v12, vcc, 0, v12, vcc
	v_cmp_gt_u64_e32 vcc, s[18:19], v[11:12]
	v_mov_b32_e32 v11, 0
	s_and_saveexec_b64 s[0:1], vcc
	s_cbranch_execz .LBB341_6
; %bb.5:                                ;   in Loop: Header=BB341_4 Depth=1
	global_load_dword v11, v[1:2], off
	s_waitcnt vmcnt(0)
	v_sub_u32_e32 v12, 0, v11
	v_max_i32_e32 v11, v11, v12
.LBB341_6:                              ;   in Loop: Header=BB341_4 Depth=1
	s_or_b64 exec, exec, s[0:1]
	v_mov_b32_e32 v13, s21
	v_add_co_u32_e64 v12, s[0:1], s20, v9
	v_addc_co_u32_e64 v13, s[0:1], v10, v13, s[0:1]
	v_cmp_gt_u64_e64 s[0:1], s[18:19], v[12:13]
	v_mov_b32_e32 v12, 0
	v_mov_b32_e32 v13, 0
	s_and_saveexec_b64 s[2:3], s[0:1]
	s_cbranch_execz .LBB341_8
; %bb.7:                                ;   in Loop: Header=BB341_4 Depth=1
	global_load_dword v13, v[3:4], off
	s_waitcnt vmcnt(0)
	v_sub_u32_e32 v14, 0, v13
	v_max_i32_e32 v13, v13, v14
.LBB341_8:                              ;   in Loop: Header=BB341_4 Depth=1
	s_or_b64 exec, exec, s[2:3]
	v_mov_b32_e32 v15, s21
	v_add_co_u32_e64 v14, s[2:3], s20, v7
	v_addc_co_u32_e64 v15, s[2:3], v8, v15, s[2:3]
	v_cmp_gt_u64_e64 s[2:3], s[18:19], v[14:15]
	s_and_saveexec_b64 s[8:9], s[2:3]
	s_cbranch_execz .LBB341_10
; %bb.9:                                ;   in Loop: Header=BB341_4 Depth=1
	v_add_co_u32_e64 v14, s[6:7], s27, v1
	v_addc_co_u32_e64 v15, s[6:7], 0, v2, s[6:7]
	global_load_dword v12, v[14:15], off
	s_waitcnt vmcnt(0)
	v_sub_u32_e32 v14, 0, v12
	v_max_i32_e32 v12, v12, v14
.LBB341_10:                             ;   in Loop: Header=BB341_4 Depth=1
	s_or_b64 exec, exec, s[8:9]
	v_mov_b32_e32 v15, s21
	v_add_co_u32_e64 v14, s[6:7], s20, v5
	v_addc_co_u32_e64 v15, s[6:7], v6, v15, s[6:7]
	v_cmp_gt_u64_e64 s[6:7], s[18:19], v[14:15]
	v_mov_b32_e32 v14, 0
	s_and_saveexec_b64 s[22:23], s[6:7]
	s_cbranch_execnz .LBB341_15
; %bb.11:                               ;   in Loop: Header=BB341_4 Depth=1
	s_or_b64 exec, exec, s[22:23]
	s_and_saveexec_b64 s[8:9], vcc
	s_cbranch_execnz .LBB341_16
.LBB341_12:                             ;   in Loop: Header=BB341_4 Depth=1
	s_or_b64 exec, exec, s[8:9]
	s_and_saveexec_b64 s[8:9], s[0:1]
	s_cbranch_execnz .LBB341_17
.LBB341_13:                             ;   in Loop: Header=BB341_4 Depth=1
	s_or_b64 exec, exec, s[8:9]
	s_and_saveexec_b64 s[0:1], s[2:3]
	s_cbranch_execnz .LBB341_18
.LBB341_14:                             ;   in Loop: Header=BB341_4 Depth=1
	s_or_b64 exec, exec, s[0:1]
	s_and_saveexec_b64 s[0:1], s[6:7]
	s_cbranch_execz .LBB341_3
	s_branch .LBB341_19
.LBB341_15:                             ;   in Loop: Header=BB341_4 Depth=1
	v_add_co_u32_e64 v14, s[8:9], s26, v1
	v_addc_co_u32_e64 v15, s[8:9], 0, v2, s[8:9]
	global_load_dword v14, v[14:15], off
	s_waitcnt vmcnt(0)
	v_sub_u32_e32 v15, 0, v14
	v_max_i32_e32 v14, v14, v15
	s_or_b64 exec, exec, s[22:23]
	s_and_saveexec_b64 s[8:9], vcc
	s_cbranch_execz .LBB341_12
.LBB341_16:                             ;   in Loop: Header=BB341_4 Depth=1
	global_store_dword v[1:2], v11, off
	s_or_b64 exec, exec, s[8:9]
	s_and_saveexec_b64 s[8:9], s[0:1]
	s_cbranch_execz .LBB341_13
.LBB341_17:                             ;   in Loop: Header=BB341_4 Depth=1
	global_store_dword v[3:4], v13, off
	s_or_b64 exec, exec, s[8:9]
	s_and_saveexec_b64 s[0:1], s[2:3]
	s_cbranch_execz .LBB341_14
.LBB341_18:                             ;   in Loop: Header=BB341_4 Depth=1
	v_add_co_u32_e32 v15, vcc, s27, v1
	v_addc_co_u32_e32 v16, vcc, 0, v2, vcc
	global_store_dword v[15:16], v12, off
	s_or_b64 exec, exec, s[0:1]
	s_and_saveexec_b64 s[0:1], s[6:7]
	s_cbranch_execz .LBB341_3
.LBB341_19:                             ;   in Loop: Header=BB341_4 Depth=1
	v_add_co_u32_e32 v11, vcc, s26, v1
	v_addc_co_u32_e32 v12, vcc, 0, v2, vcc
	global_store_dword v[11:12], v14, off
	s_branch .LBB341_3
.LBB341_20:
	s_cbranch_execz .LBB341_22
	s_branch .LBB341_25
.LBB341_21:
.LBB341_22:
	v_mov_b32_e32 v1, 0x10000
	v_mov_b32_e32 v2, 0
	v_cmp_lt_i64_e32 vcc, s[14:15], v[1:2]
	v_mov_b32_e32 v2, 0
	s_and_b64 s[0:1], vcc, exec
	s_cselect_b32 s1, s15, 0
	s_cselect_b32 s0, s14, 0x10000
	v_lshlrev_b32_e32 v1, 2, v0
	v_cmp_gt_i64_e32 vcc, s[0:1], v[1:2]
	s_and_saveexec_b64 s[2:3], vcc
	s_cbranch_execz .LBB341_25
; %bb.23:
	s_load_dword s2, s[4:5], 0xd3c
	v_mov_b32_e32 v1, v2
	v_lshlrev_b32_e32 v2, 4, v0
	s_waitcnt lgkmcnt(0)
	s_and_b32 s4, s2, 0xffff
	s_add_u32 s2, s10, s12
	s_addc_u32 s3, s11, s13
	v_mov_b32_e32 v3, s3
	v_add_co_u32_e32 v2, vcc, s2, v2
	v_addc_co_u32_e32 v3, vcc, 0, v3, vcc
	v_add_co_u32_e32 v2, vcc, 8, v2
	v_addc_co_u32_e32 v3, vcc, 0, v3, vcc
	s_lshl_b32 s5, s4, 4
	s_mov_b64 s[2:3], 0
.LBB341_24:                             ; =>This Inner Loop Header: Depth=1
	global_load_dwordx4 v[4:7], v[2:3], off offset:-8
	v_add_co_u32_e32 v0, vcc, s4, v0
	v_addc_co_u32_e32 v1, vcc, 0, v1, vcc
	v_lshlrev_b64 v[8:9], 2, v[0:1]
	v_cmp_le_i64_e32 vcc, s[0:1], v[8:9]
	s_or_b64 s[2:3], vcc, s[2:3]
	s_waitcnt vmcnt(0)
	v_sub_u32_e32 v8, 0, v4
	v_sub_u32_e32 v9, 0, v5
	;; [unrolled: 1-line block ×4, first 2 shown]
	v_max_i32_e32 v4, v4, v8
	v_max_i32_e32 v5, v5, v9
	;; [unrolled: 1-line block ×4, first 2 shown]
	global_store_dwordx4 v[2:3], v[4:7], off offset:-8
	v_add_co_u32_e32 v2, vcc, s5, v2
	v_addc_co_u32_e32 v3, vcc, 0, v3, vcc
	s_andn2_b64 exec, exec, s[2:3]
	s_cbranch_execnz .LBB341_24
.LBB341_25:
	s_endpgm
	.section	.rodata,"a",@progbits
	.p2align	6, 0x0
	.amdhsa_kernel _ZN2at6native12_GLOBAL__N_125multi_tensor_apply_kernelINS1_18TensorListMetadataILi1EEENS1_14UnaryOpFunctorIiLi1ELi1ELi0EEEJNS0_3AbsIiEEEEEvT_T0_DpT1_
		.amdhsa_group_segment_fixed_size 0
		.amdhsa_private_segment_fixed_size 0
		.amdhsa_kernarg_size 3632
		.amdhsa_user_sgpr_count 6
		.amdhsa_user_sgpr_private_segment_buffer 1
		.amdhsa_user_sgpr_dispatch_ptr 0
		.amdhsa_user_sgpr_queue_ptr 0
		.amdhsa_user_sgpr_kernarg_segment_ptr 1
		.amdhsa_user_sgpr_dispatch_id 0
		.amdhsa_user_sgpr_flat_scratch_init 0
		.amdhsa_user_sgpr_private_segment_size 0
		.amdhsa_uses_dynamic_stack 0
		.amdhsa_system_sgpr_private_segment_wavefront_offset 0
		.amdhsa_system_sgpr_workgroup_id_x 1
		.amdhsa_system_sgpr_workgroup_id_y 0
		.amdhsa_system_sgpr_workgroup_id_z 0
		.amdhsa_system_sgpr_workgroup_info 0
		.amdhsa_system_vgpr_workitem_id 0
		.amdhsa_next_free_vgpr 17
		.amdhsa_next_free_sgpr 28
		.amdhsa_reserve_vcc 1
		.amdhsa_reserve_flat_scratch 0
		.amdhsa_float_round_mode_32 0
		.amdhsa_float_round_mode_16_64 0
		.amdhsa_float_denorm_mode_32 3
		.amdhsa_float_denorm_mode_16_64 3
		.amdhsa_dx10_clamp 1
		.amdhsa_ieee_mode 1
		.amdhsa_fp16_overflow 0
		.amdhsa_exception_fp_ieee_invalid_op 0
		.amdhsa_exception_fp_denorm_src 0
		.amdhsa_exception_fp_ieee_div_zero 0
		.amdhsa_exception_fp_ieee_overflow 0
		.amdhsa_exception_fp_ieee_underflow 0
		.amdhsa_exception_fp_ieee_inexact 0
		.amdhsa_exception_int_div_zero 0
	.end_amdhsa_kernel
	.section	.text._ZN2at6native12_GLOBAL__N_125multi_tensor_apply_kernelINS1_18TensorListMetadataILi1EEENS1_14UnaryOpFunctorIiLi1ELi1ELi0EEEJNS0_3AbsIiEEEEEvT_T0_DpT1_,"axG",@progbits,_ZN2at6native12_GLOBAL__N_125multi_tensor_apply_kernelINS1_18TensorListMetadataILi1EEENS1_14UnaryOpFunctorIiLi1ELi1ELi0EEEJNS0_3AbsIiEEEEEvT_T0_DpT1_,comdat
.Lfunc_end341:
	.size	_ZN2at6native12_GLOBAL__N_125multi_tensor_apply_kernelINS1_18TensorListMetadataILi1EEENS1_14UnaryOpFunctorIiLi1ELi1ELi0EEEJNS0_3AbsIiEEEEEvT_T0_DpT1_, .Lfunc_end341-_ZN2at6native12_GLOBAL__N_125multi_tensor_apply_kernelINS1_18TensorListMetadataILi1EEENS1_14UnaryOpFunctorIiLi1ELi1ELi0EEEJNS0_3AbsIiEEEEEvT_T0_DpT1_
                                        ; -- End function
	.set _ZN2at6native12_GLOBAL__N_125multi_tensor_apply_kernelINS1_18TensorListMetadataILi1EEENS1_14UnaryOpFunctorIiLi1ELi1ELi0EEEJNS0_3AbsIiEEEEEvT_T0_DpT1_.num_vgpr, 17
	.set _ZN2at6native12_GLOBAL__N_125multi_tensor_apply_kernelINS1_18TensorListMetadataILi1EEENS1_14UnaryOpFunctorIiLi1ELi1ELi0EEEJNS0_3AbsIiEEEEEvT_T0_DpT1_.num_agpr, 0
	.set _ZN2at6native12_GLOBAL__N_125multi_tensor_apply_kernelINS1_18TensorListMetadataILi1EEENS1_14UnaryOpFunctorIiLi1ELi1ELi0EEEJNS0_3AbsIiEEEEEvT_T0_DpT1_.numbered_sgpr, 28
	.set _ZN2at6native12_GLOBAL__N_125multi_tensor_apply_kernelINS1_18TensorListMetadataILi1EEENS1_14UnaryOpFunctorIiLi1ELi1ELi0EEEJNS0_3AbsIiEEEEEvT_T0_DpT1_.num_named_barrier, 0
	.set _ZN2at6native12_GLOBAL__N_125multi_tensor_apply_kernelINS1_18TensorListMetadataILi1EEENS1_14UnaryOpFunctorIiLi1ELi1ELi0EEEJNS0_3AbsIiEEEEEvT_T0_DpT1_.private_seg_size, 0
	.set _ZN2at6native12_GLOBAL__N_125multi_tensor_apply_kernelINS1_18TensorListMetadataILi1EEENS1_14UnaryOpFunctorIiLi1ELi1ELi0EEEJNS0_3AbsIiEEEEEvT_T0_DpT1_.uses_vcc, 1
	.set _ZN2at6native12_GLOBAL__N_125multi_tensor_apply_kernelINS1_18TensorListMetadataILi1EEENS1_14UnaryOpFunctorIiLi1ELi1ELi0EEEJNS0_3AbsIiEEEEEvT_T0_DpT1_.uses_flat_scratch, 0
	.set _ZN2at6native12_GLOBAL__N_125multi_tensor_apply_kernelINS1_18TensorListMetadataILi1EEENS1_14UnaryOpFunctorIiLi1ELi1ELi0EEEJNS0_3AbsIiEEEEEvT_T0_DpT1_.has_dyn_sized_stack, 0
	.set _ZN2at6native12_GLOBAL__N_125multi_tensor_apply_kernelINS1_18TensorListMetadataILi1EEENS1_14UnaryOpFunctorIiLi1ELi1ELi0EEEJNS0_3AbsIiEEEEEvT_T0_DpT1_.has_recursion, 0
	.set _ZN2at6native12_GLOBAL__N_125multi_tensor_apply_kernelINS1_18TensorListMetadataILi1EEENS1_14UnaryOpFunctorIiLi1ELi1ELi0EEEJNS0_3AbsIiEEEEEvT_T0_DpT1_.has_indirect_call, 0
	.section	.AMDGPU.csdata,"",@progbits
; Kernel info:
; codeLenInByte = 1016
; TotalNumSgprs: 32
; NumVgprs: 17
; ScratchSize: 0
; MemoryBound: 0
; FloatMode: 240
; IeeeMode: 1
; LDSByteSize: 0 bytes/workgroup (compile time only)
; SGPRBlocks: 3
; VGPRBlocks: 4
; NumSGPRsForWavesPerEU: 32
; NumVGPRsForWavesPerEU: 17
; Occupancy: 10
; WaveLimiterHint : 0
; COMPUTE_PGM_RSRC2:SCRATCH_EN: 0
; COMPUTE_PGM_RSRC2:USER_SGPR: 6
; COMPUTE_PGM_RSRC2:TRAP_HANDLER: 0
; COMPUTE_PGM_RSRC2:TGID_X_EN: 1
; COMPUTE_PGM_RSRC2:TGID_Y_EN: 0
; COMPUTE_PGM_RSRC2:TGID_Z_EN: 0
; COMPUTE_PGM_RSRC2:TIDIG_COMP_CNT: 0
	.section	.text._ZN2at6native12_GLOBAL__N_125multi_tensor_apply_kernelINS1_18TensorListMetadataILi1EEENS1_14UnaryOpFunctorIlLi1ELi1ELi0EEEJNS0_3AbsIlEEEEEvT_T0_DpT1_,"axG",@progbits,_ZN2at6native12_GLOBAL__N_125multi_tensor_apply_kernelINS1_18TensorListMetadataILi1EEENS1_14UnaryOpFunctorIlLi1ELi1ELi0EEEJNS0_3AbsIlEEEEEvT_T0_DpT1_,comdat
	.globl	_ZN2at6native12_GLOBAL__N_125multi_tensor_apply_kernelINS1_18TensorListMetadataILi1EEENS1_14UnaryOpFunctorIlLi1ELi1ELi0EEEJNS0_3AbsIlEEEEEvT_T0_DpT1_ ; -- Begin function _ZN2at6native12_GLOBAL__N_125multi_tensor_apply_kernelINS1_18TensorListMetadataILi1EEENS1_14UnaryOpFunctorIlLi1ELi1ELi0EEEJNS0_3AbsIlEEEEEvT_T0_DpT1_
	.p2align	8
	.type	_ZN2at6native12_GLOBAL__N_125multi_tensor_apply_kernelINS1_18TensorListMetadataILi1EEENS1_14UnaryOpFunctorIlLi1ELi1ELi0EEEJNS0_3AbsIlEEEEEvT_T0_DpT1_,@function
_ZN2at6native12_GLOBAL__N_125multi_tensor_apply_kernelINS1_18TensorListMetadataILi1EEENS1_14UnaryOpFunctorIlLi1ELi1ELi0EEEJNS0_3AbsIlEEEEEvT_T0_DpT1_: ; @_ZN2at6native12_GLOBAL__N_125multi_tensor_apply_kernelINS1_18TensorListMetadataILi1EEENS1_14UnaryOpFunctorIlLi1ELi1ELi0EEEJNS0_3AbsIlEEEEEvT_T0_DpT1_
; %bb.0:
	v_mov_b32_e32 v1, s6
	global_load_ubyte v1, v1, s[4:5] offset:1760
	s_add_u32 s0, s4, s6
	s_mul_hi_u32 s1, s6, 3
	s_mul_i32 s6, s6, 3
	s_addc_u32 s2, s5, 0
	s_add_u32 s0, s0, s6
	s_addc_u32 s1, s2, s1
	s_load_dword s0, s[0:1], 0x820
	s_mov_b32 s7, 0
	s_waitcnt vmcnt(0)
	v_readfirstlane_b32 s1, v1
	s_lshl_b32 s1, s1, 3
	s_load_dwordx2 s[2:3], s[4:5], s1 offset:0x370
	s_load_dwordx2 s[10:11], s[4:5], s1 offset:0x0
	s_waitcnt lgkmcnt(0)
	s_ashr_i32 s1, s0, 31
	s_lshl_b64 s[12:13], s[0:1], 19
	s_lshl_b64 s[0:1], s[0:1], 16
	s_and_b32 s6, s10, 31
	s_sub_u32 s14, s2, s0
	s_subb_u32 s15, s3, s1
	s_and_b32 s0, s2, 3
	s_mov_b32 s1, s7
	s_or_b64 s[0:1], s[6:7], s[0:1]
	s_cmp_eq_u64 s[0:1], 0
	s_cbranch_scc1 .LBB342_21
; %bb.1:
	v_cmp_lt_i64_e64 s[0:1], s[14:15], 1
	s_and_b64 vcc, exec, s[0:1]
	s_cbranch_vccnz .LBB342_20
; %bb.2:
	v_mov_b32_e32 v1, 0x10000
	s_load_dword s2, s[4:5], 0xd3c
	v_mov_b32_e32 v2, 0
	v_cmp_lt_i64_e32 vcc, s[14:15], v[1:2]
	s_mov_b64 s[20:21], 0
	s_and_b64 s[0:1], vcc, exec
	v_cmp_lt_u64_e32 vcc, s[14:15], v[1:2]
	s_cselect_b32 s17, s15, 0
	s_cselect_b32 s16, s14, 0x10000
	s_waitcnt lgkmcnt(0)
	s_and_b32 s2, s2, 0xffff
	s_and_b64 s[0:1], vcc, exec
	s_cselect_b32 s19, s15, 0
	s_cselect_b32 s18, s14, 0x10000
	s_lshl_b32 s3, s2, 1
	s_lshl_b32 s24, s2, 2
	s_add_u32 s6, s10, s12
	v_lshlrev_b32_e32 v1, 3, v0
	s_addc_u32 s7, s11, s13
	v_mov_b32_e32 v2, s7
	v_add_co_u32_e32 v1, vcc, s6, v1
	s_mul_i32 s0, s2, 3
	v_addc_co_u32_e32 v2, vcc, 0, v2, vcc
	v_add_co_u32_e32 v13, vcc, s0, v0
	v_addc_co_u32_e64 v14, s[0:1], 0, 0, vcc
	v_add_co_u32_e32 v15, vcc, s3, v0
	v_addc_co_u32_e64 v16, s[0:1], 0, 0, vcc
	v_add_co_u32_e32 v17, vcc, s2, v0
	v_lshlrev_b32_e32 v3, 3, v17
	v_addc_co_u32_e64 v18, s[0:1], 0, 0, vcc
	v_mov_b32_e32 v4, s7
	v_add_co_u32_e32 v3, vcc, s6, v3
	s_lshl_b32 s25, s2, 5
	s_mul_i32 s26, s2, 24
	s_lshl_b32 s27, s2, 4
	v_addc_co_u32_e32 v4, vcc, 0, v4, vcc
	s_branch .LBB342_4
.LBB342_3:                              ;   in Loop: Header=BB342_4 Depth=1
	s_or_b64 exec, exec, s[0:1]
	s_add_u32 s20, s20, s24
	v_add_co_u32_e32 v1, vcc, s25, v1
	v_mov_b32_e32 v5, s16
	s_addc_u32 s21, s21, 0
	v_addc_co_u32_e32 v2, vcc, 0, v2, vcc
	v_mov_b32_e32 v6, s17
	v_cmp_lt_i64_e32 vcc, s[20:21], v[5:6]
	v_add_co_u32_e64 v3, s[0:1], s25, v3
	v_addc_co_u32_e64 v4, s[0:1], 0, v4, s[0:1]
	s_cbranch_vccz .LBB342_20
.LBB342_4:                              ; =>This Inner Loop Header: Depth=1
	v_mov_b32_e32 v6, s21
	v_add_co_u32_e32 v5, vcc, s20, v0
	v_addc_co_u32_e32 v6, vcc, 0, v6, vcc
	v_cmp_gt_u64_e32 vcc, s[18:19], v[5:6]
	v_mov_b32_e32 v5, 0
	v_mov_b32_e32 v7, 0
	;; [unrolled: 1-line block ×4, first 2 shown]
	s_and_saveexec_b64 s[2:3], vcc
	s_cbranch_execz .LBB342_6
; %bb.5:                                ;   in Loop: Header=BB342_4 Depth=1
	global_load_dwordx2 v[7:8], v[1:2], off
	s_waitcnt vmcnt(0)
	v_ashrrev_i32_e32 v9, 31, v8
	v_xor_b32_e32 v7, v7, v9
	v_xor_b32_e32 v8, v8, v9
	v_sub_co_u32_e64 v7, s[0:1], v7, v9
	v_subb_co_u32_e64 v8, s[0:1], v8, v9, s[0:1]
.LBB342_6:                              ;   in Loop: Header=BB342_4 Depth=1
	s_or_b64 exec, exec, s[2:3]
	v_mov_b32_e32 v10, s21
	v_add_co_u32_e64 v9, s[0:1], s20, v17
	v_addc_co_u32_e64 v10, s[0:1], v18, v10, s[0:1]
	v_cmp_gt_u64_e64 s[0:1], s[18:19], v[9:10]
	s_and_saveexec_b64 s[6:7], s[0:1]
	s_cbranch_execz .LBB342_8
; %bb.7:                                ;   in Loop: Header=BB342_4 Depth=1
	global_load_dwordx2 v[5:6], v[3:4], off
	s_waitcnt vmcnt(0)
	v_ashrrev_i32_e32 v9, 31, v6
	v_xor_b32_e32 v5, v5, v9
	v_xor_b32_e32 v6, v6, v9
	v_sub_co_u32_e64 v5, s[2:3], v5, v9
	v_subb_co_u32_e64 v6, s[2:3], v6, v9, s[2:3]
.LBB342_8:                              ;   in Loop: Header=BB342_4 Depth=1
	s_or_b64 exec, exec, s[6:7]
	v_mov_b32_e32 v10, s21
	v_add_co_u32_e64 v9, s[2:3], s20, v15
	v_addc_co_u32_e64 v10, s[2:3], v16, v10, s[2:3]
	v_cmp_gt_u64_e64 s[2:3], s[18:19], v[9:10]
	v_mov_b32_e32 v9, 0
	v_mov_b32_e32 v11, 0
	;; [unrolled: 1-line block ×4, first 2 shown]
	s_and_saveexec_b64 s[8:9], s[2:3]
	s_cbranch_execz .LBB342_10
; %bb.9:                                ;   in Loop: Header=BB342_4 Depth=1
	v_add_co_u32_e64 v11, s[6:7], s27, v1
	v_addc_co_u32_e64 v12, s[6:7], 0, v2, s[6:7]
	global_load_dwordx2 v[11:12], v[11:12], off
	s_waitcnt vmcnt(0)
	v_ashrrev_i32_e32 v19, 31, v12
	v_xor_b32_e32 v11, v11, v19
	v_xor_b32_e32 v12, v12, v19
	v_sub_co_u32_e64 v11, s[6:7], v11, v19
	v_subb_co_u32_e64 v12, s[6:7], v12, v19, s[6:7]
.LBB342_10:                             ;   in Loop: Header=BB342_4 Depth=1
	s_or_b64 exec, exec, s[8:9]
	v_mov_b32_e32 v20, s21
	v_add_co_u32_e64 v19, s[6:7], s20, v13
	v_addc_co_u32_e64 v20, s[6:7], v14, v20, s[6:7]
	v_cmp_gt_u64_e64 s[6:7], s[18:19], v[19:20]
	s_and_saveexec_b64 s[22:23], s[6:7]
	s_cbranch_execnz .LBB342_15
; %bb.11:                               ;   in Loop: Header=BB342_4 Depth=1
	s_or_b64 exec, exec, s[22:23]
	s_and_saveexec_b64 s[8:9], vcc
	s_cbranch_execnz .LBB342_16
.LBB342_12:                             ;   in Loop: Header=BB342_4 Depth=1
	s_or_b64 exec, exec, s[8:9]
	s_and_saveexec_b64 s[8:9], s[0:1]
	s_cbranch_execnz .LBB342_17
.LBB342_13:                             ;   in Loop: Header=BB342_4 Depth=1
	s_or_b64 exec, exec, s[8:9]
	s_and_saveexec_b64 s[0:1], s[2:3]
	s_cbranch_execnz .LBB342_18
.LBB342_14:                             ;   in Loop: Header=BB342_4 Depth=1
	s_or_b64 exec, exec, s[0:1]
	s_and_saveexec_b64 s[0:1], s[6:7]
	s_cbranch_execz .LBB342_3
	s_branch .LBB342_19
.LBB342_15:                             ;   in Loop: Header=BB342_4 Depth=1
	v_add_co_u32_e64 v9, s[8:9], s26, v1
	v_addc_co_u32_e64 v10, s[8:9], 0, v2, s[8:9]
	global_load_dwordx2 v[9:10], v[9:10], off
	s_waitcnt vmcnt(0)
	v_ashrrev_i32_e32 v19, 31, v10
	v_xor_b32_e32 v9, v9, v19
	v_xor_b32_e32 v10, v10, v19
	v_sub_co_u32_e64 v9, s[8:9], v9, v19
	v_subb_co_u32_e64 v10, s[8:9], v10, v19, s[8:9]
	s_or_b64 exec, exec, s[22:23]
	s_and_saveexec_b64 s[8:9], vcc
	s_cbranch_execz .LBB342_12
.LBB342_16:                             ;   in Loop: Header=BB342_4 Depth=1
	global_store_dwordx2 v[1:2], v[7:8], off
	s_or_b64 exec, exec, s[8:9]
	s_and_saveexec_b64 s[8:9], s[0:1]
	s_cbranch_execz .LBB342_13
.LBB342_17:                             ;   in Loop: Header=BB342_4 Depth=1
	global_store_dwordx2 v[3:4], v[5:6], off
	s_or_b64 exec, exec, s[8:9]
	s_and_saveexec_b64 s[0:1], s[2:3]
	s_cbranch_execz .LBB342_14
.LBB342_18:                             ;   in Loop: Header=BB342_4 Depth=1
	v_add_co_u32_e32 v5, vcc, s27, v1
	v_addc_co_u32_e32 v6, vcc, 0, v2, vcc
	global_store_dwordx2 v[5:6], v[11:12], off
	s_or_b64 exec, exec, s[0:1]
	s_and_saveexec_b64 s[0:1], s[6:7]
	s_cbranch_execz .LBB342_3
.LBB342_19:                             ;   in Loop: Header=BB342_4 Depth=1
	v_add_co_u32_e32 v5, vcc, s26, v1
	v_addc_co_u32_e32 v6, vcc, 0, v2, vcc
	global_store_dwordx2 v[5:6], v[9:10], off
	s_branch .LBB342_3
.LBB342_20:
	s_cbranch_execz .LBB342_22
	s_branch .LBB342_25
.LBB342_21:
.LBB342_22:
	v_mov_b32_e32 v1, 0x10000
	v_mov_b32_e32 v2, 0
	v_cmp_lt_i64_e32 vcc, s[14:15], v[1:2]
	v_mov_b32_e32 v2, 0
	s_and_b64 s[0:1], vcc, exec
	s_cselect_b32 s1, s15, 0
	s_cselect_b32 s0, s14, 0x10000
	v_lshlrev_b32_e32 v1, 2, v0
	v_cmp_gt_i64_e32 vcc, s[0:1], v[1:2]
	s_and_saveexec_b64 s[2:3], vcc
	s_cbranch_execz .LBB342_25
; %bb.23:
	s_load_dword s2, s[4:5], 0xd3c
	v_mov_b32_e32 v1, v2
	v_lshlrev_b32_e32 v2, 5, v0
	s_waitcnt lgkmcnt(0)
	s_and_b32 s4, s2, 0xffff
	s_add_u32 s2, s10, s12
	s_addc_u32 s3, s11, s13
	v_mov_b32_e32 v3, s3
	v_add_co_u32_e32 v2, vcc, s2, v2
	v_addc_co_u32_e32 v3, vcc, 0, v3, vcc
	v_add_co_u32_e32 v2, vcc, 16, v2
	v_addc_co_u32_e32 v3, vcc, 0, v3, vcc
	s_lshl_b32 s5, s4, 5
	s_mov_b64 s[2:3], 0
.LBB342_24:                             ; =>This Inner Loop Header: Depth=1
	global_load_dwordx4 v[4:7], v[2:3], off offset:-16
	global_load_dwordx4 v[8:11], v[2:3], off
	v_add_co_u32_e32 v0, vcc, s4, v0
	v_addc_co_u32_e32 v1, vcc, 0, v1, vcc
	v_lshlrev_b64 v[12:13], 2, v[0:1]
	v_cmp_le_i64_e32 vcc, s[0:1], v[12:13]
	s_or_b64 s[2:3], vcc, s[2:3]
	s_waitcnt vmcnt(1)
	v_ashrrev_i32_e32 v12, 31, v5
	v_xor_b32_e32 v4, v4, v12
	v_ashrrev_i32_e32 v13, 31, v7
	v_xor_b32_e32 v5, v5, v12
	v_sub_co_u32_e32 v4, vcc, v4, v12
	v_xor_b32_e32 v6, v6, v13
	v_subb_co_u32_e32 v5, vcc, v5, v12, vcc
	s_waitcnt vmcnt(0)
	v_ashrrev_i32_e32 v14, 31, v9
	v_xor_b32_e32 v7, v7, v13
	v_sub_co_u32_e32 v6, vcc, v6, v13
	v_xor_b32_e32 v8, v8, v14
	v_subb_co_u32_e32 v7, vcc, v7, v13, vcc
	v_ashrrev_i32_e32 v15, 31, v11
	v_xor_b32_e32 v9, v9, v14
	v_sub_co_u32_e32 v8, vcc, v8, v14
	v_xor_b32_e32 v10, v10, v15
	v_subb_co_u32_e32 v9, vcc, v9, v14, vcc
	v_xor_b32_e32 v11, v11, v15
	v_sub_co_u32_e32 v10, vcc, v10, v15
	v_subb_co_u32_e32 v11, vcc, v11, v15, vcc
	global_store_dwordx4 v[2:3], v[4:7], off offset:-16
	global_store_dwordx4 v[2:3], v[8:11], off
	v_add_co_u32_e32 v2, vcc, s5, v2
	v_addc_co_u32_e32 v3, vcc, 0, v3, vcc
	s_andn2_b64 exec, exec, s[2:3]
	s_cbranch_execnz .LBB342_24
.LBB342_25:
	s_endpgm
	.section	.rodata,"a",@progbits
	.p2align	6, 0x0
	.amdhsa_kernel _ZN2at6native12_GLOBAL__N_125multi_tensor_apply_kernelINS1_18TensorListMetadataILi1EEENS1_14UnaryOpFunctorIlLi1ELi1ELi0EEEJNS0_3AbsIlEEEEEvT_T0_DpT1_
		.amdhsa_group_segment_fixed_size 0
		.amdhsa_private_segment_fixed_size 0
		.amdhsa_kernarg_size 3632
		.amdhsa_user_sgpr_count 6
		.amdhsa_user_sgpr_private_segment_buffer 1
		.amdhsa_user_sgpr_dispatch_ptr 0
		.amdhsa_user_sgpr_queue_ptr 0
		.amdhsa_user_sgpr_kernarg_segment_ptr 1
		.amdhsa_user_sgpr_dispatch_id 0
		.amdhsa_user_sgpr_flat_scratch_init 0
		.amdhsa_user_sgpr_private_segment_size 0
		.amdhsa_uses_dynamic_stack 0
		.amdhsa_system_sgpr_private_segment_wavefront_offset 0
		.amdhsa_system_sgpr_workgroup_id_x 1
		.amdhsa_system_sgpr_workgroup_id_y 0
		.amdhsa_system_sgpr_workgroup_id_z 0
		.amdhsa_system_sgpr_workgroup_info 0
		.amdhsa_system_vgpr_workitem_id 0
		.amdhsa_next_free_vgpr 21
		.amdhsa_next_free_sgpr 28
		.amdhsa_reserve_vcc 1
		.amdhsa_reserve_flat_scratch 0
		.amdhsa_float_round_mode_32 0
		.amdhsa_float_round_mode_16_64 0
		.amdhsa_float_denorm_mode_32 3
		.amdhsa_float_denorm_mode_16_64 3
		.amdhsa_dx10_clamp 1
		.amdhsa_ieee_mode 1
		.amdhsa_fp16_overflow 0
		.amdhsa_exception_fp_ieee_invalid_op 0
		.amdhsa_exception_fp_denorm_src 0
		.amdhsa_exception_fp_ieee_div_zero 0
		.amdhsa_exception_fp_ieee_overflow 0
		.amdhsa_exception_fp_ieee_underflow 0
		.amdhsa_exception_fp_ieee_inexact 0
		.amdhsa_exception_int_div_zero 0
	.end_amdhsa_kernel
	.section	.text._ZN2at6native12_GLOBAL__N_125multi_tensor_apply_kernelINS1_18TensorListMetadataILi1EEENS1_14UnaryOpFunctorIlLi1ELi1ELi0EEEJNS0_3AbsIlEEEEEvT_T0_DpT1_,"axG",@progbits,_ZN2at6native12_GLOBAL__N_125multi_tensor_apply_kernelINS1_18TensorListMetadataILi1EEENS1_14UnaryOpFunctorIlLi1ELi1ELi0EEEJNS0_3AbsIlEEEEEvT_T0_DpT1_,comdat
.Lfunc_end342:
	.size	_ZN2at6native12_GLOBAL__N_125multi_tensor_apply_kernelINS1_18TensorListMetadataILi1EEENS1_14UnaryOpFunctorIlLi1ELi1ELi0EEEJNS0_3AbsIlEEEEEvT_T0_DpT1_, .Lfunc_end342-_ZN2at6native12_GLOBAL__N_125multi_tensor_apply_kernelINS1_18TensorListMetadataILi1EEENS1_14UnaryOpFunctorIlLi1ELi1ELi0EEEJNS0_3AbsIlEEEEEvT_T0_DpT1_
                                        ; -- End function
	.set _ZN2at6native12_GLOBAL__N_125multi_tensor_apply_kernelINS1_18TensorListMetadataILi1EEENS1_14UnaryOpFunctorIlLi1ELi1ELi0EEEJNS0_3AbsIlEEEEEvT_T0_DpT1_.num_vgpr, 21
	.set _ZN2at6native12_GLOBAL__N_125multi_tensor_apply_kernelINS1_18TensorListMetadataILi1EEENS1_14UnaryOpFunctorIlLi1ELi1ELi0EEEJNS0_3AbsIlEEEEEvT_T0_DpT1_.num_agpr, 0
	.set _ZN2at6native12_GLOBAL__N_125multi_tensor_apply_kernelINS1_18TensorListMetadataILi1EEENS1_14UnaryOpFunctorIlLi1ELi1ELi0EEEJNS0_3AbsIlEEEEEvT_T0_DpT1_.numbered_sgpr, 28
	.set _ZN2at6native12_GLOBAL__N_125multi_tensor_apply_kernelINS1_18TensorListMetadataILi1EEENS1_14UnaryOpFunctorIlLi1ELi1ELi0EEEJNS0_3AbsIlEEEEEvT_T0_DpT1_.num_named_barrier, 0
	.set _ZN2at6native12_GLOBAL__N_125multi_tensor_apply_kernelINS1_18TensorListMetadataILi1EEENS1_14UnaryOpFunctorIlLi1ELi1ELi0EEEJNS0_3AbsIlEEEEEvT_T0_DpT1_.private_seg_size, 0
	.set _ZN2at6native12_GLOBAL__N_125multi_tensor_apply_kernelINS1_18TensorListMetadataILi1EEENS1_14UnaryOpFunctorIlLi1ELi1ELi0EEEJNS0_3AbsIlEEEEEvT_T0_DpT1_.uses_vcc, 1
	.set _ZN2at6native12_GLOBAL__N_125multi_tensor_apply_kernelINS1_18TensorListMetadataILi1EEENS1_14UnaryOpFunctorIlLi1ELi1ELi0EEEJNS0_3AbsIlEEEEEvT_T0_DpT1_.uses_flat_scratch, 0
	.set _ZN2at6native12_GLOBAL__N_125multi_tensor_apply_kernelINS1_18TensorListMetadataILi1EEENS1_14UnaryOpFunctorIlLi1ELi1ELi0EEEJNS0_3AbsIlEEEEEvT_T0_DpT1_.has_dyn_sized_stack, 0
	.set _ZN2at6native12_GLOBAL__N_125multi_tensor_apply_kernelINS1_18TensorListMetadataILi1EEENS1_14UnaryOpFunctorIlLi1ELi1ELi0EEEJNS0_3AbsIlEEEEEvT_T0_DpT1_.has_recursion, 0
	.set _ZN2at6native12_GLOBAL__N_125multi_tensor_apply_kernelINS1_18TensorListMetadataILi1EEENS1_14UnaryOpFunctorIlLi1ELi1ELi0EEEJNS0_3AbsIlEEEEEvT_T0_DpT1_.has_indirect_call, 0
	.section	.AMDGPU.csdata,"",@progbits
; Kernel info:
; codeLenInByte = 1180
; TotalNumSgprs: 32
; NumVgprs: 21
; ScratchSize: 0
; MemoryBound: 1
; FloatMode: 240
; IeeeMode: 1
; LDSByteSize: 0 bytes/workgroup (compile time only)
; SGPRBlocks: 3
; VGPRBlocks: 5
; NumSGPRsForWavesPerEU: 32
; NumVGPRsForWavesPerEU: 21
; Occupancy: 10
; WaveLimiterHint : 0
; COMPUTE_PGM_RSRC2:SCRATCH_EN: 0
; COMPUTE_PGM_RSRC2:USER_SGPR: 6
; COMPUTE_PGM_RSRC2:TRAP_HANDLER: 0
; COMPUTE_PGM_RSRC2:TGID_X_EN: 1
; COMPUTE_PGM_RSRC2:TGID_Y_EN: 0
; COMPUTE_PGM_RSRC2:TGID_Z_EN: 0
; COMPUTE_PGM_RSRC2:TIDIG_COMP_CNT: 0
	.section	.text._ZN2at6native12_GLOBAL__N_125multi_tensor_apply_kernelINS1_18TensorListMetadataILi1EEENS1_14UnaryOpFunctorIsLi1ELi1ELi0EEEJNS0_3AbsIsEEEEEvT_T0_DpT1_,"axG",@progbits,_ZN2at6native12_GLOBAL__N_125multi_tensor_apply_kernelINS1_18TensorListMetadataILi1EEENS1_14UnaryOpFunctorIsLi1ELi1ELi0EEEJNS0_3AbsIsEEEEEvT_T0_DpT1_,comdat
	.globl	_ZN2at6native12_GLOBAL__N_125multi_tensor_apply_kernelINS1_18TensorListMetadataILi1EEENS1_14UnaryOpFunctorIsLi1ELi1ELi0EEEJNS0_3AbsIsEEEEEvT_T0_DpT1_ ; -- Begin function _ZN2at6native12_GLOBAL__N_125multi_tensor_apply_kernelINS1_18TensorListMetadataILi1EEENS1_14UnaryOpFunctorIsLi1ELi1ELi0EEEJNS0_3AbsIsEEEEEvT_T0_DpT1_
	.p2align	8
	.type	_ZN2at6native12_GLOBAL__N_125multi_tensor_apply_kernelINS1_18TensorListMetadataILi1EEENS1_14UnaryOpFunctorIsLi1ELi1ELi0EEEJNS0_3AbsIsEEEEEvT_T0_DpT1_,@function
_ZN2at6native12_GLOBAL__N_125multi_tensor_apply_kernelINS1_18TensorListMetadataILi1EEENS1_14UnaryOpFunctorIsLi1ELi1ELi0EEEJNS0_3AbsIsEEEEEvT_T0_DpT1_: ; @_ZN2at6native12_GLOBAL__N_125multi_tensor_apply_kernelINS1_18TensorListMetadataILi1EEENS1_14UnaryOpFunctorIsLi1ELi1ELi0EEEJNS0_3AbsIsEEEEEvT_T0_DpT1_
; %bb.0:
	v_mov_b32_e32 v1, s6
	global_load_ubyte v1, v1, s[4:5] offset:1760
	s_add_u32 s0, s4, s6
	s_mul_hi_u32 s1, s6, 3
	s_mul_i32 s6, s6, 3
	s_addc_u32 s2, s5, 0
	s_add_u32 s0, s0, s6
	s_addc_u32 s1, s2, s1
	s_load_dword s0, s[0:1], 0x820
	s_mov_b32 s7, 0
	s_waitcnt vmcnt(0)
	v_readfirstlane_b32 s1, v1
	s_lshl_b32 s1, s1, 3
	s_load_dwordx2 s[2:3], s[4:5], s1 offset:0x370
	s_load_dwordx2 s[10:11], s[4:5], s1 offset:0x0
	s_waitcnt lgkmcnt(0)
	s_ashr_i32 s1, s0, 31
	s_lshl_b64 s[12:13], s[0:1], 17
	s_lshl_b64 s[0:1], s[0:1], 16
	s_and_b32 s6, s10, 7
	s_sub_u32 s14, s2, s0
	s_subb_u32 s15, s3, s1
	s_and_b32 s0, s2, 3
	s_mov_b32 s1, s7
	s_or_b64 s[0:1], s[6:7], s[0:1]
	s_cmp_eq_u64 s[0:1], 0
	s_cbranch_scc1 .LBB343_21
; %bb.1:
	v_cmp_lt_i64_e64 s[0:1], s[14:15], 1
	s_and_b64 vcc, exec, s[0:1]
	s_cbranch_vccnz .LBB343_20
; %bb.2:
	v_mov_b32_e32 v1, 0x10000
	s_load_dword s2, s[4:5], 0xd3c
	v_mov_b32_e32 v2, 0
	v_cmp_lt_i64_e32 vcc, s[14:15], v[1:2]
	v_mov_b32_e32 v12, 0
	s_and_b64 s[0:1], vcc, exec
	v_cmp_lt_u64_e32 vcc, s[14:15], v[1:2]
	s_cselect_b32 s17, s15, 0
	s_cselect_b32 s16, s14, 0x10000
	s_waitcnt lgkmcnt(0)
	s_and_b32 s2, s2, 0xffff
	s_and_b64 s[0:1], vcc, exec
	s_cselect_b32 s19, s15, 0
	s_cselect_b32 s18, s14, 0x10000
	s_lshl_b32 s3, s2, 1
	s_lshl_b32 s25, s2, 2
	s_add_u32 s6, s10, s12
	v_lshlrev_b32_e32 v1, 1, v0
	s_addc_u32 s7, s11, s13
	v_mov_b32_e32 v2, s7
	v_add_co_u32_e32 v1, vcc, s6, v1
	s_mul_i32 s0, s2, 3
	v_addc_co_u32_e32 v2, vcc, 0, v2, vcc
	v_add_co_u32_e32 v5, vcc, s0, v0
	v_addc_co_u32_e64 v6, s[0:1], 0, 0, vcc
	v_add_co_u32_e32 v7, vcc, s3, v0
	v_addc_co_u32_e64 v8, s[0:1], 0, 0, vcc
	v_add_co_u32_e32 v9, vcc, s2, v0
	v_lshlrev_b32_e32 v3, 1, v9
	v_addc_co_u32_e64 v10, s[0:1], 0, 0, vcc
	v_mov_b32_e32 v4, s7
	v_add_co_u32_e32 v3, vcc, s6, v3
	s_mov_b32 s24, 0xffff
	s_lshl_b32 s26, s2, 3
	s_mul_i32 s27, s2, 6
	v_addc_co_u32_e32 v4, vcc, 0, v4, vcc
	s_mov_b64 s[20:21], 0
	s_mov_b32 s28, 0x5040100
	v_mov_b32_e32 v11, 0
	s_branch .LBB343_4
.LBB343_3:                              ;   in Loop: Header=BB343_4 Depth=1
	s_or_b64 exec, exec, s[0:1]
	s_add_u32 s20, s20, s25
	v_add_co_u32_e32 v1, vcc, s26, v1
	v_mov_b32_e32 v13, s16
	s_addc_u32 s21, s21, 0
	v_addc_co_u32_e32 v2, vcc, 0, v2, vcc
	v_mov_b32_e32 v14, s17
	v_cmp_lt_i64_e32 vcc, s[20:21], v[13:14]
	v_add_co_u32_e64 v3, s[0:1], s26, v3
	v_addc_co_u32_e64 v4, s[0:1], 0, v4, s[0:1]
	s_cbranch_vccz .LBB343_20
.LBB343_4:                              ; =>This Inner Loop Header: Depth=1
	v_mov_b32_e32 v14, s21
	v_add_co_u32_e32 v13, vcc, s20, v0
	v_addc_co_u32_e32 v14, vcc, 0, v14, vcc
	v_cmp_gt_u64_e32 vcc, s[18:19], v[13:14]
	v_and_b32_e32 v12, 0xffff0000, v12
	s_and_saveexec_b64 s[0:1], vcc
	s_cbranch_execz .LBB343_6
; %bb.5:                                ;   in Loop: Header=BB343_4 Depth=1
	global_load_ushort v13, v[1:2], off
	s_waitcnt vmcnt(0)
	v_bfi_b32 v12, s24, v13, v12
.LBB343_6:                              ;   in Loop: Header=BB343_4 Depth=1
	s_or_b64 exec, exec, s[0:1]
	v_mov_b32_e32 v14, s21
	v_add_co_u32_e64 v13, s[0:1], s20, v9
	v_addc_co_u32_e64 v14, s[0:1], v10, v14, s[0:1]
	v_cmp_gt_u64_e64 s[0:1], s[18:19], v[13:14]
	v_and_b32_e32 v12, 0xffff, v12
	s_and_saveexec_b64 s[2:3], s[0:1]
	s_cbranch_execz .LBB343_8
; %bb.7:                                ;   in Loop: Header=BB343_4 Depth=1
	global_load_ushort v13, v[3:4], off
	s_waitcnt vmcnt(0)
	v_perm_b32 v12, v13, v12, s28
.LBB343_8:                              ;   in Loop: Header=BB343_4 Depth=1
	s_or_b64 exec, exec, s[2:3]
	v_mov_b32_e32 v14, s21
	v_add_co_u32_e64 v13, s[2:3], s20, v7
	v_addc_co_u32_e64 v14, s[2:3], v8, v14, s[2:3]
	v_cmp_gt_u64_e64 s[2:3], s[18:19], v[13:14]
	v_and_b32_e32 v11, 0xffff0000, v11
	s_and_saveexec_b64 s[8:9], s[2:3]
	s_cbranch_execz .LBB343_10
; %bb.9:                                ;   in Loop: Header=BB343_4 Depth=1
	v_add_co_u32_e64 v13, s[6:7], s25, v1
	v_addc_co_u32_e64 v14, s[6:7], 0, v2, s[6:7]
	global_load_ushort v13, v[13:14], off
	s_waitcnt vmcnt(0)
	v_bfi_b32 v11, s24, v13, v11
.LBB343_10:                             ;   in Loop: Header=BB343_4 Depth=1
	s_or_b64 exec, exec, s[8:9]
	v_mov_b32_e32 v14, s21
	v_add_co_u32_e64 v13, s[6:7], s20, v5
	v_addc_co_u32_e64 v14, s[6:7], v6, v14, s[6:7]
	v_cmp_gt_u64_e64 s[6:7], s[18:19], v[13:14]
	v_and_b32_e32 v11, 0xffff, v11
	s_and_saveexec_b64 s[22:23], s[6:7]
	s_cbranch_execz .LBB343_12
; %bb.11:                               ;   in Loop: Header=BB343_4 Depth=1
	v_add_co_u32_e64 v13, s[8:9], s27, v1
	v_addc_co_u32_e64 v14, s[8:9], 0, v2, s[8:9]
	global_load_ushort v13, v[13:14], off
	s_waitcnt vmcnt(0)
	v_perm_b32 v11, v13, v11, s28
.LBB343_12:                             ;   in Loop: Header=BB343_4 Depth=1
	s_or_b64 exec, exec, s[22:23]
	v_pk_sub_i16 v13, 0, v11
	v_pk_max_i16 v11, v11, v13
	v_pk_sub_i16 v13, 0, v12
	v_pk_max_i16 v12, v12, v13
	s_and_saveexec_b64 s[8:9], vcc
	s_cbranch_execnz .LBB343_16
; %bb.13:                               ;   in Loop: Header=BB343_4 Depth=1
	s_or_b64 exec, exec, s[8:9]
	s_and_saveexec_b64 s[8:9], s[0:1]
	s_cbranch_execnz .LBB343_17
.LBB343_14:                             ;   in Loop: Header=BB343_4 Depth=1
	s_or_b64 exec, exec, s[8:9]
	s_and_saveexec_b64 s[0:1], s[2:3]
	s_cbranch_execnz .LBB343_18
.LBB343_15:                             ;   in Loop: Header=BB343_4 Depth=1
	s_or_b64 exec, exec, s[0:1]
	s_and_saveexec_b64 s[0:1], s[6:7]
	s_cbranch_execz .LBB343_3
	s_branch .LBB343_19
.LBB343_16:                             ;   in Loop: Header=BB343_4 Depth=1
	global_store_short v[1:2], v12, off
	s_or_b64 exec, exec, s[8:9]
	s_and_saveexec_b64 s[8:9], s[0:1]
	s_cbranch_execz .LBB343_14
.LBB343_17:                             ;   in Loop: Header=BB343_4 Depth=1
	global_store_short_d16_hi v[3:4], v12, off
	s_or_b64 exec, exec, s[8:9]
	s_and_saveexec_b64 s[0:1], s[2:3]
	s_cbranch_execz .LBB343_15
.LBB343_18:                             ;   in Loop: Header=BB343_4 Depth=1
	v_add_co_u32_e32 v13, vcc, s25, v1
	v_addc_co_u32_e32 v14, vcc, 0, v2, vcc
	global_store_short v[13:14], v11, off
	s_or_b64 exec, exec, s[0:1]
	s_and_saveexec_b64 s[0:1], s[6:7]
	s_cbranch_execz .LBB343_3
.LBB343_19:                             ;   in Loop: Header=BB343_4 Depth=1
	v_add_co_u32_e32 v13, vcc, s27, v1
	v_addc_co_u32_e32 v14, vcc, 0, v2, vcc
	global_store_short_d16_hi v[13:14], v11, off
	s_branch .LBB343_3
.LBB343_20:
	s_cbranch_execz .LBB343_22
	s_branch .LBB343_25
.LBB343_21:
.LBB343_22:
	v_mov_b32_e32 v1, 0x10000
	v_mov_b32_e32 v2, 0
	v_cmp_lt_i64_e32 vcc, s[14:15], v[1:2]
	v_mov_b32_e32 v2, 0
	s_and_b64 s[0:1], vcc, exec
	s_cselect_b32 s1, s15, 0
	s_cselect_b32 s0, s14, 0x10000
	v_lshlrev_b32_e32 v1, 2, v0
	v_cmp_gt_i64_e32 vcc, s[0:1], v[1:2]
	s_and_saveexec_b64 s[2:3], vcc
	s_cbranch_execz .LBB343_25
; %bb.23:
	s_load_dword s2, s[4:5], 0xd3c
	v_mov_b32_e32 v1, v2
	v_lshlrev_b32_e32 v2, 3, v0
	s_waitcnt lgkmcnt(0)
	s_and_b32 s4, s2, 0xffff
	s_add_u32 s2, s10, s12
	s_addc_u32 s3, s11, s13
	v_mov_b32_e32 v3, s3
	v_add_co_u32_e32 v2, vcc, s2, v2
	v_addc_co_u32_e32 v3, vcc, 0, v3, vcc
	s_lshl_b32 s5, s4, 3
	s_mov_b64 s[2:3], 0
.LBB343_24:                             ; =>This Inner Loop Header: Depth=1
	global_load_dwordx2 v[4:5], v[2:3], off
	v_add_co_u32_e32 v0, vcc, s4, v0
	v_addc_co_u32_e32 v1, vcc, 0, v1, vcc
	v_lshlrev_b64 v[6:7], 2, v[0:1]
	v_cmp_le_i64_e32 vcc, s[0:1], v[6:7]
	s_or_b64 s[2:3], vcc, s[2:3]
	s_waitcnt vmcnt(0)
	v_pk_sub_i16 v6, 0, v5
	v_pk_sub_i16 v7, 0, v4
	v_pk_max_i16 v5, v5, v6
	v_pk_max_i16 v4, v4, v7
	global_store_dwordx2 v[2:3], v[4:5], off
	v_add_co_u32_e32 v2, vcc, s5, v2
	v_addc_co_u32_e32 v3, vcc, 0, v3, vcc
	s_andn2_b64 exec, exec, s[2:3]
	s_cbranch_execnz .LBB343_24
.LBB343_25:
	s_endpgm
	.section	.rodata,"a",@progbits
	.p2align	6, 0x0
	.amdhsa_kernel _ZN2at6native12_GLOBAL__N_125multi_tensor_apply_kernelINS1_18TensorListMetadataILi1EEENS1_14UnaryOpFunctorIsLi1ELi1ELi0EEEJNS0_3AbsIsEEEEEvT_T0_DpT1_
		.amdhsa_group_segment_fixed_size 0
		.amdhsa_private_segment_fixed_size 0
		.amdhsa_kernarg_size 3632
		.amdhsa_user_sgpr_count 6
		.amdhsa_user_sgpr_private_segment_buffer 1
		.amdhsa_user_sgpr_dispatch_ptr 0
		.amdhsa_user_sgpr_queue_ptr 0
		.amdhsa_user_sgpr_kernarg_segment_ptr 1
		.amdhsa_user_sgpr_dispatch_id 0
		.amdhsa_user_sgpr_flat_scratch_init 0
		.amdhsa_user_sgpr_private_segment_size 0
		.amdhsa_uses_dynamic_stack 0
		.amdhsa_system_sgpr_private_segment_wavefront_offset 0
		.amdhsa_system_sgpr_workgroup_id_x 1
		.amdhsa_system_sgpr_workgroup_id_y 0
		.amdhsa_system_sgpr_workgroup_id_z 0
		.amdhsa_system_sgpr_workgroup_info 0
		.amdhsa_system_vgpr_workitem_id 0
		.amdhsa_next_free_vgpr 15
		.amdhsa_next_free_sgpr 29
		.amdhsa_reserve_vcc 1
		.amdhsa_reserve_flat_scratch 0
		.amdhsa_float_round_mode_32 0
		.amdhsa_float_round_mode_16_64 0
		.amdhsa_float_denorm_mode_32 3
		.amdhsa_float_denorm_mode_16_64 3
		.amdhsa_dx10_clamp 1
		.amdhsa_ieee_mode 1
		.amdhsa_fp16_overflow 0
		.amdhsa_exception_fp_ieee_invalid_op 0
		.amdhsa_exception_fp_denorm_src 0
		.amdhsa_exception_fp_ieee_div_zero 0
		.amdhsa_exception_fp_ieee_overflow 0
		.amdhsa_exception_fp_ieee_underflow 0
		.amdhsa_exception_fp_ieee_inexact 0
		.amdhsa_exception_int_div_zero 0
	.end_amdhsa_kernel
	.section	.text._ZN2at6native12_GLOBAL__N_125multi_tensor_apply_kernelINS1_18TensorListMetadataILi1EEENS1_14UnaryOpFunctorIsLi1ELi1ELi0EEEJNS0_3AbsIsEEEEEvT_T0_DpT1_,"axG",@progbits,_ZN2at6native12_GLOBAL__N_125multi_tensor_apply_kernelINS1_18TensorListMetadataILi1EEENS1_14UnaryOpFunctorIsLi1ELi1ELi0EEEJNS0_3AbsIsEEEEEvT_T0_DpT1_,comdat
.Lfunc_end343:
	.size	_ZN2at6native12_GLOBAL__N_125multi_tensor_apply_kernelINS1_18TensorListMetadataILi1EEENS1_14UnaryOpFunctorIsLi1ELi1ELi0EEEJNS0_3AbsIsEEEEEvT_T0_DpT1_, .Lfunc_end343-_ZN2at6native12_GLOBAL__N_125multi_tensor_apply_kernelINS1_18TensorListMetadataILi1EEENS1_14UnaryOpFunctorIsLi1ELi1ELi0EEEJNS0_3AbsIsEEEEEvT_T0_DpT1_
                                        ; -- End function
	.set _ZN2at6native12_GLOBAL__N_125multi_tensor_apply_kernelINS1_18TensorListMetadataILi1EEENS1_14UnaryOpFunctorIsLi1ELi1ELi0EEEJNS0_3AbsIsEEEEEvT_T0_DpT1_.num_vgpr, 15
	.set _ZN2at6native12_GLOBAL__N_125multi_tensor_apply_kernelINS1_18TensorListMetadataILi1EEENS1_14UnaryOpFunctorIsLi1ELi1ELi0EEEJNS0_3AbsIsEEEEEvT_T0_DpT1_.num_agpr, 0
	.set _ZN2at6native12_GLOBAL__N_125multi_tensor_apply_kernelINS1_18TensorListMetadataILi1EEENS1_14UnaryOpFunctorIsLi1ELi1ELi0EEEJNS0_3AbsIsEEEEEvT_T0_DpT1_.numbered_sgpr, 29
	.set _ZN2at6native12_GLOBAL__N_125multi_tensor_apply_kernelINS1_18TensorListMetadataILi1EEENS1_14UnaryOpFunctorIsLi1ELi1ELi0EEEJNS0_3AbsIsEEEEEvT_T0_DpT1_.num_named_barrier, 0
	.set _ZN2at6native12_GLOBAL__N_125multi_tensor_apply_kernelINS1_18TensorListMetadataILi1EEENS1_14UnaryOpFunctorIsLi1ELi1ELi0EEEJNS0_3AbsIsEEEEEvT_T0_DpT1_.private_seg_size, 0
	.set _ZN2at6native12_GLOBAL__N_125multi_tensor_apply_kernelINS1_18TensorListMetadataILi1EEENS1_14UnaryOpFunctorIsLi1ELi1ELi0EEEJNS0_3AbsIsEEEEEvT_T0_DpT1_.uses_vcc, 1
	.set _ZN2at6native12_GLOBAL__N_125multi_tensor_apply_kernelINS1_18TensorListMetadataILi1EEENS1_14UnaryOpFunctorIsLi1ELi1ELi0EEEJNS0_3AbsIsEEEEEvT_T0_DpT1_.uses_flat_scratch, 0
	.set _ZN2at6native12_GLOBAL__N_125multi_tensor_apply_kernelINS1_18TensorListMetadataILi1EEENS1_14UnaryOpFunctorIsLi1ELi1ELi0EEEJNS0_3AbsIsEEEEEvT_T0_DpT1_.has_dyn_sized_stack, 0
	.set _ZN2at6native12_GLOBAL__N_125multi_tensor_apply_kernelINS1_18TensorListMetadataILi1EEENS1_14UnaryOpFunctorIsLi1ELi1ELi0EEEJNS0_3AbsIsEEEEEvT_T0_DpT1_.has_recursion, 0
	.set _ZN2at6native12_GLOBAL__N_125multi_tensor_apply_kernelINS1_18TensorListMetadataILi1EEENS1_14UnaryOpFunctorIsLi1ELi1ELi0EEEJNS0_3AbsIsEEEEEvT_T0_DpT1_.has_indirect_call, 0
	.section	.AMDGPU.csdata,"",@progbits
; Kernel info:
; codeLenInByte = 1064
; TotalNumSgprs: 33
; NumVgprs: 15
; ScratchSize: 0
; MemoryBound: 0
; FloatMode: 240
; IeeeMode: 1
; LDSByteSize: 0 bytes/workgroup (compile time only)
; SGPRBlocks: 4
; VGPRBlocks: 3
; NumSGPRsForWavesPerEU: 33
; NumVGPRsForWavesPerEU: 15
; Occupancy: 10
; WaveLimiterHint : 0
; COMPUTE_PGM_RSRC2:SCRATCH_EN: 0
; COMPUTE_PGM_RSRC2:USER_SGPR: 6
; COMPUTE_PGM_RSRC2:TRAP_HANDLER: 0
; COMPUTE_PGM_RSRC2:TGID_X_EN: 1
; COMPUTE_PGM_RSRC2:TGID_Y_EN: 0
; COMPUTE_PGM_RSRC2:TGID_Z_EN: 0
; COMPUTE_PGM_RSRC2:TIDIG_COMP_CNT: 0
	.section	.text._ZN2at6native12_GLOBAL__N_125multi_tensor_apply_kernelINS1_18TensorListMetadataILi1EEENS1_14UnaryOpFunctorIdLi1ELi1ELi0EEEJNS0_3AbsIdEEEEEvT_T0_DpT1_,"axG",@progbits,_ZN2at6native12_GLOBAL__N_125multi_tensor_apply_kernelINS1_18TensorListMetadataILi1EEENS1_14UnaryOpFunctorIdLi1ELi1ELi0EEEJNS0_3AbsIdEEEEEvT_T0_DpT1_,comdat
	.globl	_ZN2at6native12_GLOBAL__N_125multi_tensor_apply_kernelINS1_18TensorListMetadataILi1EEENS1_14UnaryOpFunctorIdLi1ELi1ELi0EEEJNS0_3AbsIdEEEEEvT_T0_DpT1_ ; -- Begin function _ZN2at6native12_GLOBAL__N_125multi_tensor_apply_kernelINS1_18TensorListMetadataILi1EEENS1_14UnaryOpFunctorIdLi1ELi1ELi0EEEJNS0_3AbsIdEEEEEvT_T0_DpT1_
	.p2align	8
	.type	_ZN2at6native12_GLOBAL__N_125multi_tensor_apply_kernelINS1_18TensorListMetadataILi1EEENS1_14UnaryOpFunctorIdLi1ELi1ELi0EEEJNS0_3AbsIdEEEEEvT_T0_DpT1_,@function
_ZN2at6native12_GLOBAL__N_125multi_tensor_apply_kernelINS1_18TensorListMetadataILi1EEENS1_14UnaryOpFunctorIdLi1ELi1ELi0EEEJNS0_3AbsIdEEEEEvT_T0_DpT1_: ; @_ZN2at6native12_GLOBAL__N_125multi_tensor_apply_kernelINS1_18TensorListMetadataILi1EEENS1_14UnaryOpFunctorIdLi1ELi1ELi0EEEJNS0_3AbsIdEEEEEvT_T0_DpT1_
; %bb.0:
	v_mov_b32_e32 v1, s6
	global_load_ubyte v1, v1, s[4:5] offset:1760
	s_add_u32 s0, s4, s6
	s_mul_hi_u32 s1, s6, 3
	s_mul_i32 s6, s6, 3
	s_addc_u32 s2, s5, 0
	s_add_u32 s0, s0, s6
	s_addc_u32 s1, s2, s1
	s_load_dword s0, s[0:1], 0x820
	s_mov_b32 s7, 0
	s_waitcnt vmcnt(0)
	v_readfirstlane_b32 s1, v1
	s_lshl_b32 s1, s1, 3
	s_load_dwordx2 s[2:3], s[4:5], s1 offset:0x370
	s_load_dwordx2 s[10:11], s[4:5], s1 offset:0x0
	s_waitcnt lgkmcnt(0)
	s_ashr_i32 s1, s0, 31
	s_lshl_b64 s[12:13], s[0:1], 19
	s_lshl_b64 s[0:1], s[0:1], 16
	s_and_b32 s6, s10, 31
	s_sub_u32 s14, s2, s0
	s_subb_u32 s15, s3, s1
	s_and_b32 s0, s2, 3
	s_mov_b32 s1, s7
	s_or_b64 s[0:1], s[6:7], s[0:1]
	s_cmp_eq_u64 s[0:1], 0
	s_cbranch_scc1 .LBB344_21
; %bb.1:
	v_cmp_lt_i64_e64 s[0:1], s[14:15], 1
	s_and_b64 vcc, exec, s[0:1]
	s_cbranch_vccnz .LBB344_20
; %bb.2:
	v_mov_b32_e32 v1, 0x10000
	s_load_dword s2, s[4:5], 0xd3c
	v_mov_b32_e32 v2, 0
	v_cmp_lt_i64_e32 vcc, s[14:15], v[1:2]
	s_mov_b64 s[20:21], 0
	s_and_b64 s[0:1], vcc, exec
	v_cmp_lt_u64_e32 vcc, s[14:15], v[1:2]
	s_cselect_b32 s17, s15, 0
	s_cselect_b32 s16, s14, 0x10000
	s_waitcnt lgkmcnt(0)
	s_and_b32 s2, s2, 0xffff
	s_and_b64 s[0:1], vcc, exec
	s_cselect_b32 s19, s15, 0
	s_cselect_b32 s18, s14, 0x10000
	s_lshl_b32 s3, s2, 1
	s_lshl_b32 s24, s2, 2
	s_add_u32 s6, s10, s12
	v_lshlrev_b32_e32 v1, 3, v0
	s_addc_u32 s7, s11, s13
	v_mov_b32_e32 v2, s7
	v_add_co_u32_e32 v1, vcc, s6, v1
	s_mul_i32 s0, s2, 3
	v_addc_co_u32_e32 v2, vcc, 0, v2, vcc
	v_add_co_u32_e32 v13, vcc, s0, v0
	v_addc_co_u32_e64 v14, s[0:1], 0, 0, vcc
	v_add_co_u32_e32 v15, vcc, s3, v0
	v_addc_co_u32_e64 v16, s[0:1], 0, 0, vcc
	v_add_co_u32_e32 v17, vcc, s2, v0
	v_lshlrev_b32_e32 v3, 3, v17
	v_addc_co_u32_e64 v18, s[0:1], 0, 0, vcc
	v_mov_b32_e32 v4, s7
	v_add_co_u32_e32 v3, vcc, s6, v3
	s_lshl_b32 s25, s2, 5
	s_mul_i32 s26, s2, 24
	s_lshl_b32 s27, s2, 4
	v_addc_co_u32_e32 v4, vcc, 0, v4, vcc
	s_branch .LBB344_4
.LBB344_3:                              ;   in Loop: Header=BB344_4 Depth=1
	s_or_b64 exec, exec, s[0:1]
	s_add_u32 s20, s20, s24
	v_add_co_u32_e32 v1, vcc, s25, v1
	v_mov_b32_e32 v5, s16
	s_addc_u32 s21, s21, 0
	v_addc_co_u32_e32 v2, vcc, 0, v2, vcc
	v_mov_b32_e32 v6, s17
	v_cmp_lt_i64_e32 vcc, s[20:21], v[5:6]
	v_add_co_u32_e64 v3, s[0:1], s25, v3
	v_addc_co_u32_e64 v4, s[0:1], 0, v4, s[0:1]
	s_cbranch_vccz .LBB344_20
.LBB344_4:                              ; =>This Inner Loop Header: Depth=1
	v_mov_b32_e32 v6, s21
	v_add_co_u32_e32 v5, vcc, s20, v0
	v_addc_co_u32_e32 v6, vcc, 0, v6, vcc
	v_cmp_gt_u64_e32 vcc, s[18:19], v[5:6]
	v_mov_b32_e32 v5, 0
	v_mov_b32_e32 v7, 0
	;; [unrolled: 1-line block ×4, first 2 shown]
	s_and_saveexec_b64 s[0:1], vcc
	s_cbranch_execz .LBB344_6
; %bb.5:                                ;   in Loop: Header=BB344_4 Depth=1
	global_load_dwordx2 v[7:8], v[1:2], off
	s_waitcnt vmcnt(0)
	v_and_b32_e32 v8, 0x7fffffff, v8
.LBB344_6:                              ;   in Loop: Header=BB344_4 Depth=1
	s_or_b64 exec, exec, s[0:1]
	v_mov_b32_e32 v10, s21
	v_add_co_u32_e64 v9, s[0:1], s20, v17
	v_addc_co_u32_e64 v10, s[0:1], v18, v10, s[0:1]
	v_cmp_gt_u64_e64 s[0:1], s[18:19], v[9:10]
	s_and_saveexec_b64 s[2:3], s[0:1]
	s_cbranch_execz .LBB344_8
; %bb.7:                                ;   in Loop: Header=BB344_4 Depth=1
	global_load_dwordx2 v[5:6], v[3:4], off
	s_waitcnt vmcnt(0)
	v_and_b32_e32 v6, 0x7fffffff, v6
.LBB344_8:                              ;   in Loop: Header=BB344_4 Depth=1
	s_or_b64 exec, exec, s[2:3]
	v_mov_b32_e32 v10, s21
	v_add_co_u32_e64 v9, s[2:3], s20, v15
	v_addc_co_u32_e64 v10, s[2:3], v16, v10, s[2:3]
	v_cmp_gt_u64_e64 s[2:3], s[18:19], v[9:10]
	v_mov_b32_e32 v9, 0
	v_mov_b32_e32 v11, 0
	;; [unrolled: 1-line block ×4, first 2 shown]
	s_and_saveexec_b64 s[8:9], s[2:3]
	s_cbranch_execz .LBB344_10
; %bb.9:                                ;   in Loop: Header=BB344_4 Depth=1
	v_add_co_u32_e64 v11, s[6:7], s27, v1
	v_addc_co_u32_e64 v12, s[6:7], 0, v2, s[6:7]
	global_load_dwordx2 v[11:12], v[11:12], off
	s_waitcnt vmcnt(0)
	v_and_b32_e32 v12, 0x7fffffff, v12
.LBB344_10:                             ;   in Loop: Header=BB344_4 Depth=1
	s_or_b64 exec, exec, s[8:9]
	v_mov_b32_e32 v20, s21
	v_add_co_u32_e64 v19, s[6:7], s20, v13
	v_addc_co_u32_e64 v20, s[6:7], v14, v20, s[6:7]
	v_cmp_gt_u64_e64 s[6:7], s[18:19], v[19:20]
	s_and_saveexec_b64 s[22:23], s[6:7]
	s_cbranch_execnz .LBB344_15
; %bb.11:                               ;   in Loop: Header=BB344_4 Depth=1
	s_or_b64 exec, exec, s[22:23]
	s_and_saveexec_b64 s[8:9], vcc
	s_cbranch_execnz .LBB344_16
.LBB344_12:                             ;   in Loop: Header=BB344_4 Depth=1
	s_or_b64 exec, exec, s[8:9]
	s_and_saveexec_b64 s[8:9], s[0:1]
	s_cbranch_execnz .LBB344_17
.LBB344_13:                             ;   in Loop: Header=BB344_4 Depth=1
	s_or_b64 exec, exec, s[8:9]
	s_and_saveexec_b64 s[0:1], s[2:3]
	s_cbranch_execnz .LBB344_18
.LBB344_14:                             ;   in Loop: Header=BB344_4 Depth=1
	s_or_b64 exec, exec, s[0:1]
	s_and_saveexec_b64 s[0:1], s[6:7]
	s_cbranch_execz .LBB344_3
	s_branch .LBB344_19
.LBB344_15:                             ;   in Loop: Header=BB344_4 Depth=1
	v_add_co_u32_e64 v9, s[8:9], s26, v1
	v_addc_co_u32_e64 v10, s[8:9], 0, v2, s[8:9]
	global_load_dwordx2 v[9:10], v[9:10], off
	s_waitcnt vmcnt(0)
	v_and_b32_e32 v10, 0x7fffffff, v10
	s_or_b64 exec, exec, s[22:23]
	s_and_saveexec_b64 s[8:9], vcc
	s_cbranch_execz .LBB344_12
.LBB344_16:                             ;   in Loop: Header=BB344_4 Depth=1
	global_store_dwordx2 v[1:2], v[7:8], off
	s_or_b64 exec, exec, s[8:9]
	s_and_saveexec_b64 s[8:9], s[0:1]
	s_cbranch_execz .LBB344_13
.LBB344_17:                             ;   in Loop: Header=BB344_4 Depth=1
	global_store_dwordx2 v[3:4], v[5:6], off
	s_or_b64 exec, exec, s[8:9]
	s_and_saveexec_b64 s[0:1], s[2:3]
	s_cbranch_execz .LBB344_14
.LBB344_18:                             ;   in Loop: Header=BB344_4 Depth=1
	v_add_co_u32_e32 v5, vcc, s27, v1
	v_addc_co_u32_e32 v6, vcc, 0, v2, vcc
	global_store_dwordx2 v[5:6], v[11:12], off
	s_or_b64 exec, exec, s[0:1]
	s_and_saveexec_b64 s[0:1], s[6:7]
	s_cbranch_execz .LBB344_3
.LBB344_19:                             ;   in Loop: Header=BB344_4 Depth=1
	v_add_co_u32_e32 v5, vcc, s26, v1
	v_addc_co_u32_e32 v6, vcc, 0, v2, vcc
	global_store_dwordx2 v[5:6], v[9:10], off
	s_branch .LBB344_3
.LBB344_20:
	s_cbranch_execz .LBB344_22
	s_branch .LBB344_25
.LBB344_21:
.LBB344_22:
	v_mov_b32_e32 v1, 0x10000
	v_mov_b32_e32 v2, 0
	v_cmp_lt_i64_e32 vcc, s[14:15], v[1:2]
	v_mov_b32_e32 v2, 0
	s_and_b64 s[0:1], vcc, exec
	s_cselect_b32 s1, s15, 0
	s_cselect_b32 s0, s14, 0x10000
	v_lshlrev_b32_e32 v1, 2, v0
	v_cmp_gt_i64_e32 vcc, s[0:1], v[1:2]
	s_and_saveexec_b64 s[2:3], vcc
	s_cbranch_execz .LBB344_25
; %bb.23:
	s_load_dword s2, s[4:5], 0xd3c
	v_mov_b32_e32 v1, v2
	v_lshlrev_b32_e32 v2, 5, v0
	s_waitcnt lgkmcnt(0)
	s_and_b32 s4, s2, 0xffff
	s_add_u32 s2, s10, s12
	s_addc_u32 s3, s11, s13
	v_mov_b32_e32 v3, s3
	v_add_co_u32_e32 v2, vcc, s2, v2
	v_addc_co_u32_e32 v3, vcc, 0, v3, vcc
	v_add_co_u32_e32 v2, vcc, 16, v2
	v_addc_co_u32_e32 v3, vcc, 0, v3, vcc
	s_lshl_b32 s5, s4, 5
	s_mov_b64 s[2:3], 0
.LBB344_24:                             ; =>This Inner Loop Header: Depth=1
	global_load_dwordx4 v[4:7], v[2:3], off offset:-16
	global_load_dwordx4 v[8:11], v[2:3], off
	v_add_co_u32_e32 v0, vcc, s4, v0
	v_addc_co_u32_e32 v1, vcc, 0, v1, vcc
	v_lshlrev_b64 v[12:13], 2, v[0:1]
	v_cmp_le_i64_e32 vcc, s[0:1], v[12:13]
	s_or_b64 s[2:3], vcc, s[2:3]
	s_waitcnt vmcnt(1)
	v_and_b32_e32 v5, 0x7fffffff, v5
	v_and_b32_e32 v7, 0x7fffffff, v7
	s_waitcnt vmcnt(0)
	v_and_b32_e32 v9, 0x7fffffff, v9
	v_and_b32_e32 v11, 0x7fffffff, v11
	global_store_dwordx4 v[2:3], v[4:7], off offset:-16
	global_store_dwordx4 v[2:3], v[8:11], off
	v_add_co_u32_e32 v2, vcc, s5, v2
	v_addc_co_u32_e32 v3, vcc, 0, v3, vcc
	s_andn2_b64 exec, exec, s[2:3]
	s_cbranch_execnz .LBB344_24
.LBB344_25:
	s_endpgm
	.section	.rodata,"a",@progbits
	.p2align	6, 0x0
	.amdhsa_kernel _ZN2at6native12_GLOBAL__N_125multi_tensor_apply_kernelINS1_18TensorListMetadataILi1EEENS1_14UnaryOpFunctorIdLi1ELi1ELi0EEEJNS0_3AbsIdEEEEEvT_T0_DpT1_
		.amdhsa_group_segment_fixed_size 0
		.amdhsa_private_segment_fixed_size 0
		.amdhsa_kernarg_size 3632
		.amdhsa_user_sgpr_count 6
		.amdhsa_user_sgpr_private_segment_buffer 1
		.amdhsa_user_sgpr_dispatch_ptr 0
		.amdhsa_user_sgpr_queue_ptr 0
		.amdhsa_user_sgpr_kernarg_segment_ptr 1
		.amdhsa_user_sgpr_dispatch_id 0
		.amdhsa_user_sgpr_flat_scratch_init 0
		.amdhsa_user_sgpr_private_segment_size 0
		.amdhsa_uses_dynamic_stack 0
		.amdhsa_system_sgpr_private_segment_wavefront_offset 0
		.amdhsa_system_sgpr_workgroup_id_x 1
		.amdhsa_system_sgpr_workgroup_id_y 0
		.amdhsa_system_sgpr_workgroup_id_z 0
		.amdhsa_system_sgpr_workgroup_info 0
		.amdhsa_system_vgpr_workitem_id 0
		.amdhsa_next_free_vgpr 21
		.amdhsa_next_free_sgpr 28
		.amdhsa_reserve_vcc 1
		.amdhsa_reserve_flat_scratch 0
		.amdhsa_float_round_mode_32 0
		.amdhsa_float_round_mode_16_64 0
		.amdhsa_float_denorm_mode_32 3
		.amdhsa_float_denorm_mode_16_64 3
		.amdhsa_dx10_clamp 1
		.amdhsa_ieee_mode 1
		.amdhsa_fp16_overflow 0
		.amdhsa_exception_fp_ieee_invalid_op 0
		.amdhsa_exception_fp_denorm_src 0
		.amdhsa_exception_fp_ieee_div_zero 0
		.amdhsa_exception_fp_ieee_overflow 0
		.amdhsa_exception_fp_ieee_underflow 0
		.amdhsa_exception_fp_ieee_inexact 0
		.amdhsa_exception_int_div_zero 0
	.end_amdhsa_kernel
	.section	.text._ZN2at6native12_GLOBAL__N_125multi_tensor_apply_kernelINS1_18TensorListMetadataILi1EEENS1_14UnaryOpFunctorIdLi1ELi1ELi0EEEJNS0_3AbsIdEEEEEvT_T0_DpT1_,"axG",@progbits,_ZN2at6native12_GLOBAL__N_125multi_tensor_apply_kernelINS1_18TensorListMetadataILi1EEENS1_14UnaryOpFunctorIdLi1ELi1ELi0EEEJNS0_3AbsIdEEEEEvT_T0_DpT1_,comdat
.Lfunc_end344:
	.size	_ZN2at6native12_GLOBAL__N_125multi_tensor_apply_kernelINS1_18TensorListMetadataILi1EEENS1_14UnaryOpFunctorIdLi1ELi1ELi0EEEJNS0_3AbsIdEEEEEvT_T0_DpT1_, .Lfunc_end344-_ZN2at6native12_GLOBAL__N_125multi_tensor_apply_kernelINS1_18TensorListMetadataILi1EEENS1_14UnaryOpFunctorIdLi1ELi1ELi0EEEJNS0_3AbsIdEEEEEvT_T0_DpT1_
                                        ; -- End function
	.set _ZN2at6native12_GLOBAL__N_125multi_tensor_apply_kernelINS1_18TensorListMetadataILi1EEENS1_14UnaryOpFunctorIdLi1ELi1ELi0EEEJNS0_3AbsIdEEEEEvT_T0_DpT1_.num_vgpr, 21
	.set _ZN2at6native12_GLOBAL__N_125multi_tensor_apply_kernelINS1_18TensorListMetadataILi1EEENS1_14UnaryOpFunctorIdLi1ELi1ELi0EEEJNS0_3AbsIdEEEEEvT_T0_DpT1_.num_agpr, 0
	.set _ZN2at6native12_GLOBAL__N_125multi_tensor_apply_kernelINS1_18TensorListMetadataILi1EEENS1_14UnaryOpFunctorIdLi1ELi1ELi0EEEJNS0_3AbsIdEEEEEvT_T0_DpT1_.numbered_sgpr, 28
	.set _ZN2at6native12_GLOBAL__N_125multi_tensor_apply_kernelINS1_18TensorListMetadataILi1EEENS1_14UnaryOpFunctorIdLi1ELi1ELi0EEEJNS0_3AbsIdEEEEEvT_T0_DpT1_.num_named_barrier, 0
	.set _ZN2at6native12_GLOBAL__N_125multi_tensor_apply_kernelINS1_18TensorListMetadataILi1EEENS1_14UnaryOpFunctorIdLi1ELi1ELi0EEEJNS0_3AbsIdEEEEEvT_T0_DpT1_.private_seg_size, 0
	.set _ZN2at6native12_GLOBAL__N_125multi_tensor_apply_kernelINS1_18TensorListMetadataILi1EEENS1_14UnaryOpFunctorIdLi1ELi1ELi0EEEJNS0_3AbsIdEEEEEvT_T0_DpT1_.uses_vcc, 1
	.set _ZN2at6native12_GLOBAL__N_125multi_tensor_apply_kernelINS1_18TensorListMetadataILi1EEENS1_14UnaryOpFunctorIdLi1ELi1ELi0EEEJNS0_3AbsIdEEEEEvT_T0_DpT1_.uses_flat_scratch, 0
	.set _ZN2at6native12_GLOBAL__N_125multi_tensor_apply_kernelINS1_18TensorListMetadataILi1EEENS1_14UnaryOpFunctorIdLi1ELi1ELi0EEEJNS0_3AbsIdEEEEEvT_T0_DpT1_.has_dyn_sized_stack, 0
	.set _ZN2at6native12_GLOBAL__N_125multi_tensor_apply_kernelINS1_18TensorListMetadataILi1EEENS1_14UnaryOpFunctorIdLi1ELi1ELi0EEEJNS0_3AbsIdEEEEEvT_T0_DpT1_.has_recursion, 0
	.set _ZN2at6native12_GLOBAL__N_125multi_tensor_apply_kernelINS1_18TensorListMetadataILi1EEENS1_14UnaryOpFunctorIdLi1ELi1ELi0EEEJNS0_3AbsIdEEEEEvT_T0_DpT1_.has_indirect_call, 0
	.section	.AMDGPU.csdata,"",@progbits
; Kernel info:
; codeLenInByte = 1052
; TotalNumSgprs: 32
; NumVgprs: 21
; ScratchSize: 0
; MemoryBound: 1
; FloatMode: 240
; IeeeMode: 1
; LDSByteSize: 0 bytes/workgroup (compile time only)
; SGPRBlocks: 3
; VGPRBlocks: 5
; NumSGPRsForWavesPerEU: 32
; NumVGPRsForWavesPerEU: 21
; Occupancy: 10
; WaveLimiterHint : 0
; COMPUTE_PGM_RSRC2:SCRATCH_EN: 0
; COMPUTE_PGM_RSRC2:USER_SGPR: 6
; COMPUTE_PGM_RSRC2:TRAP_HANDLER: 0
; COMPUTE_PGM_RSRC2:TGID_X_EN: 1
; COMPUTE_PGM_RSRC2:TGID_Y_EN: 0
; COMPUTE_PGM_RSRC2:TGID_Z_EN: 0
; COMPUTE_PGM_RSRC2:TIDIG_COMP_CNT: 0
	.section	.text._ZN2at6native12_GLOBAL__N_125multi_tensor_apply_kernelINS1_18TensorListMetadataILi1EEENS1_14UnaryOpFunctorIfLi1ELi1ELi0EEEJNS0_3AbsIfEEEEEvT_T0_DpT1_,"axG",@progbits,_ZN2at6native12_GLOBAL__N_125multi_tensor_apply_kernelINS1_18TensorListMetadataILi1EEENS1_14UnaryOpFunctorIfLi1ELi1ELi0EEEJNS0_3AbsIfEEEEEvT_T0_DpT1_,comdat
	.globl	_ZN2at6native12_GLOBAL__N_125multi_tensor_apply_kernelINS1_18TensorListMetadataILi1EEENS1_14UnaryOpFunctorIfLi1ELi1ELi0EEEJNS0_3AbsIfEEEEEvT_T0_DpT1_ ; -- Begin function _ZN2at6native12_GLOBAL__N_125multi_tensor_apply_kernelINS1_18TensorListMetadataILi1EEENS1_14UnaryOpFunctorIfLi1ELi1ELi0EEEJNS0_3AbsIfEEEEEvT_T0_DpT1_
	.p2align	8
	.type	_ZN2at6native12_GLOBAL__N_125multi_tensor_apply_kernelINS1_18TensorListMetadataILi1EEENS1_14UnaryOpFunctorIfLi1ELi1ELi0EEEJNS0_3AbsIfEEEEEvT_T0_DpT1_,@function
_ZN2at6native12_GLOBAL__N_125multi_tensor_apply_kernelINS1_18TensorListMetadataILi1EEENS1_14UnaryOpFunctorIfLi1ELi1ELi0EEEJNS0_3AbsIfEEEEEvT_T0_DpT1_: ; @_ZN2at6native12_GLOBAL__N_125multi_tensor_apply_kernelINS1_18TensorListMetadataILi1EEENS1_14UnaryOpFunctorIfLi1ELi1ELi0EEEJNS0_3AbsIfEEEEEvT_T0_DpT1_
; %bb.0:
	v_mov_b32_e32 v1, s6
	global_load_ubyte v1, v1, s[4:5] offset:1760
	s_add_u32 s0, s4, s6
	s_mul_hi_u32 s1, s6, 3
	s_mul_i32 s6, s6, 3
	s_addc_u32 s2, s5, 0
	s_add_u32 s0, s0, s6
	s_addc_u32 s1, s2, s1
	s_load_dword s0, s[0:1], 0x820
	s_mov_b32 s7, 0
	s_waitcnt vmcnt(0)
	v_readfirstlane_b32 s1, v1
	s_lshl_b32 s1, s1, 3
	s_load_dwordx2 s[2:3], s[4:5], s1 offset:0x370
	s_load_dwordx2 s[10:11], s[4:5], s1 offset:0x0
	s_waitcnt lgkmcnt(0)
	s_ashr_i32 s1, s0, 31
	s_lshl_b64 s[12:13], s[0:1], 18
	s_lshl_b64 s[0:1], s[0:1], 16
	s_and_b32 s6, s10, 15
	s_sub_u32 s14, s2, s0
	s_subb_u32 s15, s3, s1
	s_and_b32 s0, s2, 3
	s_mov_b32 s1, s7
	s_or_b64 s[0:1], s[6:7], s[0:1]
	s_cmp_eq_u64 s[0:1], 0
	s_cbranch_scc1 .LBB345_21
; %bb.1:
	v_cmp_lt_i64_e64 s[0:1], s[14:15], 1
	s_and_b64 vcc, exec, s[0:1]
	s_cbranch_vccnz .LBB345_20
; %bb.2:
	v_mov_b32_e32 v1, 0x10000
	s_load_dword s2, s[4:5], 0xd3c
	v_mov_b32_e32 v2, 0
	v_cmp_lt_i64_e32 vcc, s[14:15], v[1:2]
	s_mov_b64 s[20:21], 0
	s_and_b64 s[0:1], vcc, exec
	v_cmp_lt_u64_e32 vcc, s[14:15], v[1:2]
	s_cselect_b32 s17, s15, 0
	s_cselect_b32 s16, s14, 0x10000
	s_waitcnt lgkmcnt(0)
	s_and_b32 s2, s2, 0xffff
	s_and_b64 s[0:1], vcc, exec
	s_cselect_b32 s19, s15, 0
	s_cselect_b32 s18, s14, 0x10000
	s_lshl_b32 s3, s2, 1
	s_lshl_b32 s24, s2, 2
	s_add_u32 s6, s10, s12
	v_lshlrev_b32_e32 v1, 2, v0
	s_addc_u32 s7, s11, s13
	v_mov_b32_e32 v2, s7
	v_add_co_u32_e32 v1, vcc, s6, v1
	s_mul_i32 s0, s2, 3
	v_addc_co_u32_e32 v2, vcc, 0, v2, vcc
	v_add_co_u32_e32 v5, vcc, s0, v0
	v_addc_co_u32_e64 v6, s[0:1], 0, 0, vcc
	v_add_co_u32_e32 v7, vcc, s3, v0
	v_addc_co_u32_e64 v8, s[0:1], 0, 0, vcc
	v_add_co_u32_e32 v9, vcc, s2, v0
	v_lshlrev_b32_e32 v3, 2, v9
	v_addc_co_u32_e64 v10, s[0:1], 0, 0, vcc
	v_mov_b32_e32 v4, s7
	v_add_co_u32_e32 v3, vcc, s6, v3
	s_lshl_b32 s25, s2, 4
	s_mul_i32 s26, s2, 12
	s_lshl_b32 s27, s2, 3
	v_addc_co_u32_e32 v4, vcc, 0, v4, vcc
	s_branch .LBB345_4
.LBB345_3:                              ;   in Loop: Header=BB345_4 Depth=1
	s_or_b64 exec, exec, s[0:1]
	s_add_u32 s20, s20, s24
	v_add_co_u32_e32 v1, vcc, s25, v1
	v_mov_b32_e32 v11, s16
	s_addc_u32 s21, s21, 0
	v_addc_co_u32_e32 v2, vcc, 0, v2, vcc
	v_mov_b32_e32 v12, s17
	v_cmp_lt_i64_e32 vcc, s[20:21], v[11:12]
	v_add_co_u32_e64 v3, s[0:1], s25, v3
	v_addc_co_u32_e64 v4, s[0:1], 0, v4, s[0:1]
	s_cbranch_vccz .LBB345_20
.LBB345_4:                              ; =>This Inner Loop Header: Depth=1
	v_mov_b32_e32 v12, s21
	v_add_co_u32_e32 v11, vcc, s20, v0
	v_addc_co_u32_e32 v12, vcc, 0, v12, vcc
	v_cmp_gt_u64_e32 vcc, s[18:19], v[11:12]
	v_mov_b32_e32 v11, 0
	s_and_saveexec_b64 s[0:1], vcc
	s_cbranch_execz .LBB345_6
; %bb.5:                                ;   in Loop: Header=BB345_4 Depth=1
	global_load_dword v11, v[1:2], off
	s_waitcnt vmcnt(0)
	v_and_b32_e32 v11, 0x7fffffff, v11
.LBB345_6:                              ;   in Loop: Header=BB345_4 Depth=1
	s_or_b64 exec, exec, s[0:1]
	v_mov_b32_e32 v13, s21
	v_add_co_u32_e64 v12, s[0:1], s20, v9
	v_addc_co_u32_e64 v13, s[0:1], v10, v13, s[0:1]
	v_cmp_gt_u64_e64 s[0:1], s[18:19], v[12:13]
	v_mov_b32_e32 v12, 0
	v_mov_b32_e32 v13, 0
	s_and_saveexec_b64 s[2:3], s[0:1]
	s_cbranch_execz .LBB345_8
; %bb.7:                                ;   in Loop: Header=BB345_4 Depth=1
	global_load_dword v13, v[3:4], off
	s_waitcnt vmcnt(0)
	v_and_b32_e32 v13, 0x7fffffff, v13
.LBB345_8:                              ;   in Loop: Header=BB345_4 Depth=1
	s_or_b64 exec, exec, s[2:3]
	v_mov_b32_e32 v15, s21
	v_add_co_u32_e64 v14, s[2:3], s20, v7
	v_addc_co_u32_e64 v15, s[2:3], v8, v15, s[2:3]
	v_cmp_gt_u64_e64 s[2:3], s[18:19], v[14:15]
	s_and_saveexec_b64 s[8:9], s[2:3]
	s_cbranch_execz .LBB345_10
; %bb.9:                                ;   in Loop: Header=BB345_4 Depth=1
	v_add_co_u32_e64 v14, s[6:7], s27, v1
	v_addc_co_u32_e64 v15, s[6:7], 0, v2, s[6:7]
	global_load_dword v12, v[14:15], off
	s_waitcnt vmcnt(0)
	v_and_b32_e32 v12, 0x7fffffff, v12
.LBB345_10:                             ;   in Loop: Header=BB345_4 Depth=1
	s_or_b64 exec, exec, s[8:9]
	v_mov_b32_e32 v15, s21
	v_add_co_u32_e64 v14, s[6:7], s20, v5
	v_addc_co_u32_e64 v15, s[6:7], v6, v15, s[6:7]
	v_cmp_gt_u64_e64 s[6:7], s[18:19], v[14:15]
	v_mov_b32_e32 v14, 0
	s_and_saveexec_b64 s[22:23], s[6:7]
	s_cbranch_execnz .LBB345_15
; %bb.11:                               ;   in Loop: Header=BB345_4 Depth=1
	s_or_b64 exec, exec, s[22:23]
	s_and_saveexec_b64 s[8:9], vcc
	s_cbranch_execnz .LBB345_16
.LBB345_12:                             ;   in Loop: Header=BB345_4 Depth=1
	s_or_b64 exec, exec, s[8:9]
	s_and_saveexec_b64 s[8:9], s[0:1]
	s_cbranch_execnz .LBB345_17
.LBB345_13:                             ;   in Loop: Header=BB345_4 Depth=1
	s_or_b64 exec, exec, s[8:9]
	s_and_saveexec_b64 s[0:1], s[2:3]
	s_cbranch_execnz .LBB345_18
.LBB345_14:                             ;   in Loop: Header=BB345_4 Depth=1
	s_or_b64 exec, exec, s[0:1]
	s_and_saveexec_b64 s[0:1], s[6:7]
	s_cbranch_execz .LBB345_3
	s_branch .LBB345_19
.LBB345_15:                             ;   in Loop: Header=BB345_4 Depth=1
	v_add_co_u32_e64 v14, s[8:9], s26, v1
	v_addc_co_u32_e64 v15, s[8:9], 0, v2, s[8:9]
	global_load_dword v14, v[14:15], off
	s_waitcnt vmcnt(0)
	v_and_b32_e32 v14, 0x7fffffff, v14
	s_or_b64 exec, exec, s[22:23]
	s_and_saveexec_b64 s[8:9], vcc
	s_cbranch_execz .LBB345_12
.LBB345_16:                             ;   in Loop: Header=BB345_4 Depth=1
	global_store_dword v[1:2], v11, off
	s_or_b64 exec, exec, s[8:9]
	s_and_saveexec_b64 s[8:9], s[0:1]
	s_cbranch_execz .LBB345_13
.LBB345_17:                             ;   in Loop: Header=BB345_4 Depth=1
	global_store_dword v[3:4], v13, off
	s_or_b64 exec, exec, s[8:9]
	s_and_saveexec_b64 s[0:1], s[2:3]
	s_cbranch_execz .LBB345_14
.LBB345_18:                             ;   in Loop: Header=BB345_4 Depth=1
	v_add_co_u32_e32 v15, vcc, s27, v1
	v_addc_co_u32_e32 v16, vcc, 0, v2, vcc
	global_store_dword v[15:16], v12, off
	s_or_b64 exec, exec, s[0:1]
	s_and_saveexec_b64 s[0:1], s[6:7]
	s_cbranch_execz .LBB345_3
.LBB345_19:                             ;   in Loop: Header=BB345_4 Depth=1
	v_add_co_u32_e32 v11, vcc, s26, v1
	v_addc_co_u32_e32 v12, vcc, 0, v2, vcc
	global_store_dword v[11:12], v14, off
	s_branch .LBB345_3
.LBB345_20:
	s_cbranch_execz .LBB345_22
	s_branch .LBB345_25
.LBB345_21:
.LBB345_22:
	v_mov_b32_e32 v1, 0x10000
	v_mov_b32_e32 v2, 0
	v_cmp_lt_i64_e32 vcc, s[14:15], v[1:2]
	v_mov_b32_e32 v2, 0
	s_and_b64 s[0:1], vcc, exec
	s_cselect_b32 s1, s15, 0
	s_cselect_b32 s0, s14, 0x10000
	v_lshlrev_b32_e32 v1, 2, v0
	v_cmp_gt_i64_e32 vcc, s[0:1], v[1:2]
	s_and_saveexec_b64 s[2:3], vcc
	s_cbranch_execz .LBB345_25
; %bb.23:
	s_load_dword s2, s[4:5], 0xd3c
	v_mov_b32_e32 v1, v2
	v_lshlrev_b32_e32 v2, 4, v0
	s_waitcnt lgkmcnt(0)
	s_and_b32 s4, s2, 0xffff
	s_add_u32 s2, s10, s12
	s_addc_u32 s3, s11, s13
	v_mov_b32_e32 v3, s3
	v_add_co_u32_e32 v2, vcc, s2, v2
	v_addc_co_u32_e32 v3, vcc, 0, v3, vcc
	v_add_co_u32_e32 v2, vcc, 8, v2
	v_addc_co_u32_e32 v3, vcc, 0, v3, vcc
	s_lshl_b32 s5, s4, 4
	s_mov_b64 s[2:3], 0
.LBB345_24:                             ; =>This Inner Loop Header: Depth=1
	global_load_dwordx4 v[4:7], v[2:3], off offset:-8
	v_add_co_u32_e32 v0, vcc, s4, v0
	v_addc_co_u32_e32 v1, vcc, 0, v1, vcc
	v_lshlrev_b64 v[8:9], 2, v[0:1]
	v_cmp_le_i64_e32 vcc, s[0:1], v[8:9]
	s_or_b64 s[2:3], vcc, s[2:3]
	s_waitcnt vmcnt(0)
	v_and_b32_e32 v4, 0x7fffffff, v4
	v_and_b32_e32 v5, 0x7fffffff, v5
	;; [unrolled: 1-line block ×4, first 2 shown]
	global_store_dwordx4 v[2:3], v[4:7], off offset:-8
	v_add_co_u32_e32 v2, vcc, s5, v2
	v_addc_co_u32_e32 v3, vcc, 0, v3, vcc
	s_andn2_b64 exec, exec, s[2:3]
	s_cbranch_execnz .LBB345_24
.LBB345_25:
	s_endpgm
	.section	.rodata,"a",@progbits
	.p2align	6, 0x0
	.amdhsa_kernel _ZN2at6native12_GLOBAL__N_125multi_tensor_apply_kernelINS1_18TensorListMetadataILi1EEENS1_14UnaryOpFunctorIfLi1ELi1ELi0EEEJNS0_3AbsIfEEEEEvT_T0_DpT1_
		.amdhsa_group_segment_fixed_size 0
		.amdhsa_private_segment_fixed_size 0
		.amdhsa_kernarg_size 3632
		.amdhsa_user_sgpr_count 6
		.amdhsa_user_sgpr_private_segment_buffer 1
		.amdhsa_user_sgpr_dispatch_ptr 0
		.amdhsa_user_sgpr_queue_ptr 0
		.amdhsa_user_sgpr_kernarg_segment_ptr 1
		.amdhsa_user_sgpr_dispatch_id 0
		.amdhsa_user_sgpr_flat_scratch_init 0
		.amdhsa_user_sgpr_private_segment_size 0
		.amdhsa_uses_dynamic_stack 0
		.amdhsa_system_sgpr_private_segment_wavefront_offset 0
		.amdhsa_system_sgpr_workgroup_id_x 1
		.amdhsa_system_sgpr_workgroup_id_y 0
		.amdhsa_system_sgpr_workgroup_id_z 0
		.amdhsa_system_sgpr_workgroup_info 0
		.amdhsa_system_vgpr_workitem_id 0
		.amdhsa_next_free_vgpr 17
		.amdhsa_next_free_sgpr 28
		.amdhsa_reserve_vcc 1
		.amdhsa_reserve_flat_scratch 0
		.amdhsa_float_round_mode_32 0
		.amdhsa_float_round_mode_16_64 0
		.amdhsa_float_denorm_mode_32 3
		.amdhsa_float_denorm_mode_16_64 3
		.amdhsa_dx10_clamp 1
		.amdhsa_ieee_mode 1
		.amdhsa_fp16_overflow 0
		.amdhsa_exception_fp_ieee_invalid_op 0
		.amdhsa_exception_fp_denorm_src 0
		.amdhsa_exception_fp_ieee_div_zero 0
		.amdhsa_exception_fp_ieee_overflow 0
		.amdhsa_exception_fp_ieee_underflow 0
		.amdhsa_exception_fp_ieee_inexact 0
		.amdhsa_exception_int_div_zero 0
	.end_amdhsa_kernel
	.section	.text._ZN2at6native12_GLOBAL__N_125multi_tensor_apply_kernelINS1_18TensorListMetadataILi1EEENS1_14UnaryOpFunctorIfLi1ELi1ELi0EEEJNS0_3AbsIfEEEEEvT_T0_DpT1_,"axG",@progbits,_ZN2at6native12_GLOBAL__N_125multi_tensor_apply_kernelINS1_18TensorListMetadataILi1EEENS1_14UnaryOpFunctorIfLi1ELi1ELi0EEEJNS0_3AbsIfEEEEEvT_T0_DpT1_,comdat
.Lfunc_end345:
	.size	_ZN2at6native12_GLOBAL__N_125multi_tensor_apply_kernelINS1_18TensorListMetadataILi1EEENS1_14UnaryOpFunctorIfLi1ELi1ELi0EEEJNS0_3AbsIfEEEEEvT_T0_DpT1_, .Lfunc_end345-_ZN2at6native12_GLOBAL__N_125multi_tensor_apply_kernelINS1_18TensorListMetadataILi1EEENS1_14UnaryOpFunctorIfLi1ELi1ELi0EEEJNS0_3AbsIfEEEEEvT_T0_DpT1_
                                        ; -- End function
	.set _ZN2at6native12_GLOBAL__N_125multi_tensor_apply_kernelINS1_18TensorListMetadataILi1EEENS1_14UnaryOpFunctorIfLi1ELi1ELi0EEEJNS0_3AbsIfEEEEEvT_T0_DpT1_.num_vgpr, 17
	.set _ZN2at6native12_GLOBAL__N_125multi_tensor_apply_kernelINS1_18TensorListMetadataILi1EEENS1_14UnaryOpFunctorIfLi1ELi1ELi0EEEJNS0_3AbsIfEEEEEvT_T0_DpT1_.num_agpr, 0
	.set _ZN2at6native12_GLOBAL__N_125multi_tensor_apply_kernelINS1_18TensorListMetadataILi1EEENS1_14UnaryOpFunctorIfLi1ELi1ELi0EEEJNS0_3AbsIfEEEEEvT_T0_DpT1_.numbered_sgpr, 28
	.set _ZN2at6native12_GLOBAL__N_125multi_tensor_apply_kernelINS1_18TensorListMetadataILi1EEENS1_14UnaryOpFunctorIfLi1ELi1ELi0EEEJNS0_3AbsIfEEEEEvT_T0_DpT1_.num_named_barrier, 0
	.set _ZN2at6native12_GLOBAL__N_125multi_tensor_apply_kernelINS1_18TensorListMetadataILi1EEENS1_14UnaryOpFunctorIfLi1ELi1ELi0EEEJNS0_3AbsIfEEEEEvT_T0_DpT1_.private_seg_size, 0
	.set _ZN2at6native12_GLOBAL__N_125multi_tensor_apply_kernelINS1_18TensorListMetadataILi1EEENS1_14UnaryOpFunctorIfLi1ELi1ELi0EEEJNS0_3AbsIfEEEEEvT_T0_DpT1_.uses_vcc, 1
	.set _ZN2at6native12_GLOBAL__N_125multi_tensor_apply_kernelINS1_18TensorListMetadataILi1EEENS1_14UnaryOpFunctorIfLi1ELi1ELi0EEEJNS0_3AbsIfEEEEEvT_T0_DpT1_.uses_flat_scratch, 0
	.set _ZN2at6native12_GLOBAL__N_125multi_tensor_apply_kernelINS1_18TensorListMetadataILi1EEENS1_14UnaryOpFunctorIfLi1ELi1ELi0EEEJNS0_3AbsIfEEEEEvT_T0_DpT1_.has_dyn_sized_stack, 0
	.set _ZN2at6native12_GLOBAL__N_125multi_tensor_apply_kernelINS1_18TensorListMetadataILi1EEENS1_14UnaryOpFunctorIfLi1ELi1ELi0EEEJNS0_3AbsIfEEEEEvT_T0_DpT1_.has_recursion, 0
	.set _ZN2at6native12_GLOBAL__N_125multi_tensor_apply_kernelINS1_18TensorListMetadataILi1EEENS1_14UnaryOpFunctorIfLi1ELi1ELi0EEEJNS0_3AbsIfEEEEEvT_T0_DpT1_.has_indirect_call, 0
	.section	.AMDGPU.csdata,"",@progbits
; Kernel info:
; codeLenInByte = 1016
; TotalNumSgprs: 32
; NumVgprs: 17
; ScratchSize: 0
; MemoryBound: 0
; FloatMode: 240
; IeeeMode: 1
; LDSByteSize: 0 bytes/workgroup (compile time only)
; SGPRBlocks: 3
; VGPRBlocks: 4
; NumSGPRsForWavesPerEU: 32
; NumVGPRsForWavesPerEU: 17
; Occupancy: 10
; WaveLimiterHint : 0
; COMPUTE_PGM_RSRC2:SCRATCH_EN: 0
; COMPUTE_PGM_RSRC2:USER_SGPR: 6
; COMPUTE_PGM_RSRC2:TRAP_HANDLER: 0
; COMPUTE_PGM_RSRC2:TGID_X_EN: 1
; COMPUTE_PGM_RSRC2:TGID_Y_EN: 0
; COMPUTE_PGM_RSRC2:TGID_Z_EN: 0
; COMPUTE_PGM_RSRC2:TIDIG_COMP_CNT: 0
	.section	.text._ZN2at6native12_GLOBAL__N_125multi_tensor_apply_kernelINS1_18TensorListMetadataILi1EEENS1_14UnaryOpFunctorIN3c107complexIdEELi1ELi1ELi0EEEJNS0_3AbsIS8_EEEEEvT_T0_DpT1_,"axG",@progbits,_ZN2at6native12_GLOBAL__N_125multi_tensor_apply_kernelINS1_18TensorListMetadataILi1EEENS1_14UnaryOpFunctorIN3c107complexIdEELi1ELi1ELi0EEEJNS0_3AbsIS8_EEEEEvT_T0_DpT1_,comdat
	.globl	_ZN2at6native12_GLOBAL__N_125multi_tensor_apply_kernelINS1_18TensorListMetadataILi1EEENS1_14UnaryOpFunctorIN3c107complexIdEELi1ELi1ELi0EEEJNS0_3AbsIS8_EEEEEvT_T0_DpT1_ ; -- Begin function _ZN2at6native12_GLOBAL__N_125multi_tensor_apply_kernelINS1_18TensorListMetadataILi1EEENS1_14UnaryOpFunctorIN3c107complexIdEELi1ELi1ELi0EEEJNS0_3AbsIS8_EEEEEvT_T0_DpT1_
	.p2align	8
	.type	_ZN2at6native12_GLOBAL__N_125multi_tensor_apply_kernelINS1_18TensorListMetadataILi1EEENS1_14UnaryOpFunctorIN3c107complexIdEELi1ELi1ELi0EEEJNS0_3AbsIS8_EEEEEvT_T0_DpT1_,@function
_ZN2at6native12_GLOBAL__N_125multi_tensor_apply_kernelINS1_18TensorListMetadataILi1EEENS1_14UnaryOpFunctorIN3c107complexIdEELi1ELi1ELi0EEEJNS0_3AbsIS8_EEEEEvT_T0_DpT1_: ; @_ZN2at6native12_GLOBAL__N_125multi_tensor_apply_kernelINS1_18TensorListMetadataILi1EEENS1_14UnaryOpFunctorIN3c107complexIdEELi1ELi1ELi0EEEJNS0_3AbsIS8_EEEEEvT_T0_DpT1_
; %bb.0:
	v_mov_b32_e32 v1, s6
	global_load_ubyte v1, v1, s[4:5] offset:1760
	s_add_u32 s0, s4, s6
	s_mul_hi_u32 s1, s6, 3
	s_mul_i32 s6, s6, 3
	s_addc_u32 s2, s5, 0
	s_add_u32 s0, s0, s6
	s_addc_u32 s1, s2, s1
	s_load_dword s0, s[0:1], 0x820
	s_mov_b32 s7, 0
	s_waitcnt vmcnt(0)
	v_readfirstlane_b32 s1, v1
	s_lshl_b32 s1, s1, 3
	s_load_dwordx2 s[10:11], s[4:5], s1 offset:0x0
	s_load_dwordx2 s[2:3], s[4:5], s1 offset:0x370
	s_waitcnt lgkmcnt(0)
	s_ashr_i32 s1, s0, 31
	s_lshl_b64 s[12:13], s[0:1], 20
	s_add_u32 s24, s10, s12
	s_addc_u32 s25, s11, s13
	s_lshl_b64 s[0:1], s[0:1], 16
	s_and_b32 s6, s24, 63
	s_sub_u32 s14, s2, s0
	s_subb_u32 s15, s3, s1
	s_and_b32 s0, s2, 3
	s_mov_b32 s1, s7
	s_or_b64 s[0:1], s[6:7], s[0:1]
	s_cmp_eq_u64 s[0:1], 0
	s_cbranch_scc1 .LBB346_21
; %bb.1:
	v_cmp_lt_i64_e64 s[0:1], s[14:15], 1
	s_and_b64 vcc, exec, s[0:1]
	s_cbranch_vccnz .LBB346_20
; %bb.2:
	v_mov_b32_e32 v1, 0x10000
	s_load_dword s2, s[4:5], 0xd3c
	v_mov_b32_e32 v2, 0
	v_cmp_lt_i64_e32 vcc, s[14:15], v[1:2]
	v_mov_b32_e32 v3, 0
	s_and_b64 s[0:1], vcc, exec
	v_cmp_lt_u64_e32 vcc, s[14:15], v[1:2]
	s_cselect_b32 s17, s15, 0
	s_cselect_b32 s16, s14, 0x10000
	s_waitcnt lgkmcnt(0)
	s_and_b32 s2, s2, 0xffff
	s_and_b64 s[0:1], vcc, exec
	s_mul_i32 s6, s2, 3
	v_add_co_u32_e32 v24, vcc, s2, v0
	v_lshlrev_b32_e32 v21, 4, v0
	v_mov_b32_e32 v22, v3
	v_addc_co_u32_e64 v25, s[0:1], 0, 0, vcc
	v_add_co_u32_e32 v26, vcc, s6, v0
	v_mad_u64_u32 v[22:23], s[0:1], s2, 48, v[21:22]
	v_addc_co_u32_e64 v27, s[0:1], 0, 0, vcc
	s_cselect_b32 s19, s15, 0
	s_cselect_b32 s18, s14, 0x10000
	s_lshl_b32 s0, s2, 5
	s_lshl_b32 s3, s2, 1
	v_add_co_u32_e32 v1, vcc, s0, v21
	v_addc_co_u32_e64 v29, s[0:1], 0, 0, vcc
	v_add_co_u32_e32 v31, vcc, s3, v0
	s_lshl_b32 s26, s2, 2
	s_lshl_b32 s27, s2, 6
	v_or_b32_e32 v22, 8, v22
	v_lshlrev_b32_e32 v28, 4, v24
	v_or_b32_e32 v30, 8, v1
	v_addc_co_u32_e64 v32, s[0:1], 0, 0, vcc
	s_mov_b64 s[20:21], 0
	s_movk_i32 s28, 0x204
	v_mov_b32_e32 v33, 0x7ff80000
	v_mov_b32_e32 v34, 0x7ff00000
	s_branch .LBB346_4
.LBB346_3:                              ;   in Loop: Header=BB346_4 Depth=1
	s_or_b64 exec, exec, s[2:3]
	s_add_u32 s20, s20, s26
	v_mov_b32_e32 v1, s16
	s_addc_u32 s21, s21, 0
	v_mov_b32_e32 v2, s17
	v_cmp_lt_i64_e32 vcc, s[20:21], v[1:2]
	s_add_u32 s24, s24, s27
	s_addc_u32 s25, s25, 0
	s_cbranch_vccz .LBB346_20
.LBB346_4:                              ; =>This Inner Loop Header: Depth=1
	v_mov_b32_e32 v2, s21
	v_add_co_u32_e32 v1, vcc, s20, v0
	v_addc_co_u32_e32 v2, vcc, 0, v2, vcc
	v_cmp_gt_u64_e64 s[6:7], s[18:19], v[1:2]
	s_waitcnt vmcnt(0)
	v_mov_b32_e32 v11, 0
	v_mov_b32_e32 v19, 0
	;; [unrolled: 1-line block ×6, first 2 shown]
	s_and_saveexec_b64 s[0:1], s[6:7]
	s_cbranch_execz .LBB346_6
; %bb.5:                                ;   in Loop: Header=BB346_4 Depth=1
	v_mov_b32_e32 v2, s25
	v_add_co_u32_e32 v1, vcc, s24, v21
	v_addc_co_u32_e32 v2, vcc, 0, v2, vcc
	global_load_dwordx4 v[17:20], v[1:2], off
.LBB346_6:                              ;   in Loop: Header=BB346_4 Depth=1
	s_or_b64 exec, exec, s[0:1]
	v_mov_b32_e32 v2, s21
	v_add_co_u32_e32 v1, vcc, s20, v24
	v_addc_co_u32_e32 v2, vcc, v25, v2, vcc
	v_cmp_gt_u64_e64 s[2:3], s[18:19], v[1:2]
	v_mov_b32_e32 v9, 0
	v_mov_b32_e32 v10, 0
	s_and_saveexec_b64 s[0:1], s[2:3]
	s_cbranch_execz .LBB346_8
; %bb.7:                                ;   in Loop: Header=BB346_4 Depth=1
	v_mov_b32_e32 v2, s25
	v_add_co_u32_e32 v1, vcc, s24, v28
	v_addc_co_u32_e32 v2, vcc, 0, v2, vcc
	global_load_dwordx4 v[9:12], v[1:2], off
.LBB346_8:                              ;   in Loop: Header=BB346_4 Depth=1
	s_or_b64 exec, exec, s[0:1]
	v_mov_b32_e32 v2, s21
	v_add_co_u32_e32 v1, vcc, s20, v31
	v_addc_co_u32_e32 v2, vcc, v32, v2, vcc
	v_cmp_gt_u64_e64 s[0:1], s[18:19], v[1:2]
	v_mov_b32_e32 v7, 0
	v_mov_b32_e32 v15, 0
	;; [unrolled: 1-line block ×6, first 2 shown]
	s_and_saveexec_b64 s[8:9], s[0:1]
	s_cbranch_execz .LBB346_10
; %bb.9:                                ;   in Loop: Header=BB346_4 Depth=1
	v_mov_b32_e32 v2, s25
	v_add_co_u32_e32 v1, vcc, s24, v30
	v_addc_co_u32_e32 v2, vcc, v2, v29, vcc
	global_load_dwordx4 v[13:16], v[1:2], off offset:-8
.LBB346_10:                             ;   in Loop: Header=BB346_4 Depth=1
	s_or_b64 exec, exec, s[8:9]
	v_mov_b32_e32 v2, s21
	v_add_co_u32_e32 v1, vcc, s20, v26
	v_addc_co_u32_e32 v2, vcc, v27, v2, vcc
	v_cmp_gt_u64_e32 vcc, s[18:19], v[1:2]
	v_mov_b32_e32 v5, 0
	v_mov_b32_e32 v6, 0
	s_and_saveexec_b64 s[22:23], vcc
	s_cbranch_execnz .LBB346_15
; %bb.11:                               ;   in Loop: Header=BB346_4 Depth=1
	s_or_b64 exec, exec, s[22:23]
	s_and_saveexec_b64 s[22:23], s[6:7]
	s_cbranch_execnz .LBB346_16
.LBB346_12:                             ;   in Loop: Header=BB346_4 Depth=1
	s_or_b64 exec, exec, s[22:23]
	s_and_saveexec_b64 s[8:9], s[2:3]
	s_cbranch_execnz .LBB346_17
.LBB346_13:                             ;   in Loop: Header=BB346_4 Depth=1
	s_or_b64 exec, exec, s[8:9]
	s_and_saveexec_b64 s[6:7], s[0:1]
	s_cbranch_execnz .LBB346_18
.LBB346_14:                             ;   in Loop: Header=BB346_4 Depth=1
	s_or_b64 exec, exec, s[6:7]
	s_and_saveexec_b64 s[2:3], vcc
	s_cbranch_execz .LBB346_3
	s_branch .LBB346_19
.LBB346_15:                             ;   in Loop: Header=BB346_4 Depth=1
	v_mov_b32_e32 v2, s25
	v_add_co_u32_e64 v1, s[8:9], s24, v22
	v_addc_co_u32_e64 v2, s[8:9], v2, v23, s[8:9]
	global_load_dwordx4 v[5:8], v[1:2], off offset:-8
	s_or_b64 exec, exec, s[22:23]
	s_and_saveexec_b64 s[22:23], s[6:7]
	s_cbranch_execz .LBB346_12
.LBB346_16:                             ;   in Loop: Header=BB346_4 Depth=1
	s_waitcnt vmcnt(0)
	v_max_f64 v[1:2], |v[19:20]|, |v[19:20]|
	v_max_f64 v[35:36], |v[17:18]|, |v[17:18]|
	v_cmp_class_f64_e64 s[30:31], v[17:18], s28
	v_cmp_class_f64_e64 s[34:35], v[19:20], s28
	v_max_f64 v[1:2], v[35:36], v[1:2]
	v_frexp_exp_i32_f64_e32 v4, v[1:2]
	v_sub_u32_e32 v35, 0, v4
	v_ldexp_f64 v[1:2], |v[19:20]|, v35
	v_ldexp_f64 v[35:36], |v[17:18]|, v35
	v_mul_f64 v[1:2], v[1:2], v[1:2]
	v_fma_f64 v[1:2], v[35:36], v[35:36], v[1:2]
	v_rsq_f64_e32 v[35:36], v[1:2]
	v_cmp_eq_f64_e64 s[6:7], 0, v[1:2]
	v_mul_f64 v[37:38], v[1:2], v[35:36]
	v_mul_f64 v[35:36], v[35:36], 0.5
	v_fma_f64 v[39:40], -v[35:36], v[37:38], 0.5
	v_fma_f64 v[37:38], v[37:38], v[39:40], v[37:38]
	v_fma_f64 v[35:36], v[35:36], v[39:40], v[35:36]
	v_fma_f64 v[39:40], -v[37:38], v[37:38], v[1:2]
	v_fma_f64 v[35:36], v[39:40], v[35:36], v[37:38]
	v_cndmask_b32_e64 v2, v36, v2, s[6:7]
	v_cndmask_b32_e64 v1, v35, v1, s[6:7]
	v_ldexp_f64 v[1:2], v[1:2], v4
	v_cmp_o_f64_e64 s[6:7], v[17:18], v[19:20]
	v_mov_b32_e32 v4, s25
	v_add_co_u32_e64 v17, s[8:9], s24, v21
	v_addc_co_u32_e64 v18, s[8:9], 0, v4, s[8:9]
	v_mov_b32_e32 v4, v3
	v_cndmask_b32_e64 v1, 0, v1, s[6:7]
	v_cndmask_b32_e64 v2, v33, v2, s[6:7]
	s_or_b64 s[6:7], s[34:35], s[30:31]
	v_cndmask_b32_e64 v2, v2, v34, s[6:7]
	v_cndmask_b32_e64 v1, v1, 0, s[6:7]
	global_store_dwordx4 v[17:18], v[1:4], off
	s_or_b64 exec, exec, s[22:23]
	s_and_saveexec_b64 s[8:9], s[2:3]
	s_cbranch_execz .LBB346_13
.LBB346_17:                             ;   in Loop: Header=BB346_4 Depth=1
	s_waitcnt vmcnt(0)
	v_max_f64 v[1:2], |v[11:12]|, |v[11:12]|
	v_max_f64 v[17:18], |v[9:10]|, |v[9:10]|
	v_cmp_class_f64_e64 s[22:23], v[9:10], s28
	v_cmp_class_f64_e64 s[30:31], v[11:12], s28
	v_max_f64 v[1:2], v[17:18], v[1:2]
	v_frexp_exp_i32_f64_e32 v4, v[1:2]
	v_sub_u32_e32 v17, 0, v4
	v_ldexp_f64 v[1:2], |v[11:12]|, v17
	v_ldexp_f64 v[17:18], |v[9:10]|, v17
	v_mul_f64 v[1:2], v[1:2], v[1:2]
	v_fma_f64 v[1:2], v[17:18], v[17:18], v[1:2]
	v_rsq_f64_e32 v[17:18], v[1:2]
	v_cmp_eq_f64_e64 s[2:3], 0, v[1:2]
	v_mul_f64 v[19:20], v[1:2], v[17:18]
	v_mul_f64 v[17:18], v[17:18], 0.5
	v_fma_f64 v[35:36], -v[17:18], v[19:20], 0.5
	v_fma_f64 v[19:20], v[19:20], v[35:36], v[19:20]
	v_fma_f64 v[17:18], v[17:18], v[35:36], v[17:18]
	v_fma_f64 v[35:36], -v[19:20], v[19:20], v[1:2]
	v_fma_f64 v[17:18], v[35:36], v[17:18], v[19:20]
	v_cndmask_b32_e64 v2, v18, v2, s[2:3]
	v_cndmask_b32_e64 v1, v17, v1, s[2:3]
	v_ldexp_f64 v[1:2], v[1:2], v4
	v_cmp_o_f64_e64 s[2:3], v[9:10], v[11:12]
	v_mov_b32_e32 v4, s25
	v_add_co_u32_e64 v9, s[6:7], s24, v28
	v_addc_co_u32_e64 v10, s[6:7], 0, v4, s[6:7]
	v_mov_b32_e32 v4, v3
	v_cndmask_b32_e64 v1, 0, v1, s[2:3]
	v_cndmask_b32_e64 v2, v33, v2, s[2:3]
	s_or_b64 s[2:3], s[30:31], s[22:23]
	v_cndmask_b32_e64 v2, v2, v34, s[2:3]
	v_cndmask_b32_e64 v1, v1, 0, s[2:3]
	global_store_dwordx4 v[9:10], v[1:4], off
	s_or_b64 exec, exec, s[8:9]
	s_and_saveexec_b64 s[6:7], s[0:1]
	s_cbranch_execz .LBB346_14
.LBB346_18:                             ;   in Loop: Header=BB346_4 Depth=1
	s_waitcnt vmcnt(0)
	v_max_f64 v[1:2], |v[15:16]|, |v[15:16]|
	v_max_f64 v[9:10], |v[13:14]|, |v[13:14]|
	v_cmp_class_f64_e64 s[8:9], v[13:14], s28
	v_cmp_class_f64_e64 s[22:23], v[15:16], s28
	v_max_f64 v[1:2], v[9:10], v[1:2]
	v_frexp_exp_i32_f64_e32 v4, v[1:2]
	v_sub_u32_e32 v9, 0, v4
	v_ldexp_f64 v[1:2], |v[15:16]|, v9
	v_ldexp_f64 v[9:10], |v[13:14]|, v9
	v_mul_f64 v[1:2], v[1:2], v[1:2]
	v_fma_f64 v[1:2], v[9:10], v[9:10], v[1:2]
	v_rsq_f64_e32 v[9:10], v[1:2]
	v_cmp_eq_f64_e64 s[0:1], 0, v[1:2]
	v_mul_f64 v[11:12], v[1:2], v[9:10]
	v_mul_f64 v[9:10], v[9:10], 0.5
	v_fma_f64 v[17:18], -v[9:10], v[11:12], 0.5
	v_fma_f64 v[11:12], v[11:12], v[17:18], v[11:12]
	v_fma_f64 v[9:10], v[9:10], v[17:18], v[9:10]
	v_fma_f64 v[17:18], -v[11:12], v[11:12], v[1:2]
	v_fma_f64 v[9:10], v[17:18], v[9:10], v[11:12]
	v_cndmask_b32_e64 v2, v10, v2, s[0:1]
	v_cndmask_b32_e64 v1, v9, v1, s[0:1]
	v_ldexp_f64 v[1:2], v[1:2], v4
	v_cmp_o_f64_e64 s[0:1], v[13:14], v[15:16]
	v_mov_b32_e32 v4, s25
	v_add_co_u32_e64 v9, s[2:3], s24, v30
	v_addc_co_u32_e64 v10, s[2:3], v4, v29, s[2:3]
	v_mov_b32_e32 v4, v3
	v_cndmask_b32_e64 v1, 0, v1, s[0:1]
	v_cndmask_b32_e64 v2, v33, v2, s[0:1]
	s_or_b64 s[0:1], s[22:23], s[8:9]
	v_cndmask_b32_e64 v2, v2, v34, s[0:1]
	v_cndmask_b32_e64 v1, v1, 0, s[0:1]
	global_store_dwordx4 v[9:10], v[1:4], off offset:-8
	s_or_b64 exec, exec, s[6:7]
	s_and_saveexec_b64 s[2:3], vcc
	s_cbranch_execz .LBB346_3
.LBB346_19:                             ;   in Loop: Header=BB346_4 Depth=1
	s_waitcnt vmcnt(0)
	v_max_f64 v[1:2], |v[7:8]|, |v[7:8]|
	v_max_f64 v[9:10], |v[5:6]|, |v[5:6]|
	v_cmp_class_f64_e64 s[6:7], v[5:6], s28
	v_cmp_class_f64_e64 s[8:9], v[7:8], s28
	v_max_f64 v[1:2], v[9:10], v[1:2]
	v_frexp_exp_i32_f64_e32 v4, v[1:2]
	v_sub_u32_e32 v9, 0, v4
	v_ldexp_f64 v[1:2], |v[7:8]|, v9
	v_ldexp_f64 v[9:10], |v[5:6]|, v9
	v_mul_f64 v[1:2], v[1:2], v[1:2]
	v_fma_f64 v[1:2], v[9:10], v[9:10], v[1:2]
	v_rsq_f64_e32 v[9:10], v[1:2]
	v_cmp_eq_f64_e32 vcc, 0, v[1:2]
	v_mul_f64 v[11:12], v[1:2], v[9:10]
	v_mul_f64 v[9:10], v[9:10], 0.5
	v_fma_f64 v[13:14], -v[9:10], v[11:12], 0.5
	v_fma_f64 v[11:12], v[11:12], v[13:14], v[11:12]
	v_fma_f64 v[9:10], v[9:10], v[13:14], v[9:10]
	v_fma_f64 v[13:14], -v[11:12], v[11:12], v[1:2]
	v_fma_f64 v[9:10], v[13:14], v[9:10], v[11:12]
	v_cndmask_b32_e32 v2, v10, v2, vcc
	v_cndmask_b32_e32 v1, v9, v1, vcc
	v_ldexp_f64 v[1:2], v[1:2], v4
	v_cmp_o_f64_e32 vcc, v[5:6], v[7:8]
	v_mov_b32_e32 v4, s25
	v_add_co_u32_e64 v5, s[0:1], s24, v22
	v_addc_co_u32_e64 v6, s[0:1], v4, v23, s[0:1]
	v_mov_b32_e32 v4, v3
	v_cndmask_b32_e32 v1, 0, v1, vcc
	v_cndmask_b32_e32 v2, v33, v2, vcc
	s_or_b64 vcc, s[8:9], s[6:7]
	v_cndmask_b32_e32 v2, v2, v34, vcc
	v_cndmask_b32_e64 v1, v1, 0, vcc
	global_store_dwordx4 v[5:6], v[1:4], off offset:-8
	s_branch .LBB346_3
.LBB346_20:
	s_cbranch_execz .LBB346_22
	s_branch .LBB346_25
.LBB346_21:
.LBB346_22:
	v_mov_b32_e32 v1, 0x10000
	v_mov_b32_e32 v2, 0
	v_cmp_lt_i64_e32 vcc, s[14:15], v[1:2]
	v_mov_b32_e32 v4, 0
	s_and_b64 s[0:1], vcc, exec
	s_cselect_b32 s9, s15, 0
	s_cselect_b32 s8, s14, 0x10000
	v_lshlrev_b32_e32 v3, 2, v0
	v_cmp_gt_i64_e32 vcc, s[8:9], v[3:4]
	s_and_saveexec_b64 s[0:1], vcc
	s_cbranch_execz .LBB346_25
; %bb.23:
	s_load_dword s0, s[4:5], 0xd3c
	v_lshlrev_b32_e32 v2, 6, v0
	v_mov_b32_e32 v1, v4
	s_waitcnt vmcnt(0)
	v_mov_b32_e32 v20, 0x7ff80000
	v_mov_b32_e32 v21, 0x7ff00000
	s_waitcnt lgkmcnt(0)
	s_and_b32 s14, s0, 0xffff
	s_add_u32 s0, s10, s12
	s_addc_u32 s1, s11, s13
	v_mov_b32_e32 v3, s1
	v_add_co_u32_e32 v18, vcc, s0, v2
	v_addc_co_u32_e32 v19, vcc, 0, v3, vcc
	s_lshl_b32 s12, s14, 6
	s_mov_b64 s[10:11], 0
	s_movk_i32 s13, 0x204
.LBB346_24:                             ; =>This Inner Loop Header: Depth=1
	global_load_dwordx4 v[6:9], v[18:19], off
	global_load_dwordx4 v[10:13], v[18:19], off offset:16
	global_load_dwordx4 v[14:17], v[18:19], off offset:32
	v_mov_b32_e32 v5, v4
	s_waitcnt vmcnt(2)
	v_max_f64 v[2:3], |v[8:9]|, |v[8:9]|
	v_max_f64 v[22:23], |v[6:7]|, |v[6:7]|
	s_waitcnt vmcnt(1)
	v_max_f64 v[26:27], |v[12:13]|, |v[12:13]|
	v_max_f64 v[28:29], |v[10:11]|, |v[10:11]|
	;; [unrolled: 3-line block ×3, first 2 shown]
	v_cmp_class_f64_e64 s[16:17], v[6:7], s13
	v_cmp_class_f64_e64 s[20:21], v[10:11], s13
	;; [unrolled: 1-line block ×3, first 2 shown]
	v_max_f64 v[2:3], v[22:23], v[2:3]
	v_cmp_o_f64_e64 s[2:3], v[10:11], v[12:13]
	v_cmp_class_f64_e64 s[18:19], v[8:9], s13
	v_cmp_class_f64_e64 s[24:25], v[14:15], s13
	v_max_f64 v[32:33], v[36:37], v[32:33]
	v_cmp_class_f64_e64 s[26:27], v[16:17], s13
	v_cmp_o_f64_e64 s[4:5], v[14:15], v[16:17]
	v_frexp_exp_i32_f64_e32 v2, v[2:3]
	v_frexp_exp_i32_f64_e32 v47, v[32:33]
	v_sub_u32_e32 v3, 0, v2
	v_ldexp_f64 v[22:23], |v[8:9]|, v3
	v_ldexp_f64 v[24:25], |v[6:7]|, v3
	v_mul_f64 v[22:23], v[22:23], v[22:23]
	v_fma_f64 v[30:31], v[24:25], v[24:25], v[22:23]
	v_max_f64 v[22:23], v[28:29], v[26:27]
	v_rsq_f64_e32 v[26:27], v[30:31]
	v_frexp_exp_i32_f64_e32 v46, v[22:23]
	global_load_dwordx4 v[22:25], v[18:19], off offset:48
	v_cmp_eq_f64_e32 vcc, 0, v[30:31]
	v_sub_u32_e32 v3, 0, v46
	v_ldexp_f64 v[28:29], |v[12:13]|, v3
	v_ldexp_f64 v[38:39], |v[10:11]|, v3
	v_sub_u32_e32 v3, 0, v47
	v_mul_f64 v[34:35], v[30:31], v[26:27]
	v_mul_f64 v[26:27], v[26:27], 0.5
	v_mul_f64 v[28:29], v[28:29], v[28:29]
	v_fma_f64 v[40:41], -v[26:27], v[34:35], 0.5
	v_fma_f64 v[28:29], v[38:39], v[38:39], v[28:29]
	v_ldexp_f64 v[38:39], |v[16:17]|, v3
	v_fma_f64 v[34:35], v[34:35], v[40:41], v[34:35]
	v_rsq_f64_e32 v[32:33], v[28:29]
	v_fma_f64 v[26:27], v[26:27], v[40:41], v[26:27]
	v_fma_f64 v[36:37], -v[34:35], v[34:35], v[30:31]
	v_fma_f64 v[26:27], v[36:37], v[26:27], v[34:35]
	v_ldexp_f64 v[34:35], |v[14:15]|, v3
	v_mul_f64 v[36:37], v[38:39], v[38:39]
	v_mul_f64 v[38:39], v[28:29], v[32:33]
	v_mul_f64 v[32:33], v[32:33], 0.5
	v_cndmask_b32_e32 v31, v27, v31, vcc
	v_cndmask_b32_e32 v30, v26, v30, vcc
	v_fma_f64 v[34:35], v[34:35], v[34:35], v[36:37]
	v_cmp_eq_f64_e32 vcc, 0, v[28:29]
	v_fma_f64 v[36:37], -v[32:33], v[38:39], 0.5
	v_mov_b32_e32 v26, v4
	v_mov_b32_e32 v27, v4
	v_fma_f64 v[38:39], v[38:39], v[36:37], v[38:39]
	v_fma_f64 v[32:33], v[32:33], v[36:37], v[32:33]
	v_fma_f64 v[36:37], -v[38:39], v[38:39], v[28:29]
	s_waitcnt vmcnt(0)
	v_cmp_class_f64_e64 s[28:29], v[22:23], s13
	v_cmp_class_f64_e64 s[30:31], v[24:25], s13
	v_cmp_o_f64_e64 s[6:7], v[22:23], v[24:25]
	v_fma_f64 v[32:33], v[36:37], v[32:33], v[38:39]
	v_rsq_f64_e32 v[36:37], v[34:35]
	v_cndmask_b32_e32 v29, v33, v29, vcc
	v_cndmask_b32_e32 v28, v32, v28, vcc
	v_cmp_eq_f64_e32 vcc, 0, v[34:35]
	v_mul_f64 v[38:39], v[34:35], v[36:37]
	v_mul_f64 v[36:37], v[36:37], 0.5
	v_fma_f64 v[40:41], -v[36:37], v[38:39], 0.5
	v_fma_f64 v[38:39], v[38:39], v[40:41], v[38:39]
	v_fma_f64 v[36:37], v[36:37], v[40:41], v[36:37]
	v_fma_f64 v[40:41], -v[38:39], v[38:39], v[34:35]
	v_fma_f64 v[36:37], v[40:41], v[36:37], v[38:39]
	v_max_f64 v[38:39], |v[24:25]|, |v[24:25]|
	v_max_f64 v[40:41], |v[22:23]|, |v[22:23]|
	v_cndmask_b32_e32 v33, v37, v35, vcc
	v_cndmask_b32_e32 v32, v36, v34, vcc
	v_max_f64 v[38:39], v[40:41], v[38:39]
	v_cmp_o_f64_e32 vcc, v[6:7], v[8:9]
	v_ldexp_f64 v[10:11], v[32:33], v47
	v_mov_b32_e32 v8, v4
	v_mov_b32_e32 v9, v4
	v_frexp_exp_i32_f64_e32 v48, v[38:39]
	v_cndmask_b32_e64 v10, 0, v10, s[4:5]
	v_cndmask_b32_e64 v11, v20, v11, s[4:5]
	s_or_b64 s[4:5], s[24:25], s[26:27]
	v_sub_u32_e32 v3, 0, v48
	v_ldexp_f64 v[38:39], |v[24:25]|, v3
	v_ldexp_f64 v[40:41], |v[22:23]|, v3
	v_ldexp_f64 v[2:3], v[30:31], v2
	v_mov_b32_e32 v30, v4
	v_mov_b32_e32 v31, v4
	v_mul_f64 v[38:39], v[38:39], v[38:39]
	v_cndmask_b32_e32 v2, 0, v2, vcc
	v_cndmask_b32_e32 v3, v20, v3, vcc
	s_or_b64 vcc, s[16:17], s[18:19]
	v_cndmask_b32_e32 v3, v3, v21, vcc
	v_cndmask_b32_e64 v2, v2, 0, vcc
	v_fma_f64 v[38:39], v[40:41], v[40:41], v[38:39]
	v_rsq_f64_e32 v[40:41], v[38:39]
	v_cmp_eq_f64_e64 s[0:1], 0, v[38:39]
	v_mul_f64 v[42:43], v[38:39], v[40:41]
	v_mul_f64 v[40:41], v[40:41], 0.5
	v_fma_f64 v[44:45], -v[40:41], v[42:43], 0.5
	v_fma_f64 v[42:43], v[42:43], v[44:45], v[42:43]
	v_fma_f64 v[40:41], v[40:41], v[44:45], v[40:41]
	v_fma_f64 v[44:45], -v[42:43], v[42:43], v[38:39]
	v_fma_f64 v[40:41], v[44:45], v[40:41], v[42:43]
	v_cndmask_b32_e64 v35, v41, v39, s[0:1]
	v_cndmask_b32_e64 v34, v40, v38, s[0:1]
	v_add_co_u32_e64 v0, s[0:1], s14, v0
	v_addc_co_u32_e64 v1, s[0:1], 0, v1, s[0:1]
	v_lshlrev_b64 v[6:7], 2, v[0:1]
	v_ldexp_f64 v[12:13], v[34:35], v48
	v_cmp_le_i64_e64 s[0:1], s[8:9], v[6:7]
	v_ldexp_f64 v[6:7], v[28:29], v46
	v_cndmask_b32_e64 v12, 0, v12, s[6:7]
	v_cndmask_b32_e64 v13, v20, v13, s[6:7]
	;; [unrolled: 1-line block ×4, first 2 shown]
	s_or_b64 s[2:3], s[20:21], s[22:23]
	s_or_b64 s[6:7], s[28:29], s[30:31]
	v_cndmask_b32_e64 v25, v7, v21, s[2:3]
	v_cndmask_b32_e64 v24, v6, 0, s[2:3]
	;; [unrolled: 1-line block ×6, first 2 shown]
	global_store_dwordx4 v[18:19], v[24:27], off offset:16
	global_store_dwordx4 v[18:19], v[2:5], off
	global_store_dwordx4 v[18:19], v[6:9], off offset:32
	global_store_dwordx4 v[18:19], v[28:31], off offset:48
	v_add_co_u32_e32 v18, vcc, s12, v18
	s_or_b64 s[10:11], s[0:1], s[10:11]
	v_addc_co_u32_e32 v19, vcc, 0, v19, vcc
	s_andn2_b64 exec, exec, s[10:11]
	s_cbranch_execnz .LBB346_24
.LBB346_25:
	s_endpgm
	.section	.rodata,"a",@progbits
	.p2align	6, 0x0
	.amdhsa_kernel _ZN2at6native12_GLOBAL__N_125multi_tensor_apply_kernelINS1_18TensorListMetadataILi1EEENS1_14UnaryOpFunctorIN3c107complexIdEELi1ELi1ELi0EEEJNS0_3AbsIS8_EEEEEvT_T0_DpT1_
		.amdhsa_group_segment_fixed_size 0
		.amdhsa_private_segment_fixed_size 0
		.amdhsa_kernarg_size 3632
		.amdhsa_user_sgpr_count 6
		.amdhsa_user_sgpr_private_segment_buffer 1
		.amdhsa_user_sgpr_dispatch_ptr 0
		.amdhsa_user_sgpr_queue_ptr 0
		.amdhsa_user_sgpr_kernarg_segment_ptr 1
		.amdhsa_user_sgpr_dispatch_id 0
		.amdhsa_user_sgpr_flat_scratch_init 0
		.amdhsa_user_sgpr_private_segment_size 0
		.amdhsa_uses_dynamic_stack 0
		.amdhsa_system_sgpr_private_segment_wavefront_offset 0
		.amdhsa_system_sgpr_workgroup_id_x 1
		.amdhsa_system_sgpr_workgroup_id_y 0
		.amdhsa_system_sgpr_workgroup_id_z 0
		.amdhsa_system_sgpr_workgroup_info 0
		.amdhsa_system_vgpr_workitem_id 0
		.amdhsa_next_free_vgpr 49
		.amdhsa_next_free_sgpr 36
		.amdhsa_reserve_vcc 1
		.amdhsa_reserve_flat_scratch 0
		.amdhsa_float_round_mode_32 0
		.amdhsa_float_round_mode_16_64 0
		.amdhsa_float_denorm_mode_32 3
		.amdhsa_float_denorm_mode_16_64 3
		.amdhsa_dx10_clamp 1
		.amdhsa_ieee_mode 1
		.amdhsa_fp16_overflow 0
		.amdhsa_exception_fp_ieee_invalid_op 0
		.amdhsa_exception_fp_denorm_src 0
		.amdhsa_exception_fp_ieee_div_zero 0
		.amdhsa_exception_fp_ieee_overflow 0
		.amdhsa_exception_fp_ieee_underflow 0
		.amdhsa_exception_fp_ieee_inexact 0
		.amdhsa_exception_int_div_zero 0
	.end_amdhsa_kernel
	.section	.text._ZN2at6native12_GLOBAL__N_125multi_tensor_apply_kernelINS1_18TensorListMetadataILi1EEENS1_14UnaryOpFunctorIN3c107complexIdEELi1ELi1ELi0EEEJNS0_3AbsIS8_EEEEEvT_T0_DpT1_,"axG",@progbits,_ZN2at6native12_GLOBAL__N_125multi_tensor_apply_kernelINS1_18TensorListMetadataILi1EEENS1_14UnaryOpFunctorIN3c107complexIdEELi1ELi1ELi0EEEJNS0_3AbsIS8_EEEEEvT_T0_DpT1_,comdat
.Lfunc_end346:
	.size	_ZN2at6native12_GLOBAL__N_125multi_tensor_apply_kernelINS1_18TensorListMetadataILi1EEENS1_14UnaryOpFunctorIN3c107complexIdEELi1ELi1ELi0EEEJNS0_3AbsIS8_EEEEEvT_T0_DpT1_, .Lfunc_end346-_ZN2at6native12_GLOBAL__N_125multi_tensor_apply_kernelINS1_18TensorListMetadataILi1EEENS1_14UnaryOpFunctorIN3c107complexIdEELi1ELi1ELi0EEEJNS0_3AbsIS8_EEEEEvT_T0_DpT1_
                                        ; -- End function
	.set _ZN2at6native12_GLOBAL__N_125multi_tensor_apply_kernelINS1_18TensorListMetadataILi1EEENS1_14UnaryOpFunctorIN3c107complexIdEELi1ELi1ELi0EEEJNS0_3AbsIS8_EEEEEvT_T0_DpT1_.num_vgpr, 49
	.set _ZN2at6native12_GLOBAL__N_125multi_tensor_apply_kernelINS1_18TensorListMetadataILi1EEENS1_14UnaryOpFunctorIN3c107complexIdEELi1ELi1ELi0EEEJNS0_3AbsIS8_EEEEEvT_T0_DpT1_.num_agpr, 0
	.set _ZN2at6native12_GLOBAL__N_125multi_tensor_apply_kernelINS1_18TensorListMetadataILi1EEENS1_14UnaryOpFunctorIN3c107complexIdEELi1ELi1ELi0EEEJNS0_3AbsIS8_EEEEEvT_T0_DpT1_.numbered_sgpr, 36
	.set _ZN2at6native12_GLOBAL__N_125multi_tensor_apply_kernelINS1_18TensorListMetadataILi1EEENS1_14UnaryOpFunctorIN3c107complexIdEELi1ELi1ELi0EEEJNS0_3AbsIS8_EEEEEvT_T0_DpT1_.num_named_barrier, 0
	.set _ZN2at6native12_GLOBAL__N_125multi_tensor_apply_kernelINS1_18TensorListMetadataILi1EEENS1_14UnaryOpFunctorIN3c107complexIdEELi1ELi1ELi0EEEJNS0_3AbsIS8_EEEEEvT_T0_DpT1_.private_seg_size, 0
	.set _ZN2at6native12_GLOBAL__N_125multi_tensor_apply_kernelINS1_18TensorListMetadataILi1EEENS1_14UnaryOpFunctorIN3c107complexIdEELi1ELi1ELi0EEEJNS0_3AbsIS8_EEEEEvT_T0_DpT1_.uses_vcc, 1
	.set _ZN2at6native12_GLOBAL__N_125multi_tensor_apply_kernelINS1_18TensorListMetadataILi1EEENS1_14UnaryOpFunctorIN3c107complexIdEELi1ELi1ELi0EEEJNS0_3AbsIS8_EEEEEvT_T0_DpT1_.uses_flat_scratch, 0
	.set _ZN2at6native12_GLOBAL__N_125multi_tensor_apply_kernelINS1_18TensorListMetadataILi1EEENS1_14UnaryOpFunctorIN3c107complexIdEELi1ELi1ELi0EEEJNS0_3AbsIS8_EEEEEvT_T0_DpT1_.has_dyn_sized_stack, 0
	.set _ZN2at6native12_GLOBAL__N_125multi_tensor_apply_kernelINS1_18TensorListMetadataILi1EEENS1_14UnaryOpFunctorIN3c107complexIdEELi1ELi1ELi0EEEJNS0_3AbsIS8_EEEEEvT_T0_DpT1_.has_recursion, 0
	.set _ZN2at6native12_GLOBAL__N_125multi_tensor_apply_kernelINS1_18TensorListMetadataILi1EEENS1_14UnaryOpFunctorIN3c107complexIdEELi1ELi1ELi0EEEJNS0_3AbsIS8_EEEEEvT_T0_DpT1_.has_indirect_call, 0
	.section	.AMDGPU.csdata,"",@progbits
; Kernel info:
; codeLenInByte = 2860
; TotalNumSgprs: 40
; NumVgprs: 49
; ScratchSize: 0
; MemoryBound: 1
; FloatMode: 240
; IeeeMode: 1
; LDSByteSize: 0 bytes/workgroup (compile time only)
; SGPRBlocks: 4
; VGPRBlocks: 12
; NumSGPRsForWavesPerEU: 40
; NumVGPRsForWavesPerEU: 49
; Occupancy: 4
; WaveLimiterHint : 0
; COMPUTE_PGM_RSRC2:SCRATCH_EN: 0
; COMPUTE_PGM_RSRC2:USER_SGPR: 6
; COMPUTE_PGM_RSRC2:TRAP_HANDLER: 0
; COMPUTE_PGM_RSRC2:TGID_X_EN: 1
; COMPUTE_PGM_RSRC2:TGID_Y_EN: 0
; COMPUTE_PGM_RSRC2:TGID_Z_EN: 0
; COMPUTE_PGM_RSRC2:TIDIG_COMP_CNT: 0
	.section	.text._ZN2at6native12_GLOBAL__N_125multi_tensor_apply_kernelINS1_18TensorListMetadataILi1EEENS1_14UnaryOpFunctorIN3c107complexIfEELi1ELi1ELi0EEEJNS0_3AbsIS8_EEEEEvT_T0_DpT1_,"axG",@progbits,_ZN2at6native12_GLOBAL__N_125multi_tensor_apply_kernelINS1_18TensorListMetadataILi1EEENS1_14UnaryOpFunctorIN3c107complexIfEELi1ELi1ELi0EEEJNS0_3AbsIS8_EEEEEvT_T0_DpT1_,comdat
	.globl	_ZN2at6native12_GLOBAL__N_125multi_tensor_apply_kernelINS1_18TensorListMetadataILi1EEENS1_14UnaryOpFunctorIN3c107complexIfEELi1ELi1ELi0EEEJNS0_3AbsIS8_EEEEEvT_T0_DpT1_ ; -- Begin function _ZN2at6native12_GLOBAL__N_125multi_tensor_apply_kernelINS1_18TensorListMetadataILi1EEENS1_14UnaryOpFunctorIN3c107complexIfEELi1ELi1ELi0EEEJNS0_3AbsIS8_EEEEEvT_T0_DpT1_
	.p2align	8
	.type	_ZN2at6native12_GLOBAL__N_125multi_tensor_apply_kernelINS1_18TensorListMetadataILi1EEENS1_14UnaryOpFunctorIN3c107complexIfEELi1ELi1ELi0EEEJNS0_3AbsIS8_EEEEEvT_T0_DpT1_,@function
_ZN2at6native12_GLOBAL__N_125multi_tensor_apply_kernelINS1_18TensorListMetadataILi1EEENS1_14UnaryOpFunctorIN3c107complexIfEELi1ELi1ELi0EEEJNS0_3AbsIS8_EEEEEvT_T0_DpT1_: ; @_ZN2at6native12_GLOBAL__N_125multi_tensor_apply_kernelINS1_18TensorListMetadataILi1EEENS1_14UnaryOpFunctorIN3c107complexIfEELi1ELi1ELi0EEEJNS0_3AbsIS8_EEEEEvT_T0_DpT1_
; %bb.0:
	v_mov_b32_e32 v1, s6
	global_load_ubyte v1, v1, s[4:5] offset:1760
	s_add_u32 s0, s4, s6
	s_mul_hi_u32 s1, s6, 3
	s_mul_i32 s6, s6, 3
	s_addc_u32 s2, s5, 0
	s_add_u32 s0, s0, s6
	s_addc_u32 s1, s2, s1
	s_load_dword s0, s[0:1], 0x820
	s_mov_b32 s7, 0
	s_waitcnt vmcnt(0)
	v_readfirstlane_b32 s1, v1
	s_lshl_b32 s1, s1, 3
	s_load_dwordx2 s[10:11], s[4:5], s1 offset:0x0
	s_load_dwordx2 s[2:3], s[4:5], s1 offset:0x370
	s_waitcnt lgkmcnt(0)
	s_ashr_i32 s1, s0, 31
	s_lshl_b64 s[12:13], s[0:1], 19
	s_add_u32 s24, s10, s12
	s_addc_u32 s25, s11, s13
	s_lshl_b64 s[0:1], s[0:1], 16
	s_and_b32 s6, s24, 31
	s_sub_u32 s14, s2, s0
	s_subb_u32 s15, s3, s1
	s_and_b32 s0, s2, 3
	s_mov_b32 s1, s7
	s_or_b64 s[0:1], s[6:7], s[0:1]
	s_cmp_eq_u64 s[0:1], 0
	s_cbranch_scc1 .LBB347_21
; %bb.1:
	v_cmp_lt_i64_e64 s[0:1], s[14:15], 1
	s_and_b64 vcc, exec, s[0:1]
	s_cbranch_vccnz .LBB347_20
; %bb.2:
	v_mov_b32_e32 v3, 0x10000
	s_load_dword s2, s[4:5], 0xd3c
	v_mov_b32_e32 v4, 0
	v_cmp_lt_i64_e32 vcc, s[14:15], v[3:4]
	v_mov_b32_e32 v2, 0
	s_and_b64 s[0:1], vcc, exec
	s_cselect_b32 s17, s15, 0
	s_cselect_b32 s16, s14, 0x10000
	v_cmp_lt_u64_e32 vcc, s[14:15], v[3:4]
	s_waitcnt lgkmcnt(0)
	s_and_b32 s2, s2, 0xffff
	s_mul_i32 s6, s2, 3
	s_and_b64 s[0:1], vcc, exec
	v_lshlrev_b32_e32 v3, 3, v0
	v_mov_b32_e32 v4, v2
	v_add_co_u32_e32 v6, vcc, s6, v0
	v_mad_u64_u32 v[4:5], s[0:1], s2, 24, v[3:4]
	v_addc_co_u32_e64 v7, s[0:1], 0, 0, vcc
	s_cselect_b32 s19, s15, 0
	s_cselect_b32 s18, s14, 0x10000
	s_lshl_b32 s0, s2, 4
	s_lshl_b32 s3, s2, 1
	v_add_co_u32_e32 v8, vcc, s0, v3
	v_addc_co_u32_e64 v9, s[0:1], 0, 0, vcc
	v_add_co_u32_e32 v10, vcc, s3, v0
	v_addc_co_u32_e64 v11, s[0:1], 0, 0, vcc
	v_add_co_u32_e32 v12, vcc, s2, v0
	s_lshl_b32 s26, s2, 2
	s_lshl_b32 s27, s2, 5
	v_addc_co_u32_e64 v13, s[0:1], 0, 0, vcc
	v_lshlrev_b32_e32 v14, 3, v12
	s_mov_b64 s[20:21], 0
	s_mov_b32 s28, 0x7f800000
	v_mov_b32_e32 v15, 0x7f800000
	s_branch .LBB347_4
.LBB347_3:                              ;   in Loop: Header=BB347_4 Depth=1
	s_or_b64 exec, exec, s[0:1]
	s_add_u32 s20, s20, s26
	v_mov_b32_e32 v16, s16
	s_addc_u32 s21, s21, 0
	v_mov_b32_e32 v17, s17
	v_cmp_lt_i64_e32 vcc, s[20:21], v[16:17]
	s_add_u32 s24, s24, s27
	s_addc_u32 s25, s25, 0
	s_cbranch_vccz .LBB347_20
.LBB347_4:                              ; =>This Inner Loop Header: Depth=1
	v_mov_b32_e32 v1, s21
	v_add_co_u32_e32 v16, vcc, s20, v0
	v_addc_co_u32_e32 v17, vcc, 0, v1, vcc
	v_cmp_gt_u64_e64 s[6:7], s[18:19], v[16:17]
	v_mov_b32_e32 v1, 0
	v_mov_b32_e32 v22, 0
	s_and_saveexec_b64 s[0:1], s[6:7]
	s_cbranch_execz .LBB347_6
; %bb.5:                                ;   in Loop: Header=BB347_4 Depth=1
	v_mov_b32_e32 v1, s25
	v_add_co_u32_e32 v16, vcc, s24, v3
	v_addc_co_u32_e32 v17, vcc, 0, v1, vcc
	global_load_dwordx2 v[16:17], v[16:17], off
	s_waitcnt vmcnt(0)
	v_and_b32_e32 v22, 0x7fffffff, v16
	v_and_b32_e32 v1, 0x7fffffff, v17
.LBB347_6:                              ;   in Loop: Header=BB347_4 Depth=1
	s_or_b64 exec, exec, s[0:1]
	v_mov_b32_e32 v17, s21
	v_add_co_u32_e32 v16, vcc, s20, v12
	v_addc_co_u32_e32 v17, vcc, v13, v17, vcc
	v_cmp_gt_u64_e64 s[2:3], s[18:19], v[16:17]
	v_mov_b32_e32 v16, 0
	v_mov_b32_e32 v20, 0
	;; [unrolled: 1-line block ×3, first 2 shown]
	s_and_saveexec_b64 s[0:1], s[2:3]
	s_cbranch_execz .LBB347_8
; %bb.7:                                ;   in Loop: Header=BB347_4 Depth=1
	v_mov_b32_e32 v18, s25
	v_add_co_u32_e32 v17, vcc, s24, v14
	v_addc_co_u32_e32 v18, vcc, 0, v18, vcc
	global_load_dwordx2 v[17:18], v[17:18], off
	s_waitcnt vmcnt(0)
	v_and_b32_e32 v21, 0x7fffffff, v17
	v_and_b32_e32 v20, 0x7fffffff, v18
.LBB347_8:                              ;   in Loop: Header=BB347_4 Depth=1
	s_or_b64 exec, exec, s[0:1]
	v_mov_b32_e32 v18, s21
	v_add_co_u32_e32 v17, vcc, s20, v10
	v_addc_co_u32_e32 v18, vcc, v11, v18, vcc
	v_cmp_gt_u64_e64 s[0:1], s[18:19], v[17:18]
	v_mov_b32_e32 v19, 0
	s_and_saveexec_b64 s[8:9], s[0:1]
	s_cbranch_execz .LBB347_10
; %bb.9:                                ;   in Loop: Header=BB347_4 Depth=1
	v_mov_b32_e32 v17, s25
	v_add_co_u32_e32 v16, vcc, s24, v8
	v_addc_co_u32_e32 v17, vcc, v17, v9, vcc
	global_load_dwordx2 v[16:17], v[16:17], off
	s_waitcnt vmcnt(0)
	v_and_b32_e32 v19, 0x7fffffff, v16
	v_and_b32_e32 v16, 0x7fffffff, v17
.LBB347_10:                             ;   in Loop: Header=BB347_4 Depth=1
	s_or_b64 exec, exec, s[8:9]
	v_mov_b32_e32 v18, s21
	v_add_co_u32_e32 v17, vcc, s20, v6
	v_addc_co_u32_e32 v18, vcc, v7, v18, vcc
	v_cmp_gt_u64_e32 vcc, s[18:19], v[17:18]
	v_mov_b32_e32 v17, 0
	v_mov_b32_e32 v18, 0
	s_and_saveexec_b64 s[22:23], vcc
	s_cbranch_execnz .LBB347_15
; %bb.11:                               ;   in Loop: Header=BB347_4 Depth=1
	s_or_b64 exec, exec, s[22:23]
	s_and_saveexec_b64 s[8:9], s[6:7]
	s_cbranch_execnz .LBB347_16
.LBB347_12:                             ;   in Loop: Header=BB347_4 Depth=1
	s_or_b64 exec, exec, s[8:9]
	s_and_saveexec_b64 s[6:7], s[2:3]
	s_cbranch_execnz .LBB347_17
.LBB347_13:                             ;   in Loop: Header=BB347_4 Depth=1
	s_or_b64 exec, exec, s[6:7]
	s_and_saveexec_b64 s[2:3], s[0:1]
	s_cbranch_execnz .LBB347_18
.LBB347_14:                             ;   in Loop: Header=BB347_4 Depth=1
	s_or_b64 exec, exec, s[2:3]
	s_and_saveexec_b64 s[0:1], vcc
	s_cbranch_execz .LBB347_3
	s_branch .LBB347_19
.LBB347_15:                             ;   in Loop: Header=BB347_4 Depth=1
	v_mov_b32_e32 v18, s25
	v_add_co_u32_e64 v17, s[8:9], s24, v4
	v_addc_co_u32_e64 v18, s[8:9], v18, v5, s[8:9]
	global_load_dwordx2 v[23:24], v[17:18], off
	s_waitcnt vmcnt(0)
	v_and_b32_e32 v18, 0x7fffffff, v23
	v_and_b32_e32 v17, 0x7fffffff, v24
	s_or_b64 exec, exec, s[22:23]
	s_and_saveexec_b64 s[8:9], s[6:7]
	s_cbranch_execz .LBB347_12
.LBB347_16:                             ;   in Loop: Header=BB347_4 Depth=1
	v_max_f32_e32 v23, v1, v1
	v_max_f32_e32 v24, v22, v22
	;; [unrolled: 1-line block ×3, first 2 shown]
	v_cvt_f64_f32_e32 v[23:24], v25
	v_cmp_neq_f32_e64 s[6:7], s28, v25
	v_frexp_exp_i32_f64_e32 v23, v[23:24]
	v_sub_u32_e32 v24, 0, v23
	v_ldexp_f32 v1, v1, v24
	v_ldexp_f32 v22, v22, v24
	v_mul_f32_e32 v1, v1, v1
	v_fmac_f32_e32 v1, v22, v22
	v_sqrt_f32_e32 v1, v1
	v_mov_b32_e32 v24, s25
	v_ldexp_f32 v1, v1, v23
	v_cndmask_b32_e64 v1, v15, v1, s[6:7]
	v_add_co_u32_e64 v22, s[6:7], s24, v3
	v_addc_co_u32_e64 v23, s[6:7], 0, v24, s[6:7]
	global_store_dwordx2 v[22:23], v[1:2], off
	s_or_b64 exec, exec, s[8:9]
	s_and_saveexec_b64 s[6:7], s[2:3]
	s_cbranch_execz .LBB347_13
.LBB347_17:                             ;   in Loop: Header=BB347_4 Depth=1
	v_max_f32_e32 v1, v20, v20
	v_max_f32_e32 v22, v21, v21
	;; [unrolled: 1-line block ×3, first 2 shown]
	v_cvt_f64_f32_e32 v[22:23], v1
	v_cmp_neq_f32_e64 s[2:3], s28, v1
	v_frexp_exp_i32_f64_e32 v22, v[22:23]
	v_sub_u32_e32 v23, 0, v22
	v_ldexp_f32 v20, v20, v23
	v_ldexp_f32 v21, v21, v23
	v_mul_f32_e32 v20, v20, v20
	v_fmac_f32_e32 v20, v21, v21
	v_sqrt_f32_e32 v20, v20
	v_mov_b32_e32 v21, s25
	v_ldexp_f32 v20, v20, v22
	v_cndmask_b32_e64 v1, v15, v20, s[2:3]
	v_add_co_u32_e64 v20, s[2:3], s24, v14
	v_addc_co_u32_e64 v21, s[2:3], 0, v21, s[2:3]
	global_store_dwordx2 v[20:21], v[1:2], off
	s_or_b64 exec, exec, s[6:7]
	s_and_saveexec_b64 s[2:3], s[0:1]
	s_cbranch_execz .LBB347_14
.LBB347_18:                             ;   in Loop: Header=BB347_4 Depth=1
	v_max_f32_e32 v1, v16, v16
	v_max_f32_e32 v20, v19, v19
	;; [unrolled: 1-line block ×3, first 2 shown]
	v_cvt_f64_f32_e32 v[20:21], v1
	v_cmp_neq_f32_e64 s[0:1], s28, v1
	v_frexp_exp_i32_f64_e32 v20, v[20:21]
	v_sub_u32_e32 v21, 0, v20
	v_ldexp_f32 v16, v16, v21
	v_ldexp_f32 v19, v19, v21
	v_mul_f32_e32 v16, v16, v16
	v_fmac_f32_e32 v16, v19, v19
	v_sqrt_f32_e32 v16, v16
	v_mov_b32_e32 v21, s25
	v_ldexp_f32 v16, v16, v20
	v_cndmask_b32_e64 v1, v15, v16, s[0:1]
	v_add_co_u32_e64 v19, s[0:1], s24, v8
	v_addc_co_u32_e64 v20, s[0:1], v21, v9, s[0:1]
	global_store_dwordx2 v[19:20], v[1:2], off
	s_or_b64 exec, exec, s[2:3]
	s_and_saveexec_b64 s[0:1], vcc
	s_cbranch_execz .LBB347_3
.LBB347_19:                             ;   in Loop: Header=BB347_4 Depth=1
	v_max_f32_e32 v1, v17, v17
	v_max_f32_e32 v16, v18, v18
	;; [unrolled: 1-line block ×3, first 2 shown]
	v_cvt_f64_f32_e32 v[19:20], v1
	v_cmp_neq_f32_e32 vcc, s28, v1
	v_frexp_exp_i32_f64_e32 v16, v[19:20]
	v_sub_u32_e32 v19, 0, v16
	v_ldexp_f32 v17, v17, v19
	v_ldexp_f32 v18, v18, v19
	v_mul_f32_e32 v17, v17, v17
	v_fmac_f32_e32 v17, v18, v18
	v_sqrt_f32_e32 v17, v17
	v_mov_b32_e32 v18, s25
	v_ldexp_f32 v16, v17, v16
	v_cndmask_b32_e32 v1, v15, v16, vcc
	v_add_co_u32_e32 v16, vcc, s24, v4
	v_addc_co_u32_e32 v17, vcc, v18, v5, vcc
	global_store_dwordx2 v[16:17], v[1:2], off
	s_branch .LBB347_3
.LBB347_20:
	s_cbranch_execz .LBB347_22
	s_branch .LBB347_25
.LBB347_21:
.LBB347_22:
	v_mov_b32_e32 v1, 0x10000
	v_mov_b32_e32 v2, 0
	v_cmp_lt_i64_e32 vcc, s[14:15], v[1:2]
	v_mov_b32_e32 v3, 0
	s_and_b64 s[0:1], vcc, exec
	s_cselect_b32 s1, s15, 0
	s_cselect_b32 s0, s14, 0x10000
	v_lshlrev_b32_e32 v2, 2, v0
	v_cmp_gt_i64_e32 vcc, s[0:1], v[2:3]
	s_and_saveexec_b64 s[2:3], vcc
	s_cbranch_execz .LBB347_25
; %bb.23:
	s_load_dword s2, s[4:5], 0xd3c
	v_lshlrev_b32_e32 v2, 5, v0
	v_mov_b32_e32 v1, v3
	s_mov_b32 s6, 0x7f800000
	v_mov_b32_e32 v8, 0x7f800000
	s_waitcnt lgkmcnt(0)
	s_and_b32 s4, s2, 0xffff
	s_add_u32 s2, s10, s12
	s_addc_u32 s3, s11, s13
	v_mov_b32_e32 v4, s3
	v_add_co_u32_e32 v6, vcc, s2, v2
	v_addc_co_u32_e32 v7, vcc, 0, v4, vcc
	s_lshl_b32 s5, s4, 5
	s_mov_b64 s[2:3], 0
.LBB347_24:                             ; =>This Inner Loop Header: Depth=1
	global_load_dwordx4 v[9:12], v[6:7], off
	global_load_dwordx4 v[13:16], v[6:7], off offset:16
	v_add_co_u32_e32 v0, vcc, s4, v0
	v_addc_co_u32_e32 v1, vcc, 0, v1, vcc
	s_waitcnt vmcnt(1)
	v_max_f32_e64 v2, |v10|, |v10|
	v_max_f32_e64 v4, |v9|, |v9|
	;; [unrolled: 1-line block ×4, first 2 shown]
	v_max_f32_e32 v2, v4, v2
	v_max_f32_e32 v19, v17, v5
	v_cvt_f64_f32_e32 v[4:5], v2
	v_cvt_f64_f32_e32 v[17:18], v19
	v_frexp_exp_i32_f64_e32 v20, v[4:5]
	v_frexp_exp_i32_f64_e32 v17, v[17:18]
	s_waitcnt vmcnt(0)
	v_max_f32_e64 v18, |v16|, |v16|
	v_sub_u32_e32 v4, 0, v20
	v_sub_u32_e32 v5, 0, v17
	v_ldexp_f32 v9, |v9|, v4
	v_ldexp_f32 v10, |v10|, v4
	;; [unrolled: 1-line block ×4, first 2 shown]
	v_max_f32_e64 v4, |v14|, |v14|
	v_max_f32_e64 v5, |v13|, |v13|
	v_max_f32_e32 v21, v5, v4
	v_max_f32_e64 v4, |v15|, |v15|
	v_max_f32_e32 v18, v4, v18
	v_cvt_f64_f32_e32 v[4:5], v21
	v_frexp_exp_i32_f64_e32 v22, v[4:5]
	v_cvt_f64_f32_e32 v[4:5], v18
	v_frexp_exp_i32_f64_e32 v23, v[4:5]
	v_sub_u32_e32 v4, 0, v22
	v_ldexp_f32 v13, |v13|, v4
	v_ldexp_f32 v14, |v14|, v4
	v_mul_f32_e32 v14, v14, v14
	v_fmac_f32_e32 v14, v13, v13
	v_sub_u32_e32 v4, 0, v23
	v_ldexp_f32 v15, |v15|, v4
	v_ldexp_f32 v16, |v16|, v4
	v_lshlrev_b64 v[4:5], 2, v[0:1]
	v_mul_f32_e32 v16, v16, v16
	v_cmp_le_i64_e32 vcc, s[0:1], v[4:5]
	v_mul_f32_e32 v4, v10, v10
	v_fmac_f32_e32 v4, v9, v9
	v_mul_f32_e32 v9, v12, v12
	v_sqrt_f32_e32 v4, v4
	v_fmac_f32_e32 v9, v11, v11
	v_sqrt_f32_e32 v9, v9
	v_fmac_f32_e32 v16, v15, v15
	v_sqrt_f32_e32 v11, v14
	v_sqrt_f32_e32 v13, v16
	v_ldexp_f32 v4, v4, v20
	s_or_b64 s[2:3], vcc, s[2:3]
	v_cmp_neq_f32_e32 vcc, s6, v2
	v_ldexp_f32 v9, v9, v17
	v_cndmask_b32_e32 v2, v8, v4, vcc
	v_cmp_neq_f32_e32 vcc, s6, v19
	v_ldexp_f32 v11, v11, v22
	v_cndmask_b32_e32 v4, v8, v9, vcc
	v_cmp_neq_f32_e32 vcc, s6, v21
	v_mov_b32_e32 v5, v3
	v_ldexp_f32 v13, v13, v23
	v_cndmask_b32_e32 v9, v8, v11, vcc
	v_cmp_neq_f32_e32 vcc, s6, v18
	v_mov_b32_e32 v10, v3
	v_mov_b32_e32 v12, v3
	v_cndmask_b32_e32 v11, v8, v13, vcc
	global_store_dwordx4 v[6:7], v[2:5], off
	global_store_dwordx4 v[6:7], v[9:12], off offset:16
	v_add_co_u32_e32 v6, vcc, s5, v6
	v_addc_co_u32_e32 v7, vcc, 0, v7, vcc
	s_andn2_b64 exec, exec, s[2:3]
	s_cbranch_execnz .LBB347_24
.LBB347_25:
	s_endpgm
	.section	.rodata,"a",@progbits
	.p2align	6, 0x0
	.amdhsa_kernel _ZN2at6native12_GLOBAL__N_125multi_tensor_apply_kernelINS1_18TensorListMetadataILi1EEENS1_14UnaryOpFunctorIN3c107complexIfEELi1ELi1ELi0EEEJNS0_3AbsIS8_EEEEEvT_T0_DpT1_
		.amdhsa_group_segment_fixed_size 0
		.amdhsa_private_segment_fixed_size 0
		.amdhsa_kernarg_size 3632
		.amdhsa_user_sgpr_count 6
		.amdhsa_user_sgpr_private_segment_buffer 1
		.amdhsa_user_sgpr_dispatch_ptr 0
		.amdhsa_user_sgpr_queue_ptr 0
		.amdhsa_user_sgpr_kernarg_segment_ptr 1
		.amdhsa_user_sgpr_dispatch_id 0
		.amdhsa_user_sgpr_flat_scratch_init 0
		.amdhsa_user_sgpr_private_segment_size 0
		.amdhsa_uses_dynamic_stack 0
		.amdhsa_system_sgpr_private_segment_wavefront_offset 0
		.amdhsa_system_sgpr_workgroup_id_x 1
		.amdhsa_system_sgpr_workgroup_id_y 0
		.amdhsa_system_sgpr_workgroup_id_z 0
		.amdhsa_system_sgpr_workgroup_info 0
		.amdhsa_system_vgpr_workitem_id 0
		.amdhsa_next_free_vgpr 26
		.amdhsa_next_free_sgpr 29
		.amdhsa_reserve_vcc 1
		.amdhsa_reserve_flat_scratch 0
		.amdhsa_float_round_mode_32 0
		.amdhsa_float_round_mode_16_64 0
		.amdhsa_float_denorm_mode_32 3
		.amdhsa_float_denorm_mode_16_64 3
		.amdhsa_dx10_clamp 1
		.amdhsa_ieee_mode 1
		.amdhsa_fp16_overflow 0
		.amdhsa_exception_fp_ieee_invalid_op 0
		.amdhsa_exception_fp_denorm_src 0
		.amdhsa_exception_fp_ieee_div_zero 0
		.amdhsa_exception_fp_ieee_overflow 0
		.amdhsa_exception_fp_ieee_underflow 0
		.amdhsa_exception_fp_ieee_inexact 0
		.amdhsa_exception_int_div_zero 0
	.end_amdhsa_kernel
	.section	.text._ZN2at6native12_GLOBAL__N_125multi_tensor_apply_kernelINS1_18TensorListMetadataILi1EEENS1_14UnaryOpFunctorIN3c107complexIfEELi1ELi1ELi0EEEJNS0_3AbsIS8_EEEEEvT_T0_DpT1_,"axG",@progbits,_ZN2at6native12_GLOBAL__N_125multi_tensor_apply_kernelINS1_18TensorListMetadataILi1EEENS1_14UnaryOpFunctorIN3c107complexIfEELi1ELi1ELi0EEEJNS0_3AbsIS8_EEEEEvT_T0_DpT1_,comdat
.Lfunc_end347:
	.size	_ZN2at6native12_GLOBAL__N_125multi_tensor_apply_kernelINS1_18TensorListMetadataILi1EEENS1_14UnaryOpFunctorIN3c107complexIfEELi1ELi1ELi0EEEJNS0_3AbsIS8_EEEEEvT_T0_DpT1_, .Lfunc_end347-_ZN2at6native12_GLOBAL__N_125multi_tensor_apply_kernelINS1_18TensorListMetadataILi1EEENS1_14UnaryOpFunctorIN3c107complexIfEELi1ELi1ELi0EEEJNS0_3AbsIS8_EEEEEvT_T0_DpT1_
                                        ; -- End function
	.set _ZN2at6native12_GLOBAL__N_125multi_tensor_apply_kernelINS1_18TensorListMetadataILi1EEENS1_14UnaryOpFunctorIN3c107complexIfEELi1ELi1ELi0EEEJNS0_3AbsIS8_EEEEEvT_T0_DpT1_.num_vgpr, 26
	.set _ZN2at6native12_GLOBAL__N_125multi_tensor_apply_kernelINS1_18TensorListMetadataILi1EEENS1_14UnaryOpFunctorIN3c107complexIfEELi1ELi1ELi0EEEJNS0_3AbsIS8_EEEEEvT_T0_DpT1_.num_agpr, 0
	.set _ZN2at6native12_GLOBAL__N_125multi_tensor_apply_kernelINS1_18TensorListMetadataILi1EEENS1_14UnaryOpFunctorIN3c107complexIfEELi1ELi1ELi0EEEJNS0_3AbsIS8_EEEEEvT_T0_DpT1_.numbered_sgpr, 29
	.set _ZN2at6native12_GLOBAL__N_125multi_tensor_apply_kernelINS1_18TensorListMetadataILi1EEENS1_14UnaryOpFunctorIN3c107complexIfEELi1ELi1ELi0EEEJNS0_3AbsIS8_EEEEEvT_T0_DpT1_.num_named_barrier, 0
	.set _ZN2at6native12_GLOBAL__N_125multi_tensor_apply_kernelINS1_18TensorListMetadataILi1EEENS1_14UnaryOpFunctorIN3c107complexIfEELi1ELi1ELi0EEEJNS0_3AbsIS8_EEEEEvT_T0_DpT1_.private_seg_size, 0
	.set _ZN2at6native12_GLOBAL__N_125multi_tensor_apply_kernelINS1_18TensorListMetadataILi1EEENS1_14UnaryOpFunctorIN3c107complexIfEELi1ELi1ELi0EEEJNS0_3AbsIS8_EEEEEvT_T0_DpT1_.uses_vcc, 1
	.set _ZN2at6native12_GLOBAL__N_125multi_tensor_apply_kernelINS1_18TensorListMetadataILi1EEENS1_14UnaryOpFunctorIN3c107complexIfEELi1ELi1ELi0EEEJNS0_3AbsIS8_EEEEEvT_T0_DpT1_.uses_flat_scratch, 0
	.set _ZN2at6native12_GLOBAL__N_125multi_tensor_apply_kernelINS1_18TensorListMetadataILi1EEENS1_14UnaryOpFunctorIN3c107complexIfEELi1ELi1ELi0EEEJNS0_3AbsIS8_EEEEEvT_T0_DpT1_.has_dyn_sized_stack, 0
	.set _ZN2at6native12_GLOBAL__N_125multi_tensor_apply_kernelINS1_18TensorListMetadataILi1EEENS1_14UnaryOpFunctorIN3c107complexIfEELi1ELi1ELi0EEEJNS0_3AbsIS8_EEEEEvT_T0_DpT1_.has_recursion, 0
	.set _ZN2at6native12_GLOBAL__N_125multi_tensor_apply_kernelINS1_18TensorListMetadataILi1EEENS1_14UnaryOpFunctorIN3c107complexIfEELi1ELi1ELi0EEEJNS0_3AbsIS8_EEEEEvT_T0_DpT1_.has_indirect_call, 0
	.section	.AMDGPU.csdata,"",@progbits
; Kernel info:
; codeLenInByte = 1728
; TotalNumSgprs: 33
; NumVgprs: 26
; ScratchSize: 0
; MemoryBound: 0
; FloatMode: 240
; IeeeMode: 1
; LDSByteSize: 0 bytes/workgroup (compile time only)
; SGPRBlocks: 4
; VGPRBlocks: 6
; NumSGPRsForWavesPerEU: 33
; NumVGPRsForWavesPerEU: 26
; Occupancy: 9
; WaveLimiterHint : 0
; COMPUTE_PGM_RSRC2:SCRATCH_EN: 0
; COMPUTE_PGM_RSRC2:USER_SGPR: 6
; COMPUTE_PGM_RSRC2:TRAP_HANDLER: 0
; COMPUTE_PGM_RSRC2:TGID_X_EN: 1
; COMPUTE_PGM_RSRC2:TGID_Y_EN: 0
; COMPUTE_PGM_RSRC2:TGID_Z_EN: 0
; COMPUTE_PGM_RSRC2:TIDIG_COMP_CNT: 0
	.section	.text._ZN2at6native12_GLOBAL__N_125multi_tensor_apply_kernelINS1_18TensorListMetadataILi1EEENS1_14UnaryOpFunctorIN3c104HalfELi1ELi1ELi0EEEJNS0_3AbsIfEEEEEvT_T0_DpT1_,"axG",@progbits,_ZN2at6native12_GLOBAL__N_125multi_tensor_apply_kernelINS1_18TensorListMetadataILi1EEENS1_14UnaryOpFunctorIN3c104HalfELi1ELi1ELi0EEEJNS0_3AbsIfEEEEEvT_T0_DpT1_,comdat
	.globl	_ZN2at6native12_GLOBAL__N_125multi_tensor_apply_kernelINS1_18TensorListMetadataILi1EEENS1_14UnaryOpFunctorIN3c104HalfELi1ELi1ELi0EEEJNS0_3AbsIfEEEEEvT_T0_DpT1_ ; -- Begin function _ZN2at6native12_GLOBAL__N_125multi_tensor_apply_kernelINS1_18TensorListMetadataILi1EEENS1_14UnaryOpFunctorIN3c104HalfELi1ELi1ELi0EEEJNS0_3AbsIfEEEEEvT_T0_DpT1_
	.p2align	8
	.type	_ZN2at6native12_GLOBAL__N_125multi_tensor_apply_kernelINS1_18TensorListMetadataILi1EEENS1_14UnaryOpFunctorIN3c104HalfELi1ELi1ELi0EEEJNS0_3AbsIfEEEEEvT_T0_DpT1_,@function
_ZN2at6native12_GLOBAL__N_125multi_tensor_apply_kernelINS1_18TensorListMetadataILi1EEENS1_14UnaryOpFunctorIN3c104HalfELi1ELi1ELi0EEEJNS0_3AbsIfEEEEEvT_T0_DpT1_: ; @_ZN2at6native12_GLOBAL__N_125multi_tensor_apply_kernelINS1_18TensorListMetadataILi1EEENS1_14UnaryOpFunctorIN3c104HalfELi1ELi1ELi0EEEJNS0_3AbsIfEEEEEvT_T0_DpT1_
; %bb.0:
	v_mov_b32_e32 v1, s6
	global_load_ubyte v1, v1, s[4:5] offset:1760
	s_add_u32 s0, s4, s6
	s_mul_hi_u32 s1, s6, 3
	s_mul_i32 s6, s6, 3
	s_addc_u32 s2, s5, 0
	s_add_u32 s0, s0, s6
	s_addc_u32 s1, s2, s1
	s_load_dword s0, s[0:1], 0x820
	s_mov_b32 s7, 0
	s_waitcnt vmcnt(0)
	v_readfirstlane_b32 s1, v1
	s_lshl_b32 s1, s1, 3
	s_load_dwordx2 s[2:3], s[4:5], s1 offset:0x370
	s_load_dwordx2 s[10:11], s[4:5], s1 offset:0x0
	s_waitcnt lgkmcnt(0)
	s_ashr_i32 s1, s0, 31
	s_lshl_b64 s[12:13], s[0:1], 17
	s_lshl_b64 s[0:1], s[0:1], 16
	s_and_b32 s6, s10, 7
	s_sub_u32 s14, s2, s0
	s_subb_u32 s15, s3, s1
	s_and_b32 s0, s2, 3
	s_mov_b32 s1, s7
	s_or_b64 s[0:1], s[6:7], s[0:1]
	s_cmp_eq_u64 s[0:1], 0
	s_cbranch_scc1 .LBB348_21
; %bb.1:
	v_cmp_lt_i64_e64 s[0:1], s[14:15], 1
	s_and_b64 vcc, exec, s[0:1]
	s_cbranch_vccnz .LBB348_20
; %bb.2:
	v_mov_b32_e32 v1, 0x10000
	s_load_dword s2, s[4:5], 0xd3c
	v_mov_b32_e32 v2, 0
	v_cmp_lt_i64_e32 vcc, s[14:15], v[1:2]
	s_mov_b64 s[20:21], 0
	s_and_b64 s[0:1], vcc, exec
	v_cmp_lt_u64_e32 vcc, s[14:15], v[1:2]
	s_cselect_b32 s17, s15, 0
	s_cselect_b32 s16, s14, 0x10000
	s_waitcnt lgkmcnt(0)
	s_and_b32 s2, s2, 0xffff
	s_and_b64 s[0:1], vcc, exec
	s_cselect_b32 s19, s15, 0
	s_cselect_b32 s18, s14, 0x10000
	s_lshl_b32 s3, s2, 1
	s_lshl_b32 s24, s2, 2
	s_add_u32 s6, s10, s12
	v_lshlrev_b32_e32 v1, 1, v0
	s_addc_u32 s7, s11, s13
	v_mov_b32_e32 v2, s7
	v_add_co_u32_e32 v1, vcc, s6, v1
	s_mul_i32 s0, s2, 3
	v_addc_co_u32_e32 v2, vcc, 0, v2, vcc
	v_add_co_u32_e32 v5, vcc, s0, v0
	v_addc_co_u32_e64 v6, s[0:1], 0, 0, vcc
	v_add_co_u32_e32 v7, vcc, s3, v0
	v_addc_co_u32_e64 v8, s[0:1], 0, 0, vcc
	v_add_co_u32_e32 v9, vcc, s2, v0
	v_lshlrev_b32_e32 v3, 1, v9
	v_addc_co_u32_e64 v10, s[0:1], 0, 0, vcc
	v_mov_b32_e32 v4, s7
	v_add_co_u32_e32 v3, vcc, s6, v3
	s_lshl_b32 s25, s2, 3
	s_mul_i32 s26, s2, 6
	v_addc_co_u32_e32 v4, vcc, 0, v4, vcc
	s_branch .LBB348_4
.LBB348_3:                              ;   in Loop: Header=BB348_4 Depth=1
	s_or_b64 exec, exec, s[0:1]
	s_add_u32 s20, s20, s24
	v_add_co_u32_e32 v1, vcc, s25, v1
	v_mov_b32_e32 v11, s16
	s_addc_u32 s21, s21, 0
	v_addc_co_u32_e32 v2, vcc, 0, v2, vcc
	v_mov_b32_e32 v12, s17
	v_cmp_lt_i64_e32 vcc, s[20:21], v[11:12]
	v_add_co_u32_e64 v3, s[0:1], s25, v3
	v_addc_co_u32_e64 v4, s[0:1], 0, v4, s[0:1]
	s_cbranch_vccz .LBB348_20
.LBB348_4:                              ; =>This Inner Loop Header: Depth=1
	v_mov_b32_e32 v12, s21
	v_add_co_u32_e32 v11, vcc, s20, v0
	v_addc_co_u32_e32 v12, vcc, 0, v12, vcc
	v_cmp_gt_u64_e32 vcc, s[18:19], v[11:12]
	v_mov_b32_e32 v11, 0
	s_and_saveexec_b64 s[0:1], vcc
	s_cbranch_execz .LBB348_6
; %bb.5:                                ;   in Loop: Header=BB348_4 Depth=1
	global_load_ushort v11, v[1:2], off
	s_waitcnt vmcnt(0)
	v_and_b32_e32 v11, 0x7fff, v11
.LBB348_6:                              ;   in Loop: Header=BB348_4 Depth=1
	s_or_b64 exec, exec, s[0:1]
	v_mov_b32_e32 v13, s21
	v_add_co_u32_e64 v12, s[0:1], s20, v9
	v_addc_co_u32_e64 v13, s[0:1], v10, v13, s[0:1]
	v_cmp_gt_u64_e64 s[0:1], s[18:19], v[12:13]
	v_mov_b32_e32 v12, 0
	v_mov_b32_e32 v13, 0
	s_and_saveexec_b64 s[2:3], s[0:1]
	s_cbranch_execz .LBB348_8
; %bb.7:                                ;   in Loop: Header=BB348_4 Depth=1
	global_load_ushort v13, v[3:4], off
	s_waitcnt vmcnt(0)
	v_and_b32_e32 v13, 0x7fff, v13
.LBB348_8:                              ;   in Loop: Header=BB348_4 Depth=1
	s_or_b64 exec, exec, s[2:3]
	v_mov_b32_e32 v15, s21
	v_add_co_u32_e64 v14, s[2:3], s20, v7
	v_addc_co_u32_e64 v15, s[2:3], v8, v15, s[2:3]
	v_cmp_gt_u64_e64 s[2:3], s[18:19], v[14:15]
	s_and_saveexec_b64 s[8:9], s[2:3]
	s_cbranch_execz .LBB348_10
; %bb.9:                                ;   in Loop: Header=BB348_4 Depth=1
	v_add_co_u32_e64 v14, s[6:7], s24, v1
	v_addc_co_u32_e64 v15, s[6:7], 0, v2, s[6:7]
	global_load_ushort v12, v[14:15], off
	s_waitcnt vmcnt(0)
	v_and_b32_e32 v12, 0x7fff, v12
.LBB348_10:                             ;   in Loop: Header=BB348_4 Depth=1
	s_or_b64 exec, exec, s[8:9]
	v_mov_b32_e32 v15, s21
	v_add_co_u32_e64 v14, s[6:7], s20, v5
	v_addc_co_u32_e64 v15, s[6:7], v6, v15, s[6:7]
	v_cmp_gt_u64_e64 s[6:7], s[18:19], v[14:15]
	v_mov_b32_e32 v14, 0
	s_and_saveexec_b64 s[22:23], s[6:7]
	s_cbranch_execnz .LBB348_15
; %bb.11:                               ;   in Loop: Header=BB348_4 Depth=1
	s_or_b64 exec, exec, s[22:23]
	s_and_saveexec_b64 s[8:9], vcc
	s_cbranch_execnz .LBB348_16
.LBB348_12:                             ;   in Loop: Header=BB348_4 Depth=1
	s_or_b64 exec, exec, s[8:9]
	s_and_saveexec_b64 s[8:9], s[0:1]
	s_cbranch_execnz .LBB348_17
.LBB348_13:                             ;   in Loop: Header=BB348_4 Depth=1
	s_or_b64 exec, exec, s[8:9]
	s_and_saveexec_b64 s[0:1], s[2:3]
	s_cbranch_execnz .LBB348_18
.LBB348_14:                             ;   in Loop: Header=BB348_4 Depth=1
	s_or_b64 exec, exec, s[0:1]
	s_and_saveexec_b64 s[0:1], s[6:7]
	s_cbranch_execz .LBB348_3
	s_branch .LBB348_19
.LBB348_15:                             ;   in Loop: Header=BB348_4 Depth=1
	v_add_co_u32_e64 v14, s[8:9], s26, v1
	v_addc_co_u32_e64 v15, s[8:9], 0, v2, s[8:9]
	global_load_ushort v14, v[14:15], off
	s_waitcnt vmcnt(0)
	v_and_b32_e32 v14, 0x7fff, v14
	s_or_b64 exec, exec, s[22:23]
	s_and_saveexec_b64 s[8:9], vcc
	s_cbranch_execz .LBB348_12
.LBB348_16:                             ;   in Loop: Header=BB348_4 Depth=1
	global_store_short v[1:2], v11, off
	s_or_b64 exec, exec, s[8:9]
	s_and_saveexec_b64 s[8:9], s[0:1]
	s_cbranch_execz .LBB348_13
.LBB348_17:                             ;   in Loop: Header=BB348_4 Depth=1
	global_store_short v[3:4], v13, off
	s_or_b64 exec, exec, s[8:9]
	s_and_saveexec_b64 s[0:1], s[2:3]
	s_cbranch_execz .LBB348_14
.LBB348_18:                             ;   in Loop: Header=BB348_4 Depth=1
	v_add_co_u32_e32 v15, vcc, s24, v1
	v_addc_co_u32_e32 v16, vcc, 0, v2, vcc
	global_store_short v[15:16], v12, off
	s_or_b64 exec, exec, s[0:1]
	s_and_saveexec_b64 s[0:1], s[6:7]
	s_cbranch_execz .LBB348_3
.LBB348_19:                             ;   in Loop: Header=BB348_4 Depth=1
	v_add_co_u32_e32 v11, vcc, s26, v1
	v_addc_co_u32_e32 v12, vcc, 0, v2, vcc
	global_store_short v[11:12], v14, off
	s_branch .LBB348_3
.LBB348_20:
	s_cbranch_execz .LBB348_22
	s_branch .LBB348_30
.LBB348_21:
.LBB348_22:
	v_mov_b32_e32 v1, 0x10000
	v_mov_b32_e32 v2, 0
	v_cmp_lt_i64_e32 vcc, s[14:15], v[1:2]
	v_mov_b32_e32 v3, 0
	s_and_b64 s[0:1], vcc, exec
	s_cselect_b32 s3, s15, 0
	s_cselect_b32 s2, s14, 0x10000
	v_lshlrev_b32_e32 v2, 2, v0
	v_cmp_gt_i64_e32 vcc, s[2:3], v[2:3]
	s_and_saveexec_b64 s[0:1], vcc
	s_cbranch_execz .LBB348_30
; %bb.23:
	v_add_u32_e32 v4, 4, v2
	v_mov_b32_e32 v5, v3
	v_cmp_gt_i64_e32 vcc, s[2:3], v[4:5]
	v_mov_b32_e32 v6, s3
	v_cndmask_b32_e32 v5, 0, v6, vcc
	v_mov_b32_e32 v6, s2
	v_cndmask_b32_e32 v4, v4, v6, vcc
	v_add_co_u32_e32 v4, vcc, -4, v4
	v_addc_co_u32_e32 v5, vcc, -1, v5, vcc
	v_cmp_ne_u64_e32 vcc, v[4:5], v[2:3]
	s_load_dword s0, s[4:5], 0xd3c
	v_cndmask_b32_e64 v6, 0, 1, vcc
	v_or_b32_e32 v2, v2, v6
	v_sub_co_u32_e32 v2, vcc, v4, v2
	v_mov_b32_e32 v1, v3
	v_subbrev_co_u32_e32 v3, vcc, 0, v5, vcc
	v_lshrrev_b64 v[2:3], 2, v[2:3]
	s_waitcnt lgkmcnt(0)
	s_and_b32 s8, s0, 0xffff
	v_add_co_u32_e32 v2, vcc, v2, v6
	v_addc_co_u32_e32 v3, vcc, 0, v3, vcc
	v_cmp_ne_u64_e32 vcc, 0, v[2:3]
	s_cmp_eq_u32 s8, 1
	s_cselect_b64 s[4:5], -1, 0
	s_mov_b64 s[0:1], 0
	s_and_b64 s[14:15], vcc, s[4:5]
	s_mov_b64 s[6:7], -1
	s_and_saveexec_b64 s[4:5], s[14:15]
	s_cbranch_execz .LBB348_27
; %bb.24:
	v_add_co_u32_e32 v1, vcc, 1, v2
	s_add_u32 s6, s10, s12
	v_addc_co_u32_e32 v2, vcc, 0, v3, vcc
	v_lshlrev_b32_e32 v5, 3, v0
	s_addc_u32 s7, s11, s13
	v_mov_b32_e32 v6, s7
	v_add_co_u32_e32 v5, vcc, s6, v5
	v_mov_b32_e32 v4, v2
	v_addc_co_u32_e32 v6, vcc, 0, v6, vcc
	v_and_b32_e32 v3, -2, v1
	v_add_co_u32_e32 v5, vcc, 8, v5
	v_mov_b32_e32 v8, v4
	v_addc_co_u32_e32 v6, vcc, 0, v6, vcc
	s_movk_i32 s6, 0x7fff
	s_mov_b32 s7, 0x5040100
	v_mov_b32_e32 v7, v3
.LBB348_25:                             ; =>This Inner Loop Header: Depth=1
	global_load_dwordx4 v[9:12], v[5:6], off offset:-8
	v_add_co_u32_e32 v7, vcc, -2, v7
	v_addc_co_u32_e32 v8, vcc, -1, v8, vcc
	v_cmp_eq_u64_e32 vcc, 0, v[7:8]
	s_or_b64 s[0:1], vcc, s[0:1]
	s_waitcnt vmcnt(0)
	v_and_b32_e32 v13, 0x7fff, v11
	v_and_b32_sdwa v11, s6, v11 dst_sel:DWORD dst_unused:UNUSED_PAD src0_sel:DWORD src1_sel:WORD_1
	v_and_b32_e32 v14, 0x7fff, v12
	v_and_b32_sdwa v12, s6, v12 dst_sel:DWORD dst_unused:UNUSED_PAD src0_sel:DWORD src1_sel:WORD_1
	;; [unrolled: 2-line block ×4, first 2 shown]
	v_perm_b32 v11, v11, v13, s7
	v_perm_b32 v12, v12, v14, s7
	v_perm_b32 v10, v10, v15, s7
	v_perm_b32 v9, v9, v16, s7
	global_store_dwordx4 v[5:6], v[9:12], off offset:-8
	v_add_co_u32_e32 v5, vcc, 16, v5
	v_addc_co_u32_e32 v6, vcc, 0, v6, vcc
	s_andn2_b64 exec, exec, s[0:1]
	s_cbranch_execnz .LBB348_25
; %bb.26:
	s_or_b64 exec, exec, s[0:1]
	v_cmp_ne_u64_e32 vcc, v[1:2], v[3:4]
	v_add_co_u32_e64 v0, s[0:1], v3, v0
	v_addc_co_u32_e64 v1, s[0:1], 0, v4, s[0:1]
	s_orn2_b64 s[6:7], vcc, exec
.LBB348_27:
	s_or_b64 exec, exec, s[4:5]
	s_and_b64 exec, exec, s[6:7]
	s_cbranch_execz .LBB348_30
; %bb.28:
	v_lshlrev_b64 v[2:3], 3, v[0:1]
	s_add_u32 s0, s10, s12
	s_addc_u32 s1, s11, s13
	v_mov_b32_e32 v4, s1
	v_add_co_u32_e32 v2, vcc, s0, v2
	v_addc_co_u32_e32 v3, vcc, v4, v3, vcc
	v_add_co_u32_e32 v2, vcc, 4, v2
	v_addc_co_u32_e32 v3, vcc, 0, v3, vcc
	s_lshl_b32 s4, s8, 3
	s_mov_b64 s[0:1], 0
.LBB348_29:                             ; =>This Inner Loop Header: Depth=1
	global_load_dwordx2 v[4:5], v[2:3], off offset:-4
	v_add_co_u32_e32 v0, vcc, s8, v0
	v_addc_co_u32_e32 v1, vcc, 0, v1, vcc
	v_lshlrev_b64 v[6:7], 2, v[0:1]
	v_cmp_le_i64_e32 vcc, s[2:3], v[6:7]
	s_or_b64 s[0:1], vcc, s[0:1]
	s_waitcnt vmcnt(0)
	v_and_b32_e32 v4, 0x7fff7fff, v4
	v_and_b32_e32 v5, 0x7fff7fff, v5
	global_store_dwordx2 v[2:3], v[4:5], off offset:-4
	v_add_co_u32_e32 v2, vcc, s4, v2
	v_addc_co_u32_e32 v3, vcc, 0, v3, vcc
	s_andn2_b64 exec, exec, s[0:1]
	s_cbranch_execnz .LBB348_29
.LBB348_30:
	s_endpgm
	.section	.rodata,"a",@progbits
	.p2align	6, 0x0
	.amdhsa_kernel _ZN2at6native12_GLOBAL__N_125multi_tensor_apply_kernelINS1_18TensorListMetadataILi1EEENS1_14UnaryOpFunctorIN3c104HalfELi1ELi1ELi0EEEJNS0_3AbsIfEEEEEvT_T0_DpT1_
		.amdhsa_group_segment_fixed_size 0
		.amdhsa_private_segment_fixed_size 0
		.amdhsa_kernarg_size 3632
		.amdhsa_user_sgpr_count 6
		.amdhsa_user_sgpr_private_segment_buffer 1
		.amdhsa_user_sgpr_dispatch_ptr 0
		.amdhsa_user_sgpr_queue_ptr 0
		.amdhsa_user_sgpr_kernarg_segment_ptr 1
		.amdhsa_user_sgpr_dispatch_id 0
		.amdhsa_user_sgpr_flat_scratch_init 0
		.amdhsa_user_sgpr_private_segment_size 0
		.amdhsa_uses_dynamic_stack 0
		.amdhsa_system_sgpr_private_segment_wavefront_offset 0
		.amdhsa_system_sgpr_workgroup_id_x 1
		.amdhsa_system_sgpr_workgroup_id_y 0
		.amdhsa_system_sgpr_workgroup_id_z 0
		.amdhsa_system_sgpr_workgroup_info 0
		.amdhsa_system_vgpr_workitem_id 0
		.amdhsa_next_free_vgpr 17
		.amdhsa_next_free_sgpr 27
		.amdhsa_reserve_vcc 1
		.amdhsa_reserve_flat_scratch 0
		.amdhsa_float_round_mode_32 0
		.amdhsa_float_round_mode_16_64 0
		.amdhsa_float_denorm_mode_32 3
		.amdhsa_float_denorm_mode_16_64 3
		.amdhsa_dx10_clamp 1
		.amdhsa_ieee_mode 1
		.amdhsa_fp16_overflow 0
		.amdhsa_exception_fp_ieee_invalid_op 0
		.amdhsa_exception_fp_denorm_src 0
		.amdhsa_exception_fp_ieee_div_zero 0
		.amdhsa_exception_fp_ieee_overflow 0
		.amdhsa_exception_fp_ieee_underflow 0
		.amdhsa_exception_fp_ieee_inexact 0
		.amdhsa_exception_int_div_zero 0
	.end_amdhsa_kernel
	.section	.text._ZN2at6native12_GLOBAL__N_125multi_tensor_apply_kernelINS1_18TensorListMetadataILi1EEENS1_14UnaryOpFunctorIN3c104HalfELi1ELi1ELi0EEEJNS0_3AbsIfEEEEEvT_T0_DpT1_,"axG",@progbits,_ZN2at6native12_GLOBAL__N_125multi_tensor_apply_kernelINS1_18TensorListMetadataILi1EEENS1_14UnaryOpFunctorIN3c104HalfELi1ELi1ELi0EEEJNS0_3AbsIfEEEEEvT_T0_DpT1_,comdat
.Lfunc_end348:
	.size	_ZN2at6native12_GLOBAL__N_125multi_tensor_apply_kernelINS1_18TensorListMetadataILi1EEENS1_14UnaryOpFunctorIN3c104HalfELi1ELi1ELi0EEEJNS0_3AbsIfEEEEEvT_T0_DpT1_, .Lfunc_end348-_ZN2at6native12_GLOBAL__N_125multi_tensor_apply_kernelINS1_18TensorListMetadataILi1EEENS1_14UnaryOpFunctorIN3c104HalfELi1ELi1ELi0EEEJNS0_3AbsIfEEEEEvT_T0_DpT1_
                                        ; -- End function
	.set _ZN2at6native12_GLOBAL__N_125multi_tensor_apply_kernelINS1_18TensorListMetadataILi1EEENS1_14UnaryOpFunctorIN3c104HalfELi1ELi1ELi0EEEJNS0_3AbsIfEEEEEvT_T0_DpT1_.num_vgpr, 17
	.set _ZN2at6native12_GLOBAL__N_125multi_tensor_apply_kernelINS1_18TensorListMetadataILi1EEENS1_14UnaryOpFunctorIN3c104HalfELi1ELi1ELi0EEEJNS0_3AbsIfEEEEEvT_T0_DpT1_.num_agpr, 0
	.set _ZN2at6native12_GLOBAL__N_125multi_tensor_apply_kernelINS1_18TensorListMetadataILi1EEENS1_14UnaryOpFunctorIN3c104HalfELi1ELi1ELi0EEEJNS0_3AbsIfEEEEEvT_T0_DpT1_.numbered_sgpr, 27
	.set _ZN2at6native12_GLOBAL__N_125multi_tensor_apply_kernelINS1_18TensorListMetadataILi1EEENS1_14UnaryOpFunctorIN3c104HalfELi1ELi1ELi0EEEJNS0_3AbsIfEEEEEvT_T0_DpT1_.num_named_barrier, 0
	.set _ZN2at6native12_GLOBAL__N_125multi_tensor_apply_kernelINS1_18TensorListMetadataILi1EEENS1_14UnaryOpFunctorIN3c104HalfELi1ELi1ELi0EEEJNS0_3AbsIfEEEEEvT_T0_DpT1_.private_seg_size, 0
	.set _ZN2at6native12_GLOBAL__N_125multi_tensor_apply_kernelINS1_18TensorListMetadataILi1EEENS1_14UnaryOpFunctorIN3c104HalfELi1ELi1ELi0EEEJNS0_3AbsIfEEEEEvT_T0_DpT1_.uses_vcc, 1
	.set _ZN2at6native12_GLOBAL__N_125multi_tensor_apply_kernelINS1_18TensorListMetadataILi1EEENS1_14UnaryOpFunctorIN3c104HalfELi1ELi1ELi0EEEJNS0_3AbsIfEEEEEvT_T0_DpT1_.uses_flat_scratch, 0
	.set _ZN2at6native12_GLOBAL__N_125multi_tensor_apply_kernelINS1_18TensorListMetadataILi1EEENS1_14UnaryOpFunctorIN3c104HalfELi1ELi1ELi0EEEJNS0_3AbsIfEEEEEvT_T0_DpT1_.has_dyn_sized_stack, 0
	.set _ZN2at6native12_GLOBAL__N_125multi_tensor_apply_kernelINS1_18TensorListMetadataILi1EEENS1_14UnaryOpFunctorIN3c104HalfELi1ELi1ELi0EEEJNS0_3AbsIfEEEEEvT_T0_DpT1_.has_recursion, 0
	.set _ZN2at6native12_GLOBAL__N_125multi_tensor_apply_kernelINS1_18TensorListMetadataILi1EEENS1_14UnaryOpFunctorIN3c104HalfELi1ELi1ELi0EEEJNS0_3AbsIfEEEEEvT_T0_DpT1_.has_indirect_call, 0
	.section	.AMDGPU.csdata,"",@progbits
; Kernel info:
; codeLenInByte = 1364
; TotalNumSgprs: 31
; NumVgprs: 17
; ScratchSize: 0
; MemoryBound: 0
; FloatMode: 240
; IeeeMode: 1
; LDSByteSize: 0 bytes/workgroup (compile time only)
; SGPRBlocks: 3
; VGPRBlocks: 4
; NumSGPRsForWavesPerEU: 31
; NumVGPRsForWavesPerEU: 17
; Occupancy: 10
; WaveLimiterHint : 0
; COMPUTE_PGM_RSRC2:SCRATCH_EN: 0
; COMPUTE_PGM_RSRC2:USER_SGPR: 6
; COMPUTE_PGM_RSRC2:TRAP_HANDLER: 0
; COMPUTE_PGM_RSRC2:TGID_X_EN: 1
; COMPUTE_PGM_RSRC2:TGID_Y_EN: 0
; COMPUTE_PGM_RSRC2:TGID_Z_EN: 0
; COMPUTE_PGM_RSRC2:TIDIG_COMP_CNT: 0
	.section	.text._ZN2at6native12_GLOBAL__N_125multi_tensor_apply_kernelINS1_18TensorListMetadataILi1EEENS1_14UnaryOpFunctorIN3c108BFloat16ELi1ELi1ELi0EEEJNS0_3AbsIfEEEEEvT_T0_DpT1_,"axG",@progbits,_ZN2at6native12_GLOBAL__N_125multi_tensor_apply_kernelINS1_18TensorListMetadataILi1EEENS1_14UnaryOpFunctorIN3c108BFloat16ELi1ELi1ELi0EEEJNS0_3AbsIfEEEEEvT_T0_DpT1_,comdat
	.globl	_ZN2at6native12_GLOBAL__N_125multi_tensor_apply_kernelINS1_18TensorListMetadataILi1EEENS1_14UnaryOpFunctorIN3c108BFloat16ELi1ELi1ELi0EEEJNS0_3AbsIfEEEEEvT_T0_DpT1_ ; -- Begin function _ZN2at6native12_GLOBAL__N_125multi_tensor_apply_kernelINS1_18TensorListMetadataILi1EEENS1_14UnaryOpFunctorIN3c108BFloat16ELi1ELi1ELi0EEEJNS0_3AbsIfEEEEEvT_T0_DpT1_
	.p2align	8
	.type	_ZN2at6native12_GLOBAL__N_125multi_tensor_apply_kernelINS1_18TensorListMetadataILi1EEENS1_14UnaryOpFunctorIN3c108BFloat16ELi1ELi1ELi0EEEJNS0_3AbsIfEEEEEvT_T0_DpT1_,@function
_ZN2at6native12_GLOBAL__N_125multi_tensor_apply_kernelINS1_18TensorListMetadataILi1EEENS1_14UnaryOpFunctorIN3c108BFloat16ELi1ELi1ELi0EEEJNS0_3AbsIfEEEEEvT_T0_DpT1_: ; @_ZN2at6native12_GLOBAL__N_125multi_tensor_apply_kernelINS1_18TensorListMetadataILi1EEENS1_14UnaryOpFunctorIN3c108BFloat16ELi1ELi1ELi0EEEJNS0_3AbsIfEEEEEvT_T0_DpT1_
; %bb.0:
	v_mov_b32_e32 v1, s6
	global_load_ubyte v1, v1, s[4:5] offset:1760
	s_add_u32 s0, s4, s6
	s_mul_hi_u32 s1, s6, 3
	s_mul_i32 s6, s6, 3
	s_addc_u32 s2, s5, 0
	s_add_u32 s0, s0, s6
	s_addc_u32 s1, s2, s1
	s_load_dword s0, s[0:1], 0x820
	s_mov_b32 s7, 0
	s_waitcnt vmcnt(0)
	v_readfirstlane_b32 s1, v1
	s_lshl_b32 s1, s1, 3
	s_load_dwordx2 s[2:3], s[4:5], s1 offset:0x370
	s_load_dwordx2 s[10:11], s[4:5], s1 offset:0x0
	s_waitcnt lgkmcnt(0)
	s_ashr_i32 s1, s0, 31
	s_lshl_b64 s[12:13], s[0:1], 17
	s_lshl_b64 s[0:1], s[0:1], 16
	s_and_b32 s6, s10, 7
	s_sub_u32 s14, s2, s0
	s_subb_u32 s15, s3, s1
	s_and_b32 s0, s2, 3
	s_mov_b32 s1, s7
	s_or_b64 s[0:1], s[6:7], s[0:1]
	s_cmp_eq_u64 s[0:1], 0
	s_cbranch_scc1 .LBB349_21
; %bb.1:
	v_cmp_lt_i64_e64 s[0:1], s[14:15], 1
	s_and_b64 vcc, exec, s[0:1]
	s_cbranch_vccnz .LBB349_20
; %bb.2:
	v_mov_b32_e32 v1, 0x10000
	s_load_dword s2, s[4:5], 0xd3c
	v_mov_b32_e32 v2, 0
	v_cmp_lt_i64_e32 vcc, s[14:15], v[1:2]
	s_mov_b64 s[20:21], 0
	s_and_b64 s[0:1], vcc, exec
	v_cmp_lt_u64_e32 vcc, s[14:15], v[1:2]
	s_cselect_b32 s17, s15, 0
	s_cselect_b32 s16, s14, 0x10000
	s_waitcnt lgkmcnt(0)
	s_and_b32 s2, s2, 0xffff
	s_and_b64 s[0:1], vcc, exec
	s_cselect_b32 s19, s15, 0
	s_cselect_b32 s18, s14, 0x10000
	s_lshl_b32 s3, s2, 1
	s_lshl_b32 s24, s2, 2
	s_add_u32 s6, s10, s12
	v_lshlrev_b32_e32 v1, 1, v0
	s_addc_u32 s7, s11, s13
	v_mov_b32_e32 v2, s7
	v_add_co_u32_e32 v1, vcc, s6, v1
	s_mul_i32 s0, s2, 3
	v_addc_co_u32_e32 v2, vcc, 0, v2, vcc
	v_add_co_u32_e32 v5, vcc, s0, v0
	v_addc_co_u32_e64 v6, s[0:1], 0, 0, vcc
	v_add_co_u32_e32 v7, vcc, s3, v0
	v_addc_co_u32_e64 v8, s[0:1], 0, 0, vcc
	v_add_co_u32_e32 v9, vcc, s2, v0
	v_lshlrev_b32_e32 v3, 1, v9
	v_addc_co_u32_e64 v10, s[0:1], 0, 0, vcc
	v_mov_b32_e32 v4, s7
	v_add_co_u32_e32 v3, vcc, s6, v3
	s_lshl_b32 s25, s2, 3
	s_mul_i32 s26, s2, 6
	v_addc_co_u32_e32 v4, vcc, 0, v4, vcc
	s_movk_i32 s27, 0x7fff
	v_mov_b32_e32 v11, 0x7fc0
	s_branch .LBB349_4
.LBB349_3:                              ;   in Loop: Header=BB349_4 Depth=1
	s_or_b64 exec, exec, s[0:1]
	s_add_u32 s20, s20, s24
	v_add_co_u32_e32 v1, vcc, s25, v1
	v_mov_b32_e32 v12, s16
	s_addc_u32 s21, s21, 0
	v_addc_co_u32_e32 v2, vcc, 0, v2, vcc
	v_mov_b32_e32 v13, s17
	v_cmp_lt_i64_e32 vcc, s[20:21], v[12:13]
	v_add_co_u32_e64 v3, s[0:1], s25, v3
	v_addc_co_u32_e64 v4, s[0:1], 0, v4, s[0:1]
	s_cbranch_vccz .LBB349_20
.LBB349_4:                              ; =>This Inner Loop Header: Depth=1
	v_mov_b32_e32 v13, s21
	v_add_co_u32_e32 v12, vcc, s20, v0
	v_addc_co_u32_e32 v13, vcc, 0, v13, vcc
	v_cmp_gt_u64_e32 vcc, s[18:19], v[12:13]
	v_mov_b32_e32 v13, 0
	s_and_saveexec_b64 s[0:1], vcc
	s_cbranch_execz .LBB349_6
; %bb.5:                                ;   in Loop: Header=BB349_4 Depth=1
	global_load_ushort v12, v[1:2], off
	s_waitcnt vmcnt(0)
	v_lshlrev_b32_e32 v13, 16, v12
.LBB349_6:                              ;   in Loop: Header=BB349_4 Depth=1
	s_or_b64 exec, exec, s[0:1]
	v_mov_b32_e32 v12, s21
	v_add_co_u32_e64 v14, s[0:1], s20, v9
	v_addc_co_u32_e64 v15, s[0:1], v10, v12, s[0:1]
	v_cmp_gt_u64_e64 s[0:1], s[18:19], v[14:15]
	v_mov_b32_e32 v12, 0
	v_mov_b32_e32 v14, 0
	s_and_saveexec_b64 s[2:3], s[0:1]
	s_cbranch_execz .LBB349_8
; %bb.7:                                ;   in Loop: Header=BB349_4 Depth=1
	global_load_ushort v14, v[3:4], off
	s_waitcnt vmcnt(0)
	v_lshlrev_b32_e32 v14, 16, v14
.LBB349_8:                              ;   in Loop: Header=BB349_4 Depth=1
	s_or_b64 exec, exec, s[2:3]
	v_mov_b32_e32 v16, s21
	v_add_co_u32_e64 v15, s[2:3], s20, v7
	v_addc_co_u32_e64 v16, s[2:3], v8, v16, s[2:3]
	v_cmp_gt_u64_e64 s[2:3], s[18:19], v[15:16]
	s_and_saveexec_b64 s[8:9], s[2:3]
	s_cbranch_execz .LBB349_10
; %bb.9:                                ;   in Loop: Header=BB349_4 Depth=1
	v_add_co_u32_e64 v15, s[6:7], s24, v1
	v_addc_co_u32_e64 v16, s[6:7], 0, v2, s[6:7]
	global_load_ushort v12, v[15:16], off
	s_waitcnt vmcnt(0)
	v_lshlrev_b32_e32 v12, 16, v12
.LBB349_10:                             ;   in Loop: Header=BB349_4 Depth=1
	s_or_b64 exec, exec, s[8:9]
	v_mov_b32_e32 v16, s21
	v_add_co_u32_e64 v15, s[6:7], s20, v5
	v_addc_co_u32_e64 v16, s[6:7], v6, v16, s[6:7]
	v_cmp_gt_u64_e64 s[6:7], s[18:19], v[15:16]
	v_mov_b32_e32 v15, 0
	s_and_saveexec_b64 s[22:23], s[6:7]
	s_cbranch_execnz .LBB349_15
; %bb.11:                               ;   in Loop: Header=BB349_4 Depth=1
	s_or_b64 exec, exec, s[22:23]
	s_and_saveexec_b64 s[8:9], vcc
	s_cbranch_execnz .LBB349_16
.LBB349_12:                             ;   in Loop: Header=BB349_4 Depth=1
	s_or_b64 exec, exec, s[8:9]
	s_and_saveexec_b64 s[8:9], s[0:1]
	s_cbranch_execnz .LBB349_17
.LBB349_13:                             ;   in Loop: Header=BB349_4 Depth=1
	s_or_b64 exec, exec, s[8:9]
	s_and_saveexec_b64 s[0:1], s[2:3]
	s_cbranch_execnz .LBB349_18
.LBB349_14:                             ;   in Loop: Header=BB349_4 Depth=1
	s_or_b64 exec, exec, s[0:1]
	s_and_saveexec_b64 s[0:1], s[6:7]
	s_cbranch_execz .LBB349_3
	s_branch .LBB349_19
.LBB349_15:                             ;   in Loop: Header=BB349_4 Depth=1
	v_add_co_u32_e64 v15, s[8:9], s26, v1
	v_addc_co_u32_e64 v16, s[8:9], 0, v2, s[8:9]
	global_load_ushort v15, v[15:16], off
	s_waitcnt vmcnt(0)
	v_lshlrev_b32_e32 v15, 16, v15
	s_or_b64 exec, exec, s[22:23]
	s_and_saveexec_b64 s[8:9], vcc
	s_cbranch_execz .LBB349_12
.LBB349_16:                             ;   in Loop: Header=BB349_4 Depth=1
	v_and_b32_e32 v16, 0x7fffffff, v13
	v_bfe_u32 v17, v16, 16, 1
	v_add3_u32 v16, v16, v17, s27
	v_cmp_o_f32_e32 vcc, v13, v13
	v_cndmask_b32_sdwa v13, v11, v16, vcc dst_sel:DWORD dst_unused:UNUSED_PAD src0_sel:DWORD src1_sel:WORD_1
	global_store_short v[1:2], v13, off
	s_or_b64 exec, exec, s[8:9]
	s_and_saveexec_b64 s[8:9], s[0:1]
	s_cbranch_execz .LBB349_13
.LBB349_17:                             ;   in Loop: Header=BB349_4 Depth=1
	v_and_b32_e32 v13, 0x7fffffff, v14
	v_bfe_u32 v16, v13, 16, 1
	v_add3_u32 v13, v13, v16, s27
	v_cmp_o_f32_e32 vcc, v14, v14
	v_cndmask_b32_sdwa v13, v11, v13, vcc dst_sel:DWORD dst_unused:UNUSED_PAD src0_sel:DWORD src1_sel:WORD_1
	global_store_short v[3:4], v13, off
	s_or_b64 exec, exec, s[8:9]
	s_and_saveexec_b64 s[0:1], s[2:3]
	s_cbranch_execz .LBB349_14
.LBB349_18:                             ;   in Loop: Header=BB349_4 Depth=1
	v_and_b32_e32 v13, 0x7fffffff, v12
	v_bfe_u32 v14, v13, 16, 1
	v_add3_u32 v13, v13, v14, s27
	v_cmp_o_f32_e32 vcc, v12, v12
	v_cndmask_b32_sdwa v14, v11, v13, vcc dst_sel:DWORD dst_unused:UNUSED_PAD src0_sel:DWORD src1_sel:WORD_1
	v_add_co_u32_e32 v12, vcc, s24, v1
	v_addc_co_u32_e32 v13, vcc, 0, v2, vcc
	global_store_short v[12:13], v14, off
	s_or_b64 exec, exec, s[0:1]
	s_and_saveexec_b64 s[0:1], s[6:7]
	s_cbranch_execz .LBB349_3
.LBB349_19:                             ;   in Loop: Header=BB349_4 Depth=1
	v_and_b32_e32 v12, 0x7fffffff, v15
	v_bfe_u32 v13, v12, 16, 1
	v_add3_u32 v12, v12, v13, s27
	v_cmp_o_f32_e32 vcc, v15, v15
	v_cndmask_b32_sdwa v14, v11, v12, vcc dst_sel:DWORD dst_unused:UNUSED_PAD src0_sel:DWORD src1_sel:WORD_1
	v_add_co_u32_e32 v12, vcc, s26, v1
	v_addc_co_u32_e32 v13, vcc, 0, v2, vcc
	global_store_short v[12:13], v14, off
	s_branch .LBB349_3
.LBB349_20:
	s_cbranch_execz .LBB349_22
	s_branch .LBB349_25
.LBB349_21:
.LBB349_22:
	v_mov_b32_e32 v1, 0x10000
	v_mov_b32_e32 v2, 0
	v_cmp_lt_i64_e32 vcc, s[14:15], v[1:2]
	v_mov_b32_e32 v2, 0
	s_and_b64 s[0:1], vcc, exec
	s_cselect_b32 s1, s15, 0
	s_cselect_b32 s0, s14, 0x10000
	v_lshlrev_b32_e32 v1, 2, v0
	v_cmp_gt_i64_e32 vcc, s[0:1], v[1:2]
	s_and_saveexec_b64 s[2:3], vcc
	s_cbranch_execz .LBB349_25
; %bb.23:
	s_load_dword s2, s[4:5], 0xd3c
	v_mov_b32_e32 v1, v2
	v_lshlrev_b32_e32 v2, 3, v0
	s_movk_i32 s6, 0x7fff
	v_mov_b32_e32 v4, 0x7fc00000
	s_waitcnt lgkmcnt(0)
	s_and_b32 s4, s2, 0xffff
	s_add_u32 s2, s10, s12
	s_addc_u32 s3, s11, s13
	v_mov_b32_e32 v3, s3
	v_add_co_u32_e32 v2, vcc, s2, v2
	v_addc_co_u32_e32 v3, vcc, 0, v3, vcc
	s_lshl_b32 s5, s4, 3
	s_mov_b64 s[2:3], 0
	v_mov_b32_e32 v5, 0x7fc0
.LBB349_24:                             ; =>This Inner Loop Header: Depth=1
	global_load_dwordx2 v[6:7], v[2:3], off
	v_add_co_u32_e32 v0, vcc, s4, v0
	v_addc_co_u32_e32 v1, vcc, 0, v1, vcc
	v_lshlrev_b64 v[8:9], 2, v[0:1]
	v_cmp_le_i64_e32 vcc, s[0:1], v[8:9]
	s_or_b64 s[2:3], vcc, s[2:3]
	s_waitcnt vmcnt(0)
	v_and_b32_e32 v8, 0xffff0000, v6
	v_lshlrev_b32_e32 v9, 16, v6
	v_alignbit_b32 v6, v7, v6, 16
	v_and_b32_e32 v7, 0xffff0000, v7
	v_and_b32_e32 v12, 0x7fffffff, v7
	;; [unrolled: 1-line block ×3, first 2 shown]
	v_bfe_u32 v16, v12, 16, 1
	v_and_b32_e32 v10, 0x7fffffff, v9
	v_and_b32_e32 v6, 0xffff0000, v6
	v_bfe_u32 v14, v11, 16, 1
	v_add3_u32 v12, v12, v16, s6
	v_bfe_u32 v13, v10, 16, 1
	v_and_b32_e32 v15, 0x7fffffff, v6
	v_add3_u32 v11, v11, v14, s6
	v_and_b32_e32 v12, 0xffff0000, v12
	v_cmp_o_f32_e32 vcc, v7, v7
	v_add3_u32 v10, v10, v13, s6
	v_bfe_u32 v13, v15, 16, 1
	v_and_b32_e32 v11, 0xffff0000, v11
	v_cndmask_b32_e32 v7, v4, v12, vcc
	v_cmp_o_f32_e32 vcc, v8, v8
	v_lshrrev_b32_e32 v10, 16, v10
	v_add3_u32 v13, v15, v13, s6
	v_cndmask_b32_e32 v8, v4, v11, vcc
	v_cmp_o_f32_e32 vcc, v9, v9
	v_lshrrev_b32_e32 v13, 16, v13
	v_cndmask_b32_e32 v9, v5, v10, vcc
	v_cmp_o_f32_e32 vcc, v6, v6
	v_cndmask_b32_e32 v6, v5, v13, vcc
	v_or_b32_e32 v8, v9, v8
	v_or3_b32 v7, 0, v6, v7
	v_or3_b32 v6, v8, 0, 0
	global_store_dwordx2 v[2:3], v[6:7], off
	v_add_co_u32_e32 v2, vcc, s5, v2
	v_addc_co_u32_e32 v3, vcc, 0, v3, vcc
	s_andn2_b64 exec, exec, s[2:3]
	s_cbranch_execnz .LBB349_24
.LBB349_25:
	s_endpgm
	.section	.rodata,"a",@progbits
	.p2align	6, 0x0
	.amdhsa_kernel _ZN2at6native12_GLOBAL__N_125multi_tensor_apply_kernelINS1_18TensorListMetadataILi1EEENS1_14UnaryOpFunctorIN3c108BFloat16ELi1ELi1ELi0EEEJNS0_3AbsIfEEEEEvT_T0_DpT1_
		.amdhsa_group_segment_fixed_size 0
		.amdhsa_private_segment_fixed_size 0
		.amdhsa_kernarg_size 3632
		.amdhsa_user_sgpr_count 6
		.amdhsa_user_sgpr_private_segment_buffer 1
		.amdhsa_user_sgpr_dispatch_ptr 0
		.amdhsa_user_sgpr_queue_ptr 0
		.amdhsa_user_sgpr_kernarg_segment_ptr 1
		.amdhsa_user_sgpr_dispatch_id 0
		.amdhsa_user_sgpr_flat_scratch_init 0
		.amdhsa_user_sgpr_private_segment_size 0
		.amdhsa_uses_dynamic_stack 0
		.amdhsa_system_sgpr_private_segment_wavefront_offset 0
		.amdhsa_system_sgpr_workgroup_id_x 1
		.amdhsa_system_sgpr_workgroup_id_y 0
		.amdhsa_system_sgpr_workgroup_id_z 0
		.amdhsa_system_sgpr_workgroup_info 0
		.amdhsa_system_vgpr_workitem_id 0
		.amdhsa_next_free_vgpr 18
		.amdhsa_next_free_sgpr 28
		.amdhsa_reserve_vcc 1
		.amdhsa_reserve_flat_scratch 0
		.amdhsa_float_round_mode_32 0
		.amdhsa_float_round_mode_16_64 0
		.amdhsa_float_denorm_mode_32 3
		.amdhsa_float_denorm_mode_16_64 3
		.amdhsa_dx10_clamp 1
		.amdhsa_ieee_mode 1
		.amdhsa_fp16_overflow 0
		.amdhsa_exception_fp_ieee_invalid_op 0
		.amdhsa_exception_fp_denorm_src 0
		.amdhsa_exception_fp_ieee_div_zero 0
		.amdhsa_exception_fp_ieee_overflow 0
		.amdhsa_exception_fp_ieee_underflow 0
		.amdhsa_exception_fp_ieee_inexact 0
		.amdhsa_exception_int_div_zero 0
	.end_amdhsa_kernel
	.section	.text._ZN2at6native12_GLOBAL__N_125multi_tensor_apply_kernelINS1_18TensorListMetadataILi1EEENS1_14UnaryOpFunctorIN3c108BFloat16ELi1ELi1ELi0EEEJNS0_3AbsIfEEEEEvT_T0_DpT1_,"axG",@progbits,_ZN2at6native12_GLOBAL__N_125multi_tensor_apply_kernelINS1_18TensorListMetadataILi1EEENS1_14UnaryOpFunctorIN3c108BFloat16ELi1ELi1ELi0EEEJNS0_3AbsIfEEEEEvT_T0_DpT1_,comdat
.Lfunc_end349:
	.size	_ZN2at6native12_GLOBAL__N_125multi_tensor_apply_kernelINS1_18TensorListMetadataILi1EEENS1_14UnaryOpFunctorIN3c108BFloat16ELi1ELi1ELi0EEEJNS0_3AbsIfEEEEEvT_T0_DpT1_, .Lfunc_end349-_ZN2at6native12_GLOBAL__N_125multi_tensor_apply_kernelINS1_18TensorListMetadataILi1EEENS1_14UnaryOpFunctorIN3c108BFloat16ELi1ELi1ELi0EEEJNS0_3AbsIfEEEEEvT_T0_DpT1_
                                        ; -- End function
	.set _ZN2at6native12_GLOBAL__N_125multi_tensor_apply_kernelINS1_18TensorListMetadataILi1EEENS1_14UnaryOpFunctorIN3c108BFloat16ELi1ELi1ELi0EEEJNS0_3AbsIfEEEEEvT_T0_DpT1_.num_vgpr, 18
	.set _ZN2at6native12_GLOBAL__N_125multi_tensor_apply_kernelINS1_18TensorListMetadataILi1EEENS1_14UnaryOpFunctorIN3c108BFloat16ELi1ELi1ELi0EEEJNS0_3AbsIfEEEEEvT_T0_DpT1_.num_agpr, 0
	.set _ZN2at6native12_GLOBAL__N_125multi_tensor_apply_kernelINS1_18TensorListMetadataILi1EEENS1_14UnaryOpFunctorIN3c108BFloat16ELi1ELi1ELi0EEEJNS0_3AbsIfEEEEEvT_T0_DpT1_.numbered_sgpr, 28
	.set _ZN2at6native12_GLOBAL__N_125multi_tensor_apply_kernelINS1_18TensorListMetadataILi1EEENS1_14UnaryOpFunctorIN3c108BFloat16ELi1ELi1ELi0EEEJNS0_3AbsIfEEEEEvT_T0_DpT1_.num_named_barrier, 0
	.set _ZN2at6native12_GLOBAL__N_125multi_tensor_apply_kernelINS1_18TensorListMetadataILi1EEENS1_14UnaryOpFunctorIN3c108BFloat16ELi1ELi1ELi0EEEJNS0_3AbsIfEEEEEvT_T0_DpT1_.private_seg_size, 0
	.set _ZN2at6native12_GLOBAL__N_125multi_tensor_apply_kernelINS1_18TensorListMetadataILi1EEENS1_14UnaryOpFunctorIN3c108BFloat16ELi1ELi1ELi0EEEJNS0_3AbsIfEEEEEvT_T0_DpT1_.uses_vcc, 1
	.set _ZN2at6native12_GLOBAL__N_125multi_tensor_apply_kernelINS1_18TensorListMetadataILi1EEENS1_14UnaryOpFunctorIN3c108BFloat16ELi1ELi1ELi0EEEJNS0_3AbsIfEEEEEvT_T0_DpT1_.uses_flat_scratch, 0
	.set _ZN2at6native12_GLOBAL__N_125multi_tensor_apply_kernelINS1_18TensorListMetadataILi1EEENS1_14UnaryOpFunctorIN3c108BFloat16ELi1ELi1ELi0EEEJNS0_3AbsIfEEEEEvT_T0_DpT1_.has_dyn_sized_stack, 0
	.set _ZN2at6native12_GLOBAL__N_125multi_tensor_apply_kernelINS1_18TensorListMetadataILi1EEENS1_14UnaryOpFunctorIN3c108BFloat16ELi1ELi1ELi0EEEJNS0_3AbsIfEEEEEvT_T0_DpT1_.has_recursion, 0
	.set _ZN2at6native12_GLOBAL__N_125multi_tensor_apply_kernelINS1_18TensorListMetadataILi1EEENS1_14UnaryOpFunctorIN3c108BFloat16ELi1ELi1ELi0EEEJNS0_3AbsIfEEEEEvT_T0_DpT1_.has_indirect_call, 0
	.section	.AMDGPU.csdata,"",@progbits
; Kernel info:
; codeLenInByte = 1340
; TotalNumSgprs: 32
; NumVgprs: 18
; ScratchSize: 0
; MemoryBound: 0
; FloatMode: 240
; IeeeMode: 1
; LDSByteSize: 0 bytes/workgroup (compile time only)
; SGPRBlocks: 3
; VGPRBlocks: 4
; NumSGPRsForWavesPerEU: 32
; NumVGPRsForWavesPerEU: 18
; Occupancy: 10
; WaveLimiterHint : 0
; COMPUTE_PGM_RSRC2:SCRATCH_EN: 0
; COMPUTE_PGM_RSRC2:USER_SGPR: 6
; COMPUTE_PGM_RSRC2:TRAP_HANDLER: 0
; COMPUTE_PGM_RSRC2:TGID_X_EN: 1
; COMPUTE_PGM_RSRC2:TGID_Y_EN: 0
; COMPUTE_PGM_RSRC2:TGID_Z_EN: 0
; COMPUTE_PGM_RSRC2:TIDIG_COMP_CNT: 0
	.section	.text._ZN2at6native12_GLOBAL__N_125multi_tensor_apply_kernelINS1_18TensorListMetadataILi1EEENS1_14UnaryOpFunctorIbLi1ELi1ELi0EEEJNS0_3AbsIbEEEEEvT_T0_DpT1_,"axG",@progbits,_ZN2at6native12_GLOBAL__N_125multi_tensor_apply_kernelINS1_18TensorListMetadataILi1EEENS1_14UnaryOpFunctorIbLi1ELi1ELi0EEEJNS0_3AbsIbEEEEEvT_T0_DpT1_,comdat
	.globl	_ZN2at6native12_GLOBAL__N_125multi_tensor_apply_kernelINS1_18TensorListMetadataILi1EEENS1_14UnaryOpFunctorIbLi1ELi1ELi0EEEJNS0_3AbsIbEEEEEvT_T0_DpT1_ ; -- Begin function _ZN2at6native12_GLOBAL__N_125multi_tensor_apply_kernelINS1_18TensorListMetadataILi1EEENS1_14UnaryOpFunctorIbLi1ELi1ELi0EEEJNS0_3AbsIbEEEEEvT_T0_DpT1_
	.p2align	8
	.type	_ZN2at6native12_GLOBAL__N_125multi_tensor_apply_kernelINS1_18TensorListMetadataILi1EEENS1_14UnaryOpFunctorIbLi1ELi1ELi0EEEJNS0_3AbsIbEEEEEvT_T0_DpT1_,@function
_ZN2at6native12_GLOBAL__N_125multi_tensor_apply_kernelINS1_18TensorListMetadataILi1EEENS1_14UnaryOpFunctorIbLi1ELi1ELi0EEEJNS0_3AbsIbEEEEEvT_T0_DpT1_: ; @_ZN2at6native12_GLOBAL__N_125multi_tensor_apply_kernelINS1_18TensorListMetadataILi1EEENS1_14UnaryOpFunctorIbLi1ELi1ELi0EEEJNS0_3AbsIbEEEEEvT_T0_DpT1_
; %bb.0:
	v_mov_b32_e32 v1, s6
	global_load_ubyte v1, v1, s[4:5] offset:1760
	s_add_u32 s0, s4, s6
	s_mul_hi_u32 s1, s6, 3
	s_mul_i32 s6, s6, 3
	s_addc_u32 s2, s5, 0
	s_add_u32 s0, s0, s6
	s_addc_u32 s1, s2, s1
	s_load_dword s0, s[0:1], 0x820
	s_waitcnt vmcnt(0)
	v_readfirstlane_b32 s1, v1
	s_lshl_b32 s1, s1, 3
	s_load_dwordx2 s[2:3], s[4:5], s1 offset:0x370
	s_load_dwordx2 s[10:11], s[4:5], s1 offset:0x0
	s_waitcnt lgkmcnt(0)
	s_ashr_i32 s1, s0, 31
	s_lshl_b64 s[12:13], s[0:1], 16
	s_sub_u32 s14, s2, s12
	s_subb_u32 s15, s3, s13
	s_or_b32 s0, s2, s10
	s_and_b32 s0, s0, 3
	s_cmp_eq_u32 s0, 0
	s_cbranch_scc1 .LBB350_21
; %bb.1:
	v_cmp_lt_i64_e64 s[0:1], s[14:15], 1
	s_and_b64 vcc, exec, s[0:1]
	s_cbranch_vccnz .LBB350_20
; %bb.2:
	v_mov_b32_e32 v1, 0x10000
	s_load_dword s2, s[4:5], 0xd3c
	v_mov_b32_e32 v2, 0
	v_cmp_lt_i64_e32 vcc, s[14:15], v[1:2]
	s_mov_b64 s[20:21], 0
	s_and_b64 s[0:1], vcc, exec
	v_cmp_lt_u64_e32 vcc, s[14:15], v[1:2]
	s_cselect_b32 s17, s15, 0
	s_cselect_b32 s16, s14, 0x10000
	s_waitcnt lgkmcnt(0)
	s_and_b32 s2, s2, 0xffff
	s_and_b64 s[0:1], vcc, exec
	s_cselect_b32 s19, s15, 0
	s_cselect_b32 s18, s14, 0x10000
	s_lshl_b32 s3, s2, 1
	s_mul_i32 s0, s2, 3
	s_lshl_b32 s24, s2, 2
	v_mov_b32_e32 v1, s13
	v_add_co_u32_e32 v11, vcc, s12, v0
	s_add_u32 s1, s12, s0
	v_addc_co_u32_e32 v12, vcc, 0, v1, vcc
	s_addc_u32 s6, s13, 0
	v_mov_b32_e32 v2, s11
	v_add_co_u32_e32 v1, vcc, s10, v11
	s_add_u32 s1, s10, s1
	v_addc_co_u32_e32 v2, vcc, v2, v12, vcc
	s_addc_u32 s6, s11, s6
	v_mov_b32_e32 v4, s6
	v_add_co_u32_e32 v3, vcc, s1, v0
	v_addc_co_u32_e32 v4, vcc, 0, v4, vcc
	v_add_co_u32_e32 v5, vcc, s0, v0
	v_addc_co_u32_e64 v6, s[0:1], 0, 0, vcc
	s_add_u32 s0, s12, s3
	s_addc_u32 s1, s13, 0
	s_add_u32 s0, s10, s0
	s_addc_u32 s1, s11, s1
	v_mov_b32_e32 v8, s1
	v_add_co_u32_e32 v7, vcc, s0, v0
	v_addc_co_u32_e32 v8, vcc, 0, v8, vcc
	v_add_co_u32_e32 v9, vcc, s3, v0
	v_addc_co_u32_e64 v10, s[0:1], 0, 0, vcc
	s_add_u32 s0, s10, s2
	s_addc_u32 s1, s11, 0
	v_mov_b32_e32 v13, s1
	v_add_co_u32_e32 v11, vcc, s0, v11
	v_addc_co_u32_e32 v12, vcc, v13, v12, vcc
	v_add_co_u32_e32 v13, vcc, s2, v0
	v_addc_co_u32_e64 v14, s[0:1], 0, 0, vcc
	v_mov_b32_e32 v15, 1
	s_branch .LBB350_4
.LBB350_3:                              ;   in Loop: Header=BB350_4 Depth=1
	s_or_b64 exec, exec, s[0:1]
	s_add_u32 s20, s20, s24
	v_mov_b32_e32 v16, s16
	s_addc_u32 s21, s21, 0
	v_mov_b32_e32 v17, s17
	v_cmp_lt_i64_e32 vcc, s[20:21], v[16:17]
	s_cbranch_vccz .LBB350_20
.LBB350_4:                              ; =>This Inner Loop Header: Depth=1
	v_mov_b32_e32 v17, s21
	v_add_co_u32_e32 v16, vcc, s20, v0
	v_addc_co_u32_e32 v17, vcc, 0, v17, vcc
	v_cmp_gt_u64_e32 vcc, s[18:19], v[16:17]
	v_mov_b32_e32 v16, 0
	s_and_saveexec_b64 s[2:3], vcc
	s_cbranch_execz .LBB350_6
; %bb.5:                                ;   in Loop: Header=BB350_4 Depth=1
	v_mov_b32_e32 v17, s21
	v_add_co_u32_e64 v16, s[0:1], s20, v1
	v_addc_co_u32_e64 v17, s[0:1], v2, v17, s[0:1]
	global_load_ubyte v16, v[16:17], off
.LBB350_6:                              ;   in Loop: Header=BB350_4 Depth=1
	s_or_b64 exec, exec, s[2:3]
	v_mov_b32_e32 v18, s21
	v_add_co_u32_e64 v17, s[0:1], s20, v13
	v_addc_co_u32_e64 v18, s[0:1], v14, v18, s[0:1]
	v_cmp_gt_u64_e64 s[0:1], s[18:19], v[17:18]
	v_mov_b32_e32 v17, 0
	v_mov_b32_e32 v18, 0
	s_and_saveexec_b64 s[6:7], s[0:1]
	s_cbranch_execz .LBB350_8
; %bb.7:                                ;   in Loop: Header=BB350_4 Depth=1
	v_mov_b32_e32 v19, s21
	v_add_co_u32_e64 v18, s[2:3], s20, v11
	v_addc_co_u32_e64 v19, s[2:3], v12, v19, s[2:3]
	global_load_ubyte v18, v[18:19], off
.LBB350_8:                              ;   in Loop: Header=BB350_4 Depth=1
	s_or_b64 exec, exec, s[6:7]
	v_mov_b32_e32 v20, s21
	v_add_co_u32_e64 v19, s[2:3], s20, v9
	v_addc_co_u32_e64 v20, s[2:3], v10, v20, s[2:3]
	v_cmp_gt_u64_e64 s[2:3], s[18:19], v[19:20]
	s_and_saveexec_b64 s[8:9], s[2:3]
	s_cbranch_execz .LBB350_10
; %bb.9:                                ;   in Loop: Header=BB350_4 Depth=1
	v_mov_b32_e32 v17, s21
	v_add_co_u32_e64 v19, s[6:7], s20, v7
	v_addc_co_u32_e64 v20, s[6:7], v8, v17, s[6:7]
	global_load_ubyte v17, v[19:20], off
.LBB350_10:                             ;   in Loop: Header=BB350_4 Depth=1
	s_or_b64 exec, exec, s[8:9]
	v_mov_b32_e32 v20, s21
	v_add_co_u32_e64 v19, s[6:7], s20, v5
	v_addc_co_u32_e64 v20, s[6:7], v6, v20, s[6:7]
	v_cmp_gt_u64_e64 s[6:7], s[18:19], v[19:20]
	v_mov_b32_e32 v19, 0
	s_and_saveexec_b64 s[22:23], s[6:7]
	s_cbranch_execz .LBB350_12
; %bb.11:                               ;   in Loop: Header=BB350_4 Depth=1
	v_mov_b32_e32 v20, s21
	v_add_co_u32_e64 v19, s[8:9], s20, v3
	v_addc_co_u32_e64 v20, s[8:9], v4, v20, s[8:9]
	global_load_ubyte v19, v[19:20], off
.LBB350_12:                             ;   in Loop: Header=BB350_4 Depth=1
	s_or_b64 exec, exec, s[22:23]
	s_waitcnt vmcnt(0)
	v_and_b32_e32 v16, 1, v16
	v_and_b32_sdwa v18, v18, v15 dst_sel:BYTE_1 dst_unused:UNUSED_PAD src0_sel:DWORD src1_sel:DWORD
	v_or_b32_e32 v16, v16, v18
	v_and_b32_e32 v17, 1, v17
	v_and_b32_sdwa v18, v19, v15 dst_sel:BYTE_1 dst_unused:UNUSED_PAD src0_sel:DWORD src1_sel:DWORD
	v_or_b32_sdwa v17, v17, v18 dst_sel:WORD_1 dst_unused:UNUSED_PAD src0_sel:DWORD src1_sel:DWORD
	v_or_b32_sdwa v16, v16, v17 dst_sel:DWORD dst_unused:UNUSED_PAD src0_sel:WORD_0 src1_sel:DWORD
	s_and_saveexec_b64 s[8:9], vcc
	s_cbranch_execnz .LBB350_16
; %bb.13:                               ;   in Loop: Header=BB350_4 Depth=1
	s_or_b64 exec, exec, s[8:9]
	s_and_saveexec_b64 s[8:9], s[0:1]
	s_cbranch_execnz .LBB350_17
.LBB350_14:                             ;   in Loop: Header=BB350_4 Depth=1
	s_or_b64 exec, exec, s[8:9]
	s_and_saveexec_b64 s[0:1], s[2:3]
	s_cbranch_execnz .LBB350_18
.LBB350_15:                             ;   in Loop: Header=BB350_4 Depth=1
	s_or_b64 exec, exec, s[0:1]
	s_and_saveexec_b64 s[0:1], s[6:7]
	s_cbranch_execz .LBB350_3
	s_branch .LBB350_19
.LBB350_16:                             ;   in Loop: Header=BB350_4 Depth=1
	v_mov_b32_e32 v18, s21
	v_add_co_u32_e32 v17, vcc, s20, v1
	v_addc_co_u32_e32 v18, vcc, v2, v18, vcc
	global_store_byte v[17:18], v16, off
	s_or_b64 exec, exec, s[8:9]
	s_and_saveexec_b64 s[8:9], s[0:1]
	s_cbranch_execz .LBB350_14
.LBB350_17:                             ;   in Loop: Header=BB350_4 Depth=1
	v_mov_b32_e32 v18, s21
	v_add_co_u32_e32 v17, vcc, s20, v11
	v_addc_co_u32_e32 v18, vcc, v12, v18, vcc
	v_lshrrev_b32_e32 v19, 8, v16
	global_store_byte v[17:18], v19, off
	s_or_b64 exec, exec, s[8:9]
	s_and_saveexec_b64 s[0:1], s[2:3]
	s_cbranch_execz .LBB350_15
.LBB350_18:                             ;   in Loop: Header=BB350_4 Depth=1
	v_mov_b32_e32 v18, s21
	v_add_co_u32_e32 v17, vcc, s20, v7
	v_addc_co_u32_e32 v18, vcc, v8, v18, vcc
	global_store_byte_d16_hi v[17:18], v16, off
	s_or_b64 exec, exec, s[0:1]
	s_and_saveexec_b64 s[0:1], s[6:7]
	s_cbranch_execz .LBB350_3
.LBB350_19:                             ;   in Loop: Header=BB350_4 Depth=1
	v_mov_b32_e32 v18, s21
	v_add_co_u32_e32 v17, vcc, s20, v3
	v_addc_co_u32_e32 v18, vcc, v4, v18, vcc
	v_lshrrev_b32_e32 v16, 24, v16
	global_store_byte v[17:18], v16, off
	s_branch .LBB350_3
.LBB350_20:
	s_cbranch_execz .LBB350_22
	s_branch .LBB350_25
.LBB350_21:
.LBB350_22:
	v_mov_b32_e32 v1, 0x10000
	v_mov_b32_e32 v2, 0
	v_cmp_lt_i64_e32 vcc, s[14:15], v[1:2]
	v_mov_b32_e32 v3, 0
	s_and_b64 s[0:1], vcc, exec
	s_cselect_b32 s1, s15, 0
	s_cselect_b32 s0, s14, 0x10000
	v_lshlrev_b32_e32 v2, 2, v0
	v_cmp_gt_i64_e32 vcc, s[0:1], v[2:3]
	s_and_saveexec_b64 s[2:3], vcc
	s_cbranch_execz .LBB350_25
; %bb.23:
	s_load_dword s2, s[4:5], 0xd3c
	v_mov_b32_e32 v1, v3
	s_waitcnt lgkmcnt(0)
	s_and_b32 s4, s2, 0xffff
	s_add_u32 s2, s10, s12
	s_addc_u32 s3, s11, s13
	v_mov_b32_e32 v3, s3
	v_add_co_u32_e32 v2, vcc, s2, v2
	v_addc_co_u32_e32 v3, vcc, 0, v3, vcc
	s_lshl_b32 s5, s4, 2
	s_mov_b64 s[2:3], 0
.LBB350_24:                             ; =>This Inner Loop Header: Depth=1
	global_load_dword v6, v[2:3], off
	v_add_co_u32_e32 v0, vcc, s4, v0
	v_addc_co_u32_e32 v1, vcc, 0, v1, vcc
	v_lshlrev_b64 v[4:5], 2, v[0:1]
	v_cmp_le_i64_e32 vcc, s[0:1], v[4:5]
	s_or_b64 s[2:3], vcc, s[2:3]
	s_waitcnt vmcnt(0)
	v_and_b32_e32 v4, 0x1010101, v6
	global_store_dword v[2:3], v4, off
	v_add_co_u32_e32 v2, vcc, s5, v2
	v_addc_co_u32_e32 v3, vcc, 0, v3, vcc
	s_andn2_b64 exec, exec, s[2:3]
	s_cbranch_execnz .LBB350_24
.LBB350_25:
	s_endpgm
	.section	.rodata,"a",@progbits
	.p2align	6, 0x0
	.amdhsa_kernel _ZN2at6native12_GLOBAL__N_125multi_tensor_apply_kernelINS1_18TensorListMetadataILi1EEENS1_14UnaryOpFunctorIbLi1ELi1ELi0EEEJNS0_3AbsIbEEEEEvT_T0_DpT1_
		.amdhsa_group_segment_fixed_size 0
		.amdhsa_private_segment_fixed_size 0
		.amdhsa_kernarg_size 3632
		.amdhsa_user_sgpr_count 6
		.amdhsa_user_sgpr_private_segment_buffer 1
		.amdhsa_user_sgpr_dispatch_ptr 0
		.amdhsa_user_sgpr_queue_ptr 0
		.amdhsa_user_sgpr_kernarg_segment_ptr 1
		.amdhsa_user_sgpr_dispatch_id 0
		.amdhsa_user_sgpr_flat_scratch_init 0
		.amdhsa_user_sgpr_private_segment_size 0
		.amdhsa_uses_dynamic_stack 0
		.amdhsa_system_sgpr_private_segment_wavefront_offset 0
		.amdhsa_system_sgpr_workgroup_id_x 1
		.amdhsa_system_sgpr_workgroup_id_y 0
		.amdhsa_system_sgpr_workgroup_id_z 0
		.amdhsa_system_sgpr_workgroup_info 0
		.amdhsa_system_vgpr_workitem_id 0
		.amdhsa_next_free_vgpr 21
		.amdhsa_next_free_sgpr 25
		.amdhsa_reserve_vcc 1
		.amdhsa_reserve_flat_scratch 0
		.amdhsa_float_round_mode_32 0
		.amdhsa_float_round_mode_16_64 0
		.amdhsa_float_denorm_mode_32 3
		.amdhsa_float_denorm_mode_16_64 3
		.amdhsa_dx10_clamp 1
		.amdhsa_ieee_mode 1
		.amdhsa_fp16_overflow 0
		.amdhsa_exception_fp_ieee_invalid_op 0
		.amdhsa_exception_fp_denorm_src 0
		.amdhsa_exception_fp_ieee_div_zero 0
		.amdhsa_exception_fp_ieee_overflow 0
		.amdhsa_exception_fp_ieee_underflow 0
		.amdhsa_exception_fp_ieee_inexact 0
		.amdhsa_exception_int_div_zero 0
	.end_amdhsa_kernel
	.section	.text._ZN2at6native12_GLOBAL__N_125multi_tensor_apply_kernelINS1_18TensorListMetadataILi1EEENS1_14UnaryOpFunctorIbLi1ELi1ELi0EEEJNS0_3AbsIbEEEEEvT_T0_DpT1_,"axG",@progbits,_ZN2at6native12_GLOBAL__N_125multi_tensor_apply_kernelINS1_18TensorListMetadataILi1EEENS1_14UnaryOpFunctorIbLi1ELi1ELi0EEEJNS0_3AbsIbEEEEEvT_T0_DpT1_,comdat
.Lfunc_end350:
	.size	_ZN2at6native12_GLOBAL__N_125multi_tensor_apply_kernelINS1_18TensorListMetadataILi1EEENS1_14UnaryOpFunctorIbLi1ELi1ELi0EEEJNS0_3AbsIbEEEEEvT_T0_DpT1_, .Lfunc_end350-_ZN2at6native12_GLOBAL__N_125multi_tensor_apply_kernelINS1_18TensorListMetadataILi1EEENS1_14UnaryOpFunctorIbLi1ELi1ELi0EEEJNS0_3AbsIbEEEEEvT_T0_DpT1_
                                        ; -- End function
	.set _ZN2at6native12_GLOBAL__N_125multi_tensor_apply_kernelINS1_18TensorListMetadataILi1EEENS1_14UnaryOpFunctorIbLi1ELi1ELi0EEEJNS0_3AbsIbEEEEEvT_T0_DpT1_.num_vgpr, 21
	.set _ZN2at6native12_GLOBAL__N_125multi_tensor_apply_kernelINS1_18TensorListMetadataILi1EEENS1_14UnaryOpFunctorIbLi1ELi1ELi0EEEJNS0_3AbsIbEEEEEvT_T0_DpT1_.num_agpr, 0
	.set _ZN2at6native12_GLOBAL__N_125multi_tensor_apply_kernelINS1_18TensorListMetadataILi1EEENS1_14UnaryOpFunctorIbLi1ELi1ELi0EEEJNS0_3AbsIbEEEEEvT_T0_DpT1_.numbered_sgpr, 25
	.set _ZN2at6native12_GLOBAL__N_125multi_tensor_apply_kernelINS1_18TensorListMetadataILi1EEENS1_14UnaryOpFunctorIbLi1ELi1ELi0EEEJNS0_3AbsIbEEEEEvT_T0_DpT1_.num_named_barrier, 0
	.set _ZN2at6native12_GLOBAL__N_125multi_tensor_apply_kernelINS1_18TensorListMetadataILi1EEENS1_14UnaryOpFunctorIbLi1ELi1ELi0EEEJNS0_3AbsIbEEEEEvT_T0_DpT1_.private_seg_size, 0
	.set _ZN2at6native12_GLOBAL__N_125multi_tensor_apply_kernelINS1_18TensorListMetadataILi1EEENS1_14UnaryOpFunctorIbLi1ELi1ELi0EEEJNS0_3AbsIbEEEEEvT_T0_DpT1_.uses_vcc, 1
	.set _ZN2at6native12_GLOBAL__N_125multi_tensor_apply_kernelINS1_18TensorListMetadataILi1EEENS1_14UnaryOpFunctorIbLi1ELi1ELi0EEEJNS0_3AbsIbEEEEEvT_T0_DpT1_.uses_flat_scratch, 0
	.set _ZN2at6native12_GLOBAL__N_125multi_tensor_apply_kernelINS1_18TensorListMetadataILi1EEENS1_14UnaryOpFunctorIbLi1ELi1ELi0EEEJNS0_3AbsIbEEEEEvT_T0_DpT1_.has_dyn_sized_stack, 0
	.set _ZN2at6native12_GLOBAL__N_125multi_tensor_apply_kernelINS1_18TensorListMetadataILi1EEENS1_14UnaryOpFunctorIbLi1ELi1ELi0EEEJNS0_3AbsIbEEEEEvT_T0_DpT1_.has_recursion, 0
	.set _ZN2at6native12_GLOBAL__N_125multi_tensor_apply_kernelINS1_18TensorListMetadataILi1EEENS1_14UnaryOpFunctorIbLi1ELi1ELi0EEEJNS0_3AbsIbEEEEEvT_T0_DpT1_.has_indirect_call, 0
	.section	.AMDGPU.csdata,"",@progbits
; Kernel info:
; codeLenInByte = 1068
; TotalNumSgprs: 29
; NumVgprs: 21
; ScratchSize: 0
; MemoryBound: 0
; FloatMode: 240
; IeeeMode: 1
; LDSByteSize: 0 bytes/workgroup (compile time only)
; SGPRBlocks: 3
; VGPRBlocks: 5
; NumSGPRsForWavesPerEU: 29
; NumVGPRsForWavesPerEU: 21
; Occupancy: 10
; WaveLimiterHint : 0
; COMPUTE_PGM_RSRC2:SCRATCH_EN: 0
; COMPUTE_PGM_RSRC2:USER_SGPR: 6
; COMPUTE_PGM_RSRC2:TRAP_HANDLER: 0
; COMPUTE_PGM_RSRC2:TGID_X_EN: 1
; COMPUTE_PGM_RSRC2:TGID_Y_EN: 0
; COMPUTE_PGM_RSRC2:TGID_Z_EN: 0
; COMPUTE_PGM_RSRC2:TIDIG_COMP_CNT: 0
	.section	.text._ZN2at6native12_GLOBAL__N_125multi_tensor_apply_kernelINS1_18TensorListMetadataILi1EEENS1_11ZeroFunctorIhLi1ELi1ELi0EEEJEEEvT_T0_DpT1_,"axG",@progbits,_ZN2at6native12_GLOBAL__N_125multi_tensor_apply_kernelINS1_18TensorListMetadataILi1EEENS1_11ZeroFunctorIhLi1ELi1ELi0EEEJEEEvT_T0_DpT1_,comdat
	.globl	_ZN2at6native12_GLOBAL__N_125multi_tensor_apply_kernelINS1_18TensorListMetadataILi1EEENS1_11ZeroFunctorIhLi1ELi1ELi0EEEJEEEvT_T0_DpT1_ ; -- Begin function _ZN2at6native12_GLOBAL__N_125multi_tensor_apply_kernelINS1_18TensorListMetadataILi1EEENS1_11ZeroFunctorIhLi1ELi1ELi0EEEJEEEvT_T0_DpT1_
	.p2align	8
	.type	_ZN2at6native12_GLOBAL__N_125multi_tensor_apply_kernelINS1_18TensorListMetadataILi1EEENS1_11ZeroFunctorIhLi1ELi1ELi0EEEJEEEvT_T0_DpT1_,@function
_ZN2at6native12_GLOBAL__N_125multi_tensor_apply_kernelINS1_18TensorListMetadataILi1EEENS1_11ZeroFunctorIhLi1ELi1ELi0EEEJEEEvT_T0_DpT1_: ; @_ZN2at6native12_GLOBAL__N_125multi_tensor_apply_kernelINS1_18TensorListMetadataILi1EEENS1_11ZeroFunctorIhLi1ELi1ELi0EEEJEEEvT_T0_DpT1_
; %bb.0:
	v_mov_b32_e32 v1, s6
	global_load_ubyte v1, v1, s[4:5] offset:1760
	s_add_u32 s0, s4, s6
	s_mul_hi_u32 s1, s6, 3
	s_mul_i32 s6, s6, 3
	s_addc_u32 s2, s5, 0
	s_add_u32 s0, s0, s6
	s_addc_u32 s1, s2, s1
	s_load_dword s2, s[0:1], 0x820
	s_waitcnt vmcnt(0)
	v_readfirstlane_b32 s0, v1
	s_lshl_b32 s3, s0, 3
	s_load_dwordx2 s[8:9], s[4:5], s3 offset:0x370
	s_load_dwordx2 s[0:1], s[4:5], s3 offset:0x0
	s_waitcnt lgkmcnt(0)
	s_ashr_i32 s3, s2, 31
	s_lshl_b64 s[2:3], s[2:3], 16
	s_sub_u32 s6, s8, s2
	s_subb_u32 s7, s9, s3
	s_or_b32 s8, s8, s0
	s_and_b32 s8, s8, 3
	s_cmp_eq_u32 s8, 0
	s_cbranch_scc1 .LBB351_13
; %bb.1:
	v_cmp_lt_i64_e64 s[8:9], s[6:7], 1
	s_and_b64 vcc, exec, s[8:9]
	s_cbranch_vccnz .LBB351_12
; %bb.2:
	v_mov_b32_e32 v1, 0x10000
	s_load_dword s10, s[4:5], 0xd3c
	v_mov_b32_e32 v2, 0
	v_cmp_lt_i64_e32 vcc, s[6:7], v[1:2]
	v_mov_b32_e32 v5, s1
	s_and_b64 s[8:9], vcc, exec
	v_cmp_lt_u64_e32 vcc, s[6:7], v[1:2]
	s_cselect_b32 s13, s7, 0
	s_cselect_b32 s12, s6, 0x10000
	s_waitcnt lgkmcnt(0)
	s_and_b32 s15, s10, 0xffff
	s_and_b64 s[8:9], vcc, exec
	s_cselect_b32 s9, s7, 0
	s_cselect_b32 s8, s6, 0x10000
	s_lshl_b32 s16, s15, 1
	s_mul_i32 s10, s15, 3
	s_lshl_b32 s14, s15, 2
	v_mov_b32_e32 v1, s3
	v_add_co_u32_e32 v2, vcc, s2, v0
	s_add_u32 s11, s2, s10
	v_addc_co_u32_e32 v1, vcc, 0, v1, vcc
	s_addc_u32 s17, s3, 0
	v_add_co_u32_e32 v4, vcc, s0, v2
	s_add_u32 s11, s0, s11
	v_addc_co_u32_e32 v5, vcc, v5, v1, vcc
	s_addc_u32 s17, s1, s17
	v_mov_b32_e32 v7, s17
	v_add_co_u32_e32 v6, vcc, s11, v0
	v_addc_co_u32_e32 v7, vcc, 0, v7, vcc
	v_add_co_u32_e32 v8, vcc, s10, v0
	v_addc_co_u32_e64 v9, s[10:11], 0, 0, vcc
	s_add_u32 s10, s2, s16
	s_addc_u32 s11, s3, 0
	s_add_u32 s10, s0, s10
	s_addc_u32 s11, s1, s11
	v_mov_b32_e32 v11, s11
	v_add_co_u32_e32 v10, vcc, s10, v0
	v_addc_co_u32_e32 v11, vcc, 0, v11, vcc
	v_add_co_u32_e32 v12, vcc, s16, v0
	v_addc_co_u32_e64 v13, s[10:11], 0, 0, vcc
	s_add_u32 s10, s0, s15
	s_addc_u32 s11, s1, 0
	v_mov_b32_e32 v15, s11
	v_add_co_u32_e32 v14, vcc, s10, v2
	v_addc_co_u32_e32 v15, vcc, v15, v1, vcc
	v_add_co_u32_e32 v16, vcc, s15, v0
	v_addc_co_u32_e64 v17, s[10:11], 0, 0, vcc
	v_mov_b32_e32 v1, s12
	v_mov_b32_e32 v3, 0
	s_mov_b64 s[10:11], 0
	v_mov_b32_e32 v2, s13
	s_branch .LBB351_4
.LBB351_3:                              ;   in Loop: Header=BB351_4 Depth=1
	s_or_b64 exec, exec, s[12:13]
	s_add_u32 s10, s10, s14
	s_addc_u32 s11, s11, 0
	v_cmp_lt_i64_e32 vcc, s[10:11], v[1:2]
	s_cbranch_vccz .LBB351_12
.LBB351_4:                              ; =>This Inner Loop Header: Depth=1
	v_mov_b32_e32 v19, s11
	v_add_co_u32_e32 v18, vcc, s10, v0
	v_addc_co_u32_e32 v19, vcc, 0, v19, vcc
	v_cmp_gt_u64_e32 vcc, s[8:9], v[18:19]
	s_and_saveexec_b64 s[12:13], vcc
	s_cbranch_execz .LBB351_6
; %bb.5:                                ;   in Loop: Header=BB351_4 Depth=1
	v_mov_b32_e32 v19, s11
	v_add_co_u32_e32 v18, vcc, s10, v4
	v_addc_co_u32_e32 v19, vcc, v5, v19, vcc
	global_store_byte v[18:19], v3, off
.LBB351_6:                              ;   in Loop: Header=BB351_4 Depth=1
	s_or_b64 exec, exec, s[12:13]
	v_mov_b32_e32 v19, s11
	v_add_co_u32_e32 v18, vcc, s10, v16
	v_addc_co_u32_e32 v19, vcc, v17, v19, vcc
	v_cmp_gt_u64_e32 vcc, s[8:9], v[18:19]
	s_and_saveexec_b64 s[12:13], vcc
	s_cbranch_execz .LBB351_8
; %bb.7:                                ;   in Loop: Header=BB351_4 Depth=1
	v_mov_b32_e32 v19, s11
	v_add_co_u32_e32 v18, vcc, s10, v14
	v_addc_co_u32_e32 v19, vcc, v15, v19, vcc
	global_store_byte v[18:19], v3, off
.LBB351_8:                              ;   in Loop: Header=BB351_4 Depth=1
	s_or_b64 exec, exec, s[12:13]
	v_mov_b32_e32 v19, s11
	v_add_co_u32_e32 v18, vcc, s10, v12
	v_addc_co_u32_e32 v19, vcc, v13, v19, vcc
	v_cmp_gt_u64_e32 vcc, s[8:9], v[18:19]
	s_and_saveexec_b64 s[12:13], vcc
	s_cbranch_execz .LBB351_10
; %bb.9:                                ;   in Loop: Header=BB351_4 Depth=1
	v_mov_b32_e32 v19, s11
	v_add_co_u32_e32 v18, vcc, s10, v10
	v_addc_co_u32_e32 v19, vcc, v11, v19, vcc
	global_store_byte v[18:19], v3, off
.LBB351_10:                             ;   in Loop: Header=BB351_4 Depth=1
	s_or_b64 exec, exec, s[12:13]
	v_mov_b32_e32 v19, s11
	v_add_co_u32_e32 v18, vcc, s10, v8
	v_addc_co_u32_e32 v19, vcc, v9, v19, vcc
	v_cmp_gt_u64_e32 vcc, s[8:9], v[18:19]
	s_and_saveexec_b64 s[12:13], vcc
	s_cbranch_execz .LBB351_3
; %bb.11:                               ;   in Loop: Header=BB351_4 Depth=1
	v_mov_b32_e32 v19, s11
	v_add_co_u32_e32 v18, vcc, s10, v6
	v_addc_co_u32_e32 v19, vcc, v7, v19, vcc
	global_store_byte v[18:19], v3, off
	s_branch .LBB351_3
.LBB351_12:
	s_cbranch_execz .LBB351_14
	s_branch .LBB351_17
.LBB351_13:
.LBB351_14:
	v_mov_b32_e32 v1, 0x10000
	v_mov_b32_e32 v2, 0
	v_cmp_lt_i64_e32 vcc, s[6:7], v[1:2]
	v_mov_b32_e32 v3, 0
	s_and_b64 s[8:9], vcc, exec
	s_cselect_b32 s7, s7, 0
	s_cselect_b32 s6, s6, 0x10000
	v_lshlrev_b32_e32 v2, 2, v0
	v_cmp_gt_i64_e32 vcc, s[6:7], v[2:3]
	s_and_saveexec_b64 s[8:9], vcc
	s_cbranch_execz .LBB351_17
; %bb.15:
	s_load_dword s4, s[4:5], 0xd3c
	v_mov_b32_e32 v1, v3
	s_waitcnt lgkmcnt(0)
	s_and_b32 s4, s4, 0xffff
	s_add_u32 s0, s0, s2
	s_addc_u32 s1, s1, s3
	v_mov_b32_e32 v5, s1
	v_add_co_u32_e32 v4, vcc, s0, v2
	v_addc_co_u32_e32 v5, vcc, 0, v5, vcc
	s_lshl_b32 s5, s4, 2
	s_mov_b64 s[2:3], 0
.LBB351_16:                             ; =>This Inner Loop Header: Depth=1
	v_add_co_u32_e32 v0, vcc, s4, v0
	v_addc_co_u32_e32 v1, vcc, 0, v1, vcc
	v_lshlrev_b64 v[6:7], 2, v[0:1]
	global_store_dword v[4:5], v3, off
	v_cmp_le_i64_e64 s[0:1], s[6:7], v[6:7]
	v_add_co_u32_e32 v4, vcc, s5, v4
	s_or_b64 s[2:3], s[0:1], s[2:3]
	v_addc_co_u32_e32 v5, vcc, 0, v5, vcc
	s_andn2_b64 exec, exec, s[2:3]
	s_cbranch_execnz .LBB351_16
.LBB351_17:
	s_endpgm
	.section	.rodata,"a",@progbits
	.p2align	6, 0x0
	.amdhsa_kernel _ZN2at6native12_GLOBAL__N_125multi_tensor_apply_kernelINS1_18TensorListMetadataILi1EEENS1_11ZeroFunctorIhLi1ELi1ELi0EEEJEEEvT_T0_DpT1_
		.amdhsa_group_segment_fixed_size 0
		.amdhsa_private_segment_fixed_size 0
		.amdhsa_kernarg_size 3632
		.amdhsa_user_sgpr_count 6
		.amdhsa_user_sgpr_private_segment_buffer 1
		.amdhsa_user_sgpr_dispatch_ptr 0
		.amdhsa_user_sgpr_queue_ptr 0
		.amdhsa_user_sgpr_kernarg_segment_ptr 1
		.amdhsa_user_sgpr_dispatch_id 0
		.amdhsa_user_sgpr_flat_scratch_init 0
		.amdhsa_user_sgpr_private_segment_size 0
		.amdhsa_uses_dynamic_stack 0
		.amdhsa_system_sgpr_private_segment_wavefront_offset 0
		.amdhsa_system_sgpr_workgroup_id_x 1
		.amdhsa_system_sgpr_workgroup_id_y 0
		.amdhsa_system_sgpr_workgroup_id_z 0
		.amdhsa_system_sgpr_workgroup_info 0
		.amdhsa_system_vgpr_workitem_id 0
		.amdhsa_next_free_vgpr 20
		.amdhsa_next_free_sgpr 18
		.amdhsa_reserve_vcc 1
		.amdhsa_reserve_flat_scratch 0
		.amdhsa_float_round_mode_32 0
		.amdhsa_float_round_mode_16_64 0
		.amdhsa_float_denorm_mode_32 3
		.amdhsa_float_denorm_mode_16_64 3
		.amdhsa_dx10_clamp 1
		.amdhsa_ieee_mode 1
		.amdhsa_fp16_overflow 0
		.amdhsa_exception_fp_ieee_invalid_op 0
		.amdhsa_exception_fp_denorm_src 0
		.amdhsa_exception_fp_ieee_div_zero 0
		.amdhsa_exception_fp_ieee_overflow 0
		.amdhsa_exception_fp_ieee_underflow 0
		.amdhsa_exception_fp_ieee_inexact 0
		.amdhsa_exception_int_div_zero 0
	.end_amdhsa_kernel
	.section	.text._ZN2at6native12_GLOBAL__N_125multi_tensor_apply_kernelINS1_18TensorListMetadataILi1EEENS1_11ZeroFunctorIhLi1ELi1ELi0EEEJEEEvT_T0_DpT1_,"axG",@progbits,_ZN2at6native12_GLOBAL__N_125multi_tensor_apply_kernelINS1_18TensorListMetadataILi1EEENS1_11ZeroFunctorIhLi1ELi1ELi0EEEJEEEvT_T0_DpT1_,comdat
.Lfunc_end351:
	.size	_ZN2at6native12_GLOBAL__N_125multi_tensor_apply_kernelINS1_18TensorListMetadataILi1EEENS1_11ZeroFunctorIhLi1ELi1ELi0EEEJEEEvT_T0_DpT1_, .Lfunc_end351-_ZN2at6native12_GLOBAL__N_125multi_tensor_apply_kernelINS1_18TensorListMetadataILi1EEENS1_11ZeroFunctorIhLi1ELi1ELi0EEEJEEEvT_T0_DpT1_
                                        ; -- End function
	.set _ZN2at6native12_GLOBAL__N_125multi_tensor_apply_kernelINS1_18TensorListMetadataILi1EEENS1_11ZeroFunctorIhLi1ELi1ELi0EEEJEEEvT_T0_DpT1_.num_vgpr, 20
	.set _ZN2at6native12_GLOBAL__N_125multi_tensor_apply_kernelINS1_18TensorListMetadataILi1EEENS1_11ZeroFunctorIhLi1ELi1ELi0EEEJEEEvT_T0_DpT1_.num_agpr, 0
	.set _ZN2at6native12_GLOBAL__N_125multi_tensor_apply_kernelINS1_18TensorListMetadataILi1EEENS1_11ZeroFunctorIhLi1ELi1ELi0EEEJEEEvT_T0_DpT1_.numbered_sgpr, 18
	.set _ZN2at6native12_GLOBAL__N_125multi_tensor_apply_kernelINS1_18TensorListMetadataILi1EEENS1_11ZeroFunctorIhLi1ELi1ELi0EEEJEEEvT_T0_DpT1_.num_named_barrier, 0
	.set _ZN2at6native12_GLOBAL__N_125multi_tensor_apply_kernelINS1_18TensorListMetadataILi1EEENS1_11ZeroFunctorIhLi1ELi1ELi0EEEJEEEvT_T0_DpT1_.private_seg_size, 0
	.set _ZN2at6native12_GLOBAL__N_125multi_tensor_apply_kernelINS1_18TensorListMetadataILi1EEENS1_11ZeroFunctorIhLi1ELi1ELi0EEEJEEEvT_T0_DpT1_.uses_vcc, 1
	.set _ZN2at6native12_GLOBAL__N_125multi_tensor_apply_kernelINS1_18TensorListMetadataILi1EEENS1_11ZeroFunctorIhLi1ELi1ELi0EEEJEEEvT_T0_DpT1_.uses_flat_scratch, 0
	.set _ZN2at6native12_GLOBAL__N_125multi_tensor_apply_kernelINS1_18TensorListMetadataILi1EEENS1_11ZeroFunctorIhLi1ELi1ELi0EEEJEEEvT_T0_DpT1_.has_dyn_sized_stack, 0
	.set _ZN2at6native12_GLOBAL__N_125multi_tensor_apply_kernelINS1_18TensorListMetadataILi1EEENS1_11ZeroFunctorIhLi1ELi1ELi0EEEJEEEvT_T0_DpT1_.has_recursion, 0
	.set _ZN2at6native12_GLOBAL__N_125multi_tensor_apply_kernelINS1_18TensorListMetadataILi1EEENS1_11ZeroFunctorIhLi1ELi1ELi0EEEJEEEvT_T0_DpT1_.has_indirect_call, 0
	.section	.AMDGPU.csdata,"",@progbits
; Kernel info:
; codeLenInByte = 744
; TotalNumSgprs: 22
; NumVgprs: 20
; ScratchSize: 0
; MemoryBound: 0
; FloatMode: 240
; IeeeMode: 1
; LDSByteSize: 0 bytes/workgroup (compile time only)
; SGPRBlocks: 2
; VGPRBlocks: 4
; NumSGPRsForWavesPerEU: 22
; NumVGPRsForWavesPerEU: 20
; Occupancy: 10
; WaveLimiterHint : 0
; COMPUTE_PGM_RSRC2:SCRATCH_EN: 0
; COMPUTE_PGM_RSRC2:USER_SGPR: 6
; COMPUTE_PGM_RSRC2:TRAP_HANDLER: 0
; COMPUTE_PGM_RSRC2:TGID_X_EN: 1
; COMPUTE_PGM_RSRC2:TGID_Y_EN: 0
; COMPUTE_PGM_RSRC2:TGID_Z_EN: 0
; COMPUTE_PGM_RSRC2:TIDIG_COMP_CNT: 0
	.section	.text._ZN2at6native12_GLOBAL__N_125multi_tensor_apply_kernelINS1_18TensorListMetadataILi1EEENS1_11ZeroFunctorIaLi1ELi1ELi0EEEJEEEvT_T0_DpT1_,"axG",@progbits,_ZN2at6native12_GLOBAL__N_125multi_tensor_apply_kernelINS1_18TensorListMetadataILi1EEENS1_11ZeroFunctorIaLi1ELi1ELi0EEEJEEEvT_T0_DpT1_,comdat
	.globl	_ZN2at6native12_GLOBAL__N_125multi_tensor_apply_kernelINS1_18TensorListMetadataILi1EEENS1_11ZeroFunctorIaLi1ELi1ELi0EEEJEEEvT_T0_DpT1_ ; -- Begin function _ZN2at6native12_GLOBAL__N_125multi_tensor_apply_kernelINS1_18TensorListMetadataILi1EEENS1_11ZeroFunctorIaLi1ELi1ELi0EEEJEEEvT_T0_DpT1_
	.p2align	8
	.type	_ZN2at6native12_GLOBAL__N_125multi_tensor_apply_kernelINS1_18TensorListMetadataILi1EEENS1_11ZeroFunctorIaLi1ELi1ELi0EEEJEEEvT_T0_DpT1_,@function
_ZN2at6native12_GLOBAL__N_125multi_tensor_apply_kernelINS1_18TensorListMetadataILi1EEENS1_11ZeroFunctorIaLi1ELi1ELi0EEEJEEEvT_T0_DpT1_: ; @_ZN2at6native12_GLOBAL__N_125multi_tensor_apply_kernelINS1_18TensorListMetadataILi1EEENS1_11ZeroFunctorIaLi1ELi1ELi0EEEJEEEvT_T0_DpT1_
; %bb.0:
	v_mov_b32_e32 v1, s6
	global_load_ubyte v1, v1, s[4:5] offset:1760
	s_add_u32 s0, s4, s6
	s_mul_hi_u32 s1, s6, 3
	s_mul_i32 s6, s6, 3
	s_addc_u32 s2, s5, 0
	s_add_u32 s0, s0, s6
	s_addc_u32 s1, s2, s1
	s_load_dword s2, s[0:1], 0x820
	s_waitcnt vmcnt(0)
	v_readfirstlane_b32 s0, v1
	s_lshl_b32 s3, s0, 3
	s_load_dwordx2 s[8:9], s[4:5], s3 offset:0x370
	s_load_dwordx2 s[0:1], s[4:5], s3 offset:0x0
	s_waitcnt lgkmcnt(0)
	s_ashr_i32 s3, s2, 31
	s_lshl_b64 s[2:3], s[2:3], 16
	s_sub_u32 s6, s8, s2
	s_subb_u32 s7, s9, s3
	s_or_b32 s8, s8, s0
	s_and_b32 s8, s8, 3
	s_cmp_eq_u32 s8, 0
	s_cbranch_scc1 .LBB352_13
; %bb.1:
	v_cmp_lt_i64_e64 s[8:9], s[6:7], 1
	s_and_b64 vcc, exec, s[8:9]
	s_cbranch_vccnz .LBB352_12
; %bb.2:
	v_mov_b32_e32 v1, 0x10000
	s_load_dword s10, s[4:5], 0xd3c
	v_mov_b32_e32 v2, 0
	v_cmp_lt_i64_e32 vcc, s[6:7], v[1:2]
	v_mov_b32_e32 v5, s1
	s_and_b64 s[8:9], vcc, exec
	v_cmp_lt_u64_e32 vcc, s[6:7], v[1:2]
	s_cselect_b32 s13, s7, 0
	s_cselect_b32 s12, s6, 0x10000
	s_waitcnt lgkmcnt(0)
	s_and_b32 s15, s10, 0xffff
	s_and_b64 s[8:9], vcc, exec
	s_cselect_b32 s9, s7, 0
	s_cselect_b32 s8, s6, 0x10000
	s_lshl_b32 s16, s15, 1
	s_mul_i32 s10, s15, 3
	s_lshl_b32 s14, s15, 2
	v_mov_b32_e32 v1, s3
	v_add_co_u32_e32 v2, vcc, s2, v0
	s_add_u32 s11, s2, s10
	v_addc_co_u32_e32 v1, vcc, 0, v1, vcc
	s_addc_u32 s17, s3, 0
	v_add_co_u32_e32 v4, vcc, s0, v2
	s_add_u32 s11, s0, s11
	v_addc_co_u32_e32 v5, vcc, v5, v1, vcc
	s_addc_u32 s17, s1, s17
	v_mov_b32_e32 v7, s17
	v_add_co_u32_e32 v6, vcc, s11, v0
	v_addc_co_u32_e32 v7, vcc, 0, v7, vcc
	v_add_co_u32_e32 v8, vcc, s10, v0
	v_addc_co_u32_e64 v9, s[10:11], 0, 0, vcc
	s_add_u32 s10, s2, s16
	s_addc_u32 s11, s3, 0
	s_add_u32 s10, s0, s10
	s_addc_u32 s11, s1, s11
	v_mov_b32_e32 v11, s11
	v_add_co_u32_e32 v10, vcc, s10, v0
	v_addc_co_u32_e32 v11, vcc, 0, v11, vcc
	v_add_co_u32_e32 v12, vcc, s16, v0
	v_addc_co_u32_e64 v13, s[10:11], 0, 0, vcc
	s_add_u32 s10, s0, s15
	s_addc_u32 s11, s1, 0
	v_mov_b32_e32 v15, s11
	v_add_co_u32_e32 v14, vcc, s10, v2
	v_addc_co_u32_e32 v15, vcc, v15, v1, vcc
	v_add_co_u32_e32 v16, vcc, s15, v0
	v_addc_co_u32_e64 v17, s[10:11], 0, 0, vcc
	v_mov_b32_e32 v1, s12
	v_mov_b32_e32 v3, 0
	s_mov_b64 s[10:11], 0
	v_mov_b32_e32 v2, s13
	s_branch .LBB352_4
.LBB352_3:                              ;   in Loop: Header=BB352_4 Depth=1
	s_or_b64 exec, exec, s[12:13]
	s_add_u32 s10, s10, s14
	s_addc_u32 s11, s11, 0
	v_cmp_lt_i64_e32 vcc, s[10:11], v[1:2]
	s_cbranch_vccz .LBB352_12
.LBB352_4:                              ; =>This Inner Loop Header: Depth=1
	v_mov_b32_e32 v19, s11
	v_add_co_u32_e32 v18, vcc, s10, v0
	v_addc_co_u32_e32 v19, vcc, 0, v19, vcc
	v_cmp_gt_u64_e32 vcc, s[8:9], v[18:19]
	s_and_saveexec_b64 s[12:13], vcc
	s_cbranch_execz .LBB352_6
; %bb.5:                                ;   in Loop: Header=BB352_4 Depth=1
	v_mov_b32_e32 v19, s11
	v_add_co_u32_e32 v18, vcc, s10, v4
	v_addc_co_u32_e32 v19, vcc, v5, v19, vcc
	global_store_byte v[18:19], v3, off
.LBB352_6:                              ;   in Loop: Header=BB352_4 Depth=1
	s_or_b64 exec, exec, s[12:13]
	v_mov_b32_e32 v19, s11
	v_add_co_u32_e32 v18, vcc, s10, v16
	v_addc_co_u32_e32 v19, vcc, v17, v19, vcc
	v_cmp_gt_u64_e32 vcc, s[8:9], v[18:19]
	s_and_saveexec_b64 s[12:13], vcc
	s_cbranch_execz .LBB352_8
; %bb.7:                                ;   in Loop: Header=BB352_4 Depth=1
	v_mov_b32_e32 v19, s11
	v_add_co_u32_e32 v18, vcc, s10, v14
	v_addc_co_u32_e32 v19, vcc, v15, v19, vcc
	global_store_byte v[18:19], v3, off
.LBB352_8:                              ;   in Loop: Header=BB352_4 Depth=1
	s_or_b64 exec, exec, s[12:13]
	v_mov_b32_e32 v19, s11
	v_add_co_u32_e32 v18, vcc, s10, v12
	v_addc_co_u32_e32 v19, vcc, v13, v19, vcc
	v_cmp_gt_u64_e32 vcc, s[8:9], v[18:19]
	s_and_saveexec_b64 s[12:13], vcc
	s_cbranch_execz .LBB352_10
; %bb.9:                                ;   in Loop: Header=BB352_4 Depth=1
	v_mov_b32_e32 v19, s11
	v_add_co_u32_e32 v18, vcc, s10, v10
	v_addc_co_u32_e32 v19, vcc, v11, v19, vcc
	global_store_byte v[18:19], v3, off
.LBB352_10:                             ;   in Loop: Header=BB352_4 Depth=1
	s_or_b64 exec, exec, s[12:13]
	v_mov_b32_e32 v19, s11
	v_add_co_u32_e32 v18, vcc, s10, v8
	v_addc_co_u32_e32 v19, vcc, v9, v19, vcc
	v_cmp_gt_u64_e32 vcc, s[8:9], v[18:19]
	s_and_saveexec_b64 s[12:13], vcc
	s_cbranch_execz .LBB352_3
; %bb.11:                               ;   in Loop: Header=BB352_4 Depth=1
	v_mov_b32_e32 v19, s11
	v_add_co_u32_e32 v18, vcc, s10, v6
	v_addc_co_u32_e32 v19, vcc, v7, v19, vcc
	global_store_byte v[18:19], v3, off
	s_branch .LBB352_3
.LBB352_12:
	s_cbranch_execz .LBB352_14
	s_branch .LBB352_17
.LBB352_13:
.LBB352_14:
	v_mov_b32_e32 v1, 0x10000
	v_mov_b32_e32 v2, 0
	v_cmp_lt_i64_e32 vcc, s[6:7], v[1:2]
	v_mov_b32_e32 v3, 0
	s_and_b64 s[8:9], vcc, exec
	s_cselect_b32 s7, s7, 0
	s_cselect_b32 s6, s6, 0x10000
	v_lshlrev_b32_e32 v2, 2, v0
	v_cmp_gt_i64_e32 vcc, s[6:7], v[2:3]
	s_and_saveexec_b64 s[8:9], vcc
	s_cbranch_execz .LBB352_17
; %bb.15:
	s_load_dword s4, s[4:5], 0xd3c
	v_mov_b32_e32 v1, v3
	s_waitcnt lgkmcnt(0)
	s_and_b32 s4, s4, 0xffff
	s_add_u32 s0, s0, s2
	s_addc_u32 s1, s1, s3
	v_mov_b32_e32 v5, s1
	v_add_co_u32_e32 v4, vcc, s0, v2
	v_addc_co_u32_e32 v5, vcc, 0, v5, vcc
	s_lshl_b32 s5, s4, 2
	s_mov_b64 s[2:3], 0
.LBB352_16:                             ; =>This Inner Loop Header: Depth=1
	v_add_co_u32_e32 v0, vcc, s4, v0
	v_addc_co_u32_e32 v1, vcc, 0, v1, vcc
	v_lshlrev_b64 v[6:7], 2, v[0:1]
	global_store_dword v[4:5], v3, off
	v_cmp_le_i64_e64 s[0:1], s[6:7], v[6:7]
	v_add_co_u32_e32 v4, vcc, s5, v4
	s_or_b64 s[2:3], s[0:1], s[2:3]
	v_addc_co_u32_e32 v5, vcc, 0, v5, vcc
	s_andn2_b64 exec, exec, s[2:3]
	s_cbranch_execnz .LBB352_16
.LBB352_17:
	s_endpgm
	.section	.rodata,"a",@progbits
	.p2align	6, 0x0
	.amdhsa_kernel _ZN2at6native12_GLOBAL__N_125multi_tensor_apply_kernelINS1_18TensorListMetadataILi1EEENS1_11ZeroFunctorIaLi1ELi1ELi0EEEJEEEvT_T0_DpT1_
		.amdhsa_group_segment_fixed_size 0
		.amdhsa_private_segment_fixed_size 0
		.amdhsa_kernarg_size 3632
		.amdhsa_user_sgpr_count 6
		.amdhsa_user_sgpr_private_segment_buffer 1
		.amdhsa_user_sgpr_dispatch_ptr 0
		.amdhsa_user_sgpr_queue_ptr 0
		.amdhsa_user_sgpr_kernarg_segment_ptr 1
		.amdhsa_user_sgpr_dispatch_id 0
		.amdhsa_user_sgpr_flat_scratch_init 0
		.amdhsa_user_sgpr_private_segment_size 0
		.amdhsa_uses_dynamic_stack 0
		.amdhsa_system_sgpr_private_segment_wavefront_offset 0
		.amdhsa_system_sgpr_workgroup_id_x 1
		.amdhsa_system_sgpr_workgroup_id_y 0
		.amdhsa_system_sgpr_workgroup_id_z 0
		.amdhsa_system_sgpr_workgroup_info 0
		.amdhsa_system_vgpr_workitem_id 0
		.amdhsa_next_free_vgpr 20
		.amdhsa_next_free_sgpr 18
		.amdhsa_reserve_vcc 1
		.amdhsa_reserve_flat_scratch 0
		.amdhsa_float_round_mode_32 0
		.amdhsa_float_round_mode_16_64 0
		.amdhsa_float_denorm_mode_32 3
		.amdhsa_float_denorm_mode_16_64 3
		.amdhsa_dx10_clamp 1
		.amdhsa_ieee_mode 1
		.amdhsa_fp16_overflow 0
		.amdhsa_exception_fp_ieee_invalid_op 0
		.amdhsa_exception_fp_denorm_src 0
		.amdhsa_exception_fp_ieee_div_zero 0
		.amdhsa_exception_fp_ieee_overflow 0
		.amdhsa_exception_fp_ieee_underflow 0
		.amdhsa_exception_fp_ieee_inexact 0
		.amdhsa_exception_int_div_zero 0
	.end_amdhsa_kernel
	.section	.text._ZN2at6native12_GLOBAL__N_125multi_tensor_apply_kernelINS1_18TensorListMetadataILi1EEENS1_11ZeroFunctorIaLi1ELi1ELi0EEEJEEEvT_T0_DpT1_,"axG",@progbits,_ZN2at6native12_GLOBAL__N_125multi_tensor_apply_kernelINS1_18TensorListMetadataILi1EEENS1_11ZeroFunctorIaLi1ELi1ELi0EEEJEEEvT_T0_DpT1_,comdat
.Lfunc_end352:
	.size	_ZN2at6native12_GLOBAL__N_125multi_tensor_apply_kernelINS1_18TensorListMetadataILi1EEENS1_11ZeroFunctorIaLi1ELi1ELi0EEEJEEEvT_T0_DpT1_, .Lfunc_end352-_ZN2at6native12_GLOBAL__N_125multi_tensor_apply_kernelINS1_18TensorListMetadataILi1EEENS1_11ZeroFunctorIaLi1ELi1ELi0EEEJEEEvT_T0_DpT1_
                                        ; -- End function
	.set _ZN2at6native12_GLOBAL__N_125multi_tensor_apply_kernelINS1_18TensorListMetadataILi1EEENS1_11ZeroFunctorIaLi1ELi1ELi0EEEJEEEvT_T0_DpT1_.num_vgpr, 20
	.set _ZN2at6native12_GLOBAL__N_125multi_tensor_apply_kernelINS1_18TensorListMetadataILi1EEENS1_11ZeroFunctorIaLi1ELi1ELi0EEEJEEEvT_T0_DpT1_.num_agpr, 0
	.set _ZN2at6native12_GLOBAL__N_125multi_tensor_apply_kernelINS1_18TensorListMetadataILi1EEENS1_11ZeroFunctorIaLi1ELi1ELi0EEEJEEEvT_T0_DpT1_.numbered_sgpr, 18
	.set _ZN2at6native12_GLOBAL__N_125multi_tensor_apply_kernelINS1_18TensorListMetadataILi1EEENS1_11ZeroFunctorIaLi1ELi1ELi0EEEJEEEvT_T0_DpT1_.num_named_barrier, 0
	.set _ZN2at6native12_GLOBAL__N_125multi_tensor_apply_kernelINS1_18TensorListMetadataILi1EEENS1_11ZeroFunctorIaLi1ELi1ELi0EEEJEEEvT_T0_DpT1_.private_seg_size, 0
	.set _ZN2at6native12_GLOBAL__N_125multi_tensor_apply_kernelINS1_18TensorListMetadataILi1EEENS1_11ZeroFunctorIaLi1ELi1ELi0EEEJEEEvT_T0_DpT1_.uses_vcc, 1
	.set _ZN2at6native12_GLOBAL__N_125multi_tensor_apply_kernelINS1_18TensorListMetadataILi1EEENS1_11ZeroFunctorIaLi1ELi1ELi0EEEJEEEvT_T0_DpT1_.uses_flat_scratch, 0
	.set _ZN2at6native12_GLOBAL__N_125multi_tensor_apply_kernelINS1_18TensorListMetadataILi1EEENS1_11ZeroFunctorIaLi1ELi1ELi0EEEJEEEvT_T0_DpT1_.has_dyn_sized_stack, 0
	.set _ZN2at6native12_GLOBAL__N_125multi_tensor_apply_kernelINS1_18TensorListMetadataILi1EEENS1_11ZeroFunctorIaLi1ELi1ELi0EEEJEEEvT_T0_DpT1_.has_recursion, 0
	.set _ZN2at6native12_GLOBAL__N_125multi_tensor_apply_kernelINS1_18TensorListMetadataILi1EEENS1_11ZeroFunctorIaLi1ELi1ELi0EEEJEEEvT_T0_DpT1_.has_indirect_call, 0
	.section	.AMDGPU.csdata,"",@progbits
; Kernel info:
; codeLenInByte = 744
; TotalNumSgprs: 22
; NumVgprs: 20
; ScratchSize: 0
; MemoryBound: 0
; FloatMode: 240
; IeeeMode: 1
; LDSByteSize: 0 bytes/workgroup (compile time only)
; SGPRBlocks: 2
; VGPRBlocks: 4
; NumSGPRsForWavesPerEU: 22
; NumVGPRsForWavesPerEU: 20
; Occupancy: 10
; WaveLimiterHint : 0
; COMPUTE_PGM_RSRC2:SCRATCH_EN: 0
; COMPUTE_PGM_RSRC2:USER_SGPR: 6
; COMPUTE_PGM_RSRC2:TRAP_HANDLER: 0
; COMPUTE_PGM_RSRC2:TGID_X_EN: 1
; COMPUTE_PGM_RSRC2:TGID_Y_EN: 0
; COMPUTE_PGM_RSRC2:TGID_Z_EN: 0
; COMPUTE_PGM_RSRC2:TIDIG_COMP_CNT: 0
	.section	.text._ZN2at6native12_GLOBAL__N_125multi_tensor_apply_kernelINS1_18TensorListMetadataILi1EEENS1_11ZeroFunctorIiLi1ELi1ELi0EEEJEEEvT_T0_DpT1_,"axG",@progbits,_ZN2at6native12_GLOBAL__N_125multi_tensor_apply_kernelINS1_18TensorListMetadataILi1EEENS1_11ZeroFunctorIiLi1ELi1ELi0EEEJEEEvT_T0_DpT1_,comdat
	.globl	_ZN2at6native12_GLOBAL__N_125multi_tensor_apply_kernelINS1_18TensorListMetadataILi1EEENS1_11ZeroFunctorIiLi1ELi1ELi0EEEJEEEvT_T0_DpT1_ ; -- Begin function _ZN2at6native12_GLOBAL__N_125multi_tensor_apply_kernelINS1_18TensorListMetadataILi1EEENS1_11ZeroFunctorIiLi1ELi1ELi0EEEJEEEvT_T0_DpT1_
	.p2align	8
	.type	_ZN2at6native12_GLOBAL__N_125multi_tensor_apply_kernelINS1_18TensorListMetadataILi1EEENS1_11ZeroFunctorIiLi1ELi1ELi0EEEJEEEvT_T0_DpT1_,@function
_ZN2at6native12_GLOBAL__N_125multi_tensor_apply_kernelINS1_18TensorListMetadataILi1EEENS1_11ZeroFunctorIiLi1ELi1ELi0EEEJEEEvT_T0_DpT1_: ; @_ZN2at6native12_GLOBAL__N_125multi_tensor_apply_kernelINS1_18TensorListMetadataILi1EEENS1_11ZeroFunctorIiLi1ELi1ELi0EEEJEEEvT_T0_DpT1_
; %bb.0:
	v_mov_b32_e32 v1, s6
	global_load_ubyte v1, v1, s[4:5] offset:1760
	s_add_u32 s0, s4, s6
	s_mul_hi_u32 s1, s6, 3
	s_mul_i32 s6, s6, 3
	s_addc_u32 s2, s5, 0
	s_add_u32 s0, s0, s6
	s_addc_u32 s1, s2, s1
	s_load_dword s0, s[0:1], 0x820
	s_mov_b32 s13, 0
	s_waitcnt vmcnt(0)
	v_readfirstlane_b32 s1, v1
	s_lshl_b32 s1, s1, 3
	s_load_dwordx2 s[10:11], s[4:5], s1 offset:0x370
	s_load_dwordx2 s[2:3], s[4:5], s1 offset:0x0
	s_waitcnt lgkmcnt(0)
	s_ashr_i32 s1, s0, 31
	s_lshl_b64 s[6:7], s[0:1], 18
	s_lshl_b64 s[0:1], s[0:1], 16
	s_and_b32 s12, s2, 15
	s_sub_u32 s8, s10, s0
	s_subb_u32 s9, s11, s1
	s_and_b32 s0, s10, 3
	s_mov_b32 s1, s13
	s_or_b64 s[0:1], s[12:13], s[0:1]
	s_cmp_eq_u64 s[0:1], 0
	s_cbranch_scc1 .LBB353_13
; %bb.1:
	v_cmp_lt_i64_e64 s[0:1], s[8:9], 1
	s_and_b64 vcc, exec, s[0:1]
	s_cbranch_vccnz .LBB353_12
; %bb.2:
	v_mov_b32_e32 v1, 0x10000
	s_load_dword s10, s[4:5], 0xd3c
	v_mov_b32_e32 v2, 0
	v_cmp_lt_i64_e32 vcc, s[8:9], v[1:2]
	v_mov_b32_e32 v7, 0
	s_and_b64 s[0:1], vcc, exec
	v_cmp_lt_u64_e32 vcc, s[8:9], v[1:2]
	s_cselect_b32 s1, s9, 0
	s_cselect_b32 s0, s8, 0x10000
	s_waitcnt lgkmcnt(0)
	s_and_b32 s18, s10, 0xffff
	s_and_b64 s[10:11], vcc, exec
	s_cselect_b32 s11, s9, 0
	s_cselect_b32 s10, s8, 0x10000
	s_lshl_b32 s19, s18, 1
	s_lshl_b32 s14, s18, 2
	s_add_u32 s20, s2, s6
	v_lshlrev_b32_e32 v1, 2, v0
	s_addc_u32 s21, s3, s7
	v_mov_b32_e32 v2, s21
	v_add_co_u32_e32 v1, vcc, s20, v1
	s_mul_i32 s12, s18, 3
	v_addc_co_u32_e32 v2, vcc, 0, v2, vcc
	v_add_co_u32_e32 v8, vcc, s12, v0
	v_addc_co_u32_e64 v9, s[12:13], 0, 0, vcc
	v_add_co_u32_e32 v10, vcc, s19, v0
	v_addc_co_u32_e64 v11, s[12:13], 0, 0, vcc
	v_add_co_u32_e32 v12, vcc, s18, v0
	v_lshlrev_b32_e32 v3, 2, v12
	v_addc_co_u32_e64 v13, s[12:13], 0, 0, vcc
	v_mov_b32_e32 v4, s21
	v_add_co_u32_e32 v3, vcc, s20, v3
	v_mov_b32_e32 v6, s1
	s_lshl_b32 s15, s18, 4
	s_mul_i32 s16, s18, 12
	s_lshl_b32 s17, s18, 3
	v_addc_co_u32_e32 v4, vcc, 0, v4, vcc
	s_mov_b64 s[12:13], 0
	v_mov_b32_e32 v5, s0
	s_branch .LBB353_4
.LBB353_3:                              ;   in Loop: Header=BB353_4 Depth=1
	s_or_b64 exec, exec, s[0:1]
	s_add_u32 s12, s12, s14
	v_add_co_u32_e32 v1, vcc, s15, v1
	s_addc_u32 s13, s13, 0
	v_addc_co_u32_e32 v2, vcc, 0, v2, vcc
	v_cmp_lt_i64_e32 vcc, s[12:13], v[5:6]
	v_add_co_u32_e64 v3, s[0:1], s15, v3
	v_addc_co_u32_e64 v4, s[0:1], 0, v4, s[0:1]
	s_cbranch_vccz .LBB353_12
.LBB353_4:                              ; =>This Inner Loop Header: Depth=1
	v_mov_b32_e32 v15, s13
	v_add_co_u32_e32 v14, vcc, s12, v0
	v_addc_co_u32_e32 v15, vcc, 0, v15, vcc
	v_cmp_gt_u64_e32 vcc, s[10:11], v[14:15]
	s_and_saveexec_b64 s[0:1], vcc
	s_cbranch_execz .LBB353_6
; %bb.5:                                ;   in Loop: Header=BB353_4 Depth=1
	global_store_dword v[1:2], v7, off
.LBB353_6:                              ;   in Loop: Header=BB353_4 Depth=1
	s_or_b64 exec, exec, s[0:1]
	v_mov_b32_e32 v15, s13
	v_add_co_u32_e32 v14, vcc, s12, v12
	v_addc_co_u32_e32 v15, vcc, v13, v15, vcc
	v_cmp_gt_u64_e32 vcc, s[10:11], v[14:15]
	s_and_saveexec_b64 s[0:1], vcc
	s_cbranch_execz .LBB353_8
; %bb.7:                                ;   in Loop: Header=BB353_4 Depth=1
	global_store_dword v[3:4], v7, off
.LBB353_8:                              ;   in Loop: Header=BB353_4 Depth=1
	s_or_b64 exec, exec, s[0:1]
	v_mov_b32_e32 v15, s13
	v_add_co_u32_e32 v14, vcc, s12, v10
	v_addc_co_u32_e32 v15, vcc, v11, v15, vcc
	v_cmp_gt_u64_e32 vcc, s[10:11], v[14:15]
	s_and_saveexec_b64 s[0:1], vcc
	s_cbranch_execz .LBB353_10
; %bb.9:                                ;   in Loop: Header=BB353_4 Depth=1
	v_add_co_u32_e32 v14, vcc, s17, v1
	v_addc_co_u32_e32 v15, vcc, 0, v2, vcc
	global_store_dword v[14:15], v7, off
.LBB353_10:                             ;   in Loop: Header=BB353_4 Depth=1
	s_or_b64 exec, exec, s[0:1]
	v_mov_b32_e32 v15, s13
	v_add_co_u32_e32 v14, vcc, s12, v8
	v_addc_co_u32_e32 v15, vcc, v9, v15, vcc
	v_cmp_gt_u64_e32 vcc, s[10:11], v[14:15]
	s_and_saveexec_b64 s[0:1], vcc
	s_cbranch_execz .LBB353_3
; %bb.11:                               ;   in Loop: Header=BB353_4 Depth=1
	v_add_co_u32_e32 v14, vcc, s16, v1
	v_addc_co_u32_e32 v15, vcc, 0, v2, vcc
	global_store_dword v[14:15], v7, off
	s_branch .LBB353_3
.LBB353_12:
	s_cbranch_execz .LBB353_14
	s_branch .LBB353_17
.LBB353_13:
.LBB353_14:
	v_mov_b32_e32 v1, 0x10000
	v_mov_b32_e32 v2, 0
	v_cmp_lt_i64_e32 vcc, s[8:9], v[1:2]
	v_mov_b32_e32 v2, 0
	s_and_b64 s[0:1], vcc, exec
	s_cselect_b32 s9, s9, 0
	s_cselect_b32 s8, s8, 0x10000
	v_lshlrev_b32_e32 v3, 2, v0
	v_mov_b32_e32 v4, v2
	v_cmp_gt_i64_e32 vcc, s[8:9], v[3:4]
	s_and_saveexec_b64 s[0:1], vcc
	s_cbranch_execz .LBB353_17
; %bb.15:
	s_load_dword s0, s[4:5], 0xd3c
	v_lshlrev_b32_e32 v3, 4, v0
	v_mov_b32_e32 v1, v2
	v_mov_b32_e32 v5, v2
	s_waitcnt lgkmcnt(0)
	s_and_b32 s4, s0, 0xffff
	s_add_u32 s0, s2, s6
	s_addc_u32 s1, s3, s7
	v_mov_b32_e32 v4, s1
	v_add_co_u32_e32 v3, vcc, s0, v3
	v_addc_co_u32_e32 v4, vcc, 0, v4, vcc
	v_add_co_u32_e32 v6, vcc, 8, v3
	v_addc_co_u32_e32 v7, vcc, 0, v4, vcc
	s_lshl_b32 s5, s4, 4
	s_mov_b64 s[2:3], 0
	v_mov_b32_e32 v3, v2
	v_mov_b32_e32 v4, v2
.LBB353_16:                             ; =>This Inner Loop Header: Depth=1
	v_add_co_u32_e32 v0, vcc, s4, v0
	v_addc_co_u32_e32 v1, vcc, 0, v1, vcc
	v_lshlrev_b64 v[8:9], 2, v[0:1]
	global_store_dwordx4 v[6:7], v[2:5], off offset:-8
	v_cmp_le_i64_e64 s[0:1], s[8:9], v[8:9]
	v_add_co_u32_e32 v6, vcc, s5, v6
	s_or_b64 s[2:3], s[0:1], s[2:3]
	v_addc_co_u32_e32 v7, vcc, 0, v7, vcc
	s_andn2_b64 exec, exec, s[2:3]
	s_cbranch_execnz .LBB353_16
.LBB353_17:
	s_endpgm
	.section	.rodata,"a",@progbits
	.p2align	6, 0x0
	.amdhsa_kernel _ZN2at6native12_GLOBAL__N_125multi_tensor_apply_kernelINS1_18TensorListMetadataILi1EEENS1_11ZeroFunctorIiLi1ELi1ELi0EEEJEEEvT_T0_DpT1_
		.amdhsa_group_segment_fixed_size 0
		.amdhsa_private_segment_fixed_size 0
		.amdhsa_kernarg_size 3632
		.amdhsa_user_sgpr_count 6
		.amdhsa_user_sgpr_private_segment_buffer 1
		.amdhsa_user_sgpr_dispatch_ptr 0
		.amdhsa_user_sgpr_queue_ptr 0
		.amdhsa_user_sgpr_kernarg_segment_ptr 1
		.amdhsa_user_sgpr_dispatch_id 0
		.amdhsa_user_sgpr_flat_scratch_init 0
		.amdhsa_user_sgpr_private_segment_size 0
		.amdhsa_uses_dynamic_stack 0
		.amdhsa_system_sgpr_private_segment_wavefront_offset 0
		.amdhsa_system_sgpr_workgroup_id_x 1
		.amdhsa_system_sgpr_workgroup_id_y 0
		.amdhsa_system_sgpr_workgroup_id_z 0
		.amdhsa_system_sgpr_workgroup_info 0
		.amdhsa_system_vgpr_workitem_id 0
		.amdhsa_next_free_vgpr 16
		.amdhsa_next_free_sgpr 22
		.amdhsa_reserve_vcc 1
		.amdhsa_reserve_flat_scratch 0
		.amdhsa_float_round_mode_32 0
		.amdhsa_float_round_mode_16_64 0
		.amdhsa_float_denorm_mode_32 3
		.amdhsa_float_denorm_mode_16_64 3
		.amdhsa_dx10_clamp 1
		.amdhsa_ieee_mode 1
		.amdhsa_fp16_overflow 0
		.amdhsa_exception_fp_ieee_invalid_op 0
		.amdhsa_exception_fp_denorm_src 0
		.amdhsa_exception_fp_ieee_div_zero 0
		.amdhsa_exception_fp_ieee_overflow 0
		.amdhsa_exception_fp_ieee_underflow 0
		.amdhsa_exception_fp_ieee_inexact 0
		.amdhsa_exception_int_div_zero 0
	.end_amdhsa_kernel
	.section	.text._ZN2at6native12_GLOBAL__N_125multi_tensor_apply_kernelINS1_18TensorListMetadataILi1EEENS1_11ZeroFunctorIiLi1ELi1ELi0EEEJEEEvT_T0_DpT1_,"axG",@progbits,_ZN2at6native12_GLOBAL__N_125multi_tensor_apply_kernelINS1_18TensorListMetadataILi1EEENS1_11ZeroFunctorIiLi1ELi1ELi0EEEJEEEvT_T0_DpT1_,comdat
.Lfunc_end353:
	.size	_ZN2at6native12_GLOBAL__N_125multi_tensor_apply_kernelINS1_18TensorListMetadataILi1EEENS1_11ZeroFunctorIiLi1ELi1ELi0EEEJEEEvT_T0_DpT1_, .Lfunc_end353-_ZN2at6native12_GLOBAL__N_125multi_tensor_apply_kernelINS1_18TensorListMetadataILi1EEENS1_11ZeroFunctorIiLi1ELi1ELi0EEEJEEEvT_T0_DpT1_
                                        ; -- End function
	.set _ZN2at6native12_GLOBAL__N_125multi_tensor_apply_kernelINS1_18TensorListMetadataILi1EEENS1_11ZeroFunctorIiLi1ELi1ELi0EEEJEEEvT_T0_DpT1_.num_vgpr, 16
	.set _ZN2at6native12_GLOBAL__N_125multi_tensor_apply_kernelINS1_18TensorListMetadataILi1EEENS1_11ZeroFunctorIiLi1ELi1ELi0EEEJEEEvT_T0_DpT1_.num_agpr, 0
	.set _ZN2at6native12_GLOBAL__N_125multi_tensor_apply_kernelINS1_18TensorListMetadataILi1EEENS1_11ZeroFunctorIiLi1ELi1ELi0EEEJEEEvT_T0_DpT1_.numbered_sgpr, 22
	.set _ZN2at6native12_GLOBAL__N_125multi_tensor_apply_kernelINS1_18TensorListMetadataILi1EEENS1_11ZeroFunctorIiLi1ELi1ELi0EEEJEEEvT_T0_DpT1_.num_named_barrier, 0
	.set _ZN2at6native12_GLOBAL__N_125multi_tensor_apply_kernelINS1_18TensorListMetadataILi1EEENS1_11ZeroFunctorIiLi1ELi1ELi0EEEJEEEvT_T0_DpT1_.private_seg_size, 0
	.set _ZN2at6native12_GLOBAL__N_125multi_tensor_apply_kernelINS1_18TensorListMetadataILi1EEENS1_11ZeroFunctorIiLi1ELi1ELi0EEEJEEEvT_T0_DpT1_.uses_vcc, 1
	.set _ZN2at6native12_GLOBAL__N_125multi_tensor_apply_kernelINS1_18TensorListMetadataILi1EEENS1_11ZeroFunctorIiLi1ELi1ELi0EEEJEEEvT_T0_DpT1_.uses_flat_scratch, 0
	.set _ZN2at6native12_GLOBAL__N_125multi_tensor_apply_kernelINS1_18TensorListMetadataILi1EEENS1_11ZeroFunctorIiLi1ELi1ELi0EEEJEEEvT_T0_DpT1_.has_dyn_sized_stack, 0
	.set _ZN2at6native12_GLOBAL__N_125multi_tensor_apply_kernelINS1_18TensorListMetadataILi1EEENS1_11ZeroFunctorIiLi1ELi1ELi0EEEJEEEvT_T0_DpT1_.has_recursion, 0
	.set _ZN2at6native12_GLOBAL__N_125multi_tensor_apply_kernelINS1_18TensorListMetadataILi1EEENS1_11ZeroFunctorIiLi1ELi1ELi0EEEJEEEvT_T0_DpT1_.has_indirect_call, 0
	.section	.AMDGPU.csdata,"",@progbits
; Kernel info:
; codeLenInByte = 732
; TotalNumSgprs: 26
; NumVgprs: 16
; ScratchSize: 0
; MemoryBound: 0
; FloatMode: 240
; IeeeMode: 1
; LDSByteSize: 0 bytes/workgroup (compile time only)
; SGPRBlocks: 3
; VGPRBlocks: 3
; NumSGPRsForWavesPerEU: 26
; NumVGPRsForWavesPerEU: 16
; Occupancy: 10
; WaveLimiterHint : 0
; COMPUTE_PGM_RSRC2:SCRATCH_EN: 0
; COMPUTE_PGM_RSRC2:USER_SGPR: 6
; COMPUTE_PGM_RSRC2:TRAP_HANDLER: 0
; COMPUTE_PGM_RSRC2:TGID_X_EN: 1
; COMPUTE_PGM_RSRC2:TGID_Y_EN: 0
; COMPUTE_PGM_RSRC2:TGID_Z_EN: 0
; COMPUTE_PGM_RSRC2:TIDIG_COMP_CNT: 0
	.section	.text._ZN2at6native12_GLOBAL__N_125multi_tensor_apply_kernelINS1_18TensorListMetadataILi1EEENS1_11ZeroFunctorIlLi1ELi1ELi0EEEJEEEvT_T0_DpT1_,"axG",@progbits,_ZN2at6native12_GLOBAL__N_125multi_tensor_apply_kernelINS1_18TensorListMetadataILi1EEENS1_11ZeroFunctorIlLi1ELi1ELi0EEEJEEEvT_T0_DpT1_,comdat
	.globl	_ZN2at6native12_GLOBAL__N_125multi_tensor_apply_kernelINS1_18TensorListMetadataILi1EEENS1_11ZeroFunctorIlLi1ELi1ELi0EEEJEEEvT_T0_DpT1_ ; -- Begin function _ZN2at6native12_GLOBAL__N_125multi_tensor_apply_kernelINS1_18TensorListMetadataILi1EEENS1_11ZeroFunctorIlLi1ELi1ELi0EEEJEEEvT_T0_DpT1_
	.p2align	8
	.type	_ZN2at6native12_GLOBAL__N_125multi_tensor_apply_kernelINS1_18TensorListMetadataILi1EEENS1_11ZeroFunctorIlLi1ELi1ELi0EEEJEEEvT_T0_DpT1_,@function
_ZN2at6native12_GLOBAL__N_125multi_tensor_apply_kernelINS1_18TensorListMetadataILi1EEENS1_11ZeroFunctorIlLi1ELi1ELi0EEEJEEEvT_T0_DpT1_: ; @_ZN2at6native12_GLOBAL__N_125multi_tensor_apply_kernelINS1_18TensorListMetadataILi1EEENS1_11ZeroFunctorIlLi1ELi1ELi0EEEJEEEvT_T0_DpT1_
; %bb.0:
	v_mov_b32_e32 v1, s6
	global_load_ubyte v1, v1, s[4:5] offset:1760
	s_add_u32 s0, s4, s6
	s_mul_hi_u32 s1, s6, 3
	s_mul_i32 s6, s6, 3
	s_addc_u32 s2, s5, 0
	s_add_u32 s0, s0, s6
	s_addc_u32 s1, s2, s1
	s_load_dword s0, s[0:1], 0x820
	s_mov_b32 s13, 0
	s_waitcnt vmcnt(0)
	v_readfirstlane_b32 s1, v1
	s_lshl_b32 s1, s1, 3
	s_load_dwordx2 s[10:11], s[4:5], s1 offset:0x370
	s_load_dwordx2 s[2:3], s[4:5], s1 offset:0x0
	s_waitcnt lgkmcnt(0)
	s_ashr_i32 s1, s0, 31
	s_lshl_b64 s[6:7], s[0:1], 19
	s_lshl_b64 s[0:1], s[0:1], 16
	s_and_b32 s12, s2, 31
	s_sub_u32 s8, s10, s0
	s_subb_u32 s9, s11, s1
	s_and_b32 s0, s10, 3
	s_mov_b32 s1, s13
	s_or_b64 s[0:1], s[12:13], s[0:1]
	s_cmp_eq_u64 s[0:1], 0
	s_cbranch_scc1 .LBB354_13
; %bb.1:
	v_cmp_lt_i64_e64 s[0:1], s[8:9], 1
	s_and_b64 vcc, exec, s[0:1]
	s_cbranch_vccnz .LBB354_12
; %bb.2:
	v_mov_b32_e32 v2, 0x10000
	s_load_dword s10, s[4:5], 0xd3c
	v_mov_b32_e32 v3, 0
	v_cmp_lt_i64_e32 vcc, s[8:9], v[2:3]
	v_mov_b32_e32 v1, 0
	s_and_b64 s[0:1], vcc, exec
	v_cmp_lt_u64_e32 vcc, s[8:9], v[2:3]
	s_cselect_b32 s1, s9, 0
	s_cselect_b32 s0, s8, 0x10000
	s_waitcnt lgkmcnt(0)
	s_and_b32 s18, s10, 0xffff
	s_and_b64 s[10:11], vcc, exec
	s_cselect_b32 s11, s9, 0
	s_cselect_b32 s10, s8, 0x10000
	s_lshl_b32 s19, s18, 1
	s_lshl_b32 s14, s18, 2
	s_add_u32 s20, s2, s6
	v_lshlrev_b32_e32 v2, 3, v0
	s_addc_u32 s21, s3, s7
	v_mov_b32_e32 v4, s21
	v_add_co_u32_e32 v3, vcc, s20, v2
	s_mul_i32 s12, s18, 3
	v_addc_co_u32_e32 v4, vcc, 0, v4, vcc
	v_add_co_u32_e32 v9, vcc, s12, v0
	v_addc_co_u32_e64 v10, s[12:13], 0, 0, vcc
	v_add_co_u32_e32 v11, vcc, s19, v0
	v_addc_co_u32_e64 v12, s[12:13], 0, 0, vcc
	v_add_co_u32_e32 v13, vcc, s18, v0
	v_lshlrev_b32_e32 v2, 3, v13
	v_addc_co_u32_e64 v14, s[12:13], 0, 0, vcc
	v_mov_b32_e32 v6, s21
	v_add_co_u32_e32 v5, vcc, s20, v2
	v_mov_b32_e32 v8, s1
	s_lshl_b32 s15, s18, 5
	s_mul_i32 s16, s18, 24
	s_lshl_b32 s17, s18, 4
	v_addc_co_u32_e32 v6, vcc, 0, v6, vcc
	s_mov_b64 s[12:13], 0
	v_mov_b32_e32 v7, s0
	s_branch .LBB354_4
.LBB354_3:                              ;   in Loop: Header=BB354_4 Depth=1
	s_or_b64 exec, exec, s[0:1]
	s_add_u32 s12, s12, s14
	v_add_co_u32_e32 v3, vcc, s15, v3
	s_addc_u32 s13, s13, 0
	v_addc_co_u32_e32 v4, vcc, 0, v4, vcc
	v_cmp_lt_i64_e32 vcc, s[12:13], v[7:8]
	v_add_co_u32_e64 v5, s[0:1], s15, v5
	v_addc_co_u32_e64 v6, s[0:1], 0, v6, s[0:1]
	s_cbranch_vccz .LBB354_12
.LBB354_4:                              ; =>This Inner Loop Header: Depth=1
	v_mov_b32_e32 v2, s13
	v_add_co_u32_e32 v15, vcc, s12, v0
	v_addc_co_u32_e32 v16, vcc, 0, v2, vcc
	v_cmp_gt_u64_e32 vcc, s[10:11], v[15:16]
	s_and_saveexec_b64 s[0:1], vcc
	s_cbranch_execz .LBB354_6
; %bb.5:                                ;   in Loop: Header=BB354_4 Depth=1
	v_mov_b32_e32 v2, v1
	global_store_dwordx2 v[3:4], v[1:2], off
.LBB354_6:                              ;   in Loop: Header=BB354_4 Depth=1
	s_or_b64 exec, exec, s[0:1]
	v_mov_b32_e32 v2, s13
	v_add_co_u32_e32 v15, vcc, s12, v13
	v_addc_co_u32_e32 v16, vcc, v14, v2, vcc
	v_cmp_gt_u64_e32 vcc, s[10:11], v[15:16]
	s_and_saveexec_b64 s[0:1], vcc
	s_cbranch_execz .LBB354_8
; %bb.7:                                ;   in Loop: Header=BB354_4 Depth=1
	v_mov_b32_e32 v2, v1
	global_store_dwordx2 v[5:6], v[1:2], off
.LBB354_8:                              ;   in Loop: Header=BB354_4 Depth=1
	s_or_b64 exec, exec, s[0:1]
	v_mov_b32_e32 v2, s13
	v_add_co_u32_e32 v15, vcc, s12, v11
	v_addc_co_u32_e32 v16, vcc, v12, v2, vcc
	v_cmp_gt_u64_e32 vcc, s[10:11], v[15:16]
	s_and_saveexec_b64 s[0:1], vcc
	s_cbranch_execz .LBB354_10
; %bb.9:                                ;   in Loop: Header=BB354_4 Depth=1
	v_add_co_u32_e32 v15, vcc, s17, v3
	v_addc_co_u32_e32 v16, vcc, 0, v4, vcc
	v_mov_b32_e32 v2, v1
	global_store_dwordx2 v[15:16], v[1:2], off
.LBB354_10:                             ;   in Loop: Header=BB354_4 Depth=1
	s_or_b64 exec, exec, s[0:1]
	v_mov_b32_e32 v2, s13
	v_add_co_u32_e32 v15, vcc, s12, v9
	v_addc_co_u32_e32 v16, vcc, v10, v2, vcc
	v_cmp_gt_u64_e32 vcc, s[10:11], v[15:16]
	s_and_saveexec_b64 s[0:1], vcc
	s_cbranch_execz .LBB354_3
; %bb.11:                               ;   in Loop: Header=BB354_4 Depth=1
	v_add_co_u32_e32 v15, vcc, s16, v3
	v_addc_co_u32_e32 v16, vcc, 0, v4, vcc
	v_mov_b32_e32 v2, v1
	global_store_dwordx2 v[15:16], v[1:2], off
	s_branch .LBB354_3
.LBB354_12:
	s_cbranch_execz .LBB354_14
	s_branch .LBB354_17
.LBB354_13:
.LBB354_14:
	v_mov_b32_e32 v1, 0x10000
	v_mov_b32_e32 v2, 0
	v_cmp_lt_i64_e32 vcc, s[8:9], v[1:2]
	v_mov_b32_e32 v2, 0
	s_and_b64 s[0:1], vcc, exec
	s_cselect_b32 s9, s9, 0
	s_cselect_b32 s8, s8, 0x10000
	v_lshlrev_b32_e32 v1, 2, v0
	v_cmp_gt_i64_e32 vcc, s[8:9], v[1:2]
	s_mov_b32 s0, 0
	s_and_saveexec_b64 s[10:11], vcc
	s_cbranch_execz .LBB354_17
; %bb.15:
	s_load_dword s1, s[4:5], 0xd3c
	v_mov_b32_e32 v1, v2
	v_lshlrev_b32_e32 v2, 5, v0
	s_mov_b64 s[4:5], 0
	s_waitcnt lgkmcnt(0)
	s_and_b32 s10, s1, 0xffff
	s_add_u32 s1, s2, s6
	s_addc_u32 s2, s3, s7
	v_mov_b32_e32 v3, s2
	v_add_co_u32_e32 v2, vcc, s1, v2
	v_addc_co_u32_e32 v3, vcc, 0, v3, vcc
	v_add_co_u32_e32 v6, vcc, 16, v2
	s_mov_b32 s3, s0
	v_addc_co_u32_e32 v7, vcc, 0, v3, vcc
	s_mov_b32 s1, s0
	s_mov_b32 s2, s0
	v_mov_b32_e32 v5, s3
	s_lshl_b32 s6, s10, 5
	v_mov_b32_e32 v4, s2
	v_mov_b32_e32 v3, s1
	;; [unrolled: 1-line block ×3, first 2 shown]
.LBB354_16:                             ; =>This Inner Loop Header: Depth=1
	v_add_co_u32_e32 v0, vcc, s10, v0
	v_addc_co_u32_e32 v1, vcc, 0, v1, vcc
	v_lshlrev_b64 v[8:9], 2, v[0:1]
	global_store_dwordx4 v[6:7], v[2:5], off offset:-16
	global_store_dwordx4 v[6:7], v[2:5], off
	v_cmp_le_i64_e64 s[0:1], s[8:9], v[8:9]
	v_add_co_u32_e32 v6, vcc, s6, v6
	s_or_b64 s[4:5], s[0:1], s[4:5]
	v_addc_co_u32_e32 v7, vcc, 0, v7, vcc
	s_andn2_b64 exec, exec, s[4:5]
	s_cbranch_execnz .LBB354_16
.LBB354_17:
	s_endpgm
	.section	.rodata,"a",@progbits
	.p2align	6, 0x0
	.amdhsa_kernel _ZN2at6native12_GLOBAL__N_125multi_tensor_apply_kernelINS1_18TensorListMetadataILi1EEENS1_11ZeroFunctorIlLi1ELi1ELi0EEEJEEEvT_T0_DpT1_
		.amdhsa_group_segment_fixed_size 0
		.amdhsa_private_segment_fixed_size 0
		.amdhsa_kernarg_size 3632
		.amdhsa_user_sgpr_count 6
		.amdhsa_user_sgpr_private_segment_buffer 1
		.amdhsa_user_sgpr_dispatch_ptr 0
		.amdhsa_user_sgpr_queue_ptr 0
		.amdhsa_user_sgpr_kernarg_segment_ptr 1
		.amdhsa_user_sgpr_dispatch_id 0
		.amdhsa_user_sgpr_flat_scratch_init 0
		.amdhsa_user_sgpr_private_segment_size 0
		.amdhsa_uses_dynamic_stack 0
		.amdhsa_system_sgpr_private_segment_wavefront_offset 0
		.amdhsa_system_sgpr_workgroup_id_x 1
		.amdhsa_system_sgpr_workgroup_id_y 0
		.amdhsa_system_sgpr_workgroup_id_z 0
		.amdhsa_system_sgpr_workgroup_info 0
		.amdhsa_system_vgpr_workitem_id 0
		.amdhsa_next_free_vgpr 17
		.amdhsa_next_free_sgpr 22
		.amdhsa_reserve_vcc 1
		.amdhsa_reserve_flat_scratch 0
		.amdhsa_float_round_mode_32 0
		.amdhsa_float_round_mode_16_64 0
		.amdhsa_float_denorm_mode_32 3
		.amdhsa_float_denorm_mode_16_64 3
		.amdhsa_dx10_clamp 1
		.amdhsa_ieee_mode 1
		.amdhsa_fp16_overflow 0
		.amdhsa_exception_fp_ieee_invalid_op 0
		.amdhsa_exception_fp_denorm_src 0
		.amdhsa_exception_fp_ieee_div_zero 0
		.amdhsa_exception_fp_ieee_overflow 0
		.amdhsa_exception_fp_ieee_underflow 0
		.amdhsa_exception_fp_ieee_inexact 0
		.amdhsa_exception_int_div_zero 0
	.end_amdhsa_kernel
	.section	.text._ZN2at6native12_GLOBAL__N_125multi_tensor_apply_kernelINS1_18TensorListMetadataILi1EEENS1_11ZeroFunctorIlLi1ELi1ELi0EEEJEEEvT_T0_DpT1_,"axG",@progbits,_ZN2at6native12_GLOBAL__N_125multi_tensor_apply_kernelINS1_18TensorListMetadataILi1EEENS1_11ZeroFunctorIlLi1ELi1ELi0EEEJEEEvT_T0_DpT1_,comdat
.Lfunc_end354:
	.size	_ZN2at6native12_GLOBAL__N_125multi_tensor_apply_kernelINS1_18TensorListMetadataILi1EEENS1_11ZeroFunctorIlLi1ELi1ELi0EEEJEEEvT_T0_DpT1_, .Lfunc_end354-_ZN2at6native12_GLOBAL__N_125multi_tensor_apply_kernelINS1_18TensorListMetadataILi1EEENS1_11ZeroFunctorIlLi1ELi1ELi0EEEJEEEvT_T0_DpT1_
                                        ; -- End function
	.set _ZN2at6native12_GLOBAL__N_125multi_tensor_apply_kernelINS1_18TensorListMetadataILi1EEENS1_11ZeroFunctorIlLi1ELi1ELi0EEEJEEEvT_T0_DpT1_.num_vgpr, 17
	.set _ZN2at6native12_GLOBAL__N_125multi_tensor_apply_kernelINS1_18TensorListMetadataILi1EEENS1_11ZeroFunctorIlLi1ELi1ELi0EEEJEEEvT_T0_DpT1_.num_agpr, 0
	.set _ZN2at6native12_GLOBAL__N_125multi_tensor_apply_kernelINS1_18TensorListMetadataILi1EEENS1_11ZeroFunctorIlLi1ELi1ELi0EEEJEEEvT_T0_DpT1_.numbered_sgpr, 22
	.set _ZN2at6native12_GLOBAL__N_125multi_tensor_apply_kernelINS1_18TensorListMetadataILi1EEENS1_11ZeroFunctorIlLi1ELi1ELi0EEEJEEEvT_T0_DpT1_.num_named_barrier, 0
	.set _ZN2at6native12_GLOBAL__N_125multi_tensor_apply_kernelINS1_18TensorListMetadataILi1EEENS1_11ZeroFunctorIlLi1ELi1ELi0EEEJEEEvT_T0_DpT1_.private_seg_size, 0
	.set _ZN2at6native12_GLOBAL__N_125multi_tensor_apply_kernelINS1_18TensorListMetadataILi1EEENS1_11ZeroFunctorIlLi1ELi1ELi0EEEJEEEvT_T0_DpT1_.uses_vcc, 1
	.set _ZN2at6native12_GLOBAL__N_125multi_tensor_apply_kernelINS1_18TensorListMetadataILi1EEENS1_11ZeroFunctorIlLi1ELi1ELi0EEEJEEEvT_T0_DpT1_.uses_flat_scratch, 0
	.set _ZN2at6native12_GLOBAL__N_125multi_tensor_apply_kernelINS1_18TensorListMetadataILi1EEENS1_11ZeroFunctorIlLi1ELi1ELi0EEEJEEEvT_T0_DpT1_.has_dyn_sized_stack, 0
	.set _ZN2at6native12_GLOBAL__N_125multi_tensor_apply_kernelINS1_18TensorListMetadataILi1EEENS1_11ZeroFunctorIlLi1ELi1ELi0EEEJEEEvT_T0_DpT1_.has_recursion, 0
	.set _ZN2at6native12_GLOBAL__N_125multi_tensor_apply_kernelINS1_18TensorListMetadataILi1EEENS1_11ZeroFunctorIlLi1ELi1ELi0EEEJEEEvT_T0_DpT1_.has_indirect_call, 0
	.section	.AMDGPU.csdata,"",@progbits
; Kernel info:
; codeLenInByte = 772
; TotalNumSgprs: 26
; NumVgprs: 17
; ScratchSize: 0
; MemoryBound: 0
; FloatMode: 240
; IeeeMode: 1
; LDSByteSize: 0 bytes/workgroup (compile time only)
; SGPRBlocks: 3
; VGPRBlocks: 4
; NumSGPRsForWavesPerEU: 26
; NumVGPRsForWavesPerEU: 17
; Occupancy: 10
; WaveLimiterHint : 0
; COMPUTE_PGM_RSRC2:SCRATCH_EN: 0
; COMPUTE_PGM_RSRC2:USER_SGPR: 6
; COMPUTE_PGM_RSRC2:TRAP_HANDLER: 0
; COMPUTE_PGM_RSRC2:TGID_X_EN: 1
; COMPUTE_PGM_RSRC2:TGID_Y_EN: 0
; COMPUTE_PGM_RSRC2:TGID_Z_EN: 0
; COMPUTE_PGM_RSRC2:TIDIG_COMP_CNT: 0
	.section	.text._ZN2at6native12_GLOBAL__N_125multi_tensor_apply_kernelINS1_18TensorListMetadataILi1EEENS1_11ZeroFunctorIsLi1ELi1ELi0EEEJEEEvT_T0_DpT1_,"axG",@progbits,_ZN2at6native12_GLOBAL__N_125multi_tensor_apply_kernelINS1_18TensorListMetadataILi1EEENS1_11ZeroFunctorIsLi1ELi1ELi0EEEJEEEvT_T0_DpT1_,comdat
	.globl	_ZN2at6native12_GLOBAL__N_125multi_tensor_apply_kernelINS1_18TensorListMetadataILi1EEENS1_11ZeroFunctorIsLi1ELi1ELi0EEEJEEEvT_T0_DpT1_ ; -- Begin function _ZN2at6native12_GLOBAL__N_125multi_tensor_apply_kernelINS1_18TensorListMetadataILi1EEENS1_11ZeroFunctorIsLi1ELi1ELi0EEEJEEEvT_T0_DpT1_
	.p2align	8
	.type	_ZN2at6native12_GLOBAL__N_125multi_tensor_apply_kernelINS1_18TensorListMetadataILi1EEENS1_11ZeroFunctorIsLi1ELi1ELi0EEEJEEEvT_T0_DpT1_,@function
_ZN2at6native12_GLOBAL__N_125multi_tensor_apply_kernelINS1_18TensorListMetadataILi1EEENS1_11ZeroFunctorIsLi1ELi1ELi0EEEJEEEvT_T0_DpT1_: ; @_ZN2at6native12_GLOBAL__N_125multi_tensor_apply_kernelINS1_18TensorListMetadataILi1EEENS1_11ZeroFunctorIsLi1ELi1ELi0EEEJEEEvT_T0_DpT1_
; %bb.0:
	v_mov_b32_e32 v1, s6
	global_load_ubyte v1, v1, s[4:5] offset:1760
	s_add_u32 s0, s4, s6
	s_mul_hi_u32 s1, s6, 3
	s_mul_i32 s6, s6, 3
	s_addc_u32 s2, s5, 0
	s_add_u32 s0, s0, s6
	s_addc_u32 s1, s2, s1
	s_load_dword s0, s[0:1], 0x820
	s_mov_b32 s13, 0
	s_waitcnt vmcnt(0)
	v_readfirstlane_b32 s1, v1
	s_lshl_b32 s1, s1, 3
	s_load_dwordx2 s[10:11], s[4:5], s1 offset:0x370
	s_load_dwordx2 s[2:3], s[4:5], s1 offset:0x0
	s_waitcnt lgkmcnt(0)
	s_ashr_i32 s1, s0, 31
	s_lshl_b64 s[6:7], s[0:1], 17
	s_lshl_b64 s[0:1], s[0:1], 16
	s_and_b32 s12, s2, 7
	s_sub_u32 s8, s10, s0
	s_subb_u32 s9, s11, s1
	s_and_b32 s0, s10, 3
	s_mov_b32 s1, s13
	s_or_b64 s[0:1], s[12:13], s[0:1]
	s_cmp_eq_u64 s[0:1], 0
	s_cbranch_scc1 .LBB355_13
; %bb.1:
	v_cmp_lt_i64_e64 s[0:1], s[8:9], 1
	s_and_b64 vcc, exec, s[0:1]
	s_cbranch_vccnz .LBB355_12
; %bb.2:
	v_mov_b32_e32 v1, 0x10000
	s_load_dword s10, s[4:5], 0xd3c
	v_mov_b32_e32 v2, 0
	v_cmp_lt_i64_e32 vcc, s[8:9], v[1:2]
	v_mov_b32_e32 v7, 0
	s_and_b64 s[0:1], vcc, exec
	v_cmp_lt_u64_e32 vcc, s[8:9], v[1:2]
	s_cselect_b32 s1, s9, 0
	s_cselect_b32 s0, s8, 0x10000
	s_waitcnt lgkmcnt(0)
	s_and_b32 s17, s10, 0xffff
	s_and_b64 s[10:11], vcc, exec
	s_cselect_b32 s11, s9, 0
	s_cselect_b32 s10, s8, 0x10000
	s_lshl_b32 s18, s17, 1
	s_lshl_b32 s14, s17, 2
	s_add_u32 s19, s2, s6
	v_lshlrev_b32_e32 v1, 1, v0
	s_addc_u32 s20, s3, s7
	v_mov_b32_e32 v2, s20
	v_add_co_u32_e32 v1, vcc, s19, v1
	s_mul_i32 s12, s17, 3
	v_addc_co_u32_e32 v2, vcc, 0, v2, vcc
	v_add_co_u32_e32 v8, vcc, s12, v0
	v_addc_co_u32_e64 v9, s[12:13], 0, 0, vcc
	v_add_co_u32_e32 v10, vcc, s18, v0
	v_addc_co_u32_e64 v11, s[12:13], 0, 0, vcc
	v_add_co_u32_e32 v12, vcc, s17, v0
	v_lshlrev_b32_e32 v3, 1, v12
	v_addc_co_u32_e64 v13, s[12:13], 0, 0, vcc
	v_mov_b32_e32 v4, s20
	v_add_co_u32_e32 v3, vcc, s19, v3
	v_mov_b32_e32 v6, s1
	s_lshl_b32 s15, s17, 3
	s_mul_i32 s16, s17, 6
	v_addc_co_u32_e32 v4, vcc, 0, v4, vcc
	s_mov_b64 s[12:13], 0
	v_mov_b32_e32 v5, s0
	s_branch .LBB355_4
.LBB355_3:                              ;   in Loop: Header=BB355_4 Depth=1
	s_or_b64 exec, exec, s[0:1]
	s_add_u32 s12, s12, s14
	v_add_co_u32_e32 v1, vcc, s15, v1
	s_addc_u32 s13, s13, 0
	v_addc_co_u32_e32 v2, vcc, 0, v2, vcc
	v_cmp_lt_i64_e32 vcc, s[12:13], v[5:6]
	v_add_co_u32_e64 v3, s[0:1], s15, v3
	v_addc_co_u32_e64 v4, s[0:1], 0, v4, s[0:1]
	s_cbranch_vccz .LBB355_12
.LBB355_4:                              ; =>This Inner Loop Header: Depth=1
	v_mov_b32_e32 v15, s13
	v_add_co_u32_e32 v14, vcc, s12, v0
	v_addc_co_u32_e32 v15, vcc, 0, v15, vcc
	v_cmp_gt_u64_e32 vcc, s[10:11], v[14:15]
	s_and_saveexec_b64 s[0:1], vcc
	s_cbranch_execz .LBB355_6
; %bb.5:                                ;   in Loop: Header=BB355_4 Depth=1
	global_store_short v[1:2], v7, off
.LBB355_6:                              ;   in Loop: Header=BB355_4 Depth=1
	s_or_b64 exec, exec, s[0:1]
	v_mov_b32_e32 v15, s13
	v_add_co_u32_e32 v14, vcc, s12, v12
	v_addc_co_u32_e32 v15, vcc, v13, v15, vcc
	v_cmp_gt_u64_e32 vcc, s[10:11], v[14:15]
	s_and_saveexec_b64 s[0:1], vcc
	s_cbranch_execz .LBB355_8
; %bb.7:                                ;   in Loop: Header=BB355_4 Depth=1
	global_store_short v[3:4], v7, off
.LBB355_8:                              ;   in Loop: Header=BB355_4 Depth=1
	s_or_b64 exec, exec, s[0:1]
	v_mov_b32_e32 v15, s13
	v_add_co_u32_e32 v14, vcc, s12, v10
	v_addc_co_u32_e32 v15, vcc, v11, v15, vcc
	v_cmp_gt_u64_e32 vcc, s[10:11], v[14:15]
	s_and_saveexec_b64 s[0:1], vcc
	s_cbranch_execz .LBB355_10
; %bb.9:                                ;   in Loop: Header=BB355_4 Depth=1
	v_add_co_u32_e32 v14, vcc, s14, v1
	v_addc_co_u32_e32 v15, vcc, 0, v2, vcc
	global_store_short v[14:15], v7, off
.LBB355_10:                             ;   in Loop: Header=BB355_4 Depth=1
	s_or_b64 exec, exec, s[0:1]
	v_mov_b32_e32 v15, s13
	v_add_co_u32_e32 v14, vcc, s12, v8
	v_addc_co_u32_e32 v15, vcc, v9, v15, vcc
	v_cmp_gt_u64_e32 vcc, s[10:11], v[14:15]
	s_and_saveexec_b64 s[0:1], vcc
	s_cbranch_execz .LBB355_3
; %bb.11:                               ;   in Loop: Header=BB355_4 Depth=1
	v_add_co_u32_e32 v14, vcc, s16, v1
	v_addc_co_u32_e32 v15, vcc, 0, v2, vcc
	global_store_short v[14:15], v7, off
	s_branch .LBB355_3
.LBB355_12:
	s_cbranch_execz .LBB355_14
	s_branch .LBB355_17
.LBB355_13:
.LBB355_14:
	v_mov_b32_e32 v1, 0x10000
	v_mov_b32_e32 v2, 0
	v_cmp_lt_i64_e32 vcc, s[8:9], v[1:2]
	v_mov_b32_e32 v2, 0
	s_and_b64 s[0:1], vcc, exec
	s_cselect_b32 s9, s9, 0
	s_cselect_b32 s8, s8, 0x10000
	v_lshlrev_b32_e32 v3, 2, v0
	v_mov_b32_e32 v4, v2
	v_cmp_gt_i64_e32 vcc, s[8:9], v[3:4]
	s_and_saveexec_b64 s[0:1], vcc
	s_cbranch_execz .LBB355_17
; %bb.15:
	s_load_dword s0, s[4:5], 0xd3c
	v_lshlrev_b32_e32 v3, 3, v0
	v_mov_b32_e32 v1, v2
	s_waitcnt lgkmcnt(0)
	s_and_b32 s4, s0, 0xffff
	s_add_u32 s0, s2, s6
	s_addc_u32 s1, s3, s7
	v_mov_b32_e32 v5, s1
	v_add_co_u32_e32 v4, vcc, s0, v3
	v_addc_co_u32_e32 v5, vcc, 0, v5, vcc
	s_lshl_b32 s5, s4, 3
	s_mov_b64 s[2:3], 0
	v_mov_b32_e32 v3, v2
.LBB355_16:                             ; =>This Inner Loop Header: Depth=1
	v_add_co_u32_e32 v0, vcc, s4, v0
	v_addc_co_u32_e32 v1, vcc, 0, v1, vcc
	v_lshlrev_b64 v[6:7], 2, v[0:1]
	global_store_dwordx2 v[4:5], v[2:3], off
	v_cmp_le_i64_e64 s[0:1], s[8:9], v[6:7]
	v_add_co_u32_e32 v4, vcc, s5, v4
	s_or_b64 s[2:3], s[0:1], s[2:3]
	v_addc_co_u32_e32 v5, vcc, 0, v5, vcc
	s_andn2_b64 exec, exec, s[2:3]
	s_cbranch_execnz .LBB355_16
.LBB355_17:
	s_endpgm
	.section	.rodata,"a",@progbits
	.p2align	6, 0x0
	.amdhsa_kernel _ZN2at6native12_GLOBAL__N_125multi_tensor_apply_kernelINS1_18TensorListMetadataILi1EEENS1_11ZeroFunctorIsLi1ELi1ELi0EEEJEEEvT_T0_DpT1_
		.amdhsa_group_segment_fixed_size 0
		.amdhsa_private_segment_fixed_size 0
		.amdhsa_kernarg_size 3632
		.amdhsa_user_sgpr_count 6
		.amdhsa_user_sgpr_private_segment_buffer 1
		.amdhsa_user_sgpr_dispatch_ptr 0
		.amdhsa_user_sgpr_queue_ptr 0
		.amdhsa_user_sgpr_kernarg_segment_ptr 1
		.amdhsa_user_sgpr_dispatch_id 0
		.amdhsa_user_sgpr_flat_scratch_init 0
		.amdhsa_user_sgpr_private_segment_size 0
		.amdhsa_uses_dynamic_stack 0
		.amdhsa_system_sgpr_private_segment_wavefront_offset 0
		.amdhsa_system_sgpr_workgroup_id_x 1
		.amdhsa_system_sgpr_workgroup_id_y 0
		.amdhsa_system_sgpr_workgroup_id_z 0
		.amdhsa_system_sgpr_workgroup_info 0
		.amdhsa_system_vgpr_workitem_id 0
		.amdhsa_next_free_vgpr 16
		.amdhsa_next_free_sgpr 21
		.amdhsa_reserve_vcc 1
		.amdhsa_reserve_flat_scratch 0
		.amdhsa_float_round_mode_32 0
		.amdhsa_float_round_mode_16_64 0
		.amdhsa_float_denorm_mode_32 3
		.amdhsa_float_denorm_mode_16_64 3
		.amdhsa_dx10_clamp 1
		.amdhsa_ieee_mode 1
		.amdhsa_fp16_overflow 0
		.amdhsa_exception_fp_ieee_invalid_op 0
		.amdhsa_exception_fp_denorm_src 0
		.amdhsa_exception_fp_ieee_div_zero 0
		.amdhsa_exception_fp_ieee_overflow 0
		.amdhsa_exception_fp_ieee_underflow 0
		.amdhsa_exception_fp_ieee_inexact 0
		.amdhsa_exception_int_div_zero 0
	.end_amdhsa_kernel
	.section	.text._ZN2at6native12_GLOBAL__N_125multi_tensor_apply_kernelINS1_18TensorListMetadataILi1EEENS1_11ZeroFunctorIsLi1ELi1ELi0EEEJEEEvT_T0_DpT1_,"axG",@progbits,_ZN2at6native12_GLOBAL__N_125multi_tensor_apply_kernelINS1_18TensorListMetadataILi1EEENS1_11ZeroFunctorIsLi1ELi1ELi0EEEJEEEvT_T0_DpT1_,comdat
.Lfunc_end355:
	.size	_ZN2at6native12_GLOBAL__N_125multi_tensor_apply_kernelINS1_18TensorListMetadataILi1EEENS1_11ZeroFunctorIsLi1ELi1ELi0EEEJEEEvT_T0_DpT1_, .Lfunc_end355-_ZN2at6native12_GLOBAL__N_125multi_tensor_apply_kernelINS1_18TensorListMetadataILi1EEENS1_11ZeroFunctorIsLi1ELi1ELi0EEEJEEEvT_T0_DpT1_
                                        ; -- End function
	.set _ZN2at6native12_GLOBAL__N_125multi_tensor_apply_kernelINS1_18TensorListMetadataILi1EEENS1_11ZeroFunctorIsLi1ELi1ELi0EEEJEEEvT_T0_DpT1_.num_vgpr, 16
	.set _ZN2at6native12_GLOBAL__N_125multi_tensor_apply_kernelINS1_18TensorListMetadataILi1EEENS1_11ZeroFunctorIsLi1ELi1ELi0EEEJEEEvT_T0_DpT1_.num_agpr, 0
	.set _ZN2at6native12_GLOBAL__N_125multi_tensor_apply_kernelINS1_18TensorListMetadataILi1EEENS1_11ZeroFunctorIsLi1ELi1ELi0EEEJEEEvT_T0_DpT1_.numbered_sgpr, 21
	.set _ZN2at6native12_GLOBAL__N_125multi_tensor_apply_kernelINS1_18TensorListMetadataILi1EEENS1_11ZeroFunctorIsLi1ELi1ELi0EEEJEEEvT_T0_DpT1_.num_named_barrier, 0
	.set _ZN2at6native12_GLOBAL__N_125multi_tensor_apply_kernelINS1_18TensorListMetadataILi1EEENS1_11ZeroFunctorIsLi1ELi1ELi0EEEJEEEvT_T0_DpT1_.private_seg_size, 0
	.set _ZN2at6native12_GLOBAL__N_125multi_tensor_apply_kernelINS1_18TensorListMetadataILi1EEENS1_11ZeroFunctorIsLi1ELi1ELi0EEEJEEEvT_T0_DpT1_.uses_vcc, 1
	.set _ZN2at6native12_GLOBAL__N_125multi_tensor_apply_kernelINS1_18TensorListMetadataILi1EEENS1_11ZeroFunctorIsLi1ELi1ELi0EEEJEEEvT_T0_DpT1_.uses_flat_scratch, 0
	.set _ZN2at6native12_GLOBAL__N_125multi_tensor_apply_kernelINS1_18TensorListMetadataILi1EEENS1_11ZeroFunctorIsLi1ELi1ELi0EEEJEEEvT_T0_DpT1_.has_dyn_sized_stack, 0
	.set _ZN2at6native12_GLOBAL__N_125multi_tensor_apply_kernelINS1_18TensorListMetadataILi1EEENS1_11ZeroFunctorIsLi1ELi1ELi0EEEJEEEvT_T0_DpT1_.has_recursion, 0
	.set _ZN2at6native12_GLOBAL__N_125multi_tensor_apply_kernelINS1_18TensorListMetadataILi1EEENS1_11ZeroFunctorIsLi1ELi1ELi0EEEJEEEvT_T0_DpT1_.has_indirect_call, 0
	.section	.AMDGPU.csdata,"",@progbits
; Kernel info:
; codeLenInByte = 712
; TotalNumSgprs: 25
; NumVgprs: 16
; ScratchSize: 0
; MemoryBound: 0
; FloatMode: 240
; IeeeMode: 1
; LDSByteSize: 0 bytes/workgroup (compile time only)
; SGPRBlocks: 3
; VGPRBlocks: 3
; NumSGPRsForWavesPerEU: 25
; NumVGPRsForWavesPerEU: 16
; Occupancy: 10
; WaveLimiterHint : 0
; COMPUTE_PGM_RSRC2:SCRATCH_EN: 0
; COMPUTE_PGM_RSRC2:USER_SGPR: 6
; COMPUTE_PGM_RSRC2:TRAP_HANDLER: 0
; COMPUTE_PGM_RSRC2:TGID_X_EN: 1
; COMPUTE_PGM_RSRC2:TGID_Y_EN: 0
; COMPUTE_PGM_RSRC2:TGID_Z_EN: 0
; COMPUTE_PGM_RSRC2:TIDIG_COMP_CNT: 0
	.section	.text._ZN2at6native12_GLOBAL__N_125multi_tensor_apply_kernelINS1_18TensorListMetadataILi1EEENS1_11ZeroFunctorIdLi1ELi1ELi0EEEJEEEvT_T0_DpT1_,"axG",@progbits,_ZN2at6native12_GLOBAL__N_125multi_tensor_apply_kernelINS1_18TensorListMetadataILi1EEENS1_11ZeroFunctorIdLi1ELi1ELi0EEEJEEEvT_T0_DpT1_,comdat
	.globl	_ZN2at6native12_GLOBAL__N_125multi_tensor_apply_kernelINS1_18TensorListMetadataILi1EEENS1_11ZeroFunctorIdLi1ELi1ELi0EEEJEEEvT_T0_DpT1_ ; -- Begin function _ZN2at6native12_GLOBAL__N_125multi_tensor_apply_kernelINS1_18TensorListMetadataILi1EEENS1_11ZeroFunctorIdLi1ELi1ELi0EEEJEEEvT_T0_DpT1_
	.p2align	8
	.type	_ZN2at6native12_GLOBAL__N_125multi_tensor_apply_kernelINS1_18TensorListMetadataILi1EEENS1_11ZeroFunctorIdLi1ELi1ELi0EEEJEEEvT_T0_DpT1_,@function
_ZN2at6native12_GLOBAL__N_125multi_tensor_apply_kernelINS1_18TensorListMetadataILi1EEENS1_11ZeroFunctorIdLi1ELi1ELi0EEEJEEEvT_T0_DpT1_: ; @_ZN2at6native12_GLOBAL__N_125multi_tensor_apply_kernelINS1_18TensorListMetadataILi1EEENS1_11ZeroFunctorIdLi1ELi1ELi0EEEJEEEvT_T0_DpT1_
; %bb.0:
	v_mov_b32_e32 v1, s6
	global_load_ubyte v1, v1, s[4:5] offset:1760
	s_add_u32 s0, s4, s6
	s_mul_hi_u32 s1, s6, 3
	s_mul_i32 s6, s6, 3
	s_addc_u32 s2, s5, 0
	s_add_u32 s0, s0, s6
	s_addc_u32 s1, s2, s1
	s_load_dword s0, s[0:1], 0x820
	s_mov_b32 s13, 0
	s_waitcnt vmcnt(0)
	v_readfirstlane_b32 s1, v1
	s_lshl_b32 s1, s1, 3
	s_load_dwordx2 s[10:11], s[4:5], s1 offset:0x370
	s_load_dwordx2 s[2:3], s[4:5], s1 offset:0x0
	s_waitcnt lgkmcnt(0)
	s_ashr_i32 s1, s0, 31
	s_lshl_b64 s[6:7], s[0:1], 19
	s_lshl_b64 s[0:1], s[0:1], 16
	s_and_b32 s12, s2, 31
	s_sub_u32 s8, s10, s0
	s_subb_u32 s9, s11, s1
	s_and_b32 s0, s10, 3
	s_mov_b32 s1, s13
	s_or_b64 s[0:1], s[12:13], s[0:1]
	s_cmp_eq_u64 s[0:1], 0
	s_cbranch_scc1 .LBB356_13
; %bb.1:
	v_cmp_lt_i64_e64 s[0:1], s[8:9], 1
	s_and_b64 vcc, exec, s[0:1]
	s_cbranch_vccnz .LBB356_12
; %bb.2:
	v_mov_b32_e32 v2, 0x10000
	s_load_dword s10, s[4:5], 0xd3c
	v_mov_b32_e32 v3, 0
	v_cmp_lt_i64_e32 vcc, s[8:9], v[2:3]
	v_mov_b32_e32 v1, 0
	s_and_b64 s[0:1], vcc, exec
	v_cmp_lt_u64_e32 vcc, s[8:9], v[2:3]
	s_cselect_b32 s1, s9, 0
	s_cselect_b32 s0, s8, 0x10000
	s_waitcnt lgkmcnt(0)
	s_and_b32 s18, s10, 0xffff
	s_and_b64 s[10:11], vcc, exec
	s_cselect_b32 s11, s9, 0
	s_cselect_b32 s10, s8, 0x10000
	s_lshl_b32 s19, s18, 1
	s_lshl_b32 s14, s18, 2
	s_add_u32 s20, s2, s6
	v_lshlrev_b32_e32 v2, 3, v0
	s_addc_u32 s21, s3, s7
	v_mov_b32_e32 v4, s21
	v_add_co_u32_e32 v3, vcc, s20, v2
	s_mul_i32 s12, s18, 3
	v_addc_co_u32_e32 v4, vcc, 0, v4, vcc
	v_add_co_u32_e32 v9, vcc, s12, v0
	v_addc_co_u32_e64 v10, s[12:13], 0, 0, vcc
	v_add_co_u32_e32 v11, vcc, s19, v0
	v_addc_co_u32_e64 v12, s[12:13], 0, 0, vcc
	v_add_co_u32_e32 v13, vcc, s18, v0
	v_lshlrev_b32_e32 v2, 3, v13
	v_addc_co_u32_e64 v14, s[12:13], 0, 0, vcc
	v_mov_b32_e32 v6, s21
	v_add_co_u32_e32 v5, vcc, s20, v2
	v_mov_b32_e32 v8, s1
	s_lshl_b32 s15, s18, 5
	s_mul_i32 s16, s18, 24
	s_lshl_b32 s17, s18, 4
	v_addc_co_u32_e32 v6, vcc, 0, v6, vcc
	s_mov_b64 s[12:13], 0
	v_mov_b32_e32 v7, s0
	s_branch .LBB356_4
.LBB356_3:                              ;   in Loop: Header=BB356_4 Depth=1
	s_or_b64 exec, exec, s[0:1]
	s_add_u32 s12, s12, s14
	v_add_co_u32_e32 v3, vcc, s15, v3
	s_addc_u32 s13, s13, 0
	v_addc_co_u32_e32 v4, vcc, 0, v4, vcc
	v_cmp_lt_i64_e32 vcc, s[12:13], v[7:8]
	v_add_co_u32_e64 v5, s[0:1], s15, v5
	v_addc_co_u32_e64 v6, s[0:1], 0, v6, s[0:1]
	s_cbranch_vccz .LBB356_12
.LBB356_4:                              ; =>This Inner Loop Header: Depth=1
	v_mov_b32_e32 v2, s13
	v_add_co_u32_e32 v15, vcc, s12, v0
	v_addc_co_u32_e32 v16, vcc, 0, v2, vcc
	v_cmp_gt_u64_e32 vcc, s[10:11], v[15:16]
	s_and_saveexec_b64 s[0:1], vcc
	s_cbranch_execz .LBB356_6
; %bb.5:                                ;   in Loop: Header=BB356_4 Depth=1
	v_mov_b32_e32 v2, v1
	global_store_dwordx2 v[3:4], v[1:2], off
.LBB356_6:                              ;   in Loop: Header=BB356_4 Depth=1
	s_or_b64 exec, exec, s[0:1]
	v_mov_b32_e32 v2, s13
	v_add_co_u32_e32 v15, vcc, s12, v13
	v_addc_co_u32_e32 v16, vcc, v14, v2, vcc
	v_cmp_gt_u64_e32 vcc, s[10:11], v[15:16]
	s_and_saveexec_b64 s[0:1], vcc
	s_cbranch_execz .LBB356_8
; %bb.7:                                ;   in Loop: Header=BB356_4 Depth=1
	v_mov_b32_e32 v2, v1
	global_store_dwordx2 v[5:6], v[1:2], off
.LBB356_8:                              ;   in Loop: Header=BB356_4 Depth=1
	s_or_b64 exec, exec, s[0:1]
	v_mov_b32_e32 v2, s13
	v_add_co_u32_e32 v15, vcc, s12, v11
	v_addc_co_u32_e32 v16, vcc, v12, v2, vcc
	v_cmp_gt_u64_e32 vcc, s[10:11], v[15:16]
	s_and_saveexec_b64 s[0:1], vcc
	s_cbranch_execz .LBB356_10
; %bb.9:                                ;   in Loop: Header=BB356_4 Depth=1
	v_add_co_u32_e32 v15, vcc, s17, v3
	v_addc_co_u32_e32 v16, vcc, 0, v4, vcc
	v_mov_b32_e32 v2, v1
	global_store_dwordx2 v[15:16], v[1:2], off
.LBB356_10:                             ;   in Loop: Header=BB356_4 Depth=1
	s_or_b64 exec, exec, s[0:1]
	v_mov_b32_e32 v2, s13
	v_add_co_u32_e32 v15, vcc, s12, v9
	v_addc_co_u32_e32 v16, vcc, v10, v2, vcc
	v_cmp_gt_u64_e32 vcc, s[10:11], v[15:16]
	s_and_saveexec_b64 s[0:1], vcc
	s_cbranch_execz .LBB356_3
; %bb.11:                               ;   in Loop: Header=BB356_4 Depth=1
	v_add_co_u32_e32 v15, vcc, s16, v3
	v_addc_co_u32_e32 v16, vcc, 0, v4, vcc
	v_mov_b32_e32 v2, v1
	global_store_dwordx2 v[15:16], v[1:2], off
	s_branch .LBB356_3
.LBB356_12:
	s_cbranch_execz .LBB356_14
	s_branch .LBB356_17
.LBB356_13:
.LBB356_14:
	v_mov_b32_e32 v1, 0x10000
	v_mov_b32_e32 v2, 0
	v_cmp_lt_i64_e32 vcc, s[8:9], v[1:2]
	v_mov_b32_e32 v2, 0
	s_and_b64 s[0:1], vcc, exec
	s_cselect_b32 s9, s9, 0
	s_cselect_b32 s8, s8, 0x10000
	v_lshlrev_b32_e32 v1, 2, v0
	v_cmp_gt_i64_e32 vcc, s[8:9], v[1:2]
	s_mov_b32 s0, 0
	s_and_saveexec_b64 s[10:11], vcc
	s_cbranch_execz .LBB356_17
; %bb.15:
	s_load_dword s1, s[4:5], 0xd3c
	v_mov_b32_e32 v1, v2
	v_lshlrev_b32_e32 v2, 5, v0
	s_mov_b64 s[4:5], 0
	s_waitcnt lgkmcnt(0)
	s_and_b32 s10, s1, 0xffff
	s_add_u32 s1, s2, s6
	s_addc_u32 s2, s3, s7
	v_mov_b32_e32 v3, s2
	v_add_co_u32_e32 v2, vcc, s1, v2
	v_addc_co_u32_e32 v3, vcc, 0, v3, vcc
	v_add_co_u32_e32 v6, vcc, 16, v2
	s_mov_b32 s3, s0
	v_addc_co_u32_e32 v7, vcc, 0, v3, vcc
	s_mov_b32 s1, s0
	s_mov_b32 s2, s0
	v_mov_b32_e32 v5, s3
	s_lshl_b32 s6, s10, 5
	v_mov_b32_e32 v4, s2
	v_mov_b32_e32 v3, s1
	;; [unrolled: 1-line block ×3, first 2 shown]
.LBB356_16:                             ; =>This Inner Loop Header: Depth=1
	v_add_co_u32_e32 v0, vcc, s10, v0
	v_addc_co_u32_e32 v1, vcc, 0, v1, vcc
	v_lshlrev_b64 v[8:9], 2, v[0:1]
	global_store_dwordx4 v[6:7], v[2:5], off offset:-16
	global_store_dwordx4 v[6:7], v[2:5], off
	v_cmp_le_i64_e64 s[0:1], s[8:9], v[8:9]
	v_add_co_u32_e32 v6, vcc, s6, v6
	s_or_b64 s[4:5], s[0:1], s[4:5]
	v_addc_co_u32_e32 v7, vcc, 0, v7, vcc
	s_andn2_b64 exec, exec, s[4:5]
	s_cbranch_execnz .LBB356_16
.LBB356_17:
	s_endpgm
	.section	.rodata,"a",@progbits
	.p2align	6, 0x0
	.amdhsa_kernel _ZN2at6native12_GLOBAL__N_125multi_tensor_apply_kernelINS1_18TensorListMetadataILi1EEENS1_11ZeroFunctorIdLi1ELi1ELi0EEEJEEEvT_T0_DpT1_
		.amdhsa_group_segment_fixed_size 0
		.amdhsa_private_segment_fixed_size 0
		.amdhsa_kernarg_size 3632
		.amdhsa_user_sgpr_count 6
		.amdhsa_user_sgpr_private_segment_buffer 1
		.amdhsa_user_sgpr_dispatch_ptr 0
		.amdhsa_user_sgpr_queue_ptr 0
		.amdhsa_user_sgpr_kernarg_segment_ptr 1
		.amdhsa_user_sgpr_dispatch_id 0
		.amdhsa_user_sgpr_flat_scratch_init 0
		.amdhsa_user_sgpr_private_segment_size 0
		.amdhsa_uses_dynamic_stack 0
		.amdhsa_system_sgpr_private_segment_wavefront_offset 0
		.amdhsa_system_sgpr_workgroup_id_x 1
		.amdhsa_system_sgpr_workgroup_id_y 0
		.amdhsa_system_sgpr_workgroup_id_z 0
		.amdhsa_system_sgpr_workgroup_info 0
		.amdhsa_system_vgpr_workitem_id 0
		.amdhsa_next_free_vgpr 17
		.amdhsa_next_free_sgpr 22
		.amdhsa_reserve_vcc 1
		.amdhsa_reserve_flat_scratch 0
		.amdhsa_float_round_mode_32 0
		.amdhsa_float_round_mode_16_64 0
		.amdhsa_float_denorm_mode_32 3
		.amdhsa_float_denorm_mode_16_64 3
		.amdhsa_dx10_clamp 1
		.amdhsa_ieee_mode 1
		.amdhsa_fp16_overflow 0
		.amdhsa_exception_fp_ieee_invalid_op 0
		.amdhsa_exception_fp_denorm_src 0
		.amdhsa_exception_fp_ieee_div_zero 0
		.amdhsa_exception_fp_ieee_overflow 0
		.amdhsa_exception_fp_ieee_underflow 0
		.amdhsa_exception_fp_ieee_inexact 0
		.amdhsa_exception_int_div_zero 0
	.end_amdhsa_kernel
	.section	.text._ZN2at6native12_GLOBAL__N_125multi_tensor_apply_kernelINS1_18TensorListMetadataILi1EEENS1_11ZeroFunctorIdLi1ELi1ELi0EEEJEEEvT_T0_DpT1_,"axG",@progbits,_ZN2at6native12_GLOBAL__N_125multi_tensor_apply_kernelINS1_18TensorListMetadataILi1EEENS1_11ZeroFunctorIdLi1ELi1ELi0EEEJEEEvT_T0_DpT1_,comdat
.Lfunc_end356:
	.size	_ZN2at6native12_GLOBAL__N_125multi_tensor_apply_kernelINS1_18TensorListMetadataILi1EEENS1_11ZeroFunctorIdLi1ELi1ELi0EEEJEEEvT_T0_DpT1_, .Lfunc_end356-_ZN2at6native12_GLOBAL__N_125multi_tensor_apply_kernelINS1_18TensorListMetadataILi1EEENS1_11ZeroFunctorIdLi1ELi1ELi0EEEJEEEvT_T0_DpT1_
                                        ; -- End function
	.set _ZN2at6native12_GLOBAL__N_125multi_tensor_apply_kernelINS1_18TensorListMetadataILi1EEENS1_11ZeroFunctorIdLi1ELi1ELi0EEEJEEEvT_T0_DpT1_.num_vgpr, 17
	.set _ZN2at6native12_GLOBAL__N_125multi_tensor_apply_kernelINS1_18TensorListMetadataILi1EEENS1_11ZeroFunctorIdLi1ELi1ELi0EEEJEEEvT_T0_DpT1_.num_agpr, 0
	.set _ZN2at6native12_GLOBAL__N_125multi_tensor_apply_kernelINS1_18TensorListMetadataILi1EEENS1_11ZeroFunctorIdLi1ELi1ELi0EEEJEEEvT_T0_DpT1_.numbered_sgpr, 22
	.set _ZN2at6native12_GLOBAL__N_125multi_tensor_apply_kernelINS1_18TensorListMetadataILi1EEENS1_11ZeroFunctorIdLi1ELi1ELi0EEEJEEEvT_T0_DpT1_.num_named_barrier, 0
	.set _ZN2at6native12_GLOBAL__N_125multi_tensor_apply_kernelINS1_18TensorListMetadataILi1EEENS1_11ZeroFunctorIdLi1ELi1ELi0EEEJEEEvT_T0_DpT1_.private_seg_size, 0
	.set _ZN2at6native12_GLOBAL__N_125multi_tensor_apply_kernelINS1_18TensorListMetadataILi1EEENS1_11ZeroFunctorIdLi1ELi1ELi0EEEJEEEvT_T0_DpT1_.uses_vcc, 1
	.set _ZN2at6native12_GLOBAL__N_125multi_tensor_apply_kernelINS1_18TensorListMetadataILi1EEENS1_11ZeroFunctorIdLi1ELi1ELi0EEEJEEEvT_T0_DpT1_.uses_flat_scratch, 0
	.set _ZN2at6native12_GLOBAL__N_125multi_tensor_apply_kernelINS1_18TensorListMetadataILi1EEENS1_11ZeroFunctorIdLi1ELi1ELi0EEEJEEEvT_T0_DpT1_.has_dyn_sized_stack, 0
	.set _ZN2at6native12_GLOBAL__N_125multi_tensor_apply_kernelINS1_18TensorListMetadataILi1EEENS1_11ZeroFunctorIdLi1ELi1ELi0EEEJEEEvT_T0_DpT1_.has_recursion, 0
	.set _ZN2at6native12_GLOBAL__N_125multi_tensor_apply_kernelINS1_18TensorListMetadataILi1EEENS1_11ZeroFunctorIdLi1ELi1ELi0EEEJEEEvT_T0_DpT1_.has_indirect_call, 0
	.section	.AMDGPU.csdata,"",@progbits
; Kernel info:
; codeLenInByte = 772
; TotalNumSgprs: 26
; NumVgprs: 17
; ScratchSize: 0
; MemoryBound: 0
; FloatMode: 240
; IeeeMode: 1
; LDSByteSize: 0 bytes/workgroup (compile time only)
; SGPRBlocks: 3
; VGPRBlocks: 4
; NumSGPRsForWavesPerEU: 26
; NumVGPRsForWavesPerEU: 17
; Occupancy: 10
; WaveLimiterHint : 0
; COMPUTE_PGM_RSRC2:SCRATCH_EN: 0
; COMPUTE_PGM_RSRC2:USER_SGPR: 6
; COMPUTE_PGM_RSRC2:TRAP_HANDLER: 0
; COMPUTE_PGM_RSRC2:TGID_X_EN: 1
; COMPUTE_PGM_RSRC2:TGID_Y_EN: 0
; COMPUTE_PGM_RSRC2:TGID_Z_EN: 0
; COMPUTE_PGM_RSRC2:TIDIG_COMP_CNT: 0
	.section	.text._ZN2at6native12_GLOBAL__N_125multi_tensor_apply_kernelINS1_18TensorListMetadataILi1EEENS1_11ZeroFunctorIfLi1ELi1ELi0EEEJEEEvT_T0_DpT1_,"axG",@progbits,_ZN2at6native12_GLOBAL__N_125multi_tensor_apply_kernelINS1_18TensorListMetadataILi1EEENS1_11ZeroFunctorIfLi1ELi1ELi0EEEJEEEvT_T0_DpT1_,comdat
	.globl	_ZN2at6native12_GLOBAL__N_125multi_tensor_apply_kernelINS1_18TensorListMetadataILi1EEENS1_11ZeroFunctorIfLi1ELi1ELi0EEEJEEEvT_T0_DpT1_ ; -- Begin function _ZN2at6native12_GLOBAL__N_125multi_tensor_apply_kernelINS1_18TensorListMetadataILi1EEENS1_11ZeroFunctorIfLi1ELi1ELi0EEEJEEEvT_T0_DpT1_
	.p2align	8
	.type	_ZN2at6native12_GLOBAL__N_125multi_tensor_apply_kernelINS1_18TensorListMetadataILi1EEENS1_11ZeroFunctorIfLi1ELi1ELi0EEEJEEEvT_T0_DpT1_,@function
_ZN2at6native12_GLOBAL__N_125multi_tensor_apply_kernelINS1_18TensorListMetadataILi1EEENS1_11ZeroFunctorIfLi1ELi1ELi0EEEJEEEvT_T0_DpT1_: ; @_ZN2at6native12_GLOBAL__N_125multi_tensor_apply_kernelINS1_18TensorListMetadataILi1EEENS1_11ZeroFunctorIfLi1ELi1ELi0EEEJEEEvT_T0_DpT1_
; %bb.0:
	v_mov_b32_e32 v1, s6
	global_load_ubyte v1, v1, s[4:5] offset:1760
	s_add_u32 s0, s4, s6
	s_mul_hi_u32 s1, s6, 3
	s_mul_i32 s6, s6, 3
	s_addc_u32 s2, s5, 0
	s_add_u32 s0, s0, s6
	s_addc_u32 s1, s2, s1
	s_load_dword s0, s[0:1], 0x820
	s_mov_b32 s13, 0
	s_waitcnt vmcnt(0)
	v_readfirstlane_b32 s1, v1
	s_lshl_b32 s1, s1, 3
	s_load_dwordx2 s[10:11], s[4:5], s1 offset:0x370
	s_load_dwordx2 s[2:3], s[4:5], s1 offset:0x0
	s_waitcnt lgkmcnt(0)
	s_ashr_i32 s1, s0, 31
	s_lshl_b64 s[6:7], s[0:1], 18
	s_lshl_b64 s[0:1], s[0:1], 16
	s_and_b32 s12, s2, 15
	s_sub_u32 s8, s10, s0
	s_subb_u32 s9, s11, s1
	s_and_b32 s0, s10, 3
	s_mov_b32 s1, s13
	s_or_b64 s[0:1], s[12:13], s[0:1]
	s_cmp_eq_u64 s[0:1], 0
	s_cbranch_scc1 .LBB357_13
; %bb.1:
	v_cmp_lt_i64_e64 s[0:1], s[8:9], 1
	s_and_b64 vcc, exec, s[0:1]
	s_cbranch_vccnz .LBB357_12
; %bb.2:
	v_mov_b32_e32 v1, 0x10000
	s_load_dword s10, s[4:5], 0xd3c
	v_mov_b32_e32 v2, 0
	v_cmp_lt_i64_e32 vcc, s[8:9], v[1:2]
	v_mov_b32_e32 v7, 0
	s_and_b64 s[0:1], vcc, exec
	v_cmp_lt_u64_e32 vcc, s[8:9], v[1:2]
	s_cselect_b32 s1, s9, 0
	s_cselect_b32 s0, s8, 0x10000
	s_waitcnt lgkmcnt(0)
	s_and_b32 s18, s10, 0xffff
	s_and_b64 s[10:11], vcc, exec
	s_cselect_b32 s11, s9, 0
	s_cselect_b32 s10, s8, 0x10000
	s_lshl_b32 s19, s18, 1
	s_lshl_b32 s14, s18, 2
	s_add_u32 s20, s2, s6
	v_lshlrev_b32_e32 v1, 2, v0
	s_addc_u32 s21, s3, s7
	v_mov_b32_e32 v2, s21
	v_add_co_u32_e32 v1, vcc, s20, v1
	s_mul_i32 s12, s18, 3
	v_addc_co_u32_e32 v2, vcc, 0, v2, vcc
	v_add_co_u32_e32 v8, vcc, s12, v0
	v_addc_co_u32_e64 v9, s[12:13], 0, 0, vcc
	v_add_co_u32_e32 v10, vcc, s19, v0
	v_addc_co_u32_e64 v11, s[12:13], 0, 0, vcc
	v_add_co_u32_e32 v12, vcc, s18, v0
	v_lshlrev_b32_e32 v3, 2, v12
	v_addc_co_u32_e64 v13, s[12:13], 0, 0, vcc
	v_mov_b32_e32 v4, s21
	v_add_co_u32_e32 v3, vcc, s20, v3
	v_mov_b32_e32 v6, s1
	s_lshl_b32 s15, s18, 4
	s_mul_i32 s16, s18, 12
	s_lshl_b32 s17, s18, 3
	v_addc_co_u32_e32 v4, vcc, 0, v4, vcc
	s_mov_b64 s[12:13], 0
	v_mov_b32_e32 v5, s0
	s_branch .LBB357_4
.LBB357_3:                              ;   in Loop: Header=BB357_4 Depth=1
	s_or_b64 exec, exec, s[0:1]
	s_add_u32 s12, s12, s14
	v_add_co_u32_e32 v1, vcc, s15, v1
	s_addc_u32 s13, s13, 0
	v_addc_co_u32_e32 v2, vcc, 0, v2, vcc
	v_cmp_lt_i64_e32 vcc, s[12:13], v[5:6]
	v_add_co_u32_e64 v3, s[0:1], s15, v3
	v_addc_co_u32_e64 v4, s[0:1], 0, v4, s[0:1]
	s_cbranch_vccz .LBB357_12
.LBB357_4:                              ; =>This Inner Loop Header: Depth=1
	v_mov_b32_e32 v15, s13
	v_add_co_u32_e32 v14, vcc, s12, v0
	v_addc_co_u32_e32 v15, vcc, 0, v15, vcc
	v_cmp_gt_u64_e32 vcc, s[10:11], v[14:15]
	s_and_saveexec_b64 s[0:1], vcc
	s_cbranch_execz .LBB357_6
; %bb.5:                                ;   in Loop: Header=BB357_4 Depth=1
	global_store_dword v[1:2], v7, off
.LBB357_6:                              ;   in Loop: Header=BB357_4 Depth=1
	s_or_b64 exec, exec, s[0:1]
	v_mov_b32_e32 v15, s13
	v_add_co_u32_e32 v14, vcc, s12, v12
	v_addc_co_u32_e32 v15, vcc, v13, v15, vcc
	v_cmp_gt_u64_e32 vcc, s[10:11], v[14:15]
	s_and_saveexec_b64 s[0:1], vcc
	s_cbranch_execz .LBB357_8
; %bb.7:                                ;   in Loop: Header=BB357_4 Depth=1
	global_store_dword v[3:4], v7, off
.LBB357_8:                              ;   in Loop: Header=BB357_4 Depth=1
	s_or_b64 exec, exec, s[0:1]
	v_mov_b32_e32 v15, s13
	v_add_co_u32_e32 v14, vcc, s12, v10
	v_addc_co_u32_e32 v15, vcc, v11, v15, vcc
	v_cmp_gt_u64_e32 vcc, s[10:11], v[14:15]
	s_and_saveexec_b64 s[0:1], vcc
	s_cbranch_execz .LBB357_10
; %bb.9:                                ;   in Loop: Header=BB357_4 Depth=1
	v_add_co_u32_e32 v14, vcc, s17, v1
	v_addc_co_u32_e32 v15, vcc, 0, v2, vcc
	global_store_dword v[14:15], v7, off
.LBB357_10:                             ;   in Loop: Header=BB357_4 Depth=1
	s_or_b64 exec, exec, s[0:1]
	v_mov_b32_e32 v15, s13
	v_add_co_u32_e32 v14, vcc, s12, v8
	v_addc_co_u32_e32 v15, vcc, v9, v15, vcc
	v_cmp_gt_u64_e32 vcc, s[10:11], v[14:15]
	s_and_saveexec_b64 s[0:1], vcc
	s_cbranch_execz .LBB357_3
; %bb.11:                               ;   in Loop: Header=BB357_4 Depth=1
	v_add_co_u32_e32 v14, vcc, s16, v1
	v_addc_co_u32_e32 v15, vcc, 0, v2, vcc
	global_store_dword v[14:15], v7, off
	s_branch .LBB357_3
.LBB357_12:
	s_cbranch_execz .LBB357_14
	s_branch .LBB357_17
.LBB357_13:
.LBB357_14:
	v_mov_b32_e32 v1, 0x10000
	v_mov_b32_e32 v2, 0
	v_cmp_lt_i64_e32 vcc, s[8:9], v[1:2]
	v_mov_b32_e32 v2, 0
	s_and_b64 s[0:1], vcc, exec
	s_cselect_b32 s9, s9, 0
	s_cselect_b32 s8, s8, 0x10000
	v_lshlrev_b32_e32 v3, 2, v0
	v_mov_b32_e32 v4, v2
	v_cmp_gt_i64_e32 vcc, s[8:9], v[3:4]
	s_and_saveexec_b64 s[0:1], vcc
	s_cbranch_execz .LBB357_17
; %bb.15:
	s_load_dword s0, s[4:5], 0xd3c
	v_lshlrev_b32_e32 v3, 4, v0
	v_mov_b32_e32 v1, v2
	v_mov_b32_e32 v5, v2
	s_waitcnt lgkmcnt(0)
	s_and_b32 s4, s0, 0xffff
	s_add_u32 s0, s2, s6
	s_addc_u32 s1, s3, s7
	v_mov_b32_e32 v4, s1
	v_add_co_u32_e32 v3, vcc, s0, v3
	v_addc_co_u32_e32 v4, vcc, 0, v4, vcc
	v_add_co_u32_e32 v6, vcc, 8, v3
	v_addc_co_u32_e32 v7, vcc, 0, v4, vcc
	s_lshl_b32 s5, s4, 4
	s_mov_b64 s[2:3], 0
	v_mov_b32_e32 v3, v2
	v_mov_b32_e32 v4, v2
.LBB357_16:                             ; =>This Inner Loop Header: Depth=1
	v_add_co_u32_e32 v0, vcc, s4, v0
	v_addc_co_u32_e32 v1, vcc, 0, v1, vcc
	v_lshlrev_b64 v[8:9], 2, v[0:1]
	global_store_dwordx4 v[6:7], v[2:5], off offset:-8
	v_cmp_le_i64_e64 s[0:1], s[8:9], v[8:9]
	v_add_co_u32_e32 v6, vcc, s5, v6
	s_or_b64 s[2:3], s[0:1], s[2:3]
	v_addc_co_u32_e32 v7, vcc, 0, v7, vcc
	s_andn2_b64 exec, exec, s[2:3]
	s_cbranch_execnz .LBB357_16
.LBB357_17:
	s_endpgm
	.section	.rodata,"a",@progbits
	.p2align	6, 0x0
	.amdhsa_kernel _ZN2at6native12_GLOBAL__N_125multi_tensor_apply_kernelINS1_18TensorListMetadataILi1EEENS1_11ZeroFunctorIfLi1ELi1ELi0EEEJEEEvT_T0_DpT1_
		.amdhsa_group_segment_fixed_size 0
		.amdhsa_private_segment_fixed_size 0
		.amdhsa_kernarg_size 3632
		.amdhsa_user_sgpr_count 6
		.amdhsa_user_sgpr_private_segment_buffer 1
		.amdhsa_user_sgpr_dispatch_ptr 0
		.amdhsa_user_sgpr_queue_ptr 0
		.amdhsa_user_sgpr_kernarg_segment_ptr 1
		.amdhsa_user_sgpr_dispatch_id 0
		.amdhsa_user_sgpr_flat_scratch_init 0
		.amdhsa_user_sgpr_private_segment_size 0
		.amdhsa_uses_dynamic_stack 0
		.amdhsa_system_sgpr_private_segment_wavefront_offset 0
		.amdhsa_system_sgpr_workgroup_id_x 1
		.amdhsa_system_sgpr_workgroup_id_y 0
		.amdhsa_system_sgpr_workgroup_id_z 0
		.amdhsa_system_sgpr_workgroup_info 0
		.amdhsa_system_vgpr_workitem_id 0
		.amdhsa_next_free_vgpr 16
		.amdhsa_next_free_sgpr 22
		.amdhsa_reserve_vcc 1
		.amdhsa_reserve_flat_scratch 0
		.amdhsa_float_round_mode_32 0
		.amdhsa_float_round_mode_16_64 0
		.amdhsa_float_denorm_mode_32 3
		.amdhsa_float_denorm_mode_16_64 3
		.amdhsa_dx10_clamp 1
		.amdhsa_ieee_mode 1
		.amdhsa_fp16_overflow 0
		.amdhsa_exception_fp_ieee_invalid_op 0
		.amdhsa_exception_fp_denorm_src 0
		.amdhsa_exception_fp_ieee_div_zero 0
		.amdhsa_exception_fp_ieee_overflow 0
		.amdhsa_exception_fp_ieee_underflow 0
		.amdhsa_exception_fp_ieee_inexact 0
		.amdhsa_exception_int_div_zero 0
	.end_amdhsa_kernel
	.section	.text._ZN2at6native12_GLOBAL__N_125multi_tensor_apply_kernelINS1_18TensorListMetadataILi1EEENS1_11ZeroFunctorIfLi1ELi1ELi0EEEJEEEvT_T0_DpT1_,"axG",@progbits,_ZN2at6native12_GLOBAL__N_125multi_tensor_apply_kernelINS1_18TensorListMetadataILi1EEENS1_11ZeroFunctorIfLi1ELi1ELi0EEEJEEEvT_T0_DpT1_,comdat
.Lfunc_end357:
	.size	_ZN2at6native12_GLOBAL__N_125multi_tensor_apply_kernelINS1_18TensorListMetadataILi1EEENS1_11ZeroFunctorIfLi1ELi1ELi0EEEJEEEvT_T0_DpT1_, .Lfunc_end357-_ZN2at6native12_GLOBAL__N_125multi_tensor_apply_kernelINS1_18TensorListMetadataILi1EEENS1_11ZeroFunctorIfLi1ELi1ELi0EEEJEEEvT_T0_DpT1_
                                        ; -- End function
	.set _ZN2at6native12_GLOBAL__N_125multi_tensor_apply_kernelINS1_18TensorListMetadataILi1EEENS1_11ZeroFunctorIfLi1ELi1ELi0EEEJEEEvT_T0_DpT1_.num_vgpr, 16
	.set _ZN2at6native12_GLOBAL__N_125multi_tensor_apply_kernelINS1_18TensorListMetadataILi1EEENS1_11ZeroFunctorIfLi1ELi1ELi0EEEJEEEvT_T0_DpT1_.num_agpr, 0
	.set _ZN2at6native12_GLOBAL__N_125multi_tensor_apply_kernelINS1_18TensorListMetadataILi1EEENS1_11ZeroFunctorIfLi1ELi1ELi0EEEJEEEvT_T0_DpT1_.numbered_sgpr, 22
	.set _ZN2at6native12_GLOBAL__N_125multi_tensor_apply_kernelINS1_18TensorListMetadataILi1EEENS1_11ZeroFunctorIfLi1ELi1ELi0EEEJEEEvT_T0_DpT1_.num_named_barrier, 0
	.set _ZN2at6native12_GLOBAL__N_125multi_tensor_apply_kernelINS1_18TensorListMetadataILi1EEENS1_11ZeroFunctorIfLi1ELi1ELi0EEEJEEEvT_T0_DpT1_.private_seg_size, 0
	.set _ZN2at6native12_GLOBAL__N_125multi_tensor_apply_kernelINS1_18TensorListMetadataILi1EEENS1_11ZeroFunctorIfLi1ELi1ELi0EEEJEEEvT_T0_DpT1_.uses_vcc, 1
	.set _ZN2at6native12_GLOBAL__N_125multi_tensor_apply_kernelINS1_18TensorListMetadataILi1EEENS1_11ZeroFunctorIfLi1ELi1ELi0EEEJEEEvT_T0_DpT1_.uses_flat_scratch, 0
	.set _ZN2at6native12_GLOBAL__N_125multi_tensor_apply_kernelINS1_18TensorListMetadataILi1EEENS1_11ZeroFunctorIfLi1ELi1ELi0EEEJEEEvT_T0_DpT1_.has_dyn_sized_stack, 0
	.set _ZN2at6native12_GLOBAL__N_125multi_tensor_apply_kernelINS1_18TensorListMetadataILi1EEENS1_11ZeroFunctorIfLi1ELi1ELi0EEEJEEEvT_T0_DpT1_.has_recursion, 0
	.set _ZN2at6native12_GLOBAL__N_125multi_tensor_apply_kernelINS1_18TensorListMetadataILi1EEENS1_11ZeroFunctorIfLi1ELi1ELi0EEEJEEEvT_T0_DpT1_.has_indirect_call, 0
	.section	.AMDGPU.csdata,"",@progbits
; Kernel info:
; codeLenInByte = 732
; TotalNumSgprs: 26
; NumVgprs: 16
; ScratchSize: 0
; MemoryBound: 0
; FloatMode: 240
; IeeeMode: 1
; LDSByteSize: 0 bytes/workgroup (compile time only)
; SGPRBlocks: 3
; VGPRBlocks: 3
; NumSGPRsForWavesPerEU: 26
; NumVGPRsForWavesPerEU: 16
; Occupancy: 10
; WaveLimiterHint : 0
; COMPUTE_PGM_RSRC2:SCRATCH_EN: 0
; COMPUTE_PGM_RSRC2:USER_SGPR: 6
; COMPUTE_PGM_RSRC2:TRAP_HANDLER: 0
; COMPUTE_PGM_RSRC2:TGID_X_EN: 1
; COMPUTE_PGM_RSRC2:TGID_Y_EN: 0
; COMPUTE_PGM_RSRC2:TGID_Z_EN: 0
; COMPUTE_PGM_RSRC2:TIDIG_COMP_CNT: 0
	.section	.text._ZN2at6native12_GLOBAL__N_125multi_tensor_apply_kernelINS1_18TensorListMetadataILi1EEENS1_11ZeroFunctorIN3c107complexIdEELi1ELi1ELi0EEEJEEEvT_T0_DpT1_,"axG",@progbits,_ZN2at6native12_GLOBAL__N_125multi_tensor_apply_kernelINS1_18TensorListMetadataILi1EEENS1_11ZeroFunctorIN3c107complexIdEELi1ELi1ELi0EEEJEEEvT_T0_DpT1_,comdat
	.globl	_ZN2at6native12_GLOBAL__N_125multi_tensor_apply_kernelINS1_18TensorListMetadataILi1EEENS1_11ZeroFunctorIN3c107complexIdEELi1ELi1ELi0EEEJEEEvT_T0_DpT1_ ; -- Begin function _ZN2at6native12_GLOBAL__N_125multi_tensor_apply_kernelINS1_18TensorListMetadataILi1EEENS1_11ZeroFunctorIN3c107complexIdEELi1ELi1ELi0EEEJEEEvT_T0_DpT1_
	.p2align	8
	.type	_ZN2at6native12_GLOBAL__N_125multi_tensor_apply_kernelINS1_18TensorListMetadataILi1EEENS1_11ZeroFunctorIN3c107complexIdEELi1ELi1ELi0EEEJEEEvT_T0_DpT1_,@function
_ZN2at6native12_GLOBAL__N_125multi_tensor_apply_kernelINS1_18TensorListMetadataILi1EEENS1_11ZeroFunctorIN3c107complexIdEELi1ELi1ELi0EEEJEEEvT_T0_DpT1_: ; @_ZN2at6native12_GLOBAL__N_125multi_tensor_apply_kernelINS1_18TensorListMetadataILi1EEENS1_11ZeroFunctorIN3c107complexIdEELi1ELi1ELi0EEEJEEEvT_T0_DpT1_
; %bb.0:
	v_mov_b32_e32 v1, s6
	global_load_ubyte v1, v1, s[4:5] offset:1760
	s_add_u32 s0, s4, s6
	s_mul_hi_u32 s1, s6, 3
	s_mul_i32 s6, s6, 3
	s_addc_u32 s2, s5, 0
	s_add_u32 s0, s0, s6
	s_addc_u32 s1, s2, s1
	s_load_dword s0, s[0:1], 0x820
	s_mov_b32 s11, 0
	s_waitcnt vmcnt(0)
	v_readfirstlane_b32 s1, v1
	s_lshl_b32 s1, s1, 3
	s_load_dwordx2 s[2:3], s[4:5], s1 offset:0x0
	s_load_dwordx2 s[8:9], s[4:5], s1 offset:0x370
	s_waitcnt lgkmcnt(0)
	s_ashr_i32 s1, s0, 31
	s_lshl_b64 s[6:7], s[0:1], 20
	s_add_u32 s16, s2, s6
	s_addc_u32 s17, s3, s7
	s_lshl_b64 s[0:1], s[0:1], 16
	s_and_b32 s10, s16, 63
	s_sub_u32 s0, s8, s0
	s_subb_u32 s1, s9, s1
	s_and_b32 s8, s8, 3
	s_mov_b32 s9, s11
	s_or_b64 s[8:9], s[10:11], s[8:9]
	s_cmp_eq_u64 s[8:9], 0
	s_cbranch_scc1 .LBB358_13
; %bb.1:
	v_cmp_lt_i64_e64 s[8:9], s[0:1], 1
	s_and_b64 vcc, exec, s[8:9]
	s_cbranch_vccnz .LBB358_12
; %bb.2:
	v_mov_b32_e32 v2, 0x10000
	s_load_dword s10, s[4:5], 0xd3c
	v_mov_b32_e32 v3, 0
	v_cmp_lt_i64_e32 vcc, s[0:1], v[2:3]
	v_mov_b32_e32 v1, 0
	s_and_b64 s[8:9], vcc, exec
	v_cmp_lt_u64_e32 vcc, s[0:1], v[2:3]
	s_cselect_b32 s9, s1, 0
	s_cselect_b32 s8, s0, 0x10000
	s_waitcnt lgkmcnt(0)
	s_and_b32 s14, s10, 0xffff
	s_and_b64 s[10:11], vcc, exec
	s_mul_i32 s20, s14, 3
	v_add_co_u32_e32 v8, vcc, s14, v0
	v_lshlrev_b32_e32 v5, 4, v0
	v_mov_b32_e32 v6, v1
	v_addc_co_u32_e64 v9, s[12:13], 0, 0, vcc
	v_add_co_u32_e32 v10, vcc, s20, v0
	v_mad_u64_u32 v[6:7], s[12:13], s14, 48, v[5:6]
	v_addc_co_u32_e64 v11, s[12:13], 0, 0, vcc
	s_cselect_b32 s11, s1, 0
	s_cselect_b32 s10, s0, 0x10000
	s_lshl_b32 s12, s14, 5
	s_lshl_b32 s15, s14, 1
	v_add_co_u32_e32 v2, vcc, s12, v5
	v_addc_co_u32_e64 v13, s[12:13], 0, 0, vcc
	v_add_co_u32_e32 v15, vcc, s15, v0
	v_addc_co_u32_e64 v16, s[12:13], 0, 0, vcc
	s_lshl_b32 s18, s14, 2
	s_lshl_b32 s19, s14, 6
	v_or_b32_e32 v6, 8, v6
	v_lshlrev_b32_e32 v12, 4, v8
	v_or_b32_e32 v14, 8, v2
	s_mov_b64 s[12:13], 0
	s_branch .LBB358_4
.LBB358_3:                              ;   in Loop: Header=BB358_4 Depth=1
	s_or_b64 exec, exec, s[14:15]
	s_add_u32 s12, s12, s18
	v_mov_b32_e32 v2, s8
	s_addc_u32 s13, s13, 0
	v_mov_b32_e32 v3, s9
	v_cmp_lt_i64_e32 vcc, s[12:13], v[2:3]
	s_add_u32 s16, s16, s19
	s_addc_u32 s17, s17, 0
	s_cbranch_vccz .LBB358_12
.LBB358_4:                              ; =>This Inner Loop Header: Depth=1
	v_mov_b32_e32 v3, s13
	v_add_co_u32_e32 v2, vcc, s12, v0
	v_addc_co_u32_e32 v3, vcc, 0, v3, vcc
	v_cmp_gt_u64_e32 vcc, s[10:11], v[2:3]
	s_and_saveexec_b64 s[14:15], vcc
	s_cbranch_execz .LBB358_6
; %bb.5:                                ;   in Loop: Header=BB358_4 Depth=1
	v_mov_b32_e32 v2, s17
	v_add_co_u32_e32 v17, vcc, s16, v5
	v_addc_co_u32_e32 v18, vcc, 0, v2, vcc
	v_mov_b32_e32 v2, v1
	v_mov_b32_e32 v3, v1
	v_mov_b32_e32 v4, v1
	global_store_dwordx4 v[17:18], v[1:4], off
.LBB358_6:                              ;   in Loop: Header=BB358_4 Depth=1
	s_or_b64 exec, exec, s[14:15]
	v_mov_b32_e32 v3, s13
	v_add_co_u32_e32 v2, vcc, s12, v8
	v_addc_co_u32_e32 v3, vcc, v9, v3, vcc
	v_cmp_gt_u64_e32 vcc, s[10:11], v[2:3]
	s_and_saveexec_b64 s[14:15], vcc
	s_cbranch_execz .LBB358_8
; %bb.7:                                ;   in Loop: Header=BB358_4 Depth=1
	v_mov_b32_e32 v2, s17
	v_add_co_u32_e32 v17, vcc, s16, v12
	v_addc_co_u32_e32 v18, vcc, 0, v2, vcc
	v_mov_b32_e32 v2, v1
	v_mov_b32_e32 v3, v1
	;; [unrolled: 1-line block ×3, first 2 shown]
	global_store_dwordx4 v[17:18], v[1:4], off
.LBB358_8:                              ;   in Loop: Header=BB358_4 Depth=1
	s_or_b64 exec, exec, s[14:15]
	v_mov_b32_e32 v3, s13
	v_add_co_u32_e32 v2, vcc, s12, v15
	v_addc_co_u32_e32 v3, vcc, v16, v3, vcc
	v_cmp_gt_u64_e32 vcc, s[10:11], v[2:3]
	s_and_saveexec_b64 s[14:15], vcc
	s_cbranch_execz .LBB358_10
; %bb.9:                                ;   in Loop: Header=BB358_4 Depth=1
	v_mov_b32_e32 v2, s17
	v_add_co_u32_e32 v17, vcc, s16, v14
	v_addc_co_u32_e32 v18, vcc, v2, v13, vcc
	v_mov_b32_e32 v2, v1
	v_mov_b32_e32 v3, v1
	;; [unrolled: 1-line block ×3, first 2 shown]
	global_store_dwordx4 v[17:18], v[1:4], off offset:-8
.LBB358_10:                             ;   in Loop: Header=BB358_4 Depth=1
	s_or_b64 exec, exec, s[14:15]
	v_mov_b32_e32 v3, s13
	v_add_co_u32_e32 v2, vcc, s12, v10
	v_addc_co_u32_e32 v3, vcc, v11, v3, vcc
	v_cmp_gt_u64_e32 vcc, s[10:11], v[2:3]
	s_and_saveexec_b64 s[14:15], vcc
	s_cbranch_execz .LBB358_3
; %bb.11:                               ;   in Loop: Header=BB358_4 Depth=1
	v_mov_b32_e32 v2, s17
	v_add_co_u32_e32 v17, vcc, s16, v6
	v_addc_co_u32_e32 v18, vcc, v2, v7, vcc
	v_mov_b32_e32 v2, v1
	v_mov_b32_e32 v3, v1
	;; [unrolled: 1-line block ×3, first 2 shown]
	global_store_dwordx4 v[17:18], v[1:4], off offset:-8
	s_branch .LBB358_3
.LBB358_12:
	s_cbranch_execz .LBB358_14
	s_branch .LBB358_17
.LBB358_13:
.LBB358_14:
	v_mov_b32_e32 v1, 0x10000
	v_mov_b32_e32 v2, 0
	v_cmp_lt_i64_e32 vcc, s[0:1], v[1:2]
	v_mov_b32_e32 v2, 0
	s_and_b64 s[8:9], vcc, exec
	s_cselect_b32 s9, s1, 0
	s_cselect_b32 s8, s0, 0x10000
	v_lshlrev_b32_e32 v1, 2, v0
	v_cmp_gt_i64_e32 vcc, s[8:9], v[1:2]
	s_mov_b32 s0, 0
	s_and_saveexec_b64 s[10:11], vcc
	s_cbranch_execz .LBB358_17
; %bb.15:
	s_load_dword s1, s[4:5], 0xd3c
	v_mov_b32_e32 v1, v2
	v_lshlrev_b32_e32 v2, 6, v0
	s_mov_b64 s[4:5], 0
	s_waitcnt lgkmcnt(0)
	s_and_b32 s10, s1, 0xffff
	s_add_u32 s1, s2, s6
	s_addc_u32 s2, s3, s7
	v_mov_b32_e32 v3, s2
	v_add_co_u32_e32 v6, vcc, s1, v2
	s_mov_b32 s3, s0
	v_addc_co_u32_e32 v7, vcc, 0, v3, vcc
	s_mov_b32 s1, s0
	s_mov_b32 s2, s0
	v_mov_b32_e32 v5, s3
	s_lshl_b32 s6, s10, 6
	v_mov_b32_e32 v4, s2
	v_mov_b32_e32 v3, s1
	v_mov_b32_e32 v2, s0
.LBB358_16:                             ; =>This Inner Loop Header: Depth=1
	v_add_co_u32_e32 v0, vcc, s10, v0
	v_addc_co_u32_e32 v1, vcc, 0, v1, vcc
	v_lshlrev_b64 v[8:9], 2, v[0:1]
	global_store_dwordx4 v[6:7], v[2:5], off
	global_store_dwordx4 v[6:7], v[2:5], off offset:16
	global_store_dwordx4 v[6:7], v[2:5], off offset:32
	;; [unrolled: 1-line block ×3, first 2 shown]
	v_cmp_le_i64_e64 s[0:1], s[8:9], v[8:9]
	v_add_co_u32_e32 v6, vcc, s6, v6
	s_or_b64 s[4:5], s[0:1], s[4:5]
	v_addc_co_u32_e32 v7, vcc, 0, v7, vcc
	s_andn2_b64 exec, exec, s[4:5]
	s_cbranch_execnz .LBB358_16
.LBB358_17:
	s_endpgm
	.section	.rodata,"a",@progbits
	.p2align	6, 0x0
	.amdhsa_kernel _ZN2at6native12_GLOBAL__N_125multi_tensor_apply_kernelINS1_18TensorListMetadataILi1EEENS1_11ZeroFunctorIN3c107complexIdEELi1ELi1ELi0EEEJEEEvT_T0_DpT1_
		.amdhsa_group_segment_fixed_size 0
		.amdhsa_private_segment_fixed_size 0
		.amdhsa_kernarg_size 3632
		.amdhsa_user_sgpr_count 6
		.amdhsa_user_sgpr_private_segment_buffer 1
		.amdhsa_user_sgpr_dispatch_ptr 0
		.amdhsa_user_sgpr_queue_ptr 0
		.amdhsa_user_sgpr_kernarg_segment_ptr 1
		.amdhsa_user_sgpr_dispatch_id 0
		.amdhsa_user_sgpr_flat_scratch_init 0
		.amdhsa_user_sgpr_private_segment_size 0
		.amdhsa_uses_dynamic_stack 0
		.amdhsa_system_sgpr_private_segment_wavefront_offset 0
		.amdhsa_system_sgpr_workgroup_id_x 1
		.amdhsa_system_sgpr_workgroup_id_y 0
		.amdhsa_system_sgpr_workgroup_id_z 0
		.amdhsa_system_sgpr_workgroup_info 0
		.amdhsa_system_vgpr_workitem_id 0
		.amdhsa_next_free_vgpr 19
		.amdhsa_next_free_sgpr 21
		.amdhsa_reserve_vcc 1
		.amdhsa_reserve_flat_scratch 0
		.amdhsa_float_round_mode_32 0
		.amdhsa_float_round_mode_16_64 0
		.amdhsa_float_denorm_mode_32 3
		.amdhsa_float_denorm_mode_16_64 3
		.amdhsa_dx10_clamp 1
		.amdhsa_ieee_mode 1
		.amdhsa_fp16_overflow 0
		.amdhsa_exception_fp_ieee_invalid_op 0
		.amdhsa_exception_fp_denorm_src 0
		.amdhsa_exception_fp_ieee_div_zero 0
		.amdhsa_exception_fp_ieee_overflow 0
		.amdhsa_exception_fp_ieee_underflow 0
		.amdhsa_exception_fp_ieee_inexact 0
		.amdhsa_exception_int_div_zero 0
	.end_amdhsa_kernel
	.section	.text._ZN2at6native12_GLOBAL__N_125multi_tensor_apply_kernelINS1_18TensorListMetadataILi1EEENS1_11ZeroFunctorIN3c107complexIdEELi1ELi1ELi0EEEJEEEvT_T0_DpT1_,"axG",@progbits,_ZN2at6native12_GLOBAL__N_125multi_tensor_apply_kernelINS1_18TensorListMetadataILi1EEENS1_11ZeroFunctorIN3c107complexIdEELi1ELi1ELi0EEEJEEEvT_T0_DpT1_,comdat
.Lfunc_end358:
	.size	_ZN2at6native12_GLOBAL__N_125multi_tensor_apply_kernelINS1_18TensorListMetadataILi1EEENS1_11ZeroFunctorIN3c107complexIdEELi1ELi1ELi0EEEJEEEvT_T0_DpT1_, .Lfunc_end358-_ZN2at6native12_GLOBAL__N_125multi_tensor_apply_kernelINS1_18TensorListMetadataILi1EEENS1_11ZeroFunctorIN3c107complexIdEELi1ELi1ELi0EEEJEEEvT_T0_DpT1_
                                        ; -- End function
	.set _ZN2at6native12_GLOBAL__N_125multi_tensor_apply_kernelINS1_18TensorListMetadataILi1EEENS1_11ZeroFunctorIN3c107complexIdEELi1ELi1ELi0EEEJEEEvT_T0_DpT1_.num_vgpr, 19
	.set _ZN2at6native12_GLOBAL__N_125multi_tensor_apply_kernelINS1_18TensorListMetadataILi1EEENS1_11ZeroFunctorIN3c107complexIdEELi1ELi1ELi0EEEJEEEvT_T0_DpT1_.num_agpr, 0
	.set _ZN2at6native12_GLOBAL__N_125multi_tensor_apply_kernelINS1_18TensorListMetadataILi1EEENS1_11ZeroFunctorIN3c107complexIdEELi1ELi1ELi0EEEJEEEvT_T0_DpT1_.numbered_sgpr, 21
	.set _ZN2at6native12_GLOBAL__N_125multi_tensor_apply_kernelINS1_18TensorListMetadataILi1EEENS1_11ZeroFunctorIN3c107complexIdEELi1ELi1ELi0EEEJEEEvT_T0_DpT1_.num_named_barrier, 0
	.set _ZN2at6native12_GLOBAL__N_125multi_tensor_apply_kernelINS1_18TensorListMetadataILi1EEENS1_11ZeroFunctorIN3c107complexIdEELi1ELi1ELi0EEEJEEEvT_T0_DpT1_.private_seg_size, 0
	.set _ZN2at6native12_GLOBAL__N_125multi_tensor_apply_kernelINS1_18TensorListMetadataILi1EEENS1_11ZeroFunctorIN3c107complexIdEELi1ELi1ELi0EEEJEEEvT_T0_DpT1_.uses_vcc, 1
	.set _ZN2at6native12_GLOBAL__N_125multi_tensor_apply_kernelINS1_18TensorListMetadataILi1EEENS1_11ZeroFunctorIN3c107complexIdEELi1ELi1ELi0EEEJEEEvT_T0_DpT1_.uses_flat_scratch, 0
	.set _ZN2at6native12_GLOBAL__N_125multi_tensor_apply_kernelINS1_18TensorListMetadataILi1EEENS1_11ZeroFunctorIN3c107complexIdEELi1ELi1ELi0EEEJEEEvT_T0_DpT1_.has_dyn_sized_stack, 0
	.set _ZN2at6native12_GLOBAL__N_125multi_tensor_apply_kernelINS1_18TensorListMetadataILi1EEENS1_11ZeroFunctorIN3c107complexIdEELi1ELi1ELi0EEEJEEEvT_T0_DpT1_.has_recursion, 0
	.set _ZN2at6native12_GLOBAL__N_125multi_tensor_apply_kernelINS1_18TensorListMetadataILi1EEENS1_11ZeroFunctorIN3c107complexIdEELi1ELi1ELi0EEEJEEEvT_T0_DpT1_.has_indirect_call, 0
	.section	.AMDGPU.csdata,"",@progbits
; Kernel info:
; codeLenInByte = 832
; TotalNumSgprs: 25
; NumVgprs: 19
; ScratchSize: 0
; MemoryBound: 0
; FloatMode: 240
; IeeeMode: 1
; LDSByteSize: 0 bytes/workgroup (compile time only)
; SGPRBlocks: 3
; VGPRBlocks: 4
; NumSGPRsForWavesPerEU: 25
; NumVGPRsForWavesPerEU: 19
; Occupancy: 10
; WaveLimiterHint : 0
; COMPUTE_PGM_RSRC2:SCRATCH_EN: 0
; COMPUTE_PGM_RSRC2:USER_SGPR: 6
; COMPUTE_PGM_RSRC2:TRAP_HANDLER: 0
; COMPUTE_PGM_RSRC2:TGID_X_EN: 1
; COMPUTE_PGM_RSRC2:TGID_Y_EN: 0
; COMPUTE_PGM_RSRC2:TGID_Z_EN: 0
; COMPUTE_PGM_RSRC2:TIDIG_COMP_CNT: 0
	.section	.text._ZN2at6native12_GLOBAL__N_125multi_tensor_apply_kernelINS1_18TensorListMetadataILi1EEENS1_11ZeroFunctorIN3c107complexIfEELi1ELi1ELi0EEEJEEEvT_T0_DpT1_,"axG",@progbits,_ZN2at6native12_GLOBAL__N_125multi_tensor_apply_kernelINS1_18TensorListMetadataILi1EEENS1_11ZeroFunctorIN3c107complexIfEELi1ELi1ELi0EEEJEEEvT_T0_DpT1_,comdat
	.globl	_ZN2at6native12_GLOBAL__N_125multi_tensor_apply_kernelINS1_18TensorListMetadataILi1EEENS1_11ZeroFunctorIN3c107complexIfEELi1ELi1ELi0EEEJEEEvT_T0_DpT1_ ; -- Begin function _ZN2at6native12_GLOBAL__N_125multi_tensor_apply_kernelINS1_18TensorListMetadataILi1EEENS1_11ZeroFunctorIN3c107complexIfEELi1ELi1ELi0EEEJEEEvT_T0_DpT1_
	.p2align	8
	.type	_ZN2at6native12_GLOBAL__N_125multi_tensor_apply_kernelINS1_18TensorListMetadataILi1EEENS1_11ZeroFunctorIN3c107complexIfEELi1ELi1ELi0EEEJEEEvT_T0_DpT1_,@function
_ZN2at6native12_GLOBAL__N_125multi_tensor_apply_kernelINS1_18TensorListMetadataILi1EEENS1_11ZeroFunctorIN3c107complexIfEELi1ELi1ELi0EEEJEEEvT_T0_DpT1_: ; @_ZN2at6native12_GLOBAL__N_125multi_tensor_apply_kernelINS1_18TensorListMetadataILi1EEENS1_11ZeroFunctorIN3c107complexIfEELi1ELi1ELi0EEEJEEEvT_T0_DpT1_
; %bb.0:
	v_mov_b32_e32 v1, s6
	global_load_ubyte v1, v1, s[4:5] offset:1760
	s_add_u32 s0, s4, s6
	s_mul_hi_u32 s1, s6, 3
	s_mul_i32 s6, s6, 3
	s_addc_u32 s2, s5, 0
	s_add_u32 s0, s0, s6
	s_addc_u32 s1, s2, s1
	s_load_dword s0, s[0:1], 0x820
	s_mov_b32 s11, 0
	s_waitcnt vmcnt(0)
	v_readfirstlane_b32 s1, v1
	s_lshl_b32 s1, s1, 3
	s_load_dwordx2 s[2:3], s[4:5], s1 offset:0x0
	s_load_dwordx2 s[8:9], s[4:5], s1 offset:0x370
	s_waitcnt lgkmcnt(0)
	s_ashr_i32 s1, s0, 31
	s_lshl_b64 s[6:7], s[0:1], 19
	s_add_u32 s16, s2, s6
	s_addc_u32 s17, s3, s7
	s_lshl_b64 s[0:1], s[0:1], 16
	s_and_b32 s10, s16, 31
	s_sub_u32 s0, s8, s0
	s_subb_u32 s1, s9, s1
	s_and_b32 s8, s8, 3
	s_mov_b32 s9, s11
	s_or_b64 s[8:9], s[10:11], s[8:9]
	s_cmp_eq_u64 s[8:9], 0
	s_cbranch_scc1 .LBB359_13
; %bb.1:
	v_cmp_lt_i64_e64 s[8:9], s[0:1], 1
	s_and_b64 vcc, exec, s[8:9]
	s_cbranch_vccnz .LBB359_12
; %bb.2:
	v_mov_b32_e32 v2, 0x10000
	s_load_dword s10, s[4:5], 0xd3c
	v_mov_b32_e32 v3, 0
	v_cmp_lt_i64_e32 vcc, s[0:1], v[2:3]
	v_mov_b32_e32 v1, 0
	s_and_b64 s[8:9], vcc, exec
	v_cmp_lt_u64_e32 vcc, s[0:1], v[2:3]
	s_cselect_b32 s9, s1, 0
	s_cselect_b32 s8, s0, 0x10000
	s_waitcnt lgkmcnt(0)
	s_and_b32 s14, s10, 0xffff
	s_and_b64 s[10:11], vcc, exec
	s_mul_i32 s20, s14, 3
	v_add_co_u32_e32 v6, vcc, s14, v0
	v_lshlrev_b32_e32 v3, 3, v0
	v_mov_b32_e32 v4, v1
	v_addc_co_u32_e64 v7, s[12:13], 0, 0, vcc
	v_add_co_u32_e32 v8, vcc, s20, v0
	v_mad_u64_u32 v[4:5], s[12:13], s14, 24, v[3:4]
	v_addc_co_u32_e64 v9, s[12:13], 0, 0, vcc
	s_cselect_b32 s11, s1, 0
	s_cselect_b32 s10, s0, 0x10000
	s_lshl_b32 s12, s14, 4
	s_lshl_b32 s15, s14, 1
	v_add_co_u32_e32 v2, vcc, s12, v3
	v_addc_co_u32_e64 v11, s[12:13], 0, 0, vcc
	v_add_co_u32_e32 v13, vcc, s15, v0
	v_addc_co_u32_e64 v14, s[12:13], 0, 0, vcc
	s_lshl_b32 s18, s14, 2
	s_lshl_b32 s19, s14, 5
	v_or_b32_e32 v4, 4, v4
	v_lshlrev_b32_e32 v10, 3, v6
	v_or_b32_e32 v12, 4, v2
	s_mov_b64 s[12:13], 0
	s_branch .LBB359_4
.LBB359_3:                              ;   in Loop: Header=BB359_4 Depth=1
	s_or_b64 exec, exec, s[14:15]
	s_add_u32 s12, s12, s18
	v_mov_b32_e32 v16, s9
	s_addc_u32 s13, s13, 0
	v_mov_b32_e32 v15, s8
	v_cmp_lt_i64_e32 vcc, s[12:13], v[15:16]
	s_add_u32 s16, s16, s19
	s_addc_u32 s17, s17, 0
	s_cbranch_vccz .LBB359_12
.LBB359_4:                              ; =>This Inner Loop Header: Depth=1
	v_mov_b32_e32 v2, s13
	v_add_co_u32_e32 v15, vcc, s12, v0
	v_addc_co_u32_e32 v16, vcc, 0, v2, vcc
	v_cmp_gt_u64_e32 vcc, s[10:11], v[15:16]
	s_and_saveexec_b64 s[14:15], vcc
	s_cbranch_execz .LBB359_6
; %bb.5:                                ;   in Loop: Header=BB359_4 Depth=1
	v_mov_b32_e32 v2, s17
	v_add_co_u32_e32 v15, vcc, s16, v3
	v_addc_co_u32_e32 v16, vcc, 0, v2, vcc
	v_mov_b32_e32 v2, v1
	global_store_dwordx2 v[15:16], v[1:2], off
.LBB359_6:                              ;   in Loop: Header=BB359_4 Depth=1
	s_or_b64 exec, exec, s[14:15]
	v_mov_b32_e32 v2, s13
	v_add_co_u32_e32 v15, vcc, s12, v6
	v_addc_co_u32_e32 v16, vcc, v7, v2, vcc
	v_cmp_gt_u64_e32 vcc, s[10:11], v[15:16]
	s_and_saveexec_b64 s[14:15], vcc
	s_cbranch_execz .LBB359_8
; %bb.7:                                ;   in Loop: Header=BB359_4 Depth=1
	v_mov_b32_e32 v2, s17
	v_add_co_u32_e32 v15, vcc, s16, v10
	v_addc_co_u32_e32 v16, vcc, 0, v2, vcc
	v_mov_b32_e32 v2, v1
	global_store_dwordx2 v[15:16], v[1:2], off
.LBB359_8:                              ;   in Loop: Header=BB359_4 Depth=1
	s_or_b64 exec, exec, s[14:15]
	v_mov_b32_e32 v2, s13
	v_add_co_u32_e32 v15, vcc, s12, v13
	v_addc_co_u32_e32 v16, vcc, v14, v2, vcc
	v_cmp_gt_u64_e32 vcc, s[10:11], v[15:16]
	s_and_saveexec_b64 s[14:15], vcc
	s_cbranch_execz .LBB359_10
; %bb.9:                                ;   in Loop: Header=BB359_4 Depth=1
	v_mov_b32_e32 v2, s17
	v_add_co_u32_e32 v15, vcc, s16, v12
	v_addc_co_u32_e32 v16, vcc, v2, v11, vcc
	v_mov_b32_e32 v2, v1
	global_store_dwordx2 v[15:16], v[1:2], off offset:-4
.LBB359_10:                             ;   in Loop: Header=BB359_4 Depth=1
	s_or_b64 exec, exec, s[14:15]
	v_mov_b32_e32 v2, s13
	v_add_co_u32_e32 v15, vcc, s12, v8
	v_addc_co_u32_e32 v16, vcc, v9, v2, vcc
	v_cmp_gt_u64_e32 vcc, s[10:11], v[15:16]
	s_and_saveexec_b64 s[14:15], vcc
	s_cbranch_execz .LBB359_3
; %bb.11:                               ;   in Loop: Header=BB359_4 Depth=1
	v_mov_b32_e32 v2, s17
	v_add_co_u32_e32 v15, vcc, s16, v4
	v_addc_co_u32_e32 v16, vcc, v2, v5, vcc
	v_mov_b32_e32 v2, v1
	global_store_dwordx2 v[15:16], v[1:2], off offset:-4
	s_branch .LBB359_3
.LBB359_12:
	s_cbranch_execz .LBB359_14
	s_branch .LBB359_17
.LBB359_13:
.LBB359_14:
	v_mov_b32_e32 v1, 0x10000
	v_mov_b32_e32 v2, 0
	v_cmp_lt_i64_e32 vcc, s[0:1], v[1:2]
	v_mov_b32_e32 v2, 0
	s_and_b64 s[8:9], vcc, exec
	s_cselect_b32 s9, s1, 0
	s_cselect_b32 s8, s0, 0x10000
	v_lshlrev_b32_e32 v1, 2, v0
	v_cmp_gt_i64_e32 vcc, s[8:9], v[1:2]
	s_mov_b32 s0, 0
	s_and_saveexec_b64 s[10:11], vcc
	s_cbranch_execz .LBB359_17
; %bb.15:
	s_load_dword s1, s[4:5], 0xd3c
	v_mov_b32_e32 v1, v2
	v_lshlrev_b32_e32 v2, 5, v0
	s_mov_b64 s[4:5], 0
	s_waitcnt lgkmcnt(0)
	s_and_b32 s10, s1, 0xffff
	s_add_u32 s1, s2, s6
	s_addc_u32 s2, s3, s7
	v_mov_b32_e32 v3, s2
	v_add_co_u32_e32 v6, vcc, s1, v2
	s_mov_b32 s3, s0
	v_addc_co_u32_e32 v7, vcc, 0, v3, vcc
	s_mov_b32 s1, s0
	s_mov_b32 s2, s0
	v_mov_b32_e32 v5, s3
	s_lshl_b32 s6, s10, 5
	v_mov_b32_e32 v4, s2
	v_mov_b32_e32 v3, s1
	;; [unrolled: 1-line block ×3, first 2 shown]
.LBB359_16:                             ; =>This Inner Loop Header: Depth=1
	v_add_co_u32_e32 v0, vcc, s10, v0
	v_addc_co_u32_e32 v1, vcc, 0, v1, vcc
	v_lshlrev_b64 v[8:9], 2, v[0:1]
	global_store_dwordx4 v[6:7], v[2:5], off
	global_store_dwordx4 v[6:7], v[2:5], off offset:16
	v_cmp_le_i64_e64 s[0:1], s[8:9], v[8:9]
	v_add_co_u32_e32 v6, vcc, s6, v6
	s_or_b64 s[4:5], s[0:1], s[4:5]
	v_addc_co_u32_e32 v7, vcc, 0, v7, vcc
	s_andn2_b64 exec, exec, s[4:5]
	s_cbranch_execnz .LBB359_16
.LBB359_17:
	s_endpgm
	.section	.rodata,"a",@progbits
	.p2align	6, 0x0
	.amdhsa_kernel _ZN2at6native12_GLOBAL__N_125multi_tensor_apply_kernelINS1_18TensorListMetadataILi1EEENS1_11ZeroFunctorIN3c107complexIfEELi1ELi1ELi0EEEJEEEvT_T0_DpT1_
		.amdhsa_group_segment_fixed_size 0
		.amdhsa_private_segment_fixed_size 0
		.amdhsa_kernarg_size 3632
		.amdhsa_user_sgpr_count 6
		.amdhsa_user_sgpr_private_segment_buffer 1
		.amdhsa_user_sgpr_dispatch_ptr 0
		.amdhsa_user_sgpr_queue_ptr 0
		.amdhsa_user_sgpr_kernarg_segment_ptr 1
		.amdhsa_user_sgpr_dispatch_id 0
		.amdhsa_user_sgpr_flat_scratch_init 0
		.amdhsa_user_sgpr_private_segment_size 0
		.amdhsa_uses_dynamic_stack 0
		.amdhsa_system_sgpr_private_segment_wavefront_offset 0
		.amdhsa_system_sgpr_workgroup_id_x 1
		.amdhsa_system_sgpr_workgroup_id_y 0
		.amdhsa_system_sgpr_workgroup_id_z 0
		.amdhsa_system_sgpr_workgroup_info 0
		.amdhsa_system_vgpr_workitem_id 0
		.amdhsa_next_free_vgpr 17
		.amdhsa_next_free_sgpr 21
		.amdhsa_reserve_vcc 1
		.amdhsa_reserve_flat_scratch 0
		.amdhsa_float_round_mode_32 0
		.amdhsa_float_round_mode_16_64 0
		.amdhsa_float_denorm_mode_32 3
		.amdhsa_float_denorm_mode_16_64 3
		.amdhsa_dx10_clamp 1
		.amdhsa_ieee_mode 1
		.amdhsa_fp16_overflow 0
		.amdhsa_exception_fp_ieee_invalid_op 0
		.amdhsa_exception_fp_denorm_src 0
		.amdhsa_exception_fp_ieee_div_zero 0
		.amdhsa_exception_fp_ieee_overflow 0
		.amdhsa_exception_fp_ieee_underflow 0
		.amdhsa_exception_fp_ieee_inexact 0
		.amdhsa_exception_int_div_zero 0
	.end_amdhsa_kernel
	.section	.text._ZN2at6native12_GLOBAL__N_125multi_tensor_apply_kernelINS1_18TensorListMetadataILi1EEENS1_11ZeroFunctorIN3c107complexIfEELi1ELi1ELi0EEEJEEEvT_T0_DpT1_,"axG",@progbits,_ZN2at6native12_GLOBAL__N_125multi_tensor_apply_kernelINS1_18TensorListMetadataILi1EEENS1_11ZeroFunctorIN3c107complexIfEELi1ELi1ELi0EEEJEEEvT_T0_DpT1_,comdat
.Lfunc_end359:
	.size	_ZN2at6native12_GLOBAL__N_125multi_tensor_apply_kernelINS1_18TensorListMetadataILi1EEENS1_11ZeroFunctorIN3c107complexIfEELi1ELi1ELi0EEEJEEEvT_T0_DpT1_, .Lfunc_end359-_ZN2at6native12_GLOBAL__N_125multi_tensor_apply_kernelINS1_18TensorListMetadataILi1EEENS1_11ZeroFunctorIN3c107complexIfEELi1ELi1ELi0EEEJEEEvT_T0_DpT1_
                                        ; -- End function
	.set _ZN2at6native12_GLOBAL__N_125multi_tensor_apply_kernelINS1_18TensorListMetadataILi1EEENS1_11ZeroFunctorIN3c107complexIfEELi1ELi1ELi0EEEJEEEvT_T0_DpT1_.num_vgpr, 17
	.set _ZN2at6native12_GLOBAL__N_125multi_tensor_apply_kernelINS1_18TensorListMetadataILi1EEENS1_11ZeroFunctorIN3c107complexIfEELi1ELi1ELi0EEEJEEEvT_T0_DpT1_.num_agpr, 0
	.set _ZN2at6native12_GLOBAL__N_125multi_tensor_apply_kernelINS1_18TensorListMetadataILi1EEENS1_11ZeroFunctorIN3c107complexIfEELi1ELi1ELi0EEEJEEEvT_T0_DpT1_.numbered_sgpr, 21
	.set _ZN2at6native12_GLOBAL__N_125multi_tensor_apply_kernelINS1_18TensorListMetadataILi1EEENS1_11ZeroFunctorIN3c107complexIfEELi1ELi1ELi0EEEJEEEvT_T0_DpT1_.num_named_barrier, 0
	.set _ZN2at6native12_GLOBAL__N_125multi_tensor_apply_kernelINS1_18TensorListMetadataILi1EEENS1_11ZeroFunctorIN3c107complexIfEELi1ELi1ELi0EEEJEEEvT_T0_DpT1_.private_seg_size, 0
	.set _ZN2at6native12_GLOBAL__N_125multi_tensor_apply_kernelINS1_18TensorListMetadataILi1EEENS1_11ZeroFunctorIN3c107complexIfEELi1ELi1ELi0EEEJEEEvT_T0_DpT1_.uses_vcc, 1
	.set _ZN2at6native12_GLOBAL__N_125multi_tensor_apply_kernelINS1_18TensorListMetadataILi1EEENS1_11ZeroFunctorIN3c107complexIfEELi1ELi1ELi0EEEJEEEvT_T0_DpT1_.uses_flat_scratch, 0
	.set _ZN2at6native12_GLOBAL__N_125multi_tensor_apply_kernelINS1_18TensorListMetadataILi1EEENS1_11ZeroFunctorIN3c107complexIfEELi1ELi1ELi0EEEJEEEvT_T0_DpT1_.has_dyn_sized_stack, 0
	.set _ZN2at6native12_GLOBAL__N_125multi_tensor_apply_kernelINS1_18TensorListMetadataILi1EEENS1_11ZeroFunctorIN3c107complexIfEELi1ELi1ELi0EEEJEEEvT_T0_DpT1_.has_recursion, 0
	.set _ZN2at6native12_GLOBAL__N_125multi_tensor_apply_kernelINS1_18TensorListMetadataILi1EEENS1_11ZeroFunctorIN3c107complexIfEELi1ELi1ELi0EEEJEEEvT_T0_DpT1_.has_indirect_call, 0
	.section	.AMDGPU.csdata,"",@progbits
; Kernel info:
; codeLenInByte = 784
; TotalNumSgprs: 25
; NumVgprs: 17
; ScratchSize: 0
; MemoryBound: 0
; FloatMode: 240
; IeeeMode: 1
; LDSByteSize: 0 bytes/workgroup (compile time only)
; SGPRBlocks: 3
; VGPRBlocks: 4
; NumSGPRsForWavesPerEU: 25
; NumVGPRsForWavesPerEU: 17
; Occupancy: 10
; WaveLimiterHint : 0
; COMPUTE_PGM_RSRC2:SCRATCH_EN: 0
; COMPUTE_PGM_RSRC2:USER_SGPR: 6
; COMPUTE_PGM_RSRC2:TRAP_HANDLER: 0
; COMPUTE_PGM_RSRC2:TGID_X_EN: 1
; COMPUTE_PGM_RSRC2:TGID_Y_EN: 0
; COMPUTE_PGM_RSRC2:TGID_Z_EN: 0
; COMPUTE_PGM_RSRC2:TIDIG_COMP_CNT: 0
	.section	.text._ZN2at6native12_GLOBAL__N_125multi_tensor_apply_kernelINS1_18TensorListMetadataILi1EEENS1_11ZeroFunctorIN3c104HalfELi1ELi1ELi0EEEJEEEvT_T0_DpT1_,"axG",@progbits,_ZN2at6native12_GLOBAL__N_125multi_tensor_apply_kernelINS1_18TensorListMetadataILi1EEENS1_11ZeroFunctorIN3c104HalfELi1ELi1ELi0EEEJEEEvT_T0_DpT1_,comdat
	.globl	_ZN2at6native12_GLOBAL__N_125multi_tensor_apply_kernelINS1_18TensorListMetadataILi1EEENS1_11ZeroFunctorIN3c104HalfELi1ELi1ELi0EEEJEEEvT_T0_DpT1_ ; -- Begin function _ZN2at6native12_GLOBAL__N_125multi_tensor_apply_kernelINS1_18TensorListMetadataILi1EEENS1_11ZeroFunctorIN3c104HalfELi1ELi1ELi0EEEJEEEvT_T0_DpT1_
	.p2align	8
	.type	_ZN2at6native12_GLOBAL__N_125multi_tensor_apply_kernelINS1_18TensorListMetadataILi1EEENS1_11ZeroFunctorIN3c104HalfELi1ELi1ELi0EEEJEEEvT_T0_DpT1_,@function
_ZN2at6native12_GLOBAL__N_125multi_tensor_apply_kernelINS1_18TensorListMetadataILi1EEENS1_11ZeroFunctorIN3c104HalfELi1ELi1ELi0EEEJEEEvT_T0_DpT1_: ; @_ZN2at6native12_GLOBAL__N_125multi_tensor_apply_kernelINS1_18TensorListMetadataILi1EEENS1_11ZeroFunctorIN3c104HalfELi1ELi1ELi0EEEJEEEvT_T0_DpT1_
; %bb.0:
	v_mov_b32_e32 v1, s6
	global_load_ubyte v1, v1, s[4:5] offset:1760
	s_add_u32 s0, s4, s6
	s_mul_hi_u32 s1, s6, 3
	s_mul_i32 s6, s6, 3
	s_addc_u32 s2, s5, 0
	s_add_u32 s0, s0, s6
	s_addc_u32 s1, s2, s1
	s_load_dword s0, s[0:1], 0x820
	s_mov_b32 s13, 0
	s_waitcnt vmcnt(0)
	v_readfirstlane_b32 s1, v1
	s_lshl_b32 s1, s1, 3
	s_load_dwordx2 s[10:11], s[4:5], s1 offset:0x370
	s_load_dwordx2 s[2:3], s[4:5], s1 offset:0x0
	s_waitcnt lgkmcnt(0)
	s_ashr_i32 s1, s0, 31
	s_lshl_b64 s[6:7], s[0:1], 17
	s_lshl_b64 s[0:1], s[0:1], 16
	s_and_b32 s12, s2, 7
	s_sub_u32 s8, s10, s0
	s_subb_u32 s9, s11, s1
	s_and_b32 s0, s10, 3
	s_mov_b32 s1, s13
	s_or_b64 s[0:1], s[12:13], s[0:1]
	s_cmp_eq_u64 s[0:1], 0
	s_cbranch_scc1 .LBB360_13
; %bb.1:
	v_cmp_lt_i64_e64 s[0:1], s[8:9], 1
	s_and_b64 vcc, exec, s[0:1]
	s_cbranch_vccnz .LBB360_12
; %bb.2:
	v_mov_b32_e32 v1, 0x10000
	s_load_dword s10, s[4:5], 0xd3c
	v_mov_b32_e32 v2, 0
	v_cmp_lt_i64_e32 vcc, s[8:9], v[1:2]
	v_mov_b32_e32 v7, 0
	s_and_b64 s[0:1], vcc, exec
	v_cmp_lt_u64_e32 vcc, s[8:9], v[1:2]
	s_cselect_b32 s1, s9, 0
	s_cselect_b32 s0, s8, 0x10000
	s_waitcnt lgkmcnt(0)
	s_and_b32 s17, s10, 0xffff
	s_and_b64 s[10:11], vcc, exec
	s_cselect_b32 s11, s9, 0
	s_cselect_b32 s10, s8, 0x10000
	s_lshl_b32 s18, s17, 1
	s_lshl_b32 s14, s17, 2
	s_add_u32 s19, s2, s6
	v_lshlrev_b32_e32 v1, 1, v0
	s_addc_u32 s20, s3, s7
	v_mov_b32_e32 v2, s20
	v_add_co_u32_e32 v1, vcc, s19, v1
	s_mul_i32 s12, s17, 3
	v_addc_co_u32_e32 v2, vcc, 0, v2, vcc
	v_add_co_u32_e32 v8, vcc, s12, v0
	v_addc_co_u32_e64 v9, s[12:13], 0, 0, vcc
	v_add_co_u32_e32 v10, vcc, s18, v0
	v_addc_co_u32_e64 v11, s[12:13], 0, 0, vcc
	v_add_co_u32_e32 v12, vcc, s17, v0
	v_lshlrev_b32_e32 v3, 1, v12
	v_addc_co_u32_e64 v13, s[12:13], 0, 0, vcc
	v_mov_b32_e32 v4, s20
	v_add_co_u32_e32 v3, vcc, s19, v3
	v_mov_b32_e32 v6, s1
	s_lshl_b32 s15, s17, 3
	s_mul_i32 s16, s17, 6
	v_addc_co_u32_e32 v4, vcc, 0, v4, vcc
	s_mov_b64 s[12:13], 0
	v_mov_b32_e32 v5, s0
	s_branch .LBB360_4
.LBB360_3:                              ;   in Loop: Header=BB360_4 Depth=1
	s_or_b64 exec, exec, s[0:1]
	s_add_u32 s12, s12, s14
	v_add_co_u32_e32 v1, vcc, s15, v1
	s_addc_u32 s13, s13, 0
	v_addc_co_u32_e32 v2, vcc, 0, v2, vcc
	v_cmp_lt_i64_e32 vcc, s[12:13], v[5:6]
	v_add_co_u32_e64 v3, s[0:1], s15, v3
	v_addc_co_u32_e64 v4, s[0:1], 0, v4, s[0:1]
	s_cbranch_vccz .LBB360_12
.LBB360_4:                              ; =>This Inner Loop Header: Depth=1
	v_mov_b32_e32 v15, s13
	v_add_co_u32_e32 v14, vcc, s12, v0
	v_addc_co_u32_e32 v15, vcc, 0, v15, vcc
	v_cmp_gt_u64_e32 vcc, s[10:11], v[14:15]
	s_and_saveexec_b64 s[0:1], vcc
	s_cbranch_execz .LBB360_6
; %bb.5:                                ;   in Loop: Header=BB360_4 Depth=1
	global_store_short v[1:2], v7, off
.LBB360_6:                              ;   in Loop: Header=BB360_4 Depth=1
	s_or_b64 exec, exec, s[0:1]
	v_mov_b32_e32 v15, s13
	v_add_co_u32_e32 v14, vcc, s12, v12
	v_addc_co_u32_e32 v15, vcc, v13, v15, vcc
	v_cmp_gt_u64_e32 vcc, s[10:11], v[14:15]
	s_and_saveexec_b64 s[0:1], vcc
	s_cbranch_execz .LBB360_8
; %bb.7:                                ;   in Loop: Header=BB360_4 Depth=1
	global_store_short v[3:4], v7, off
.LBB360_8:                              ;   in Loop: Header=BB360_4 Depth=1
	s_or_b64 exec, exec, s[0:1]
	v_mov_b32_e32 v15, s13
	v_add_co_u32_e32 v14, vcc, s12, v10
	v_addc_co_u32_e32 v15, vcc, v11, v15, vcc
	v_cmp_gt_u64_e32 vcc, s[10:11], v[14:15]
	s_and_saveexec_b64 s[0:1], vcc
	s_cbranch_execz .LBB360_10
; %bb.9:                                ;   in Loop: Header=BB360_4 Depth=1
	v_add_co_u32_e32 v14, vcc, s14, v1
	v_addc_co_u32_e32 v15, vcc, 0, v2, vcc
	global_store_short v[14:15], v7, off
.LBB360_10:                             ;   in Loop: Header=BB360_4 Depth=1
	s_or_b64 exec, exec, s[0:1]
	v_mov_b32_e32 v15, s13
	v_add_co_u32_e32 v14, vcc, s12, v8
	v_addc_co_u32_e32 v15, vcc, v9, v15, vcc
	v_cmp_gt_u64_e32 vcc, s[10:11], v[14:15]
	s_and_saveexec_b64 s[0:1], vcc
	s_cbranch_execz .LBB360_3
; %bb.11:                               ;   in Loop: Header=BB360_4 Depth=1
	v_add_co_u32_e32 v14, vcc, s16, v1
	v_addc_co_u32_e32 v15, vcc, 0, v2, vcc
	global_store_short v[14:15], v7, off
	s_branch .LBB360_3
.LBB360_12:
	s_cbranch_execz .LBB360_14
	s_branch .LBB360_17
.LBB360_13:
.LBB360_14:
	v_mov_b32_e32 v1, 0x10000
	v_mov_b32_e32 v2, 0
	v_cmp_lt_i64_e32 vcc, s[8:9], v[1:2]
	v_mov_b32_e32 v2, 0
	s_and_b64 s[0:1], vcc, exec
	s_cselect_b32 s9, s9, 0
	s_cselect_b32 s8, s8, 0x10000
	v_lshlrev_b32_e32 v3, 2, v0
	v_mov_b32_e32 v4, v2
	v_cmp_gt_i64_e32 vcc, s[8:9], v[3:4]
	s_and_saveexec_b64 s[0:1], vcc
	s_cbranch_execz .LBB360_17
; %bb.15:
	s_load_dword s0, s[4:5], 0xd3c
	v_lshlrev_b32_e32 v3, 3, v0
	v_mov_b32_e32 v1, v2
	s_waitcnt lgkmcnt(0)
	s_and_b32 s4, s0, 0xffff
	s_add_u32 s0, s2, s6
	s_addc_u32 s1, s3, s7
	v_mov_b32_e32 v5, s1
	v_add_co_u32_e32 v4, vcc, s0, v3
	v_addc_co_u32_e32 v5, vcc, 0, v5, vcc
	s_lshl_b32 s5, s4, 3
	s_mov_b64 s[2:3], 0
	v_mov_b32_e32 v3, v2
.LBB360_16:                             ; =>This Inner Loop Header: Depth=1
	v_add_co_u32_e32 v0, vcc, s4, v0
	v_addc_co_u32_e32 v1, vcc, 0, v1, vcc
	v_lshlrev_b64 v[6:7], 2, v[0:1]
	global_store_dwordx2 v[4:5], v[2:3], off
	v_cmp_le_i64_e64 s[0:1], s[8:9], v[6:7]
	v_add_co_u32_e32 v4, vcc, s5, v4
	s_or_b64 s[2:3], s[0:1], s[2:3]
	v_addc_co_u32_e32 v5, vcc, 0, v5, vcc
	s_andn2_b64 exec, exec, s[2:3]
	s_cbranch_execnz .LBB360_16
.LBB360_17:
	s_endpgm
	.section	.rodata,"a",@progbits
	.p2align	6, 0x0
	.amdhsa_kernel _ZN2at6native12_GLOBAL__N_125multi_tensor_apply_kernelINS1_18TensorListMetadataILi1EEENS1_11ZeroFunctorIN3c104HalfELi1ELi1ELi0EEEJEEEvT_T0_DpT1_
		.amdhsa_group_segment_fixed_size 0
		.amdhsa_private_segment_fixed_size 0
		.amdhsa_kernarg_size 3632
		.amdhsa_user_sgpr_count 6
		.amdhsa_user_sgpr_private_segment_buffer 1
		.amdhsa_user_sgpr_dispatch_ptr 0
		.amdhsa_user_sgpr_queue_ptr 0
		.amdhsa_user_sgpr_kernarg_segment_ptr 1
		.amdhsa_user_sgpr_dispatch_id 0
		.amdhsa_user_sgpr_flat_scratch_init 0
		.amdhsa_user_sgpr_private_segment_size 0
		.amdhsa_uses_dynamic_stack 0
		.amdhsa_system_sgpr_private_segment_wavefront_offset 0
		.amdhsa_system_sgpr_workgroup_id_x 1
		.amdhsa_system_sgpr_workgroup_id_y 0
		.amdhsa_system_sgpr_workgroup_id_z 0
		.amdhsa_system_sgpr_workgroup_info 0
		.amdhsa_system_vgpr_workitem_id 0
		.amdhsa_next_free_vgpr 16
		.amdhsa_next_free_sgpr 21
		.amdhsa_reserve_vcc 1
		.amdhsa_reserve_flat_scratch 0
		.amdhsa_float_round_mode_32 0
		.amdhsa_float_round_mode_16_64 0
		.amdhsa_float_denorm_mode_32 3
		.amdhsa_float_denorm_mode_16_64 3
		.amdhsa_dx10_clamp 1
		.amdhsa_ieee_mode 1
		.amdhsa_fp16_overflow 0
		.amdhsa_exception_fp_ieee_invalid_op 0
		.amdhsa_exception_fp_denorm_src 0
		.amdhsa_exception_fp_ieee_div_zero 0
		.amdhsa_exception_fp_ieee_overflow 0
		.amdhsa_exception_fp_ieee_underflow 0
		.amdhsa_exception_fp_ieee_inexact 0
		.amdhsa_exception_int_div_zero 0
	.end_amdhsa_kernel
	.section	.text._ZN2at6native12_GLOBAL__N_125multi_tensor_apply_kernelINS1_18TensorListMetadataILi1EEENS1_11ZeroFunctorIN3c104HalfELi1ELi1ELi0EEEJEEEvT_T0_DpT1_,"axG",@progbits,_ZN2at6native12_GLOBAL__N_125multi_tensor_apply_kernelINS1_18TensorListMetadataILi1EEENS1_11ZeroFunctorIN3c104HalfELi1ELi1ELi0EEEJEEEvT_T0_DpT1_,comdat
.Lfunc_end360:
	.size	_ZN2at6native12_GLOBAL__N_125multi_tensor_apply_kernelINS1_18TensorListMetadataILi1EEENS1_11ZeroFunctorIN3c104HalfELi1ELi1ELi0EEEJEEEvT_T0_DpT1_, .Lfunc_end360-_ZN2at6native12_GLOBAL__N_125multi_tensor_apply_kernelINS1_18TensorListMetadataILi1EEENS1_11ZeroFunctorIN3c104HalfELi1ELi1ELi0EEEJEEEvT_T0_DpT1_
                                        ; -- End function
	.set _ZN2at6native12_GLOBAL__N_125multi_tensor_apply_kernelINS1_18TensorListMetadataILi1EEENS1_11ZeroFunctorIN3c104HalfELi1ELi1ELi0EEEJEEEvT_T0_DpT1_.num_vgpr, 16
	.set _ZN2at6native12_GLOBAL__N_125multi_tensor_apply_kernelINS1_18TensorListMetadataILi1EEENS1_11ZeroFunctorIN3c104HalfELi1ELi1ELi0EEEJEEEvT_T0_DpT1_.num_agpr, 0
	.set _ZN2at6native12_GLOBAL__N_125multi_tensor_apply_kernelINS1_18TensorListMetadataILi1EEENS1_11ZeroFunctorIN3c104HalfELi1ELi1ELi0EEEJEEEvT_T0_DpT1_.numbered_sgpr, 21
	.set _ZN2at6native12_GLOBAL__N_125multi_tensor_apply_kernelINS1_18TensorListMetadataILi1EEENS1_11ZeroFunctorIN3c104HalfELi1ELi1ELi0EEEJEEEvT_T0_DpT1_.num_named_barrier, 0
	.set _ZN2at6native12_GLOBAL__N_125multi_tensor_apply_kernelINS1_18TensorListMetadataILi1EEENS1_11ZeroFunctorIN3c104HalfELi1ELi1ELi0EEEJEEEvT_T0_DpT1_.private_seg_size, 0
	.set _ZN2at6native12_GLOBAL__N_125multi_tensor_apply_kernelINS1_18TensorListMetadataILi1EEENS1_11ZeroFunctorIN3c104HalfELi1ELi1ELi0EEEJEEEvT_T0_DpT1_.uses_vcc, 1
	.set _ZN2at6native12_GLOBAL__N_125multi_tensor_apply_kernelINS1_18TensorListMetadataILi1EEENS1_11ZeroFunctorIN3c104HalfELi1ELi1ELi0EEEJEEEvT_T0_DpT1_.uses_flat_scratch, 0
	.set _ZN2at6native12_GLOBAL__N_125multi_tensor_apply_kernelINS1_18TensorListMetadataILi1EEENS1_11ZeroFunctorIN3c104HalfELi1ELi1ELi0EEEJEEEvT_T0_DpT1_.has_dyn_sized_stack, 0
	.set _ZN2at6native12_GLOBAL__N_125multi_tensor_apply_kernelINS1_18TensorListMetadataILi1EEENS1_11ZeroFunctorIN3c104HalfELi1ELi1ELi0EEEJEEEvT_T0_DpT1_.has_recursion, 0
	.set _ZN2at6native12_GLOBAL__N_125multi_tensor_apply_kernelINS1_18TensorListMetadataILi1EEENS1_11ZeroFunctorIN3c104HalfELi1ELi1ELi0EEEJEEEvT_T0_DpT1_.has_indirect_call, 0
	.section	.AMDGPU.csdata,"",@progbits
; Kernel info:
; codeLenInByte = 712
; TotalNumSgprs: 25
; NumVgprs: 16
; ScratchSize: 0
; MemoryBound: 0
; FloatMode: 240
; IeeeMode: 1
; LDSByteSize: 0 bytes/workgroup (compile time only)
; SGPRBlocks: 3
; VGPRBlocks: 3
; NumSGPRsForWavesPerEU: 25
; NumVGPRsForWavesPerEU: 16
; Occupancy: 10
; WaveLimiterHint : 0
; COMPUTE_PGM_RSRC2:SCRATCH_EN: 0
; COMPUTE_PGM_RSRC2:USER_SGPR: 6
; COMPUTE_PGM_RSRC2:TRAP_HANDLER: 0
; COMPUTE_PGM_RSRC2:TGID_X_EN: 1
; COMPUTE_PGM_RSRC2:TGID_Y_EN: 0
; COMPUTE_PGM_RSRC2:TGID_Z_EN: 0
; COMPUTE_PGM_RSRC2:TIDIG_COMP_CNT: 0
	.section	.text._ZN2at6native12_GLOBAL__N_125multi_tensor_apply_kernelINS1_18TensorListMetadataILi1EEENS1_11ZeroFunctorIN3c108BFloat16ELi1ELi1ELi0EEEJEEEvT_T0_DpT1_,"axG",@progbits,_ZN2at6native12_GLOBAL__N_125multi_tensor_apply_kernelINS1_18TensorListMetadataILi1EEENS1_11ZeroFunctorIN3c108BFloat16ELi1ELi1ELi0EEEJEEEvT_T0_DpT1_,comdat
	.globl	_ZN2at6native12_GLOBAL__N_125multi_tensor_apply_kernelINS1_18TensorListMetadataILi1EEENS1_11ZeroFunctorIN3c108BFloat16ELi1ELi1ELi0EEEJEEEvT_T0_DpT1_ ; -- Begin function _ZN2at6native12_GLOBAL__N_125multi_tensor_apply_kernelINS1_18TensorListMetadataILi1EEENS1_11ZeroFunctorIN3c108BFloat16ELi1ELi1ELi0EEEJEEEvT_T0_DpT1_
	.p2align	8
	.type	_ZN2at6native12_GLOBAL__N_125multi_tensor_apply_kernelINS1_18TensorListMetadataILi1EEENS1_11ZeroFunctorIN3c108BFloat16ELi1ELi1ELi0EEEJEEEvT_T0_DpT1_,@function
_ZN2at6native12_GLOBAL__N_125multi_tensor_apply_kernelINS1_18TensorListMetadataILi1EEENS1_11ZeroFunctorIN3c108BFloat16ELi1ELi1ELi0EEEJEEEvT_T0_DpT1_: ; @_ZN2at6native12_GLOBAL__N_125multi_tensor_apply_kernelINS1_18TensorListMetadataILi1EEENS1_11ZeroFunctorIN3c108BFloat16ELi1ELi1ELi0EEEJEEEvT_T0_DpT1_
; %bb.0:
	v_mov_b32_e32 v1, s6
	global_load_ubyte v1, v1, s[4:5] offset:1760
	s_add_u32 s0, s4, s6
	s_mul_hi_u32 s1, s6, 3
	s_mul_i32 s6, s6, 3
	s_addc_u32 s2, s5, 0
	s_add_u32 s0, s0, s6
	s_addc_u32 s1, s2, s1
	s_load_dword s0, s[0:1], 0x820
	s_mov_b32 s13, 0
	s_waitcnt vmcnt(0)
	v_readfirstlane_b32 s1, v1
	s_lshl_b32 s1, s1, 3
	s_load_dwordx2 s[10:11], s[4:5], s1 offset:0x370
	s_load_dwordx2 s[2:3], s[4:5], s1 offset:0x0
	s_waitcnt lgkmcnt(0)
	s_ashr_i32 s1, s0, 31
	s_lshl_b64 s[6:7], s[0:1], 17
	s_lshl_b64 s[0:1], s[0:1], 16
	s_and_b32 s12, s2, 7
	s_sub_u32 s8, s10, s0
	s_subb_u32 s9, s11, s1
	s_and_b32 s0, s10, 3
	s_mov_b32 s1, s13
	s_or_b64 s[0:1], s[12:13], s[0:1]
	s_cmp_eq_u64 s[0:1], 0
	s_cbranch_scc1 .LBB361_13
; %bb.1:
	v_cmp_lt_i64_e64 s[0:1], s[8:9], 1
	s_and_b64 vcc, exec, s[0:1]
	s_cbranch_vccnz .LBB361_12
; %bb.2:
	v_mov_b32_e32 v1, 0x10000
	s_load_dword s10, s[4:5], 0xd3c
	v_mov_b32_e32 v2, 0
	v_cmp_lt_i64_e32 vcc, s[8:9], v[1:2]
	v_mov_b32_e32 v7, 0
	s_and_b64 s[0:1], vcc, exec
	v_cmp_lt_u64_e32 vcc, s[8:9], v[1:2]
	s_cselect_b32 s1, s9, 0
	s_cselect_b32 s0, s8, 0x10000
	s_waitcnt lgkmcnt(0)
	s_and_b32 s17, s10, 0xffff
	s_and_b64 s[10:11], vcc, exec
	s_cselect_b32 s11, s9, 0
	s_cselect_b32 s10, s8, 0x10000
	s_lshl_b32 s18, s17, 1
	s_lshl_b32 s14, s17, 2
	s_add_u32 s19, s2, s6
	v_lshlrev_b32_e32 v1, 1, v0
	s_addc_u32 s20, s3, s7
	v_mov_b32_e32 v2, s20
	v_add_co_u32_e32 v1, vcc, s19, v1
	s_mul_i32 s12, s17, 3
	v_addc_co_u32_e32 v2, vcc, 0, v2, vcc
	v_add_co_u32_e32 v8, vcc, s12, v0
	v_addc_co_u32_e64 v9, s[12:13], 0, 0, vcc
	v_add_co_u32_e32 v10, vcc, s18, v0
	v_addc_co_u32_e64 v11, s[12:13], 0, 0, vcc
	v_add_co_u32_e32 v12, vcc, s17, v0
	v_lshlrev_b32_e32 v3, 1, v12
	v_addc_co_u32_e64 v13, s[12:13], 0, 0, vcc
	v_mov_b32_e32 v4, s20
	v_add_co_u32_e32 v3, vcc, s19, v3
	v_mov_b32_e32 v6, s1
	s_lshl_b32 s15, s17, 3
	s_mul_i32 s16, s17, 6
	v_addc_co_u32_e32 v4, vcc, 0, v4, vcc
	s_mov_b64 s[12:13], 0
	v_mov_b32_e32 v5, s0
	s_branch .LBB361_4
.LBB361_3:                              ;   in Loop: Header=BB361_4 Depth=1
	s_or_b64 exec, exec, s[0:1]
	s_add_u32 s12, s12, s14
	v_add_co_u32_e32 v1, vcc, s15, v1
	s_addc_u32 s13, s13, 0
	v_addc_co_u32_e32 v2, vcc, 0, v2, vcc
	v_cmp_lt_i64_e32 vcc, s[12:13], v[5:6]
	v_add_co_u32_e64 v3, s[0:1], s15, v3
	v_addc_co_u32_e64 v4, s[0:1], 0, v4, s[0:1]
	s_cbranch_vccz .LBB361_12
.LBB361_4:                              ; =>This Inner Loop Header: Depth=1
	v_mov_b32_e32 v15, s13
	v_add_co_u32_e32 v14, vcc, s12, v0
	v_addc_co_u32_e32 v15, vcc, 0, v15, vcc
	v_cmp_gt_u64_e32 vcc, s[10:11], v[14:15]
	s_and_saveexec_b64 s[0:1], vcc
	s_cbranch_execz .LBB361_6
; %bb.5:                                ;   in Loop: Header=BB361_4 Depth=1
	global_store_short v[1:2], v7, off
.LBB361_6:                              ;   in Loop: Header=BB361_4 Depth=1
	s_or_b64 exec, exec, s[0:1]
	v_mov_b32_e32 v15, s13
	v_add_co_u32_e32 v14, vcc, s12, v12
	v_addc_co_u32_e32 v15, vcc, v13, v15, vcc
	v_cmp_gt_u64_e32 vcc, s[10:11], v[14:15]
	s_and_saveexec_b64 s[0:1], vcc
	s_cbranch_execz .LBB361_8
; %bb.7:                                ;   in Loop: Header=BB361_4 Depth=1
	global_store_short v[3:4], v7, off
.LBB361_8:                              ;   in Loop: Header=BB361_4 Depth=1
	s_or_b64 exec, exec, s[0:1]
	v_mov_b32_e32 v15, s13
	v_add_co_u32_e32 v14, vcc, s12, v10
	v_addc_co_u32_e32 v15, vcc, v11, v15, vcc
	v_cmp_gt_u64_e32 vcc, s[10:11], v[14:15]
	s_and_saveexec_b64 s[0:1], vcc
	s_cbranch_execz .LBB361_10
; %bb.9:                                ;   in Loop: Header=BB361_4 Depth=1
	v_add_co_u32_e32 v14, vcc, s14, v1
	v_addc_co_u32_e32 v15, vcc, 0, v2, vcc
	global_store_short v[14:15], v7, off
.LBB361_10:                             ;   in Loop: Header=BB361_4 Depth=1
	s_or_b64 exec, exec, s[0:1]
	v_mov_b32_e32 v15, s13
	v_add_co_u32_e32 v14, vcc, s12, v8
	v_addc_co_u32_e32 v15, vcc, v9, v15, vcc
	v_cmp_gt_u64_e32 vcc, s[10:11], v[14:15]
	s_and_saveexec_b64 s[0:1], vcc
	s_cbranch_execz .LBB361_3
; %bb.11:                               ;   in Loop: Header=BB361_4 Depth=1
	v_add_co_u32_e32 v14, vcc, s16, v1
	v_addc_co_u32_e32 v15, vcc, 0, v2, vcc
	global_store_short v[14:15], v7, off
	s_branch .LBB361_3
.LBB361_12:
	s_cbranch_execz .LBB361_14
	s_branch .LBB361_17
.LBB361_13:
.LBB361_14:
	v_mov_b32_e32 v1, 0x10000
	v_mov_b32_e32 v2, 0
	v_cmp_lt_i64_e32 vcc, s[8:9], v[1:2]
	v_mov_b32_e32 v2, 0
	s_and_b64 s[0:1], vcc, exec
	s_cselect_b32 s9, s9, 0
	s_cselect_b32 s8, s8, 0x10000
	v_lshlrev_b32_e32 v3, 2, v0
	v_mov_b32_e32 v4, v2
	v_cmp_gt_i64_e32 vcc, s[8:9], v[3:4]
	s_and_saveexec_b64 s[0:1], vcc
	s_cbranch_execz .LBB361_17
; %bb.15:
	s_load_dword s0, s[4:5], 0xd3c
	v_lshlrev_b32_e32 v3, 3, v0
	v_mov_b32_e32 v1, v2
	s_waitcnt lgkmcnt(0)
	s_and_b32 s4, s0, 0xffff
	s_add_u32 s0, s2, s6
	s_addc_u32 s1, s3, s7
	v_mov_b32_e32 v5, s1
	v_add_co_u32_e32 v4, vcc, s0, v3
	v_addc_co_u32_e32 v5, vcc, 0, v5, vcc
	s_lshl_b32 s5, s4, 3
	s_mov_b64 s[2:3], 0
	v_mov_b32_e32 v3, v2
.LBB361_16:                             ; =>This Inner Loop Header: Depth=1
	v_add_co_u32_e32 v0, vcc, s4, v0
	v_addc_co_u32_e32 v1, vcc, 0, v1, vcc
	v_lshlrev_b64 v[6:7], 2, v[0:1]
	global_store_dwordx2 v[4:5], v[2:3], off
	v_cmp_le_i64_e64 s[0:1], s[8:9], v[6:7]
	v_add_co_u32_e32 v4, vcc, s5, v4
	s_or_b64 s[2:3], s[0:1], s[2:3]
	v_addc_co_u32_e32 v5, vcc, 0, v5, vcc
	s_andn2_b64 exec, exec, s[2:3]
	s_cbranch_execnz .LBB361_16
.LBB361_17:
	s_endpgm
	.section	.rodata,"a",@progbits
	.p2align	6, 0x0
	.amdhsa_kernel _ZN2at6native12_GLOBAL__N_125multi_tensor_apply_kernelINS1_18TensorListMetadataILi1EEENS1_11ZeroFunctorIN3c108BFloat16ELi1ELi1ELi0EEEJEEEvT_T0_DpT1_
		.amdhsa_group_segment_fixed_size 0
		.amdhsa_private_segment_fixed_size 0
		.amdhsa_kernarg_size 3632
		.amdhsa_user_sgpr_count 6
		.amdhsa_user_sgpr_private_segment_buffer 1
		.amdhsa_user_sgpr_dispatch_ptr 0
		.amdhsa_user_sgpr_queue_ptr 0
		.amdhsa_user_sgpr_kernarg_segment_ptr 1
		.amdhsa_user_sgpr_dispatch_id 0
		.amdhsa_user_sgpr_flat_scratch_init 0
		.amdhsa_user_sgpr_private_segment_size 0
		.amdhsa_uses_dynamic_stack 0
		.amdhsa_system_sgpr_private_segment_wavefront_offset 0
		.amdhsa_system_sgpr_workgroup_id_x 1
		.amdhsa_system_sgpr_workgroup_id_y 0
		.amdhsa_system_sgpr_workgroup_id_z 0
		.amdhsa_system_sgpr_workgroup_info 0
		.amdhsa_system_vgpr_workitem_id 0
		.amdhsa_next_free_vgpr 16
		.amdhsa_next_free_sgpr 21
		.amdhsa_reserve_vcc 1
		.amdhsa_reserve_flat_scratch 0
		.amdhsa_float_round_mode_32 0
		.amdhsa_float_round_mode_16_64 0
		.amdhsa_float_denorm_mode_32 3
		.amdhsa_float_denorm_mode_16_64 3
		.amdhsa_dx10_clamp 1
		.amdhsa_ieee_mode 1
		.amdhsa_fp16_overflow 0
		.amdhsa_exception_fp_ieee_invalid_op 0
		.amdhsa_exception_fp_denorm_src 0
		.amdhsa_exception_fp_ieee_div_zero 0
		.amdhsa_exception_fp_ieee_overflow 0
		.amdhsa_exception_fp_ieee_underflow 0
		.amdhsa_exception_fp_ieee_inexact 0
		.amdhsa_exception_int_div_zero 0
	.end_amdhsa_kernel
	.section	.text._ZN2at6native12_GLOBAL__N_125multi_tensor_apply_kernelINS1_18TensorListMetadataILi1EEENS1_11ZeroFunctorIN3c108BFloat16ELi1ELi1ELi0EEEJEEEvT_T0_DpT1_,"axG",@progbits,_ZN2at6native12_GLOBAL__N_125multi_tensor_apply_kernelINS1_18TensorListMetadataILi1EEENS1_11ZeroFunctorIN3c108BFloat16ELi1ELi1ELi0EEEJEEEvT_T0_DpT1_,comdat
.Lfunc_end361:
	.size	_ZN2at6native12_GLOBAL__N_125multi_tensor_apply_kernelINS1_18TensorListMetadataILi1EEENS1_11ZeroFunctorIN3c108BFloat16ELi1ELi1ELi0EEEJEEEvT_T0_DpT1_, .Lfunc_end361-_ZN2at6native12_GLOBAL__N_125multi_tensor_apply_kernelINS1_18TensorListMetadataILi1EEENS1_11ZeroFunctorIN3c108BFloat16ELi1ELi1ELi0EEEJEEEvT_T0_DpT1_
                                        ; -- End function
	.set _ZN2at6native12_GLOBAL__N_125multi_tensor_apply_kernelINS1_18TensorListMetadataILi1EEENS1_11ZeroFunctorIN3c108BFloat16ELi1ELi1ELi0EEEJEEEvT_T0_DpT1_.num_vgpr, 16
	.set _ZN2at6native12_GLOBAL__N_125multi_tensor_apply_kernelINS1_18TensorListMetadataILi1EEENS1_11ZeroFunctorIN3c108BFloat16ELi1ELi1ELi0EEEJEEEvT_T0_DpT1_.num_agpr, 0
	.set _ZN2at6native12_GLOBAL__N_125multi_tensor_apply_kernelINS1_18TensorListMetadataILi1EEENS1_11ZeroFunctorIN3c108BFloat16ELi1ELi1ELi0EEEJEEEvT_T0_DpT1_.numbered_sgpr, 21
	.set _ZN2at6native12_GLOBAL__N_125multi_tensor_apply_kernelINS1_18TensorListMetadataILi1EEENS1_11ZeroFunctorIN3c108BFloat16ELi1ELi1ELi0EEEJEEEvT_T0_DpT1_.num_named_barrier, 0
	.set _ZN2at6native12_GLOBAL__N_125multi_tensor_apply_kernelINS1_18TensorListMetadataILi1EEENS1_11ZeroFunctorIN3c108BFloat16ELi1ELi1ELi0EEEJEEEvT_T0_DpT1_.private_seg_size, 0
	.set _ZN2at6native12_GLOBAL__N_125multi_tensor_apply_kernelINS1_18TensorListMetadataILi1EEENS1_11ZeroFunctorIN3c108BFloat16ELi1ELi1ELi0EEEJEEEvT_T0_DpT1_.uses_vcc, 1
	.set _ZN2at6native12_GLOBAL__N_125multi_tensor_apply_kernelINS1_18TensorListMetadataILi1EEENS1_11ZeroFunctorIN3c108BFloat16ELi1ELi1ELi0EEEJEEEvT_T0_DpT1_.uses_flat_scratch, 0
	.set _ZN2at6native12_GLOBAL__N_125multi_tensor_apply_kernelINS1_18TensorListMetadataILi1EEENS1_11ZeroFunctorIN3c108BFloat16ELi1ELi1ELi0EEEJEEEvT_T0_DpT1_.has_dyn_sized_stack, 0
	.set _ZN2at6native12_GLOBAL__N_125multi_tensor_apply_kernelINS1_18TensorListMetadataILi1EEENS1_11ZeroFunctorIN3c108BFloat16ELi1ELi1ELi0EEEJEEEvT_T0_DpT1_.has_recursion, 0
	.set _ZN2at6native12_GLOBAL__N_125multi_tensor_apply_kernelINS1_18TensorListMetadataILi1EEENS1_11ZeroFunctorIN3c108BFloat16ELi1ELi1ELi0EEEJEEEvT_T0_DpT1_.has_indirect_call, 0
	.section	.AMDGPU.csdata,"",@progbits
; Kernel info:
; codeLenInByte = 712
; TotalNumSgprs: 25
; NumVgprs: 16
; ScratchSize: 0
; MemoryBound: 0
; FloatMode: 240
; IeeeMode: 1
; LDSByteSize: 0 bytes/workgroup (compile time only)
; SGPRBlocks: 3
; VGPRBlocks: 3
; NumSGPRsForWavesPerEU: 25
; NumVGPRsForWavesPerEU: 16
; Occupancy: 10
; WaveLimiterHint : 0
; COMPUTE_PGM_RSRC2:SCRATCH_EN: 0
; COMPUTE_PGM_RSRC2:USER_SGPR: 6
; COMPUTE_PGM_RSRC2:TRAP_HANDLER: 0
; COMPUTE_PGM_RSRC2:TGID_X_EN: 1
; COMPUTE_PGM_RSRC2:TGID_Y_EN: 0
; COMPUTE_PGM_RSRC2:TGID_Z_EN: 0
; COMPUTE_PGM_RSRC2:TIDIG_COMP_CNT: 0
	.section	.text._ZN2at6native12_GLOBAL__N_125multi_tensor_apply_kernelINS1_18TensorListMetadataILi1EEENS1_11ZeroFunctorIbLi1ELi1ELi0EEEJEEEvT_T0_DpT1_,"axG",@progbits,_ZN2at6native12_GLOBAL__N_125multi_tensor_apply_kernelINS1_18TensorListMetadataILi1EEENS1_11ZeroFunctorIbLi1ELi1ELi0EEEJEEEvT_T0_DpT1_,comdat
	.globl	_ZN2at6native12_GLOBAL__N_125multi_tensor_apply_kernelINS1_18TensorListMetadataILi1EEENS1_11ZeroFunctorIbLi1ELi1ELi0EEEJEEEvT_T0_DpT1_ ; -- Begin function _ZN2at6native12_GLOBAL__N_125multi_tensor_apply_kernelINS1_18TensorListMetadataILi1EEENS1_11ZeroFunctorIbLi1ELi1ELi0EEEJEEEvT_T0_DpT1_
	.p2align	8
	.type	_ZN2at6native12_GLOBAL__N_125multi_tensor_apply_kernelINS1_18TensorListMetadataILi1EEENS1_11ZeroFunctorIbLi1ELi1ELi0EEEJEEEvT_T0_DpT1_,@function
_ZN2at6native12_GLOBAL__N_125multi_tensor_apply_kernelINS1_18TensorListMetadataILi1EEENS1_11ZeroFunctorIbLi1ELi1ELi0EEEJEEEvT_T0_DpT1_: ; @_ZN2at6native12_GLOBAL__N_125multi_tensor_apply_kernelINS1_18TensorListMetadataILi1EEENS1_11ZeroFunctorIbLi1ELi1ELi0EEEJEEEvT_T0_DpT1_
; %bb.0:
	v_mov_b32_e32 v1, s6
	global_load_ubyte v1, v1, s[4:5] offset:1760
	s_add_u32 s0, s4, s6
	s_mul_hi_u32 s1, s6, 3
	s_mul_i32 s6, s6, 3
	s_addc_u32 s2, s5, 0
	s_add_u32 s0, s0, s6
	s_addc_u32 s1, s2, s1
	s_load_dword s2, s[0:1], 0x820
	s_waitcnt vmcnt(0)
	v_readfirstlane_b32 s0, v1
	s_lshl_b32 s3, s0, 3
	s_load_dwordx2 s[8:9], s[4:5], s3 offset:0x370
	s_load_dwordx2 s[0:1], s[4:5], s3 offset:0x0
	s_waitcnt lgkmcnt(0)
	s_ashr_i32 s3, s2, 31
	s_lshl_b64 s[2:3], s[2:3], 16
	s_sub_u32 s6, s8, s2
	s_subb_u32 s7, s9, s3
	s_or_b32 s8, s8, s0
	s_and_b32 s8, s8, 3
	s_cmp_eq_u32 s8, 0
	s_cbranch_scc1 .LBB362_13
; %bb.1:
	v_cmp_lt_i64_e64 s[8:9], s[6:7], 1
	s_and_b64 vcc, exec, s[8:9]
	s_cbranch_vccnz .LBB362_12
; %bb.2:
	v_mov_b32_e32 v1, 0x10000
	s_load_dword s10, s[4:5], 0xd3c
	v_mov_b32_e32 v2, 0
	v_cmp_lt_i64_e32 vcc, s[6:7], v[1:2]
	v_mov_b32_e32 v5, s1
	s_and_b64 s[8:9], vcc, exec
	v_cmp_lt_u64_e32 vcc, s[6:7], v[1:2]
	s_cselect_b32 s13, s7, 0
	s_cselect_b32 s12, s6, 0x10000
	s_waitcnt lgkmcnt(0)
	s_and_b32 s15, s10, 0xffff
	s_and_b64 s[8:9], vcc, exec
	s_cselect_b32 s9, s7, 0
	s_cselect_b32 s8, s6, 0x10000
	s_lshl_b32 s16, s15, 1
	s_mul_i32 s10, s15, 3
	s_lshl_b32 s14, s15, 2
	v_mov_b32_e32 v1, s3
	v_add_co_u32_e32 v2, vcc, s2, v0
	s_add_u32 s11, s2, s10
	v_addc_co_u32_e32 v1, vcc, 0, v1, vcc
	s_addc_u32 s17, s3, 0
	v_add_co_u32_e32 v4, vcc, s0, v2
	s_add_u32 s11, s0, s11
	v_addc_co_u32_e32 v5, vcc, v5, v1, vcc
	s_addc_u32 s17, s1, s17
	v_mov_b32_e32 v7, s17
	v_add_co_u32_e32 v6, vcc, s11, v0
	v_addc_co_u32_e32 v7, vcc, 0, v7, vcc
	v_add_co_u32_e32 v8, vcc, s10, v0
	v_addc_co_u32_e64 v9, s[10:11], 0, 0, vcc
	s_add_u32 s10, s2, s16
	s_addc_u32 s11, s3, 0
	s_add_u32 s10, s0, s10
	s_addc_u32 s11, s1, s11
	v_mov_b32_e32 v11, s11
	v_add_co_u32_e32 v10, vcc, s10, v0
	v_addc_co_u32_e32 v11, vcc, 0, v11, vcc
	v_add_co_u32_e32 v12, vcc, s16, v0
	v_addc_co_u32_e64 v13, s[10:11], 0, 0, vcc
	s_add_u32 s10, s0, s15
	s_addc_u32 s11, s1, 0
	v_mov_b32_e32 v15, s11
	v_add_co_u32_e32 v14, vcc, s10, v2
	v_addc_co_u32_e32 v15, vcc, v15, v1, vcc
	v_add_co_u32_e32 v16, vcc, s15, v0
	v_addc_co_u32_e64 v17, s[10:11], 0, 0, vcc
	v_mov_b32_e32 v1, s12
	v_mov_b32_e32 v3, 0
	s_mov_b64 s[10:11], 0
	v_mov_b32_e32 v2, s13
	s_branch .LBB362_4
.LBB362_3:                              ;   in Loop: Header=BB362_4 Depth=1
	s_or_b64 exec, exec, s[12:13]
	s_add_u32 s10, s10, s14
	s_addc_u32 s11, s11, 0
	v_cmp_lt_i64_e32 vcc, s[10:11], v[1:2]
	s_cbranch_vccz .LBB362_12
.LBB362_4:                              ; =>This Inner Loop Header: Depth=1
	v_mov_b32_e32 v19, s11
	v_add_co_u32_e32 v18, vcc, s10, v0
	v_addc_co_u32_e32 v19, vcc, 0, v19, vcc
	v_cmp_gt_u64_e32 vcc, s[8:9], v[18:19]
	s_and_saveexec_b64 s[12:13], vcc
	s_cbranch_execz .LBB362_6
; %bb.5:                                ;   in Loop: Header=BB362_4 Depth=1
	v_mov_b32_e32 v19, s11
	v_add_co_u32_e32 v18, vcc, s10, v4
	v_addc_co_u32_e32 v19, vcc, v5, v19, vcc
	global_store_byte v[18:19], v3, off
.LBB362_6:                              ;   in Loop: Header=BB362_4 Depth=1
	s_or_b64 exec, exec, s[12:13]
	v_mov_b32_e32 v19, s11
	v_add_co_u32_e32 v18, vcc, s10, v16
	v_addc_co_u32_e32 v19, vcc, v17, v19, vcc
	v_cmp_gt_u64_e32 vcc, s[8:9], v[18:19]
	s_and_saveexec_b64 s[12:13], vcc
	s_cbranch_execz .LBB362_8
; %bb.7:                                ;   in Loop: Header=BB362_4 Depth=1
	v_mov_b32_e32 v19, s11
	v_add_co_u32_e32 v18, vcc, s10, v14
	v_addc_co_u32_e32 v19, vcc, v15, v19, vcc
	global_store_byte v[18:19], v3, off
.LBB362_8:                              ;   in Loop: Header=BB362_4 Depth=1
	s_or_b64 exec, exec, s[12:13]
	v_mov_b32_e32 v19, s11
	v_add_co_u32_e32 v18, vcc, s10, v12
	v_addc_co_u32_e32 v19, vcc, v13, v19, vcc
	v_cmp_gt_u64_e32 vcc, s[8:9], v[18:19]
	s_and_saveexec_b64 s[12:13], vcc
	s_cbranch_execz .LBB362_10
; %bb.9:                                ;   in Loop: Header=BB362_4 Depth=1
	v_mov_b32_e32 v19, s11
	v_add_co_u32_e32 v18, vcc, s10, v10
	v_addc_co_u32_e32 v19, vcc, v11, v19, vcc
	global_store_byte v[18:19], v3, off
.LBB362_10:                             ;   in Loop: Header=BB362_4 Depth=1
	s_or_b64 exec, exec, s[12:13]
	v_mov_b32_e32 v19, s11
	v_add_co_u32_e32 v18, vcc, s10, v8
	v_addc_co_u32_e32 v19, vcc, v9, v19, vcc
	v_cmp_gt_u64_e32 vcc, s[8:9], v[18:19]
	s_and_saveexec_b64 s[12:13], vcc
	s_cbranch_execz .LBB362_3
; %bb.11:                               ;   in Loop: Header=BB362_4 Depth=1
	v_mov_b32_e32 v19, s11
	v_add_co_u32_e32 v18, vcc, s10, v6
	v_addc_co_u32_e32 v19, vcc, v7, v19, vcc
	global_store_byte v[18:19], v3, off
	s_branch .LBB362_3
.LBB362_12:
	s_cbranch_execz .LBB362_14
	s_branch .LBB362_17
.LBB362_13:
.LBB362_14:
	v_mov_b32_e32 v1, 0x10000
	v_mov_b32_e32 v2, 0
	v_cmp_lt_i64_e32 vcc, s[6:7], v[1:2]
	v_mov_b32_e32 v3, 0
	s_and_b64 s[8:9], vcc, exec
	s_cselect_b32 s7, s7, 0
	s_cselect_b32 s6, s6, 0x10000
	v_lshlrev_b32_e32 v2, 2, v0
	v_cmp_gt_i64_e32 vcc, s[6:7], v[2:3]
	s_and_saveexec_b64 s[8:9], vcc
	s_cbranch_execz .LBB362_17
; %bb.15:
	s_load_dword s4, s[4:5], 0xd3c
	v_mov_b32_e32 v1, v3
	s_waitcnt lgkmcnt(0)
	s_and_b32 s4, s4, 0xffff
	s_add_u32 s0, s0, s2
	s_addc_u32 s1, s1, s3
	v_mov_b32_e32 v5, s1
	v_add_co_u32_e32 v4, vcc, s0, v2
	v_addc_co_u32_e32 v5, vcc, 0, v5, vcc
	s_lshl_b32 s5, s4, 2
	s_mov_b64 s[2:3], 0
.LBB362_16:                             ; =>This Inner Loop Header: Depth=1
	v_add_co_u32_e32 v0, vcc, s4, v0
	v_addc_co_u32_e32 v1, vcc, 0, v1, vcc
	v_lshlrev_b64 v[6:7], 2, v[0:1]
	global_store_dword v[4:5], v3, off
	v_cmp_le_i64_e64 s[0:1], s[6:7], v[6:7]
	v_add_co_u32_e32 v4, vcc, s5, v4
	s_or_b64 s[2:3], s[0:1], s[2:3]
	v_addc_co_u32_e32 v5, vcc, 0, v5, vcc
	s_andn2_b64 exec, exec, s[2:3]
	s_cbranch_execnz .LBB362_16
.LBB362_17:
	s_endpgm
	.section	.rodata,"a",@progbits
	.p2align	6, 0x0
	.amdhsa_kernel _ZN2at6native12_GLOBAL__N_125multi_tensor_apply_kernelINS1_18TensorListMetadataILi1EEENS1_11ZeroFunctorIbLi1ELi1ELi0EEEJEEEvT_T0_DpT1_
		.amdhsa_group_segment_fixed_size 0
		.amdhsa_private_segment_fixed_size 0
		.amdhsa_kernarg_size 3632
		.amdhsa_user_sgpr_count 6
		.amdhsa_user_sgpr_private_segment_buffer 1
		.amdhsa_user_sgpr_dispatch_ptr 0
		.amdhsa_user_sgpr_queue_ptr 0
		.amdhsa_user_sgpr_kernarg_segment_ptr 1
		.amdhsa_user_sgpr_dispatch_id 0
		.amdhsa_user_sgpr_flat_scratch_init 0
		.amdhsa_user_sgpr_private_segment_size 0
		.amdhsa_uses_dynamic_stack 0
		.amdhsa_system_sgpr_private_segment_wavefront_offset 0
		.amdhsa_system_sgpr_workgroup_id_x 1
		.amdhsa_system_sgpr_workgroup_id_y 0
		.amdhsa_system_sgpr_workgroup_id_z 0
		.amdhsa_system_sgpr_workgroup_info 0
		.amdhsa_system_vgpr_workitem_id 0
		.amdhsa_next_free_vgpr 20
		.amdhsa_next_free_sgpr 18
		.amdhsa_reserve_vcc 1
		.amdhsa_reserve_flat_scratch 0
		.amdhsa_float_round_mode_32 0
		.amdhsa_float_round_mode_16_64 0
		.amdhsa_float_denorm_mode_32 3
		.amdhsa_float_denorm_mode_16_64 3
		.amdhsa_dx10_clamp 1
		.amdhsa_ieee_mode 1
		.amdhsa_fp16_overflow 0
		.amdhsa_exception_fp_ieee_invalid_op 0
		.amdhsa_exception_fp_denorm_src 0
		.amdhsa_exception_fp_ieee_div_zero 0
		.amdhsa_exception_fp_ieee_overflow 0
		.amdhsa_exception_fp_ieee_underflow 0
		.amdhsa_exception_fp_ieee_inexact 0
		.amdhsa_exception_int_div_zero 0
	.end_amdhsa_kernel
	.section	.text._ZN2at6native12_GLOBAL__N_125multi_tensor_apply_kernelINS1_18TensorListMetadataILi1EEENS1_11ZeroFunctorIbLi1ELi1ELi0EEEJEEEvT_T0_DpT1_,"axG",@progbits,_ZN2at6native12_GLOBAL__N_125multi_tensor_apply_kernelINS1_18TensorListMetadataILi1EEENS1_11ZeroFunctorIbLi1ELi1ELi0EEEJEEEvT_T0_DpT1_,comdat
.Lfunc_end362:
	.size	_ZN2at6native12_GLOBAL__N_125multi_tensor_apply_kernelINS1_18TensorListMetadataILi1EEENS1_11ZeroFunctorIbLi1ELi1ELi0EEEJEEEvT_T0_DpT1_, .Lfunc_end362-_ZN2at6native12_GLOBAL__N_125multi_tensor_apply_kernelINS1_18TensorListMetadataILi1EEENS1_11ZeroFunctorIbLi1ELi1ELi0EEEJEEEvT_T0_DpT1_
                                        ; -- End function
	.set _ZN2at6native12_GLOBAL__N_125multi_tensor_apply_kernelINS1_18TensorListMetadataILi1EEENS1_11ZeroFunctorIbLi1ELi1ELi0EEEJEEEvT_T0_DpT1_.num_vgpr, 20
	.set _ZN2at6native12_GLOBAL__N_125multi_tensor_apply_kernelINS1_18TensorListMetadataILi1EEENS1_11ZeroFunctorIbLi1ELi1ELi0EEEJEEEvT_T0_DpT1_.num_agpr, 0
	.set _ZN2at6native12_GLOBAL__N_125multi_tensor_apply_kernelINS1_18TensorListMetadataILi1EEENS1_11ZeroFunctorIbLi1ELi1ELi0EEEJEEEvT_T0_DpT1_.numbered_sgpr, 18
	.set _ZN2at6native12_GLOBAL__N_125multi_tensor_apply_kernelINS1_18TensorListMetadataILi1EEENS1_11ZeroFunctorIbLi1ELi1ELi0EEEJEEEvT_T0_DpT1_.num_named_barrier, 0
	.set _ZN2at6native12_GLOBAL__N_125multi_tensor_apply_kernelINS1_18TensorListMetadataILi1EEENS1_11ZeroFunctorIbLi1ELi1ELi0EEEJEEEvT_T0_DpT1_.private_seg_size, 0
	.set _ZN2at6native12_GLOBAL__N_125multi_tensor_apply_kernelINS1_18TensorListMetadataILi1EEENS1_11ZeroFunctorIbLi1ELi1ELi0EEEJEEEvT_T0_DpT1_.uses_vcc, 1
	.set _ZN2at6native12_GLOBAL__N_125multi_tensor_apply_kernelINS1_18TensorListMetadataILi1EEENS1_11ZeroFunctorIbLi1ELi1ELi0EEEJEEEvT_T0_DpT1_.uses_flat_scratch, 0
	.set _ZN2at6native12_GLOBAL__N_125multi_tensor_apply_kernelINS1_18TensorListMetadataILi1EEENS1_11ZeroFunctorIbLi1ELi1ELi0EEEJEEEvT_T0_DpT1_.has_dyn_sized_stack, 0
	.set _ZN2at6native12_GLOBAL__N_125multi_tensor_apply_kernelINS1_18TensorListMetadataILi1EEENS1_11ZeroFunctorIbLi1ELi1ELi0EEEJEEEvT_T0_DpT1_.has_recursion, 0
	.set _ZN2at6native12_GLOBAL__N_125multi_tensor_apply_kernelINS1_18TensorListMetadataILi1EEENS1_11ZeroFunctorIbLi1ELi1ELi0EEEJEEEvT_T0_DpT1_.has_indirect_call, 0
	.section	.AMDGPU.csdata,"",@progbits
; Kernel info:
; codeLenInByte = 744
; TotalNumSgprs: 22
; NumVgprs: 20
; ScratchSize: 0
; MemoryBound: 0
; FloatMode: 240
; IeeeMode: 1
; LDSByteSize: 0 bytes/workgroup (compile time only)
; SGPRBlocks: 2
; VGPRBlocks: 4
; NumSGPRsForWavesPerEU: 22
; NumVGPRsForWavesPerEU: 20
; Occupancy: 10
; WaveLimiterHint : 0
; COMPUTE_PGM_RSRC2:SCRATCH_EN: 0
; COMPUTE_PGM_RSRC2:USER_SGPR: 6
; COMPUTE_PGM_RSRC2:TRAP_HANDLER: 0
; COMPUTE_PGM_RSRC2:TGID_X_EN: 1
; COMPUTE_PGM_RSRC2:TGID_Y_EN: 0
; COMPUTE_PGM_RSRC2:TGID_Z_EN: 0
; COMPUTE_PGM_RSRC2:TIDIG_COMP_CNT: 0
	.section	.AMDGPU.gpr_maximums,"",@progbits
	.set amdgpu.max_num_vgpr, 54
	.set amdgpu.max_num_agpr, 0
	.set amdgpu.max_num_sgpr, 48
	.section	.AMDGPU.csdata,"",@progbits
	.type	__hip_cuid_fd87f4d86ba9f4ef,@object ; @__hip_cuid_fd87f4d86ba9f4ef
	.section	.bss,"aw",@nobits
	.globl	__hip_cuid_fd87f4d86ba9f4ef
__hip_cuid_fd87f4d86ba9f4ef:
	.byte	0                               ; 0x0
	.size	__hip_cuid_fd87f4d86ba9f4ef, 1

	.ident	"AMD clang version 22.0.0git (https://github.com/RadeonOpenCompute/llvm-project roc-7.2.4 26084 f58b06dce1f9c15707c5f808fd002e18c2accf7e)"
	.section	".note.GNU-stack","",@progbits
	.addrsig
	.addrsig_sym __hip_cuid_fd87f4d86ba9f4ef
	.amdgpu_metadata
---
amdhsa.kernels:
  - .args:
      - .offset:         0
        .size:           3144
        .value_kind:     by_value
      - .offset:         3144
        .size:           1
        .value_kind:     by_value
      - .offset:         3145
        .size:           1
        .value_kind:     by_value
      - .offset:         3152
        .size:           4
        .value_kind:     hidden_block_count_x
      - .offset:         3156
        .size:           4
        .value_kind:     hidden_block_count_y
      - .offset:         3160
        .size:           4
        .value_kind:     hidden_block_count_z
      - .offset:         3164
        .size:           2
        .value_kind:     hidden_group_size_x
      - .offset:         3166
        .size:           2
        .value_kind:     hidden_group_size_y
      - .offset:         3168
        .size:           2
        .value_kind:     hidden_group_size_z
      - .offset:         3170
        .size:           2
        .value_kind:     hidden_remainder_x
      - .offset:         3172
        .size:           2
        .value_kind:     hidden_remainder_y
      - .offset:         3174
        .size:           2
        .value_kind:     hidden_remainder_z
      - .offset:         3192
        .size:           8
        .value_kind:     hidden_global_offset_x
      - .offset:         3200
        .size:           8
        .value_kind:     hidden_global_offset_y
      - .offset:         3208
        .size:           8
        .value_kind:     hidden_global_offset_z
      - .offset:         3216
        .size:           2
        .value_kind:     hidden_grid_dims
    .group_segment_fixed_size: 0
    .kernarg_segment_align: 8
    .kernarg_segment_size: 3408
    .language:       OpenCL C
    .language_version:
      - 2
      - 0
    .max_flat_workgroup_size: 512
    .name:           _ZN2at6native12_GLOBAL__N_125multi_tensor_apply_kernelINS1_18TensorListMetadataILi2EEENS1_14UnaryOpFunctorIdLi2ELi1ELi1EEEJNS0_4ErfcIdEEEEEvT_T0_DpT1_
    .private_segment_fixed_size: 0
    .sgpr_count:     99
    .sgpr_spill_count: 0
    .symbol:         _ZN2at6native12_GLOBAL__N_125multi_tensor_apply_kernelINS1_18TensorListMetadataILi2EEENS1_14UnaryOpFunctorIdLi2ELi1ELi1EEEJNS0_4ErfcIdEEEEEvT_T0_DpT1_.kd
    .uniform_work_group_size: 1
    .uses_dynamic_stack: false
    .vgpr_count:     56
    .vgpr_spill_count: 0
    .wavefront_size: 64
  - .args:
      - .offset:         0
        .size:           3144
        .value_kind:     by_value
      - .offset:         3144
        .size:           1
        .value_kind:     by_value
      - .offset:         3145
        .size:           1
        .value_kind:     by_value
      - .offset:         3152
        .size:           4
        .value_kind:     hidden_block_count_x
      - .offset:         3156
        .size:           4
        .value_kind:     hidden_block_count_y
      - .offset:         3160
        .size:           4
        .value_kind:     hidden_block_count_z
      - .offset:         3164
        .size:           2
        .value_kind:     hidden_group_size_x
      - .offset:         3166
        .size:           2
        .value_kind:     hidden_group_size_y
      - .offset:         3168
        .size:           2
        .value_kind:     hidden_group_size_z
      - .offset:         3170
        .size:           2
        .value_kind:     hidden_remainder_x
      - .offset:         3172
        .size:           2
        .value_kind:     hidden_remainder_y
      - .offset:         3174
        .size:           2
        .value_kind:     hidden_remainder_z
      - .offset:         3192
        .size:           8
        .value_kind:     hidden_global_offset_x
      - .offset:         3200
        .size:           8
        .value_kind:     hidden_global_offset_y
      - .offset:         3208
        .size:           8
        .value_kind:     hidden_global_offset_z
      - .offset:         3216
        .size:           2
        .value_kind:     hidden_grid_dims
    .group_segment_fixed_size: 0
    .kernarg_segment_align: 8
    .kernarg_segment_size: 3408
    .language:       OpenCL C
    .language_version:
      - 2
      - 0
    .max_flat_workgroup_size: 512
    .name:           _ZN2at6native12_GLOBAL__N_125multi_tensor_apply_kernelINS1_18TensorListMetadataILi2EEENS1_14UnaryOpFunctorIfLi2ELi1ELi1EEEJNS0_4ErfcIfEEEEEvT_T0_DpT1_
    .private_segment_fixed_size: 0
    .sgpr_count:     32
    .sgpr_spill_count: 0
    .symbol:         _ZN2at6native12_GLOBAL__N_125multi_tensor_apply_kernelINS1_18TensorListMetadataILi2EEENS1_14UnaryOpFunctorIfLi2ELi1ELi1EEEJNS0_4ErfcIfEEEEEvT_T0_DpT1_.kd
    .uniform_work_group_size: 1
    .uses_dynamic_stack: false
    .vgpr_count:     45
    .vgpr_spill_count: 0
    .wavefront_size: 64
  - .args:
      - .offset:         0
        .size:           3144
        .value_kind:     by_value
      - .offset:         3144
        .size:           1
        .value_kind:     by_value
      - .offset:         3145
        .size:           1
        .value_kind:     by_value
      - .offset:         3152
        .size:           4
        .value_kind:     hidden_block_count_x
      - .offset:         3156
        .size:           4
        .value_kind:     hidden_block_count_y
      - .offset:         3160
        .size:           4
        .value_kind:     hidden_block_count_z
      - .offset:         3164
        .size:           2
        .value_kind:     hidden_group_size_x
      - .offset:         3166
        .size:           2
        .value_kind:     hidden_group_size_y
      - .offset:         3168
        .size:           2
        .value_kind:     hidden_group_size_z
      - .offset:         3170
        .size:           2
        .value_kind:     hidden_remainder_x
      - .offset:         3172
        .size:           2
        .value_kind:     hidden_remainder_y
      - .offset:         3174
        .size:           2
        .value_kind:     hidden_remainder_z
      - .offset:         3192
        .size:           8
        .value_kind:     hidden_global_offset_x
      - .offset:         3200
        .size:           8
        .value_kind:     hidden_global_offset_y
      - .offset:         3208
        .size:           8
        .value_kind:     hidden_global_offset_z
      - .offset:         3216
        .size:           2
        .value_kind:     hidden_grid_dims
    .group_segment_fixed_size: 0
    .kernarg_segment_align: 8
    .kernarg_segment_size: 3408
    .language:       OpenCL C
    .language_version:
      - 2
      - 0
    .max_flat_workgroup_size: 512
    .name:           _ZN2at6native12_GLOBAL__N_125multi_tensor_apply_kernelINS1_18TensorListMetadataILi2EEENS1_14UnaryOpFunctorIN3c104HalfELi2ELi1ELi1EEEJNS0_4ErfcIfEEEEEvT_T0_DpT1_
    .private_segment_fixed_size: 0
    .sgpr_count:     33
    .sgpr_spill_count: 0
    .symbol:         _ZN2at6native12_GLOBAL__N_125multi_tensor_apply_kernelINS1_18TensorListMetadataILi2EEENS1_14UnaryOpFunctorIN3c104HalfELi2ELi1ELi1EEEJNS0_4ErfcIfEEEEEvT_T0_DpT1_.kd
    .uniform_work_group_size: 1
    .uses_dynamic_stack: false
    .vgpr_count:     45
    .vgpr_spill_count: 0
    .wavefront_size: 64
  - .args:
      - .offset:         0
        .size:           3144
        .value_kind:     by_value
      - .offset:         3144
        .size:           1
        .value_kind:     by_value
      - .offset:         3145
        .size:           1
        .value_kind:     by_value
      - .offset:         3152
        .size:           4
        .value_kind:     hidden_block_count_x
      - .offset:         3156
        .size:           4
        .value_kind:     hidden_block_count_y
      - .offset:         3160
        .size:           4
        .value_kind:     hidden_block_count_z
      - .offset:         3164
        .size:           2
        .value_kind:     hidden_group_size_x
      - .offset:         3166
        .size:           2
        .value_kind:     hidden_group_size_y
      - .offset:         3168
        .size:           2
        .value_kind:     hidden_group_size_z
      - .offset:         3170
        .size:           2
        .value_kind:     hidden_remainder_x
      - .offset:         3172
        .size:           2
        .value_kind:     hidden_remainder_y
      - .offset:         3174
        .size:           2
        .value_kind:     hidden_remainder_z
      - .offset:         3192
        .size:           8
        .value_kind:     hidden_global_offset_x
      - .offset:         3200
        .size:           8
        .value_kind:     hidden_global_offset_y
      - .offset:         3208
        .size:           8
        .value_kind:     hidden_global_offset_z
      - .offset:         3216
        .size:           2
        .value_kind:     hidden_grid_dims
    .group_segment_fixed_size: 0
    .kernarg_segment_align: 8
    .kernarg_segment_size: 3408
    .language:       OpenCL C
    .language_version:
      - 2
      - 0
    .max_flat_workgroup_size: 512
    .name:           _ZN2at6native12_GLOBAL__N_125multi_tensor_apply_kernelINS1_18TensorListMetadataILi2EEENS1_14UnaryOpFunctorIN3c108BFloat16ELi2ELi1ELi1EEEJNS0_4ErfcIfEEEEEvT_T0_DpT1_
    .private_segment_fixed_size: 0
    .sgpr_count:     31
    .sgpr_spill_count: 0
    .symbol:         _ZN2at6native12_GLOBAL__N_125multi_tensor_apply_kernelINS1_18TensorListMetadataILi2EEENS1_14UnaryOpFunctorIN3c108BFloat16ELi2ELi1ELi1EEEJNS0_4ErfcIfEEEEEvT_T0_DpT1_.kd
    .uniform_work_group_size: 1
    .uses_dynamic_stack: false
    .vgpr_count:     45
    .vgpr_spill_count: 0
    .wavefront_size: 64
  - .args:
      - .offset:         0
        .size:           3368
        .value_kind:     by_value
      - .offset:         3368
        .size:           1
        .value_kind:     by_value
      - .offset:         3369
        .size:           1
        .value_kind:     by_value
      - .offset:         3376
        .size:           4
        .value_kind:     hidden_block_count_x
      - .offset:         3380
        .size:           4
        .value_kind:     hidden_block_count_y
      - .offset:         3384
        .size:           4
        .value_kind:     hidden_block_count_z
      - .offset:         3388
        .size:           2
        .value_kind:     hidden_group_size_x
      - .offset:         3390
        .size:           2
        .value_kind:     hidden_group_size_y
      - .offset:         3392
        .size:           2
        .value_kind:     hidden_group_size_z
      - .offset:         3394
        .size:           2
        .value_kind:     hidden_remainder_x
      - .offset:         3396
        .size:           2
        .value_kind:     hidden_remainder_y
      - .offset:         3398
        .size:           2
        .value_kind:     hidden_remainder_z
      - .offset:         3416
        .size:           8
        .value_kind:     hidden_global_offset_x
      - .offset:         3424
        .size:           8
        .value_kind:     hidden_global_offset_y
      - .offset:         3432
        .size:           8
        .value_kind:     hidden_global_offset_z
      - .offset:         3440
        .size:           2
        .value_kind:     hidden_grid_dims
    .group_segment_fixed_size: 0
    .kernarg_segment_align: 8
    .kernarg_segment_size: 3632
    .language:       OpenCL C
    .language_version:
      - 2
      - 0
    .max_flat_workgroup_size: 512
    .name:           _ZN2at6native12_GLOBAL__N_125multi_tensor_apply_kernelINS1_18TensorListMetadataILi1EEENS1_14UnaryOpFunctorIdLi1ELi1ELi0EEEJNS0_4ErfcIdEEEEEvT_T0_DpT1_
    .private_segment_fixed_size: 0
    .sgpr_count:     100
    .sgpr_spill_count: 8
    .symbol:         _ZN2at6native12_GLOBAL__N_125multi_tensor_apply_kernelINS1_18TensorListMetadataILi1EEENS1_14UnaryOpFunctorIdLi1ELi1ELi0EEEJNS0_4ErfcIdEEEEEvT_T0_DpT1_.kd
    .uniform_work_group_size: 1
    .uses_dynamic_stack: false
    .vgpr_count:     39
    .vgpr_spill_count: 0
    .wavefront_size: 64
  - .args:
      - .offset:         0
        .size:           3368
        .value_kind:     by_value
      - .offset:         3368
        .size:           1
        .value_kind:     by_value
      - .offset:         3369
        .size:           1
        .value_kind:     by_value
      - .offset:         3376
        .size:           4
        .value_kind:     hidden_block_count_x
      - .offset:         3380
        .size:           4
        .value_kind:     hidden_block_count_y
      - .offset:         3384
        .size:           4
        .value_kind:     hidden_block_count_z
      - .offset:         3388
        .size:           2
        .value_kind:     hidden_group_size_x
      - .offset:         3390
        .size:           2
        .value_kind:     hidden_group_size_y
      - .offset:         3392
        .size:           2
        .value_kind:     hidden_group_size_z
      - .offset:         3394
        .size:           2
        .value_kind:     hidden_remainder_x
      - .offset:         3396
        .size:           2
        .value_kind:     hidden_remainder_y
      - .offset:         3398
        .size:           2
        .value_kind:     hidden_remainder_z
      - .offset:         3416
        .size:           8
        .value_kind:     hidden_global_offset_x
      - .offset:         3424
        .size:           8
        .value_kind:     hidden_global_offset_y
      - .offset:         3432
        .size:           8
        .value_kind:     hidden_global_offset_z
      - .offset:         3440
        .size:           2
        .value_kind:     hidden_grid_dims
    .group_segment_fixed_size: 0
    .kernarg_segment_align: 8
    .kernarg_segment_size: 3632
    .language:       OpenCL C
    .language_version:
      - 2
      - 0
    .max_flat_workgroup_size: 512
    .name:           _ZN2at6native12_GLOBAL__N_125multi_tensor_apply_kernelINS1_18TensorListMetadataILi1EEENS1_14UnaryOpFunctorIfLi1ELi1ELi0EEEJNS0_4ErfcIfEEEEEvT_T0_DpT1_
    .private_segment_fixed_size: 0
    .sgpr_count:     36
    .sgpr_spill_count: 0
    .symbol:         _ZN2at6native12_GLOBAL__N_125multi_tensor_apply_kernelINS1_18TensorListMetadataILi1EEENS1_14UnaryOpFunctorIfLi1ELi1ELi0EEEJNS0_4ErfcIfEEEEEvT_T0_DpT1_.kd
    .uniform_work_group_size: 1
    .uses_dynamic_stack: false
    .vgpr_count:     29
    .vgpr_spill_count: 0
    .wavefront_size: 64
  - .args:
      - .offset:         0
        .size:           3368
        .value_kind:     by_value
      - .offset:         3368
        .size:           1
        .value_kind:     by_value
      - .offset:         3369
        .size:           1
        .value_kind:     by_value
      - .offset:         3376
        .size:           4
        .value_kind:     hidden_block_count_x
      - .offset:         3380
        .size:           4
        .value_kind:     hidden_block_count_y
      - .offset:         3384
        .size:           4
        .value_kind:     hidden_block_count_z
      - .offset:         3388
        .size:           2
        .value_kind:     hidden_group_size_x
      - .offset:         3390
        .size:           2
        .value_kind:     hidden_group_size_y
      - .offset:         3392
        .size:           2
        .value_kind:     hidden_group_size_z
      - .offset:         3394
        .size:           2
        .value_kind:     hidden_remainder_x
      - .offset:         3396
        .size:           2
        .value_kind:     hidden_remainder_y
      - .offset:         3398
        .size:           2
        .value_kind:     hidden_remainder_z
      - .offset:         3416
        .size:           8
        .value_kind:     hidden_global_offset_x
      - .offset:         3424
        .size:           8
        .value_kind:     hidden_global_offset_y
      - .offset:         3432
        .size:           8
        .value_kind:     hidden_global_offset_z
      - .offset:         3440
        .size:           2
        .value_kind:     hidden_grid_dims
    .group_segment_fixed_size: 0
    .kernarg_segment_align: 8
    .kernarg_segment_size: 3632
    .language:       OpenCL C
    .language_version:
      - 2
      - 0
    .max_flat_workgroup_size: 512
    .name:           _ZN2at6native12_GLOBAL__N_125multi_tensor_apply_kernelINS1_18TensorListMetadataILi1EEENS1_14UnaryOpFunctorIN3c104HalfELi1ELi1ELi0EEEJNS0_4ErfcIfEEEEEvT_T0_DpT1_
    .private_segment_fixed_size: 0
    .sgpr_count:     36
    .sgpr_spill_count: 0
    .symbol:         _ZN2at6native12_GLOBAL__N_125multi_tensor_apply_kernelINS1_18TensorListMetadataILi1EEENS1_14UnaryOpFunctorIN3c104HalfELi1ELi1ELi0EEEJNS0_4ErfcIfEEEEEvT_T0_DpT1_.kd
    .uniform_work_group_size: 1
    .uses_dynamic_stack: false
    .vgpr_count:     31
    .vgpr_spill_count: 0
    .wavefront_size: 64
  - .args:
      - .offset:         0
        .size:           3368
        .value_kind:     by_value
      - .offset:         3368
        .size:           1
        .value_kind:     by_value
      - .offset:         3369
        .size:           1
        .value_kind:     by_value
      - .offset:         3376
        .size:           4
        .value_kind:     hidden_block_count_x
      - .offset:         3380
        .size:           4
        .value_kind:     hidden_block_count_y
      - .offset:         3384
        .size:           4
        .value_kind:     hidden_block_count_z
      - .offset:         3388
        .size:           2
        .value_kind:     hidden_group_size_x
      - .offset:         3390
        .size:           2
        .value_kind:     hidden_group_size_y
      - .offset:         3392
        .size:           2
        .value_kind:     hidden_group_size_z
      - .offset:         3394
        .size:           2
        .value_kind:     hidden_remainder_x
      - .offset:         3396
        .size:           2
        .value_kind:     hidden_remainder_y
      - .offset:         3398
        .size:           2
        .value_kind:     hidden_remainder_z
      - .offset:         3416
        .size:           8
        .value_kind:     hidden_global_offset_x
      - .offset:         3424
        .size:           8
        .value_kind:     hidden_global_offset_y
      - .offset:         3432
        .size:           8
        .value_kind:     hidden_global_offset_z
      - .offset:         3440
        .size:           2
        .value_kind:     hidden_grid_dims
    .group_segment_fixed_size: 0
    .kernarg_segment_align: 8
    .kernarg_segment_size: 3632
    .language:       OpenCL C
    .language_version:
      - 2
      - 0
    .max_flat_workgroup_size: 512
    .name:           _ZN2at6native12_GLOBAL__N_125multi_tensor_apply_kernelINS1_18TensorListMetadataILi1EEENS1_14UnaryOpFunctorIN3c108BFloat16ELi1ELi1ELi0EEEJNS0_4ErfcIfEEEEEvT_T0_DpT1_
    .private_segment_fixed_size: 0
    .sgpr_count:     36
    .sgpr_spill_count: 0
    .symbol:         _ZN2at6native12_GLOBAL__N_125multi_tensor_apply_kernelINS1_18TensorListMetadataILi1EEENS1_14UnaryOpFunctorIN3c108BFloat16ELi1ELi1ELi0EEEJNS0_4ErfcIfEEEEEvT_T0_DpT1_.kd
    .uniform_work_group_size: 1
    .uses_dynamic_stack: false
    .vgpr_count:     30
    .vgpr_spill_count: 0
    .wavefront_size: 64
  - .args:
      - .offset:         0
        .size:           3144
        .value_kind:     by_value
      - .offset:         3144
        .size:           1
        .value_kind:     by_value
      - .offset:         3145
        .size:           1
        .value_kind:     by_value
      - .offset:         3152
        .size:           4
        .value_kind:     hidden_block_count_x
      - .offset:         3156
        .size:           4
        .value_kind:     hidden_block_count_y
      - .offset:         3160
        .size:           4
        .value_kind:     hidden_block_count_z
      - .offset:         3164
        .size:           2
        .value_kind:     hidden_group_size_x
      - .offset:         3166
        .size:           2
        .value_kind:     hidden_group_size_y
      - .offset:         3168
        .size:           2
        .value_kind:     hidden_group_size_z
      - .offset:         3170
        .size:           2
        .value_kind:     hidden_remainder_x
      - .offset:         3172
        .size:           2
        .value_kind:     hidden_remainder_y
      - .offset:         3174
        .size:           2
        .value_kind:     hidden_remainder_z
      - .offset:         3192
        .size:           8
        .value_kind:     hidden_global_offset_x
      - .offset:         3200
        .size:           8
        .value_kind:     hidden_global_offset_y
      - .offset:         3208
        .size:           8
        .value_kind:     hidden_global_offset_z
      - .offset:         3216
        .size:           2
        .value_kind:     hidden_grid_dims
    .group_segment_fixed_size: 0
    .kernarg_segment_align: 8
    .kernarg_segment_size: 3408
    .language:       OpenCL C
    .language_version:
      - 2
      - 0
    .max_flat_workgroup_size: 512
    .name:           _ZN2at6native12_GLOBAL__N_125multi_tensor_apply_kernelINS1_18TensorListMetadataILi2EEENS1_14UnaryOpFunctorIdLi2ELi1ELi1EEEJNS0_6LgammaIdEEEEEvT_T0_DpT1_
    .private_segment_fixed_size: 0
    .sgpr_count:     100
    .sgpr_spill_count: 2
    .symbol:         _ZN2at6native12_GLOBAL__N_125multi_tensor_apply_kernelINS1_18TensorListMetadataILi2EEENS1_14UnaryOpFunctorIdLi2ELi1ELi1EEEJNS0_6LgammaIdEEEEEvT_T0_DpT1_.kd
    .uniform_work_group_size: 1
    .uses_dynamic_stack: false
    .vgpr_count:     97
    .vgpr_spill_count: 0
    .wavefront_size: 64
  - .args:
      - .offset:         0
        .size:           3144
        .value_kind:     by_value
      - .offset:         3144
        .size:           1
        .value_kind:     by_value
      - .offset:         3145
        .size:           1
        .value_kind:     by_value
      - .offset:         3152
        .size:           4
        .value_kind:     hidden_block_count_x
      - .offset:         3156
        .size:           4
        .value_kind:     hidden_block_count_y
      - .offset:         3160
        .size:           4
        .value_kind:     hidden_block_count_z
      - .offset:         3164
        .size:           2
        .value_kind:     hidden_group_size_x
      - .offset:         3166
        .size:           2
        .value_kind:     hidden_group_size_y
      - .offset:         3168
        .size:           2
        .value_kind:     hidden_group_size_z
      - .offset:         3170
        .size:           2
        .value_kind:     hidden_remainder_x
      - .offset:         3172
        .size:           2
        .value_kind:     hidden_remainder_y
      - .offset:         3174
        .size:           2
        .value_kind:     hidden_remainder_z
      - .offset:         3192
        .size:           8
        .value_kind:     hidden_global_offset_x
      - .offset:         3200
        .size:           8
        .value_kind:     hidden_global_offset_y
      - .offset:         3208
        .size:           8
        .value_kind:     hidden_global_offset_z
      - .offset:         3216
        .size:           2
        .value_kind:     hidden_grid_dims
    .group_segment_fixed_size: 0
    .kernarg_segment_align: 8
    .kernarg_segment_size: 3408
    .language:       OpenCL C
    .language_version:
      - 2
      - 0
    .max_flat_workgroup_size: 512
    .name:           _ZN2at6native12_GLOBAL__N_125multi_tensor_apply_kernelINS1_18TensorListMetadataILi2EEENS1_14UnaryOpFunctorIfLi2ELi1ELi1EEEJNS0_6LgammaIfEEEEEvT_T0_DpT1_
    .private_segment_fixed_size: 0
    .sgpr_count:     58
    .sgpr_spill_count: 0
    .symbol:         _ZN2at6native12_GLOBAL__N_125multi_tensor_apply_kernelINS1_18TensorListMetadataILi2EEENS1_14UnaryOpFunctorIfLi2ELi1ELi1EEEJNS0_6LgammaIfEEEEEvT_T0_DpT1_.kd
    .uniform_work_group_size: 1
    .uses_dynamic_stack: false
    .vgpr_count:     86
    .vgpr_spill_count: 0
    .wavefront_size: 64
  - .args:
      - .offset:         0
        .size:           3144
        .value_kind:     by_value
      - .offset:         3144
        .size:           1
        .value_kind:     by_value
      - .offset:         3145
        .size:           1
        .value_kind:     by_value
      - .offset:         3152
        .size:           4
        .value_kind:     hidden_block_count_x
      - .offset:         3156
        .size:           4
        .value_kind:     hidden_block_count_y
      - .offset:         3160
        .size:           4
        .value_kind:     hidden_block_count_z
      - .offset:         3164
        .size:           2
        .value_kind:     hidden_group_size_x
      - .offset:         3166
        .size:           2
        .value_kind:     hidden_group_size_y
      - .offset:         3168
        .size:           2
        .value_kind:     hidden_group_size_z
      - .offset:         3170
        .size:           2
        .value_kind:     hidden_remainder_x
      - .offset:         3172
        .size:           2
        .value_kind:     hidden_remainder_y
      - .offset:         3174
        .size:           2
        .value_kind:     hidden_remainder_z
      - .offset:         3192
        .size:           8
        .value_kind:     hidden_global_offset_x
      - .offset:         3200
        .size:           8
        .value_kind:     hidden_global_offset_y
      - .offset:         3208
        .size:           8
        .value_kind:     hidden_global_offset_z
      - .offset:         3216
        .size:           2
        .value_kind:     hidden_grid_dims
    .group_segment_fixed_size: 0
    .kernarg_segment_align: 8
    .kernarg_segment_size: 3408
    .language:       OpenCL C
    .language_version:
      - 2
      - 0
    .max_flat_workgroup_size: 512
    .name:           _ZN2at6native12_GLOBAL__N_125multi_tensor_apply_kernelINS1_18TensorListMetadataILi2EEENS1_14UnaryOpFunctorIN3c104HalfELi2ELi1ELi1EEEJNS0_6LgammaIfEEEEEvT_T0_DpT1_
    .private_segment_fixed_size: 0
    .sgpr_count:     59
    .sgpr_spill_count: 0
    .symbol:         _ZN2at6native12_GLOBAL__N_125multi_tensor_apply_kernelINS1_18TensorListMetadataILi2EEENS1_14UnaryOpFunctorIN3c104HalfELi2ELi1ELi1EEEJNS0_6LgammaIfEEEEEvT_T0_DpT1_.kd
    .uniform_work_group_size: 1
    .uses_dynamic_stack: false
    .vgpr_count:     91
    .vgpr_spill_count: 0
    .wavefront_size: 64
  - .args:
      - .offset:         0
        .size:           3144
        .value_kind:     by_value
      - .offset:         3144
        .size:           1
        .value_kind:     by_value
      - .offset:         3145
        .size:           1
        .value_kind:     by_value
      - .offset:         3152
        .size:           4
        .value_kind:     hidden_block_count_x
      - .offset:         3156
        .size:           4
        .value_kind:     hidden_block_count_y
      - .offset:         3160
        .size:           4
        .value_kind:     hidden_block_count_z
      - .offset:         3164
        .size:           2
        .value_kind:     hidden_group_size_x
      - .offset:         3166
        .size:           2
        .value_kind:     hidden_group_size_y
      - .offset:         3168
        .size:           2
        .value_kind:     hidden_group_size_z
      - .offset:         3170
        .size:           2
        .value_kind:     hidden_remainder_x
      - .offset:         3172
        .size:           2
        .value_kind:     hidden_remainder_y
      - .offset:         3174
        .size:           2
        .value_kind:     hidden_remainder_z
      - .offset:         3192
        .size:           8
        .value_kind:     hidden_global_offset_x
      - .offset:         3200
        .size:           8
        .value_kind:     hidden_global_offset_y
      - .offset:         3208
        .size:           8
        .value_kind:     hidden_global_offset_z
      - .offset:         3216
        .size:           2
        .value_kind:     hidden_grid_dims
    .group_segment_fixed_size: 0
    .kernarg_segment_align: 8
    .kernarg_segment_size: 3408
    .language:       OpenCL C
    .language_version:
      - 2
      - 0
    .max_flat_workgroup_size: 512
    .name:           _ZN2at6native12_GLOBAL__N_125multi_tensor_apply_kernelINS1_18TensorListMetadataILi2EEENS1_14UnaryOpFunctorIN3c108BFloat16ELi2ELi1ELi1EEEJNS0_6LgammaIfEEEEEvT_T0_DpT1_
    .private_segment_fixed_size: 0
    .sgpr_count:     60
    .sgpr_spill_count: 0
    .symbol:         _ZN2at6native12_GLOBAL__N_125multi_tensor_apply_kernelINS1_18TensorListMetadataILi2EEENS1_14UnaryOpFunctorIN3c108BFloat16ELi2ELi1ELi1EEEJNS0_6LgammaIfEEEEEvT_T0_DpT1_.kd
    .uniform_work_group_size: 1
    .uses_dynamic_stack: false
    .vgpr_count:     87
    .vgpr_spill_count: 0
    .wavefront_size: 64
  - .args:
      - .offset:         0
        .size:           3368
        .value_kind:     by_value
      - .offset:         3368
        .size:           1
        .value_kind:     by_value
      - .offset:         3369
        .size:           1
        .value_kind:     by_value
      - .offset:         3376
        .size:           4
        .value_kind:     hidden_block_count_x
      - .offset:         3380
        .size:           4
        .value_kind:     hidden_block_count_y
      - .offset:         3384
        .size:           4
        .value_kind:     hidden_block_count_z
      - .offset:         3388
        .size:           2
        .value_kind:     hidden_group_size_x
      - .offset:         3390
        .size:           2
        .value_kind:     hidden_group_size_y
      - .offset:         3392
        .size:           2
        .value_kind:     hidden_group_size_z
      - .offset:         3394
        .size:           2
        .value_kind:     hidden_remainder_x
      - .offset:         3396
        .size:           2
        .value_kind:     hidden_remainder_y
      - .offset:         3398
        .size:           2
        .value_kind:     hidden_remainder_z
      - .offset:         3416
        .size:           8
        .value_kind:     hidden_global_offset_x
      - .offset:         3424
        .size:           8
        .value_kind:     hidden_global_offset_y
      - .offset:         3432
        .size:           8
        .value_kind:     hidden_global_offset_z
      - .offset:         3440
        .size:           2
        .value_kind:     hidden_grid_dims
    .group_segment_fixed_size: 0
    .kernarg_segment_align: 8
    .kernarg_segment_size: 3632
    .language:       OpenCL C
    .language_version:
      - 2
      - 0
    .max_flat_workgroup_size: 512
    .name:           _ZN2at6native12_GLOBAL__N_125multi_tensor_apply_kernelINS1_18TensorListMetadataILi1EEENS1_14UnaryOpFunctorIdLi1ELi1ELi0EEEJNS0_6LgammaIdEEEEEvT_T0_DpT1_
    .private_segment_fixed_size: 0
    .sgpr_count:     100
    .sgpr_spill_count: 1
    .symbol:         _ZN2at6native12_GLOBAL__N_125multi_tensor_apply_kernelINS1_18TensorListMetadataILi1EEENS1_14UnaryOpFunctorIdLi1ELi1ELi0EEEJNS0_6LgammaIdEEEEEvT_T0_DpT1_.kd
    .uniform_work_group_size: 1
    .uses_dynamic_stack: false
    .vgpr_count:     87
    .vgpr_spill_count: 0
    .wavefront_size: 64
  - .args:
      - .offset:         0
        .size:           3368
        .value_kind:     by_value
      - .offset:         3368
        .size:           1
        .value_kind:     by_value
      - .offset:         3369
        .size:           1
        .value_kind:     by_value
      - .offset:         3376
        .size:           4
        .value_kind:     hidden_block_count_x
      - .offset:         3380
        .size:           4
        .value_kind:     hidden_block_count_y
      - .offset:         3384
        .size:           4
        .value_kind:     hidden_block_count_z
      - .offset:         3388
        .size:           2
        .value_kind:     hidden_group_size_x
      - .offset:         3390
        .size:           2
        .value_kind:     hidden_group_size_y
      - .offset:         3392
        .size:           2
        .value_kind:     hidden_group_size_z
      - .offset:         3394
        .size:           2
        .value_kind:     hidden_remainder_x
      - .offset:         3396
        .size:           2
        .value_kind:     hidden_remainder_y
      - .offset:         3398
        .size:           2
        .value_kind:     hidden_remainder_z
      - .offset:         3416
        .size:           8
        .value_kind:     hidden_global_offset_x
      - .offset:         3424
        .size:           8
        .value_kind:     hidden_global_offset_y
      - .offset:         3432
        .size:           8
        .value_kind:     hidden_global_offset_z
      - .offset:         3440
        .size:           2
        .value_kind:     hidden_grid_dims
    .group_segment_fixed_size: 0
    .kernarg_segment_align: 8
    .kernarg_segment_size: 3632
    .language:       OpenCL C
    .language_version:
      - 2
      - 0
    .max_flat_workgroup_size: 512
    .name:           _ZN2at6native12_GLOBAL__N_125multi_tensor_apply_kernelINS1_18TensorListMetadataILi1EEENS1_14UnaryOpFunctorIfLi1ELi1ELi0EEEJNS0_6LgammaIfEEEEEvT_T0_DpT1_
    .private_segment_fixed_size: 0
    .sgpr_count:     66
    .sgpr_spill_count: 0
    .symbol:         _ZN2at6native12_GLOBAL__N_125multi_tensor_apply_kernelINS1_18TensorListMetadataILi1EEENS1_14UnaryOpFunctorIfLi1ELi1ELi0EEEJNS0_6LgammaIfEEEEEvT_T0_DpT1_.kd
    .uniform_work_group_size: 1
    .uses_dynamic_stack: false
    .vgpr_count:     74
    .vgpr_spill_count: 0
    .wavefront_size: 64
  - .args:
      - .offset:         0
        .size:           3368
        .value_kind:     by_value
      - .offset:         3368
        .size:           1
        .value_kind:     by_value
      - .offset:         3369
        .size:           1
        .value_kind:     by_value
      - .offset:         3376
        .size:           4
        .value_kind:     hidden_block_count_x
      - .offset:         3380
        .size:           4
        .value_kind:     hidden_block_count_y
      - .offset:         3384
        .size:           4
        .value_kind:     hidden_block_count_z
      - .offset:         3388
        .size:           2
        .value_kind:     hidden_group_size_x
      - .offset:         3390
        .size:           2
        .value_kind:     hidden_group_size_y
      - .offset:         3392
        .size:           2
        .value_kind:     hidden_group_size_z
      - .offset:         3394
        .size:           2
        .value_kind:     hidden_remainder_x
      - .offset:         3396
        .size:           2
        .value_kind:     hidden_remainder_y
      - .offset:         3398
        .size:           2
        .value_kind:     hidden_remainder_z
      - .offset:         3416
        .size:           8
        .value_kind:     hidden_global_offset_x
      - .offset:         3424
        .size:           8
        .value_kind:     hidden_global_offset_y
      - .offset:         3432
        .size:           8
        .value_kind:     hidden_global_offset_z
      - .offset:         3440
        .size:           2
        .value_kind:     hidden_grid_dims
    .group_segment_fixed_size: 0
    .kernarg_segment_align: 8
    .kernarg_segment_size: 3632
    .language:       OpenCL C
    .language_version:
      - 2
      - 0
    .max_flat_workgroup_size: 512
    .name:           _ZN2at6native12_GLOBAL__N_125multi_tensor_apply_kernelINS1_18TensorListMetadataILi1EEENS1_14UnaryOpFunctorIN3c104HalfELi1ELi1ELi0EEEJNS0_6LgammaIfEEEEEvT_T0_DpT1_
    .private_segment_fixed_size: 0
    .sgpr_count:     65
    .sgpr_spill_count: 0
    .symbol:         _ZN2at6native12_GLOBAL__N_125multi_tensor_apply_kernelINS1_18TensorListMetadataILi1EEENS1_14UnaryOpFunctorIN3c104HalfELi1ELi1ELi0EEEJNS0_6LgammaIfEEEEEvT_T0_DpT1_.kd
    .uniform_work_group_size: 1
    .uses_dynamic_stack: false
    .vgpr_count:     79
    .vgpr_spill_count: 0
    .wavefront_size: 64
  - .args:
      - .offset:         0
        .size:           3368
        .value_kind:     by_value
      - .offset:         3368
        .size:           1
        .value_kind:     by_value
      - .offset:         3369
        .size:           1
        .value_kind:     by_value
      - .offset:         3376
        .size:           4
        .value_kind:     hidden_block_count_x
      - .offset:         3380
        .size:           4
        .value_kind:     hidden_block_count_y
      - .offset:         3384
        .size:           4
        .value_kind:     hidden_block_count_z
      - .offset:         3388
        .size:           2
        .value_kind:     hidden_group_size_x
      - .offset:         3390
        .size:           2
        .value_kind:     hidden_group_size_y
      - .offset:         3392
        .size:           2
        .value_kind:     hidden_group_size_z
      - .offset:         3394
        .size:           2
        .value_kind:     hidden_remainder_x
      - .offset:         3396
        .size:           2
        .value_kind:     hidden_remainder_y
      - .offset:         3398
        .size:           2
        .value_kind:     hidden_remainder_z
      - .offset:         3416
        .size:           8
        .value_kind:     hidden_global_offset_x
      - .offset:         3424
        .size:           8
        .value_kind:     hidden_global_offset_y
      - .offset:         3432
        .size:           8
        .value_kind:     hidden_global_offset_z
      - .offset:         3440
        .size:           2
        .value_kind:     hidden_grid_dims
    .group_segment_fixed_size: 0
    .kernarg_segment_align: 8
    .kernarg_segment_size: 3632
    .language:       OpenCL C
    .language_version:
      - 2
      - 0
    .max_flat_workgroup_size: 512
    .name:           _ZN2at6native12_GLOBAL__N_125multi_tensor_apply_kernelINS1_18TensorListMetadataILi1EEENS1_14UnaryOpFunctorIN3c108BFloat16ELi1ELi1ELi0EEEJNS0_6LgammaIfEEEEEvT_T0_DpT1_
    .private_segment_fixed_size: 0
    .sgpr_count:     67
    .sgpr_spill_count: 0
    .symbol:         _ZN2at6native12_GLOBAL__N_125multi_tensor_apply_kernelINS1_18TensorListMetadataILi1EEENS1_14UnaryOpFunctorIN3c108BFloat16ELi1ELi1ELi0EEEJNS0_6LgammaIfEEEEEvT_T0_DpT1_.kd
    .uniform_work_group_size: 1
    .uses_dynamic_stack: false
    .vgpr_count:     75
    .vgpr_spill_count: 0
    .wavefront_size: 64
  - .args:
      - .offset:         0
        .size:           3144
        .value_kind:     by_value
      - .offset:         3144
        .size:           1
        .value_kind:     by_value
      - .offset:         3145
        .size:           1
        .value_kind:     by_value
      - .offset:         3152
        .size:           4
        .value_kind:     hidden_block_count_x
      - .offset:         3156
        .size:           4
        .value_kind:     hidden_block_count_y
      - .offset:         3160
        .size:           4
        .value_kind:     hidden_block_count_z
      - .offset:         3164
        .size:           2
        .value_kind:     hidden_group_size_x
      - .offset:         3166
        .size:           2
        .value_kind:     hidden_group_size_y
      - .offset:         3168
        .size:           2
        .value_kind:     hidden_group_size_z
      - .offset:         3170
        .size:           2
        .value_kind:     hidden_remainder_x
      - .offset:         3172
        .size:           2
        .value_kind:     hidden_remainder_y
      - .offset:         3174
        .size:           2
        .value_kind:     hidden_remainder_z
      - .offset:         3192
        .size:           8
        .value_kind:     hidden_global_offset_x
      - .offset:         3200
        .size:           8
        .value_kind:     hidden_global_offset_y
      - .offset:         3208
        .size:           8
        .value_kind:     hidden_global_offset_z
      - .offset:         3216
        .size:           2
        .value_kind:     hidden_grid_dims
    .group_segment_fixed_size: 0
    .kernarg_segment_align: 8
    .kernarg_segment_size: 3408
    .language:       OpenCL C
    .language_version:
      - 2
      - 0
    .max_flat_workgroup_size: 512
    .name:           _ZN2at6native12_GLOBAL__N_125multi_tensor_apply_kernelINS1_18TensorListMetadataILi2EEENS1_14UnaryOpFunctorIdLi2ELi1ELi1EEEJNS0_6TruncfIdEEEEEvT_T0_DpT1_
    .private_segment_fixed_size: 0
    .sgpr_count:     24
    .sgpr_spill_count: 0
    .symbol:         _ZN2at6native12_GLOBAL__N_125multi_tensor_apply_kernelINS1_18TensorListMetadataILi2EEENS1_14UnaryOpFunctorIdLi2ELi1ELi1EEEJNS0_6TruncfIdEEEEEvT_T0_DpT1_.kd
    .uniform_work_group_size: 1
    .uses_dynamic_stack: false
    .vgpr_count:     33
    .vgpr_spill_count: 0
    .wavefront_size: 64
  - .args:
      - .offset:         0
        .size:           3144
        .value_kind:     by_value
      - .offset:         3144
        .size:           1
        .value_kind:     by_value
      - .offset:         3145
        .size:           1
        .value_kind:     by_value
      - .offset:         3152
        .size:           4
        .value_kind:     hidden_block_count_x
      - .offset:         3156
        .size:           4
        .value_kind:     hidden_block_count_y
      - .offset:         3160
        .size:           4
        .value_kind:     hidden_block_count_z
      - .offset:         3164
        .size:           2
        .value_kind:     hidden_group_size_x
      - .offset:         3166
        .size:           2
        .value_kind:     hidden_group_size_y
      - .offset:         3168
        .size:           2
        .value_kind:     hidden_group_size_z
      - .offset:         3170
        .size:           2
        .value_kind:     hidden_remainder_x
      - .offset:         3172
        .size:           2
        .value_kind:     hidden_remainder_y
      - .offset:         3174
        .size:           2
        .value_kind:     hidden_remainder_z
      - .offset:         3192
        .size:           8
        .value_kind:     hidden_global_offset_x
      - .offset:         3200
        .size:           8
        .value_kind:     hidden_global_offset_y
      - .offset:         3208
        .size:           8
        .value_kind:     hidden_global_offset_z
      - .offset:         3216
        .size:           2
        .value_kind:     hidden_grid_dims
    .group_segment_fixed_size: 0
    .kernarg_segment_align: 8
    .kernarg_segment_size: 3408
    .language:       OpenCL C
    .language_version:
      - 2
      - 0
    .max_flat_workgroup_size: 512
    .name:           _ZN2at6native12_GLOBAL__N_125multi_tensor_apply_kernelINS1_18TensorListMetadataILi2EEENS1_14UnaryOpFunctorIfLi2ELi1ELi1EEEJNS0_6TruncfIfEEEEEvT_T0_DpT1_
    .private_segment_fixed_size: 0
    .sgpr_count:     24
    .sgpr_spill_count: 0
    .symbol:         _ZN2at6native12_GLOBAL__N_125multi_tensor_apply_kernelINS1_18TensorListMetadataILi2EEENS1_14UnaryOpFunctorIfLi2ELi1ELi1EEEJNS0_6TruncfIfEEEEEvT_T0_DpT1_.kd
    .uniform_work_group_size: 1
    .uses_dynamic_stack: false
    .vgpr_count:     29
    .vgpr_spill_count: 0
    .wavefront_size: 64
  - .args:
      - .offset:         0
        .size:           3144
        .value_kind:     by_value
      - .offset:         3144
        .size:           1
        .value_kind:     by_value
      - .offset:         3145
        .size:           1
        .value_kind:     by_value
      - .offset:         3152
        .size:           4
        .value_kind:     hidden_block_count_x
      - .offset:         3156
        .size:           4
        .value_kind:     hidden_block_count_y
      - .offset:         3160
        .size:           4
        .value_kind:     hidden_block_count_z
      - .offset:         3164
        .size:           2
        .value_kind:     hidden_group_size_x
      - .offset:         3166
        .size:           2
        .value_kind:     hidden_group_size_y
      - .offset:         3168
        .size:           2
        .value_kind:     hidden_group_size_z
      - .offset:         3170
        .size:           2
        .value_kind:     hidden_remainder_x
      - .offset:         3172
        .size:           2
        .value_kind:     hidden_remainder_y
      - .offset:         3174
        .size:           2
        .value_kind:     hidden_remainder_z
      - .offset:         3192
        .size:           8
        .value_kind:     hidden_global_offset_x
      - .offset:         3200
        .size:           8
        .value_kind:     hidden_global_offset_y
      - .offset:         3208
        .size:           8
        .value_kind:     hidden_global_offset_z
      - .offset:         3216
        .size:           2
        .value_kind:     hidden_grid_dims
    .group_segment_fixed_size: 0
    .kernarg_segment_align: 8
    .kernarg_segment_size: 3408
    .language:       OpenCL C
    .language_version:
      - 2
      - 0
    .max_flat_workgroup_size: 512
    .name:           _ZN2at6native12_GLOBAL__N_125multi_tensor_apply_kernelINS1_18TensorListMetadataILi2EEENS1_14UnaryOpFunctorIN3c104HalfELi2ELi1ELi1EEEJNS0_6TruncfIfEEEEEvT_T0_DpT1_
    .private_segment_fixed_size: 0
    .sgpr_count:     24
    .sgpr_spill_count: 0
    .symbol:         _ZN2at6native12_GLOBAL__N_125multi_tensor_apply_kernelINS1_18TensorListMetadataILi2EEENS1_14UnaryOpFunctorIN3c104HalfELi2ELi1ELi1EEEJNS0_6TruncfIfEEEEEvT_T0_DpT1_.kd
    .uniform_work_group_size: 1
    .uses_dynamic_stack: false
    .vgpr_count:     29
    .vgpr_spill_count: 0
    .wavefront_size: 64
  - .args:
      - .offset:         0
        .size:           3144
        .value_kind:     by_value
      - .offset:         3144
        .size:           1
        .value_kind:     by_value
      - .offset:         3145
        .size:           1
        .value_kind:     by_value
      - .offset:         3152
        .size:           4
        .value_kind:     hidden_block_count_x
      - .offset:         3156
        .size:           4
        .value_kind:     hidden_block_count_y
      - .offset:         3160
        .size:           4
        .value_kind:     hidden_block_count_z
      - .offset:         3164
        .size:           2
        .value_kind:     hidden_group_size_x
      - .offset:         3166
        .size:           2
        .value_kind:     hidden_group_size_y
      - .offset:         3168
        .size:           2
        .value_kind:     hidden_group_size_z
      - .offset:         3170
        .size:           2
        .value_kind:     hidden_remainder_x
      - .offset:         3172
        .size:           2
        .value_kind:     hidden_remainder_y
      - .offset:         3174
        .size:           2
        .value_kind:     hidden_remainder_z
      - .offset:         3192
        .size:           8
        .value_kind:     hidden_global_offset_x
      - .offset:         3200
        .size:           8
        .value_kind:     hidden_global_offset_y
      - .offset:         3208
        .size:           8
        .value_kind:     hidden_global_offset_z
      - .offset:         3216
        .size:           2
        .value_kind:     hidden_grid_dims
    .group_segment_fixed_size: 0
    .kernarg_segment_align: 8
    .kernarg_segment_size: 3408
    .language:       OpenCL C
    .language_version:
      - 2
      - 0
    .max_flat_workgroup_size: 512
    .name:           _ZN2at6native12_GLOBAL__N_125multi_tensor_apply_kernelINS1_18TensorListMetadataILi2EEENS1_14UnaryOpFunctorIN3c108BFloat16ELi2ELi1ELi1EEEJNS0_6TruncfIfEEEEEvT_T0_DpT1_
    .private_segment_fixed_size: 0
    .sgpr_count:     27
    .sgpr_spill_count: 0
    .symbol:         _ZN2at6native12_GLOBAL__N_125multi_tensor_apply_kernelINS1_18TensorListMetadataILi2EEENS1_14UnaryOpFunctorIN3c108BFloat16ELi2ELi1ELi1EEEJNS0_6TruncfIfEEEEEvT_T0_DpT1_.kd
    .uniform_work_group_size: 1
    .uses_dynamic_stack: false
    .vgpr_count:     30
    .vgpr_spill_count: 0
    .wavefront_size: 64
  - .args:
      - .offset:         0
        .size:           3368
        .value_kind:     by_value
      - .offset:         3368
        .size:           1
        .value_kind:     by_value
      - .offset:         3369
        .size:           1
        .value_kind:     by_value
      - .offset:         3376
        .size:           4
        .value_kind:     hidden_block_count_x
      - .offset:         3380
        .size:           4
        .value_kind:     hidden_block_count_y
      - .offset:         3384
        .size:           4
        .value_kind:     hidden_block_count_z
      - .offset:         3388
        .size:           2
        .value_kind:     hidden_group_size_x
      - .offset:         3390
        .size:           2
        .value_kind:     hidden_group_size_y
      - .offset:         3392
        .size:           2
        .value_kind:     hidden_group_size_z
      - .offset:         3394
        .size:           2
        .value_kind:     hidden_remainder_x
      - .offset:         3396
        .size:           2
        .value_kind:     hidden_remainder_y
      - .offset:         3398
        .size:           2
        .value_kind:     hidden_remainder_z
      - .offset:         3416
        .size:           8
        .value_kind:     hidden_global_offset_x
      - .offset:         3424
        .size:           8
        .value_kind:     hidden_global_offset_y
      - .offset:         3432
        .size:           8
        .value_kind:     hidden_global_offset_z
      - .offset:         3440
        .size:           2
        .value_kind:     hidden_grid_dims
    .group_segment_fixed_size: 0
    .kernarg_segment_align: 8
    .kernarg_segment_size: 3632
    .language:       OpenCL C
    .language_version:
      - 2
      - 0
    .max_flat_workgroup_size: 512
    .name:           _ZN2at6native12_GLOBAL__N_125multi_tensor_apply_kernelINS1_18TensorListMetadataILi1EEENS1_14UnaryOpFunctorIdLi1ELi1ELi0EEEJNS0_6TruncfIdEEEEEvT_T0_DpT1_
    .private_segment_fixed_size: 0
    .sgpr_count:     32
    .sgpr_spill_count: 0
    .symbol:         _ZN2at6native12_GLOBAL__N_125multi_tensor_apply_kernelINS1_18TensorListMetadataILi1EEENS1_14UnaryOpFunctorIdLi1ELi1ELi0EEEJNS0_6TruncfIdEEEEEvT_T0_DpT1_.kd
    .uniform_work_group_size: 1
    .uses_dynamic_stack: false
    .vgpr_count:     21
    .vgpr_spill_count: 0
    .wavefront_size: 64
  - .args:
      - .offset:         0
        .size:           3368
        .value_kind:     by_value
      - .offset:         3368
        .size:           1
        .value_kind:     by_value
      - .offset:         3369
        .size:           1
        .value_kind:     by_value
      - .offset:         3376
        .size:           4
        .value_kind:     hidden_block_count_x
      - .offset:         3380
        .size:           4
        .value_kind:     hidden_block_count_y
      - .offset:         3384
        .size:           4
        .value_kind:     hidden_block_count_z
      - .offset:         3388
        .size:           2
        .value_kind:     hidden_group_size_x
      - .offset:         3390
        .size:           2
        .value_kind:     hidden_group_size_y
      - .offset:         3392
        .size:           2
        .value_kind:     hidden_group_size_z
      - .offset:         3394
        .size:           2
        .value_kind:     hidden_remainder_x
      - .offset:         3396
        .size:           2
        .value_kind:     hidden_remainder_y
      - .offset:         3398
        .size:           2
        .value_kind:     hidden_remainder_z
      - .offset:         3416
        .size:           8
        .value_kind:     hidden_global_offset_x
      - .offset:         3424
        .size:           8
        .value_kind:     hidden_global_offset_y
      - .offset:         3432
        .size:           8
        .value_kind:     hidden_global_offset_z
      - .offset:         3440
        .size:           2
        .value_kind:     hidden_grid_dims
    .group_segment_fixed_size: 0
    .kernarg_segment_align: 8
    .kernarg_segment_size: 3632
    .language:       OpenCL C
    .language_version:
      - 2
      - 0
    .max_flat_workgroup_size: 512
    .name:           _ZN2at6native12_GLOBAL__N_125multi_tensor_apply_kernelINS1_18TensorListMetadataILi1EEENS1_14UnaryOpFunctorIfLi1ELi1ELi0EEEJNS0_6TruncfIfEEEEEvT_T0_DpT1_
    .private_segment_fixed_size: 0
    .sgpr_count:     32
    .sgpr_spill_count: 0
    .symbol:         _ZN2at6native12_GLOBAL__N_125multi_tensor_apply_kernelINS1_18TensorListMetadataILi1EEENS1_14UnaryOpFunctorIfLi1ELi1ELi0EEEJNS0_6TruncfIfEEEEEvT_T0_DpT1_.kd
    .uniform_work_group_size: 1
    .uses_dynamic_stack: false
    .vgpr_count:     17
    .vgpr_spill_count: 0
    .wavefront_size: 64
  - .args:
      - .offset:         0
        .size:           3368
        .value_kind:     by_value
      - .offset:         3368
        .size:           1
        .value_kind:     by_value
      - .offset:         3369
        .size:           1
        .value_kind:     by_value
      - .offset:         3376
        .size:           4
        .value_kind:     hidden_block_count_x
      - .offset:         3380
        .size:           4
        .value_kind:     hidden_block_count_y
      - .offset:         3384
        .size:           4
        .value_kind:     hidden_block_count_z
      - .offset:         3388
        .size:           2
        .value_kind:     hidden_group_size_x
      - .offset:         3390
        .size:           2
        .value_kind:     hidden_group_size_y
      - .offset:         3392
        .size:           2
        .value_kind:     hidden_group_size_z
      - .offset:         3394
        .size:           2
        .value_kind:     hidden_remainder_x
      - .offset:         3396
        .size:           2
        .value_kind:     hidden_remainder_y
      - .offset:         3398
        .size:           2
        .value_kind:     hidden_remainder_z
      - .offset:         3416
        .size:           8
        .value_kind:     hidden_global_offset_x
      - .offset:         3424
        .size:           8
        .value_kind:     hidden_global_offset_y
      - .offset:         3432
        .size:           8
        .value_kind:     hidden_global_offset_z
      - .offset:         3440
        .size:           2
        .value_kind:     hidden_grid_dims
    .group_segment_fixed_size: 0
    .kernarg_segment_align: 8
    .kernarg_segment_size: 3632
    .language:       OpenCL C
    .language_version:
      - 2
      - 0
    .max_flat_workgroup_size: 512
    .name:           _ZN2at6native12_GLOBAL__N_125multi_tensor_apply_kernelINS1_18TensorListMetadataILi1EEENS1_14UnaryOpFunctorIN3c104HalfELi1ELi1ELi0EEEJNS0_6TruncfIfEEEEEvT_T0_DpT1_
    .private_segment_fixed_size: 0
    .sgpr_count:     31
    .sgpr_spill_count: 0
    .symbol:         _ZN2at6native12_GLOBAL__N_125multi_tensor_apply_kernelINS1_18TensorListMetadataILi1EEENS1_14UnaryOpFunctorIN3c104HalfELi1ELi1ELi0EEEJNS0_6TruncfIfEEEEEvT_T0_DpT1_.kd
    .uniform_work_group_size: 1
    .uses_dynamic_stack: false
    .vgpr_count:     17
    .vgpr_spill_count: 0
    .wavefront_size: 64
  - .args:
      - .offset:         0
        .size:           3368
        .value_kind:     by_value
      - .offset:         3368
        .size:           1
        .value_kind:     by_value
      - .offset:         3369
        .size:           1
        .value_kind:     by_value
      - .offset:         3376
        .size:           4
        .value_kind:     hidden_block_count_x
      - .offset:         3380
        .size:           4
        .value_kind:     hidden_block_count_y
      - .offset:         3384
        .size:           4
        .value_kind:     hidden_block_count_z
      - .offset:         3388
        .size:           2
        .value_kind:     hidden_group_size_x
      - .offset:         3390
        .size:           2
        .value_kind:     hidden_group_size_y
      - .offset:         3392
        .size:           2
        .value_kind:     hidden_group_size_z
      - .offset:         3394
        .size:           2
        .value_kind:     hidden_remainder_x
      - .offset:         3396
        .size:           2
        .value_kind:     hidden_remainder_y
      - .offset:         3398
        .size:           2
        .value_kind:     hidden_remainder_z
      - .offset:         3416
        .size:           8
        .value_kind:     hidden_global_offset_x
      - .offset:         3424
        .size:           8
        .value_kind:     hidden_global_offset_y
      - .offset:         3432
        .size:           8
        .value_kind:     hidden_global_offset_z
      - .offset:         3440
        .size:           2
        .value_kind:     hidden_grid_dims
    .group_segment_fixed_size: 0
    .kernarg_segment_align: 8
    .kernarg_segment_size: 3632
    .language:       OpenCL C
    .language_version:
      - 2
      - 0
    .max_flat_workgroup_size: 512
    .name:           _ZN2at6native12_GLOBAL__N_125multi_tensor_apply_kernelINS1_18TensorListMetadataILi1EEENS1_14UnaryOpFunctorIN3c108BFloat16ELi1ELi1ELi0EEEJNS0_6TruncfIfEEEEEvT_T0_DpT1_
    .private_segment_fixed_size: 0
    .sgpr_count:     32
    .sgpr_spill_count: 0
    .symbol:         _ZN2at6native12_GLOBAL__N_125multi_tensor_apply_kernelINS1_18TensorListMetadataILi1EEENS1_14UnaryOpFunctorIN3c108BFloat16ELi1ELi1ELi0EEEJNS0_6TruncfIfEEEEEvT_T0_DpT1_.kd
    .uniform_work_group_size: 1
    .uses_dynamic_stack: false
    .vgpr_count:     17
    .vgpr_spill_count: 0
    .wavefront_size: 64
  - .args:
      - .offset:         0
        .size:           3144
        .value_kind:     by_value
      - .offset:         3144
        .size:           1
        .value_kind:     by_value
      - .offset:         3145
        .size:           1
        .value_kind:     by_value
      - .offset:         3152
        .size:           4
        .value_kind:     hidden_block_count_x
      - .offset:         3156
        .size:           4
        .value_kind:     hidden_block_count_y
      - .offset:         3160
        .size:           4
        .value_kind:     hidden_block_count_z
      - .offset:         3164
        .size:           2
        .value_kind:     hidden_group_size_x
      - .offset:         3166
        .size:           2
        .value_kind:     hidden_group_size_y
      - .offset:         3168
        .size:           2
        .value_kind:     hidden_group_size_z
      - .offset:         3170
        .size:           2
        .value_kind:     hidden_remainder_x
      - .offset:         3172
        .size:           2
        .value_kind:     hidden_remainder_y
      - .offset:         3174
        .size:           2
        .value_kind:     hidden_remainder_z
      - .offset:         3192
        .size:           8
        .value_kind:     hidden_global_offset_x
      - .offset:         3200
        .size:           8
        .value_kind:     hidden_global_offset_y
      - .offset:         3208
        .size:           8
        .value_kind:     hidden_global_offset_z
      - .offset:         3216
        .size:           2
        .value_kind:     hidden_grid_dims
    .group_segment_fixed_size: 0
    .kernarg_segment_align: 8
    .kernarg_segment_size: 3408
    .language:       OpenCL C
    .language_version:
      - 2
      - 0
    .max_flat_workgroup_size: 512
    .name:           _ZN2at6native12_GLOBAL__N_125multi_tensor_apply_kernelINS1_18TensorListMetadataILi2EEENS1_14UnaryOpFunctorIdLi2ELi1ELi1EEEJNS0_5FloorIdEEEEEvT_T0_DpT1_
    .private_segment_fixed_size: 0
    .sgpr_count:     24
    .sgpr_spill_count: 0
    .symbol:         _ZN2at6native12_GLOBAL__N_125multi_tensor_apply_kernelINS1_18TensorListMetadataILi2EEENS1_14UnaryOpFunctorIdLi2ELi1ELi1EEEJNS0_5FloorIdEEEEEvT_T0_DpT1_.kd
    .uniform_work_group_size: 1
    .uses_dynamic_stack: false
    .vgpr_count:     33
    .vgpr_spill_count: 0
    .wavefront_size: 64
  - .args:
      - .offset:         0
        .size:           3144
        .value_kind:     by_value
      - .offset:         3144
        .size:           1
        .value_kind:     by_value
      - .offset:         3145
        .size:           1
        .value_kind:     by_value
      - .offset:         3152
        .size:           4
        .value_kind:     hidden_block_count_x
      - .offset:         3156
        .size:           4
        .value_kind:     hidden_block_count_y
      - .offset:         3160
        .size:           4
        .value_kind:     hidden_block_count_z
      - .offset:         3164
        .size:           2
        .value_kind:     hidden_group_size_x
      - .offset:         3166
        .size:           2
        .value_kind:     hidden_group_size_y
      - .offset:         3168
        .size:           2
        .value_kind:     hidden_group_size_z
      - .offset:         3170
        .size:           2
        .value_kind:     hidden_remainder_x
      - .offset:         3172
        .size:           2
        .value_kind:     hidden_remainder_y
      - .offset:         3174
        .size:           2
        .value_kind:     hidden_remainder_z
      - .offset:         3192
        .size:           8
        .value_kind:     hidden_global_offset_x
      - .offset:         3200
        .size:           8
        .value_kind:     hidden_global_offset_y
      - .offset:         3208
        .size:           8
        .value_kind:     hidden_global_offset_z
      - .offset:         3216
        .size:           2
        .value_kind:     hidden_grid_dims
    .group_segment_fixed_size: 0
    .kernarg_segment_align: 8
    .kernarg_segment_size: 3408
    .language:       OpenCL C
    .language_version:
      - 2
      - 0
    .max_flat_workgroup_size: 512
    .name:           _ZN2at6native12_GLOBAL__N_125multi_tensor_apply_kernelINS1_18TensorListMetadataILi2EEENS1_14UnaryOpFunctorIfLi2ELi1ELi1EEEJNS0_5FloorIfEEEEEvT_T0_DpT1_
    .private_segment_fixed_size: 0
    .sgpr_count:     24
    .sgpr_spill_count: 0
    .symbol:         _ZN2at6native12_GLOBAL__N_125multi_tensor_apply_kernelINS1_18TensorListMetadataILi2EEENS1_14UnaryOpFunctorIfLi2ELi1ELi1EEEJNS0_5FloorIfEEEEEvT_T0_DpT1_.kd
    .uniform_work_group_size: 1
    .uses_dynamic_stack: false
    .vgpr_count:     29
    .vgpr_spill_count: 0
    .wavefront_size: 64
  - .args:
      - .offset:         0
        .size:           3144
        .value_kind:     by_value
      - .offset:         3144
        .size:           1
        .value_kind:     by_value
      - .offset:         3145
        .size:           1
        .value_kind:     by_value
      - .offset:         3152
        .size:           4
        .value_kind:     hidden_block_count_x
      - .offset:         3156
        .size:           4
        .value_kind:     hidden_block_count_y
      - .offset:         3160
        .size:           4
        .value_kind:     hidden_block_count_z
      - .offset:         3164
        .size:           2
        .value_kind:     hidden_group_size_x
      - .offset:         3166
        .size:           2
        .value_kind:     hidden_group_size_y
      - .offset:         3168
        .size:           2
        .value_kind:     hidden_group_size_z
      - .offset:         3170
        .size:           2
        .value_kind:     hidden_remainder_x
      - .offset:         3172
        .size:           2
        .value_kind:     hidden_remainder_y
      - .offset:         3174
        .size:           2
        .value_kind:     hidden_remainder_z
      - .offset:         3192
        .size:           8
        .value_kind:     hidden_global_offset_x
      - .offset:         3200
        .size:           8
        .value_kind:     hidden_global_offset_y
      - .offset:         3208
        .size:           8
        .value_kind:     hidden_global_offset_z
      - .offset:         3216
        .size:           2
        .value_kind:     hidden_grid_dims
    .group_segment_fixed_size: 0
    .kernarg_segment_align: 8
    .kernarg_segment_size: 3408
    .language:       OpenCL C
    .language_version:
      - 2
      - 0
    .max_flat_workgroup_size: 512
    .name:           _ZN2at6native12_GLOBAL__N_125multi_tensor_apply_kernelINS1_18TensorListMetadataILi2EEENS1_14UnaryOpFunctorIN3c104HalfELi2ELi1ELi1EEEJNS0_5FloorIfEEEEEvT_T0_DpT1_
    .private_segment_fixed_size: 0
    .sgpr_count:     24
    .sgpr_spill_count: 0
    .symbol:         _ZN2at6native12_GLOBAL__N_125multi_tensor_apply_kernelINS1_18TensorListMetadataILi2EEENS1_14UnaryOpFunctorIN3c104HalfELi2ELi1ELi1EEEJNS0_5FloorIfEEEEEvT_T0_DpT1_.kd
    .uniform_work_group_size: 1
    .uses_dynamic_stack: false
    .vgpr_count:     29
    .vgpr_spill_count: 0
    .wavefront_size: 64
  - .args:
      - .offset:         0
        .size:           3144
        .value_kind:     by_value
      - .offset:         3144
        .size:           1
        .value_kind:     by_value
      - .offset:         3145
        .size:           1
        .value_kind:     by_value
      - .offset:         3152
        .size:           4
        .value_kind:     hidden_block_count_x
      - .offset:         3156
        .size:           4
        .value_kind:     hidden_block_count_y
      - .offset:         3160
        .size:           4
        .value_kind:     hidden_block_count_z
      - .offset:         3164
        .size:           2
        .value_kind:     hidden_group_size_x
      - .offset:         3166
        .size:           2
        .value_kind:     hidden_group_size_y
      - .offset:         3168
        .size:           2
        .value_kind:     hidden_group_size_z
      - .offset:         3170
        .size:           2
        .value_kind:     hidden_remainder_x
      - .offset:         3172
        .size:           2
        .value_kind:     hidden_remainder_y
      - .offset:         3174
        .size:           2
        .value_kind:     hidden_remainder_z
      - .offset:         3192
        .size:           8
        .value_kind:     hidden_global_offset_x
      - .offset:         3200
        .size:           8
        .value_kind:     hidden_global_offset_y
      - .offset:         3208
        .size:           8
        .value_kind:     hidden_global_offset_z
      - .offset:         3216
        .size:           2
        .value_kind:     hidden_grid_dims
    .group_segment_fixed_size: 0
    .kernarg_segment_align: 8
    .kernarg_segment_size: 3408
    .language:       OpenCL C
    .language_version:
      - 2
      - 0
    .max_flat_workgroup_size: 512
    .name:           _ZN2at6native12_GLOBAL__N_125multi_tensor_apply_kernelINS1_18TensorListMetadataILi2EEENS1_14UnaryOpFunctorIN3c108BFloat16ELi2ELi1ELi1EEEJNS0_5FloorIfEEEEEvT_T0_DpT1_
    .private_segment_fixed_size: 0
    .sgpr_count:     27
    .sgpr_spill_count: 0
    .symbol:         _ZN2at6native12_GLOBAL__N_125multi_tensor_apply_kernelINS1_18TensorListMetadataILi2EEENS1_14UnaryOpFunctorIN3c108BFloat16ELi2ELi1ELi1EEEJNS0_5FloorIfEEEEEvT_T0_DpT1_.kd
    .uniform_work_group_size: 1
    .uses_dynamic_stack: false
    .vgpr_count:     30
    .vgpr_spill_count: 0
    .wavefront_size: 64
  - .args:
      - .offset:         0
        .size:           3368
        .value_kind:     by_value
      - .offset:         3368
        .size:           1
        .value_kind:     by_value
      - .offset:         3369
        .size:           1
        .value_kind:     by_value
      - .offset:         3376
        .size:           4
        .value_kind:     hidden_block_count_x
      - .offset:         3380
        .size:           4
        .value_kind:     hidden_block_count_y
      - .offset:         3384
        .size:           4
        .value_kind:     hidden_block_count_z
      - .offset:         3388
        .size:           2
        .value_kind:     hidden_group_size_x
      - .offset:         3390
        .size:           2
        .value_kind:     hidden_group_size_y
      - .offset:         3392
        .size:           2
        .value_kind:     hidden_group_size_z
      - .offset:         3394
        .size:           2
        .value_kind:     hidden_remainder_x
      - .offset:         3396
        .size:           2
        .value_kind:     hidden_remainder_y
      - .offset:         3398
        .size:           2
        .value_kind:     hidden_remainder_z
      - .offset:         3416
        .size:           8
        .value_kind:     hidden_global_offset_x
      - .offset:         3424
        .size:           8
        .value_kind:     hidden_global_offset_y
      - .offset:         3432
        .size:           8
        .value_kind:     hidden_global_offset_z
      - .offset:         3440
        .size:           2
        .value_kind:     hidden_grid_dims
    .group_segment_fixed_size: 0
    .kernarg_segment_align: 8
    .kernarg_segment_size: 3632
    .language:       OpenCL C
    .language_version:
      - 2
      - 0
    .max_flat_workgroup_size: 512
    .name:           _ZN2at6native12_GLOBAL__N_125multi_tensor_apply_kernelINS1_18TensorListMetadataILi1EEENS1_14UnaryOpFunctorIdLi1ELi1ELi0EEEJNS0_5FloorIdEEEEEvT_T0_DpT1_
    .private_segment_fixed_size: 0
    .sgpr_count:     32
    .sgpr_spill_count: 0
    .symbol:         _ZN2at6native12_GLOBAL__N_125multi_tensor_apply_kernelINS1_18TensorListMetadataILi1EEENS1_14UnaryOpFunctorIdLi1ELi1ELi0EEEJNS0_5FloorIdEEEEEvT_T0_DpT1_.kd
    .uniform_work_group_size: 1
    .uses_dynamic_stack: false
    .vgpr_count:     21
    .vgpr_spill_count: 0
    .wavefront_size: 64
  - .args:
      - .offset:         0
        .size:           3368
        .value_kind:     by_value
      - .offset:         3368
        .size:           1
        .value_kind:     by_value
      - .offset:         3369
        .size:           1
        .value_kind:     by_value
      - .offset:         3376
        .size:           4
        .value_kind:     hidden_block_count_x
      - .offset:         3380
        .size:           4
        .value_kind:     hidden_block_count_y
      - .offset:         3384
        .size:           4
        .value_kind:     hidden_block_count_z
      - .offset:         3388
        .size:           2
        .value_kind:     hidden_group_size_x
      - .offset:         3390
        .size:           2
        .value_kind:     hidden_group_size_y
      - .offset:         3392
        .size:           2
        .value_kind:     hidden_group_size_z
      - .offset:         3394
        .size:           2
        .value_kind:     hidden_remainder_x
      - .offset:         3396
        .size:           2
        .value_kind:     hidden_remainder_y
      - .offset:         3398
        .size:           2
        .value_kind:     hidden_remainder_z
      - .offset:         3416
        .size:           8
        .value_kind:     hidden_global_offset_x
      - .offset:         3424
        .size:           8
        .value_kind:     hidden_global_offset_y
      - .offset:         3432
        .size:           8
        .value_kind:     hidden_global_offset_z
      - .offset:         3440
        .size:           2
        .value_kind:     hidden_grid_dims
    .group_segment_fixed_size: 0
    .kernarg_segment_align: 8
    .kernarg_segment_size: 3632
    .language:       OpenCL C
    .language_version:
      - 2
      - 0
    .max_flat_workgroup_size: 512
    .name:           _ZN2at6native12_GLOBAL__N_125multi_tensor_apply_kernelINS1_18TensorListMetadataILi1EEENS1_14UnaryOpFunctorIfLi1ELi1ELi0EEEJNS0_5FloorIfEEEEEvT_T0_DpT1_
    .private_segment_fixed_size: 0
    .sgpr_count:     32
    .sgpr_spill_count: 0
    .symbol:         _ZN2at6native12_GLOBAL__N_125multi_tensor_apply_kernelINS1_18TensorListMetadataILi1EEENS1_14UnaryOpFunctorIfLi1ELi1ELi0EEEJNS0_5FloorIfEEEEEvT_T0_DpT1_.kd
    .uniform_work_group_size: 1
    .uses_dynamic_stack: false
    .vgpr_count:     17
    .vgpr_spill_count: 0
    .wavefront_size: 64
  - .args:
      - .offset:         0
        .size:           3368
        .value_kind:     by_value
      - .offset:         3368
        .size:           1
        .value_kind:     by_value
      - .offset:         3369
        .size:           1
        .value_kind:     by_value
      - .offset:         3376
        .size:           4
        .value_kind:     hidden_block_count_x
      - .offset:         3380
        .size:           4
        .value_kind:     hidden_block_count_y
      - .offset:         3384
        .size:           4
        .value_kind:     hidden_block_count_z
      - .offset:         3388
        .size:           2
        .value_kind:     hidden_group_size_x
      - .offset:         3390
        .size:           2
        .value_kind:     hidden_group_size_y
      - .offset:         3392
        .size:           2
        .value_kind:     hidden_group_size_z
      - .offset:         3394
        .size:           2
        .value_kind:     hidden_remainder_x
      - .offset:         3396
        .size:           2
        .value_kind:     hidden_remainder_y
      - .offset:         3398
        .size:           2
        .value_kind:     hidden_remainder_z
      - .offset:         3416
        .size:           8
        .value_kind:     hidden_global_offset_x
      - .offset:         3424
        .size:           8
        .value_kind:     hidden_global_offset_y
      - .offset:         3432
        .size:           8
        .value_kind:     hidden_global_offset_z
      - .offset:         3440
        .size:           2
        .value_kind:     hidden_grid_dims
    .group_segment_fixed_size: 0
    .kernarg_segment_align: 8
    .kernarg_segment_size: 3632
    .language:       OpenCL C
    .language_version:
      - 2
      - 0
    .max_flat_workgroup_size: 512
    .name:           _ZN2at6native12_GLOBAL__N_125multi_tensor_apply_kernelINS1_18TensorListMetadataILi1EEENS1_14UnaryOpFunctorIN3c104HalfELi1ELi1ELi0EEEJNS0_5FloorIfEEEEEvT_T0_DpT1_
    .private_segment_fixed_size: 0
    .sgpr_count:     31
    .sgpr_spill_count: 0
    .symbol:         _ZN2at6native12_GLOBAL__N_125multi_tensor_apply_kernelINS1_18TensorListMetadataILi1EEENS1_14UnaryOpFunctorIN3c104HalfELi1ELi1ELi0EEEJNS0_5FloorIfEEEEEvT_T0_DpT1_.kd
    .uniform_work_group_size: 1
    .uses_dynamic_stack: false
    .vgpr_count:     17
    .vgpr_spill_count: 0
    .wavefront_size: 64
  - .args:
      - .offset:         0
        .size:           3368
        .value_kind:     by_value
      - .offset:         3368
        .size:           1
        .value_kind:     by_value
      - .offset:         3369
        .size:           1
        .value_kind:     by_value
      - .offset:         3376
        .size:           4
        .value_kind:     hidden_block_count_x
      - .offset:         3380
        .size:           4
        .value_kind:     hidden_block_count_y
      - .offset:         3384
        .size:           4
        .value_kind:     hidden_block_count_z
      - .offset:         3388
        .size:           2
        .value_kind:     hidden_group_size_x
      - .offset:         3390
        .size:           2
        .value_kind:     hidden_group_size_y
      - .offset:         3392
        .size:           2
        .value_kind:     hidden_group_size_z
      - .offset:         3394
        .size:           2
        .value_kind:     hidden_remainder_x
      - .offset:         3396
        .size:           2
        .value_kind:     hidden_remainder_y
      - .offset:         3398
        .size:           2
        .value_kind:     hidden_remainder_z
      - .offset:         3416
        .size:           8
        .value_kind:     hidden_global_offset_x
      - .offset:         3424
        .size:           8
        .value_kind:     hidden_global_offset_y
      - .offset:         3432
        .size:           8
        .value_kind:     hidden_global_offset_z
      - .offset:         3440
        .size:           2
        .value_kind:     hidden_grid_dims
    .group_segment_fixed_size: 0
    .kernarg_segment_align: 8
    .kernarg_segment_size: 3632
    .language:       OpenCL C
    .language_version:
      - 2
      - 0
    .max_flat_workgroup_size: 512
    .name:           _ZN2at6native12_GLOBAL__N_125multi_tensor_apply_kernelINS1_18TensorListMetadataILi1EEENS1_14UnaryOpFunctorIN3c108BFloat16ELi1ELi1ELi0EEEJNS0_5FloorIfEEEEEvT_T0_DpT1_
    .private_segment_fixed_size: 0
    .sgpr_count:     32
    .sgpr_spill_count: 0
    .symbol:         _ZN2at6native12_GLOBAL__N_125multi_tensor_apply_kernelINS1_18TensorListMetadataILi1EEENS1_14UnaryOpFunctorIN3c108BFloat16ELi1ELi1ELi0EEEJNS0_5FloorIfEEEEEvT_T0_DpT1_.kd
    .uniform_work_group_size: 1
    .uses_dynamic_stack: false
    .vgpr_count:     17
    .vgpr_spill_count: 0
    .wavefront_size: 64
  - .args:
      - .offset:         0
        .size:           3144
        .value_kind:     by_value
      - .offset:         3144
        .size:           1
        .value_kind:     by_value
      - .offset:         3145
        .size:           1
        .value_kind:     by_value
      - .offset:         3152
        .size:           4
        .value_kind:     hidden_block_count_x
      - .offset:         3156
        .size:           4
        .value_kind:     hidden_block_count_y
      - .offset:         3160
        .size:           4
        .value_kind:     hidden_block_count_z
      - .offset:         3164
        .size:           2
        .value_kind:     hidden_group_size_x
      - .offset:         3166
        .size:           2
        .value_kind:     hidden_group_size_y
      - .offset:         3168
        .size:           2
        .value_kind:     hidden_group_size_z
      - .offset:         3170
        .size:           2
        .value_kind:     hidden_remainder_x
      - .offset:         3172
        .size:           2
        .value_kind:     hidden_remainder_y
      - .offset:         3174
        .size:           2
        .value_kind:     hidden_remainder_z
      - .offset:         3192
        .size:           8
        .value_kind:     hidden_global_offset_x
      - .offset:         3200
        .size:           8
        .value_kind:     hidden_global_offset_y
      - .offset:         3208
        .size:           8
        .value_kind:     hidden_global_offset_z
      - .offset:         3216
        .size:           2
        .value_kind:     hidden_grid_dims
    .group_segment_fixed_size: 0
    .kernarg_segment_align: 8
    .kernarg_segment_size: 3408
    .language:       OpenCL C
    .language_version:
      - 2
      - 0
    .max_flat_workgroup_size: 512
    .name:           _ZN2at6native12_GLOBAL__N_125multi_tensor_apply_kernelINS1_18TensorListMetadataILi2EEENS1_14UnaryOpFunctorIdLi2ELi1ELi1EEEJNS0_4CeilIdEEEEEvT_T0_DpT1_
    .private_segment_fixed_size: 0
    .sgpr_count:     24
    .sgpr_spill_count: 0
    .symbol:         _ZN2at6native12_GLOBAL__N_125multi_tensor_apply_kernelINS1_18TensorListMetadataILi2EEENS1_14UnaryOpFunctorIdLi2ELi1ELi1EEEJNS0_4CeilIdEEEEEvT_T0_DpT1_.kd
    .uniform_work_group_size: 1
    .uses_dynamic_stack: false
    .vgpr_count:     33
    .vgpr_spill_count: 0
    .wavefront_size: 64
  - .args:
      - .offset:         0
        .size:           3144
        .value_kind:     by_value
      - .offset:         3144
        .size:           1
        .value_kind:     by_value
      - .offset:         3145
        .size:           1
        .value_kind:     by_value
      - .offset:         3152
        .size:           4
        .value_kind:     hidden_block_count_x
      - .offset:         3156
        .size:           4
        .value_kind:     hidden_block_count_y
      - .offset:         3160
        .size:           4
        .value_kind:     hidden_block_count_z
      - .offset:         3164
        .size:           2
        .value_kind:     hidden_group_size_x
      - .offset:         3166
        .size:           2
        .value_kind:     hidden_group_size_y
      - .offset:         3168
        .size:           2
        .value_kind:     hidden_group_size_z
      - .offset:         3170
        .size:           2
        .value_kind:     hidden_remainder_x
      - .offset:         3172
        .size:           2
        .value_kind:     hidden_remainder_y
      - .offset:         3174
        .size:           2
        .value_kind:     hidden_remainder_z
      - .offset:         3192
        .size:           8
        .value_kind:     hidden_global_offset_x
      - .offset:         3200
        .size:           8
        .value_kind:     hidden_global_offset_y
      - .offset:         3208
        .size:           8
        .value_kind:     hidden_global_offset_z
      - .offset:         3216
        .size:           2
        .value_kind:     hidden_grid_dims
    .group_segment_fixed_size: 0
    .kernarg_segment_align: 8
    .kernarg_segment_size: 3408
    .language:       OpenCL C
    .language_version:
      - 2
      - 0
    .max_flat_workgroup_size: 512
    .name:           _ZN2at6native12_GLOBAL__N_125multi_tensor_apply_kernelINS1_18TensorListMetadataILi2EEENS1_14UnaryOpFunctorIfLi2ELi1ELi1EEEJNS0_4CeilIfEEEEEvT_T0_DpT1_
    .private_segment_fixed_size: 0
    .sgpr_count:     24
    .sgpr_spill_count: 0
    .symbol:         _ZN2at6native12_GLOBAL__N_125multi_tensor_apply_kernelINS1_18TensorListMetadataILi2EEENS1_14UnaryOpFunctorIfLi2ELi1ELi1EEEJNS0_4CeilIfEEEEEvT_T0_DpT1_.kd
    .uniform_work_group_size: 1
    .uses_dynamic_stack: false
    .vgpr_count:     29
    .vgpr_spill_count: 0
    .wavefront_size: 64
  - .args:
      - .offset:         0
        .size:           3144
        .value_kind:     by_value
      - .offset:         3144
        .size:           1
        .value_kind:     by_value
      - .offset:         3145
        .size:           1
        .value_kind:     by_value
      - .offset:         3152
        .size:           4
        .value_kind:     hidden_block_count_x
      - .offset:         3156
        .size:           4
        .value_kind:     hidden_block_count_y
      - .offset:         3160
        .size:           4
        .value_kind:     hidden_block_count_z
      - .offset:         3164
        .size:           2
        .value_kind:     hidden_group_size_x
      - .offset:         3166
        .size:           2
        .value_kind:     hidden_group_size_y
      - .offset:         3168
        .size:           2
        .value_kind:     hidden_group_size_z
      - .offset:         3170
        .size:           2
        .value_kind:     hidden_remainder_x
      - .offset:         3172
        .size:           2
        .value_kind:     hidden_remainder_y
      - .offset:         3174
        .size:           2
        .value_kind:     hidden_remainder_z
      - .offset:         3192
        .size:           8
        .value_kind:     hidden_global_offset_x
      - .offset:         3200
        .size:           8
        .value_kind:     hidden_global_offset_y
      - .offset:         3208
        .size:           8
        .value_kind:     hidden_global_offset_z
      - .offset:         3216
        .size:           2
        .value_kind:     hidden_grid_dims
    .group_segment_fixed_size: 0
    .kernarg_segment_align: 8
    .kernarg_segment_size: 3408
    .language:       OpenCL C
    .language_version:
      - 2
      - 0
    .max_flat_workgroup_size: 512
    .name:           _ZN2at6native12_GLOBAL__N_125multi_tensor_apply_kernelINS1_18TensorListMetadataILi2EEENS1_14UnaryOpFunctorIN3c104HalfELi2ELi1ELi1EEEJNS0_4CeilIfEEEEEvT_T0_DpT1_
    .private_segment_fixed_size: 0
    .sgpr_count:     24
    .sgpr_spill_count: 0
    .symbol:         _ZN2at6native12_GLOBAL__N_125multi_tensor_apply_kernelINS1_18TensorListMetadataILi2EEENS1_14UnaryOpFunctorIN3c104HalfELi2ELi1ELi1EEEJNS0_4CeilIfEEEEEvT_T0_DpT1_.kd
    .uniform_work_group_size: 1
    .uses_dynamic_stack: false
    .vgpr_count:     29
    .vgpr_spill_count: 0
    .wavefront_size: 64
  - .args:
      - .offset:         0
        .size:           3144
        .value_kind:     by_value
      - .offset:         3144
        .size:           1
        .value_kind:     by_value
      - .offset:         3145
        .size:           1
        .value_kind:     by_value
      - .offset:         3152
        .size:           4
        .value_kind:     hidden_block_count_x
      - .offset:         3156
        .size:           4
        .value_kind:     hidden_block_count_y
      - .offset:         3160
        .size:           4
        .value_kind:     hidden_block_count_z
      - .offset:         3164
        .size:           2
        .value_kind:     hidden_group_size_x
      - .offset:         3166
        .size:           2
        .value_kind:     hidden_group_size_y
      - .offset:         3168
        .size:           2
        .value_kind:     hidden_group_size_z
      - .offset:         3170
        .size:           2
        .value_kind:     hidden_remainder_x
      - .offset:         3172
        .size:           2
        .value_kind:     hidden_remainder_y
      - .offset:         3174
        .size:           2
        .value_kind:     hidden_remainder_z
      - .offset:         3192
        .size:           8
        .value_kind:     hidden_global_offset_x
      - .offset:         3200
        .size:           8
        .value_kind:     hidden_global_offset_y
      - .offset:         3208
        .size:           8
        .value_kind:     hidden_global_offset_z
      - .offset:         3216
        .size:           2
        .value_kind:     hidden_grid_dims
    .group_segment_fixed_size: 0
    .kernarg_segment_align: 8
    .kernarg_segment_size: 3408
    .language:       OpenCL C
    .language_version:
      - 2
      - 0
    .max_flat_workgroup_size: 512
    .name:           _ZN2at6native12_GLOBAL__N_125multi_tensor_apply_kernelINS1_18TensorListMetadataILi2EEENS1_14UnaryOpFunctorIN3c108BFloat16ELi2ELi1ELi1EEEJNS0_4CeilIfEEEEEvT_T0_DpT1_
    .private_segment_fixed_size: 0
    .sgpr_count:     27
    .sgpr_spill_count: 0
    .symbol:         _ZN2at6native12_GLOBAL__N_125multi_tensor_apply_kernelINS1_18TensorListMetadataILi2EEENS1_14UnaryOpFunctorIN3c108BFloat16ELi2ELi1ELi1EEEJNS0_4CeilIfEEEEEvT_T0_DpT1_.kd
    .uniform_work_group_size: 1
    .uses_dynamic_stack: false
    .vgpr_count:     30
    .vgpr_spill_count: 0
    .wavefront_size: 64
  - .args:
      - .offset:         0
        .size:           3368
        .value_kind:     by_value
      - .offset:         3368
        .size:           1
        .value_kind:     by_value
      - .offset:         3369
        .size:           1
        .value_kind:     by_value
      - .offset:         3376
        .size:           4
        .value_kind:     hidden_block_count_x
      - .offset:         3380
        .size:           4
        .value_kind:     hidden_block_count_y
      - .offset:         3384
        .size:           4
        .value_kind:     hidden_block_count_z
      - .offset:         3388
        .size:           2
        .value_kind:     hidden_group_size_x
      - .offset:         3390
        .size:           2
        .value_kind:     hidden_group_size_y
      - .offset:         3392
        .size:           2
        .value_kind:     hidden_group_size_z
      - .offset:         3394
        .size:           2
        .value_kind:     hidden_remainder_x
      - .offset:         3396
        .size:           2
        .value_kind:     hidden_remainder_y
      - .offset:         3398
        .size:           2
        .value_kind:     hidden_remainder_z
      - .offset:         3416
        .size:           8
        .value_kind:     hidden_global_offset_x
      - .offset:         3424
        .size:           8
        .value_kind:     hidden_global_offset_y
      - .offset:         3432
        .size:           8
        .value_kind:     hidden_global_offset_z
      - .offset:         3440
        .size:           2
        .value_kind:     hidden_grid_dims
    .group_segment_fixed_size: 0
    .kernarg_segment_align: 8
    .kernarg_segment_size: 3632
    .language:       OpenCL C
    .language_version:
      - 2
      - 0
    .max_flat_workgroup_size: 512
    .name:           _ZN2at6native12_GLOBAL__N_125multi_tensor_apply_kernelINS1_18TensorListMetadataILi1EEENS1_14UnaryOpFunctorIdLi1ELi1ELi0EEEJNS0_4CeilIdEEEEEvT_T0_DpT1_
    .private_segment_fixed_size: 0
    .sgpr_count:     32
    .sgpr_spill_count: 0
    .symbol:         _ZN2at6native12_GLOBAL__N_125multi_tensor_apply_kernelINS1_18TensorListMetadataILi1EEENS1_14UnaryOpFunctorIdLi1ELi1ELi0EEEJNS0_4CeilIdEEEEEvT_T0_DpT1_.kd
    .uniform_work_group_size: 1
    .uses_dynamic_stack: false
    .vgpr_count:     21
    .vgpr_spill_count: 0
    .wavefront_size: 64
  - .args:
      - .offset:         0
        .size:           3368
        .value_kind:     by_value
      - .offset:         3368
        .size:           1
        .value_kind:     by_value
      - .offset:         3369
        .size:           1
        .value_kind:     by_value
      - .offset:         3376
        .size:           4
        .value_kind:     hidden_block_count_x
      - .offset:         3380
        .size:           4
        .value_kind:     hidden_block_count_y
      - .offset:         3384
        .size:           4
        .value_kind:     hidden_block_count_z
      - .offset:         3388
        .size:           2
        .value_kind:     hidden_group_size_x
      - .offset:         3390
        .size:           2
        .value_kind:     hidden_group_size_y
      - .offset:         3392
        .size:           2
        .value_kind:     hidden_group_size_z
      - .offset:         3394
        .size:           2
        .value_kind:     hidden_remainder_x
      - .offset:         3396
        .size:           2
        .value_kind:     hidden_remainder_y
      - .offset:         3398
        .size:           2
        .value_kind:     hidden_remainder_z
      - .offset:         3416
        .size:           8
        .value_kind:     hidden_global_offset_x
      - .offset:         3424
        .size:           8
        .value_kind:     hidden_global_offset_y
      - .offset:         3432
        .size:           8
        .value_kind:     hidden_global_offset_z
      - .offset:         3440
        .size:           2
        .value_kind:     hidden_grid_dims
    .group_segment_fixed_size: 0
    .kernarg_segment_align: 8
    .kernarg_segment_size: 3632
    .language:       OpenCL C
    .language_version:
      - 2
      - 0
    .max_flat_workgroup_size: 512
    .name:           _ZN2at6native12_GLOBAL__N_125multi_tensor_apply_kernelINS1_18TensorListMetadataILi1EEENS1_14UnaryOpFunctorIfLi1ELi1ELi0EEEJNS0_4CeilIfEEEEEvT_T0_DpT1_
    .private_segment_fixed_size: 0
    .sgpr_count:     32
    .sgpr_spill_count: 0
    .symbol:         _ZN2at6native12_GLOBAL__N_125multi_tensor_apply_kernelINS1_18TensorListMetadataILi1EEENS1_14UnaryOpFunctorIfLi1ELi1ELi0EEEJNS0_4CeilIfEEEEEvT_T0_DpT1_.kd
    .uniform_work_group_size: 1
    .uses_dynamic_stack: false
    .vgpr_count:     17
    .vgpr_spill_count: 0
    .wavefront_size: 64
  - .args:
      - .offset:         0
        .size:           3368
        .value_kind:     by_value
      - .offset:         3368
        .size:           1
        .value_kind:     by_value
      - .offset:         3369
        .size:           1
        .value_kind:     by_value
      - .offset:         3376
        .size:           4
        .value_kind:     hidden_block_count_x
      - .offset:         3380
        .size:           4
        .value_kind:     hidden_block_count_y
      - .offset:         3384
        .size:           4
        .value_kind:     hidden_block_count_z
      - .offset:         3388
        .size:           2
        .value_kind:     hidden_group_size_x
      - .offset:         3390
        .size:           2
        .value_kind:     hidden_group_size_y
      - .offset:         3392
        .size:           2
        .value_kind:     hidden_group_size_z
      - .offset:         3394
        .size:           2
        .value_kind:     hidden_remainder_x
      - .offset:         3396
        .size:           2
        .value_kind:     hidden_remainder_y
      - .offset:         3398
        .size:           2
        .value_kind:     hidden_remainder_z
      - .offset:         3416
        .size:           8
        .value_kind:     hidden_global_offset_x
      - .offset:         3424
        .size:           8
        .value_kind:     hidden_global_offset_y
      - .offset:         3432
        .size:           8
        .value_kind:     hidden_global_offset_z
      - .offset:         3440
        .size:           2
        .value_kind:     hidden_grid_dims
    .group_segment_fixed_size: 0
    .kernarg_segment_align: 8
    .kernarg_segment_size: 3632
    .language:       OpenCL C
    .language_version:
      - 2
      - 0
    .max_flat_workgroup_size: 512
    .name:           _ZN2at6native12_GLOBAL__N_125multi_tensor_apply_kernelINS1_18TensorListMetadataILi1EEENS1_14UnaryOpFunctorIN3c104HalfELi1ELi1ELi0EEEJNS0_4CeilIfEEEEEvT_T0_DpT1_
    .private_segment_fixed_size: 0
    .sgpr_count:     31
    .sgpr_spill_count: 0
    .symbol:         _ZN2at6native12_GLOBAL__N_125multi_tensor_apply_kernelINS1_18TensorListMetadataILi1EEENS1_14UnaryOpFunctorIN3c104HalfELi1ELi1ELi0EEEJNS0_4CeilIfEEEEEvT_T0_DpT1_.kd
    .uniform_work_group_size: 1
    .uses_dynamic_stack: false
    .vgpr_count:     17
    .vgpr_spill_count: 0
    .wavefront_size: 64
  - .args:
      - .offset:         0
        .size:           3368
        .value_kind:     by_value
      - .offset:         3368
        .size:           1
        .value_kind:     by_value
      - .offset:         3369
        .size:           1
        .value_kind:     by_value
      - .offset:         3376
        .size:           4
        .value_kind:     hidden_block_count_x
      - .offset:         3380
        .size:           4
        .value_kind:     hidden_block_count_y
      - .offset:         3384
        .size:           4
        .value_kind:     hidden_block_count_z
      - .offset:         3388
        .size:           2
        .value_kind:     hidden_group_size_x
      - .offset:         3390
        .size:           2
        .value_kind:     hidden_group_size_y
      - .offset:         3392
        .size:           2
        .value_kind:     hidden_group_size_z
      - .offset:         3394
        .size:           2
        .value_kind:     hidden_remainder_x
      - .offset:         3396
        .size:           2
        .value_kind:     hidden_remainder_y
      - .offset:         3398
        .size:           2
        .value_kind:     hidden_remainder_z
      - .offset:         3416
        .size:           8
        .value_kind:     hidden_global_offset_x
      - .offset:         3424
        .size:           8
        .value_kind:     hidden_global_offset_y
      - .offset:         3432
        .size:           8
        .value_kind:     hidden_global_offset_z
      - .offset:         3440
        .size:           2
        .value_kind:     hidden_grid_dims
    .group_segment_fixed_size: 0
    .kernarg_segment_align: 8
    .kernarg_segment_size: 3632
    .language:       OpenCL C
    .language_version:
      - 2
      - 0
    .max_flat_workgroup_size: 512
    .name:           _ZN2at6native12_GLOBAL__N_125multi_tensor_apply_kernelINS1_18TensorListMetadataILi1EEENS1_14UnaryOpFunctorIN3c108BFloat16ELi1ELi1ELi0EEEJNS0_4CeilIfEEEEEvT_T0_DpT1_
    .private_segment_fixed_size: 0
    .sgpr_count:     32
    .sgpr_spill_count: 0
    .symbol:         _ZN2at6native12_GLOBAL__N_125multi_tensor_apply_kernelINS1_18TensorListMetadataILi1EEENS1_14UnaryOpFunctorIN3c108BFloat16ELi1ELi1ELi0EEEJNS0_4CeilIfEEEEEvT_T0_DpT1_.kd
    .uniform_work_group_size: 1
    .uses_dynamic_stack: false
    .vgpr_count:     17
    .vgpr_spill_count: 0
    .wavefront_size: 64
  - .args:
      - .offset:         0
        .size:           3144
        .value_kind:     by_value
      - .offset:         3144
        .size:           1
        .value_kind:     by_value
      - .offset:         3145
        .size:           1
        .value_kind:     by_value
      - .offset:         3152
        .size:           4
        .value_kind:     hidden_block_count_x
      - .offset:         3156
        .size:           4
        .value_kind:     hidden_block_count_y
      - .offset:         3160
        .size:           4
        .value_kind:     hidden_block_count_z
      - .offset:         3164
        .size:           2
        .value_kind:     hidden_group_size_x
      - .offset:         3166
        .size:           2
        .value_kind:     hidden_group_size_y
      - .offset:         3168
        .size:           2
        .value_kind:     hidden_group_size_z
      - .offset:         3170
        .size:           2
        .value_kind:     hidden_remainder_x
      - .offset:         3172
        .size:           2
        .value_kind:     hidden_remainder_y
      - .offset:         3174
        .size:           2
        .value_kind:     hidden_remainder_z
      - .offset:         3192
        .size:           8
        .value_kind:     hidden_global_offset_x
      - .offset:         3200
        .size:           8
        .value_kind:     hidden_global_offset_y
      - .offset:         3208
        .size:           8
        .value_kind:     hidden_global_offset_z
      - .offset:         3216
        .size:           2
        .value_kind:     hidden_grid_dims
    .group_segment_fixed_size: 0
    .kernarg_segment_align: 8
    .kernarg_segment_size: 3408
    .language:       OpenCL C
    .language_version:
      - 2
      - 0
    .max_flat_workgroup_size: 512
    .name:           _ZN2at6native12_GLOBAL__N_125multi_tensor_apply_kernelINS1_18TensorListMetadataILi2EEENS1_14UnaryOpFunctorIdLi2ELi1ELi1EEEJNS0_4AcosIdEEEEEvT_T0_DpT1_
    .private_segment_fixed_size: 0
    .sgpr_count:     55
    .sgpr_spill_count: 0
    .symbol:         _ZN2at6native12_GLOBAL__N_125multi_tensor_apply_kernelINS1_18TensorListMetadataILi2EEENS1_14UnaryOpFunctorIdLi2ELi1ELi1EEEJNS0_4AcosIdEEEEEvT_T0_DpT1_.kd
    .uniform_work_group_size: 1
    .uses_dynamic_stack: false
    .vgpr_count:     55
    .vgpr_spill_count: 0
    .wavefront_size: 64
  - .args:
      - .offset:         0
        .size:           3144
        .value_kind:     by_value
      - .offset:         3144
        .size:           1
        .value_kind:     by_value
      - .offset:         3145
        .size:           1
        .value_kind:     by_value
      - .offset:         3152
        .size:           4
        .value_kind:     hidden_block_count_x
      - .offset:         3156
        .size:           4
        .value_kind:     hidden_block_count_y
      - .offset:         3160
        .size:           4
        .value_kind:     hidden_block_count_z
      - .offset:         3164
        .size:           2
        .value_kind:     hidden_group_size_x
      - .offset:         3166
        .size:           2
        .value_kind:     hidden_group_size_y
      - .offset:         3168
        .size:           2
        .value_kind:     hidden_group_size_z
      - .offset:         3170
        .size:           2
        .value_kind:     hidden_remainder_x
      - .offset:         3172
        .size:           2
        .value_kind:     hidden_remainder_y
      - .offset:         3174
        .size:           2
        .value_kind:     hidden_remainder_z
      - .offset:         3192
        .size:           8
        .value_kind:     hidden_global_offset_x
      - .offset:         3200
        .size:           8
        .value_kind:     hidden_global_offset_y
      - .offset:         3208
        .size:           8
        .value_kind:     hidden_global_offset_z
      - .offset:         3216
        .size:           2
        .value_kind:     hidden_grid_dims
    .group_segment_fixed_size: 0
    .kernarg_segment_align: 8
    .kernarg_segment_size: 3408
    .language:       OpenCL C
    .language_version:
      - 2
      - 0
    .max_flat_workgroup_size: 512
    .name:           _ZN2at6native12_GLOBAL__N_125multi_tensor_apply_kernelINS1_18TensorListMetadataILi2EEENS1_14UnaryOpFunctorIfLi2ELi1ELi1EEEJNS0_4AcosIfEEEEEvT_T0_DpT1_
    .private_segment_fixed_size: 0
    .sgpr_count:     36
    .sgpr_spill_count: 0
    .symbol:         _ZN2at6native12_GLOBAL__N_125multi_tensor_apply_kernelINS1_18TensorListMetadataILi2EEENS1_14UnaryOpFunctorIfLi2ELi1ELi1EEEJNS0_4AcosIfEEEEEvT_T0_DpT1_.kd
    .uniform_work_group_size: 1
    .uses_dynamic_stack: false
    .vgpr_count:     34
    .vgpr_spill_count: 0
    .wavefront_size: 64
  - .args:
      - .offset:         0
        .size:           3144
        .value_kind:     by_value
      - .offset:         3144
        .size:           1
        .value_kind:     by_value
      - .offset:         3145
        .size:           1
        .value_kind:     by_value
      - .offset:         3152
        .size:           4
        .value_kind:     hidden_block_count_x
      - .offset:         3156
        .size:           4
        .value_kind:     hidden_block_count_y
      - .offset:         3160
        .size:           4
        .value_kind:     hidden_block_count_z
      - .offset:         3164
        .size:           2
        .value_kind:     hidden_group_size_x
      - .offset:         3166
        .size:           2
        .value_kind:     hidden_group_size_y
      - .offset:         3168
        .size:           2
        .value_kind:     hidden_group_size_z
      - .offset:         3170
        .size:           2
        .value_kind:     hidden_remainder_x
      - .offset:         3172
        .size:           2
        .value_kind:     hidden_remainder_y
      - .offset:         3174
        .size:           2
        .value_kind:     hidden_remainder_z
      - .offset:         3192
        .size:           8
        .value_kind:     hidden_global_offset_x
      - .offset:         3200
        .size:           8
        .value_kind:     hidden_global_offset_y
      - .offset:         3208
        .size:           8
        .value_kind:     hidden_global_offset_z
      - .offset:         3216
        .size:           2
        .value_kind:     hidden_grid_dims
    .group_segment_fixed_size: 0
    .kernarg_segment_align: 8
    .kernarg_segment_size: 3408
    .language:       OpenCL C
    .language_version:
      - 2
      - 0
    .max_flat_workgroup_size: 512
    .name:           _ZN2at6native12_GLOBAL__N_125multi_tensor_apply_kernelINS1_18TensorListMetadataILi2EEENS1_14UnaryOpFunctorIN3c107complexIdEELi2ELi1ELi1EEEJNS0_4AcosIS8_EEEEEvT_T0_DpT1_
    .private_segment_fixed_size: 24
    .sgpr_count:     106
    .sgpr_spill_count: 22
    .symbol:         _ZN2at6native12_GLOBAL__N_125multi_tensor_apply_kernelINS1_18TensorListMetadataILi2EEENS1_14UnaryOpFunctorIN3c107complexIdEELi2ELi1ELi1EEEJNS0_4AcosIS8_EEEEEvT_T0_DpT1_.kd
    .uniform_work_group_size: 1
    .uses_dynamic_stack: false
    .vgpr_count:     84
    .vgpr_spill_count: 0
    .wavefront_size: 64
  - .args:
      - .offset:         0
        .size:           3144
        .value_kind:     by_value
      - .offset:         3144
        .size:           1
        .value_kind:     by_value
      - .offset:         3145
        .size:           1
        .value_kind:     by_value
      - .offset:         3152
        .size:           4
        .value_kind:     hidden_block_count_x
      - .offset:         3156
        .size:           4
        .value_kind:     hidden_block_count_y
      - .offset:         3160
        .size:           4
        .value_kind:     hidden_block_count_z
      - .offset:         3164
        .size:           2
        .value_kind:     hidden_group_size_x
      - .offset:         3166
        .size:           2
        .value_kind:     hidden_group_size_y
      - .offset:         3168
        .size:           2
        .value_kind:     hidden_group_size_z
      - .offset:         3170
        .size:           2
        .value_kind:     hidden_remainder_x
      - .offset:         3172
        .size:           2
        .value_kind:     hidden_remainder_y
      - .offset:         3174
        .size:           2
        .value_kind:     hidden_remainder_z
      - .offset:         3192
        .size:           8
        .value_kind:     hidden_global_offset_x
      - .offset:         3200
        .size:           8
        .value_kind:     hidden_global_offset_y
      - .offset:         3208
        .size:           8
        .value_kind:     hidden_global_offset_z
      - .offset:         3216
        .size:           2
        .value_kind:     hidden_grid_dims
    .group_segment_fixed_size: 0
    .kernarg_segment_align: 8
    .kernarg_segment_size: 3408
    .language:       OpenCL C
    .language_version:
      - 2
      - 0
    .max_flat_workgroup_size: 512
    .name:           _ZN2at6native12_GLOBAL__N_125multi_tensor_apply_kernelINS1_18TensorListMetadataILi2EEENS1_14UnaryOpFunctorIN3c107complexIfEELi2ELi1ELi1EEEJNS0_4AcosIS8_EEEEEvT_T0_DpT1_
    .private_segment_fixed_size: 16
    .sgpr_count:     92
    .sgpr_spill_count: 0
    .symbol:         _ZN2at6native12_GLOBAL__N_125multi_tensor_apply_kernelINS1_18TensorListMetadataILi2EEENS1_14UnaryOpFunctorIN3c107complexIfEELi2ELi1ELi1EEEJNS0_4AcosIS8_EEEEEvT_T0_DpT1_.kd
    .uniform_work_group_size: 1
    .uses_dynamic_stack: false
    .vgpr_count:     56
    .vgpr_spill_count: 0
    .wavefront_size: 64
  - .args:
      - .offset:         0
        .size:           3144
        .value_kind:     by_value
      - .offset:         3144
        .size:           1
        .value_kind:     by_value
      - .offset:         3145
        .size:           1
        .value_kind:     by_value
      - .offset:         3152
        .size:           4
        .value_kind:     hidden_block_count_x
      - .offset:         3156
        .size:           4
        .value_kind:     hidden_block_count_y
      - .offset:         3160
        .size:           4
        .value_kind:     hidden_block_count_z
      - .offset:         3164
        .size:           2
        .value_kind:     hidden_group_size_x
      - .offset:         3166
        .size:           2
        .value_kind:     hidden_group_size_y
      - .offset:         3168
        .size:           2
        .value_kind:     hidden_group_size_z
      - .offset:         3170
        .size:           2
        .value_kind:     hidden_remainder_x
      - .offset:         3172
        .size:           2
        .value_kind:     hidden_remainder_y
      - .offset:         3174
        .size:           2
        .value_kind:     hidden_remainder_z
      - .offset:         3192
        .size:           8
        .value_kind:     hidden_global_offset_x
      - .offset:         3200
        .size:           8
        .value_kind:     hidden_global_offset_y
      - .offset:         3208
        .size:           8
        .value_kind:     hidden_global_offset_z
      - .offset:         3216
        .size:           2
        .value_kind:     hidden_grid_dims
    .group_segment_fixed_size: 0
    .kernarg_segment_align: 8
    .kernarg_segment_size: 3408
    .language:       OpenCL C
    .language_version:
      - 2
      - 0
    .max_flat_workgroup_size: 512
    .name:           _ZN2at6native12_GLOBAL__N_125multi_tensor_apply_kernelINS1_18TensorListMetadataILi2EEENS1_14UnaryOpFunctorIN3c104HalfELi2ELi1ELi1EEEJNS0_4AcosIfEEEEEvT_T0_DpT1_
    .private_segment_fixed_size: 0
    .sgpr_count:     38
    .sgpr_spill_count: 0
    .symbol:         _ZN2at6native12_GLOBAL__N_125multi_tensor_apply_kernelINS1_18TensorListMetadataILi2EEENS1_14UnaryOpFunctorIN3c104HalfELi2ELi1ELi1EEEJNS0_4AcosIfEEEEEvT_T0_DpT1_.kd
    .uniform_work_group_size: 1
    .uses_dynamic_stack: false
    .vgpr_count:     36
    .vgpr_spill_count: 0
    .wavefront_size: 64
  - .args:
      - .offset:         0
        .size:           3144
        .value_kind:     by_value
      - .offset:         3144
        .size:           1
        .value_kind:     by_value
      - .offset:         3145
        .size:           1
        .value_kind:     by_value
      - .offset:         3152
        .size:           4
        .value_kind:     hidden_block_count_x
      - .offset:         3156
        .size:           4
        .value_kind:     hidden_block_count_y
      - .offset:         3160
        .size:           4
        .value_kind:     hidden_block_count_z
      - .offset:         3164
        .size:           2
        .value_kind:     hidden_group_size_x
      - .offset:         3166
        .size:           2
        .value_kind:     hidden_group_size_y
      - .offset:         3168
        .size:           2
        .value_kind:     hidden_group_size_z
      - .offset:         3170
        .size:           2
        .value_kind:     hidden_remainder_x
      - .offset:         3172
        .size:           2
        .value_kind:     hidden_remainder_y
      - .offset:         3174
        .size:           2
        .value_kind:     hidden_remainder_z
      - .offset:         3192
        .size:           8
        .value_kind:     hidden_global_offset_x
      - .offset:         3200
        .size:           8
        .value_kind:     hidden_global_offset_y
      - .offset:         3208
        .size:           8
        .value_kind:     hidden_global_offset_z
      - .offset:         3216
        .size:           2
        .value_kind:     hidden_grid_dims
    .group_segment_fixed_size: 0
    .kernarg_segment_align: 8
    .kernarg_segment_size: 3408
    .language:       OpenCL C
    .language_version:
      - 2
      - 0
    .max_flat_workgroup_size: 512
    .name:           _ZN2at6native12_GLOBAL__N_125multi_tensor_apply_kernelINS1_18TensorListMetadataILi2EEENS1_14UnaryOpFunctorIN3c108BFloat16ELi2ELi1ELi1EEEJNS0_4AcosIfEEEEEvT_T0_DpT1_
    .private_segment_fixed_size: 0
    .sgpr_count:     35
    .sgpr_spill_count: 0
    .symbol:         _ZN2at6native12_GLOBAL__N_125multi_tensor_apply_kernelINS1_18TensorListMetadataILi2EEENS1_14UnaryOpFunctorIN3c108BFloat16ELi2ELi1ELi1EEEJNS0_4AcosIfEEEEEvT_T0_DpT1_.kd
    .uniform_work_group_size: 1
    .uses_dynamic_stack: false
    .vgpr_count:     35
    .vgpr_spill_count: 0
    .wavefront_size: 64
  - .args:
      - .offset:         0
        .size:           3368
        .value_kind:     by_value
      - .offset:         3368
        .size:           1
        .value_kind:     by_value
      - .offset:         3369
        .size:           1
        .value_kind:     by_value
      - .offset:         3376
        .size:           4
        .value_kind:     hidden_block_count_x
      - .offset:         3380
        .size:           4
        .value_kind:     hidden_block_count_y
      - .offset:         3384
        .size:           4
        .value_kind:     hidden_block_count_z
      - .offset:         3388
        .size:           2
        .value_kind:     hidden_group_size_x
      - .offset:         3390
        .size:           2
        .value_kind:     hidden_group_size_y
      - .offset:         3392
        .size:           2
        .value_kind:     hidden_group_size_z
      - .offset:         3394
        .size:           2
        .value_kind:     hidden_remainder_x
      - .offset:         3396
        .size:           2
        .value_kind:     hidden_remainder_y
      - .offset:         3398
        .size:           2
        .value_kind:     hidden_remainder_z
      - .offset:         3416
        .size:           8
        .value_kind:     hidden_global_offset_x
      - .offset:         3424
        .size:           8
        .value_kind:     hidden_global_offset_y
      - .offset:         3432
        .size:           8
        .value_kind:     hidden_global_offset_z
      - .offset:         3440
        .size:           2
        .value_kind:     hidden_grid_dims
    .group_segment_fixed_size: 0
    .kernarg_segment_align: 8
    .kernarg_segment_size: 3632
    .language:       OpenCL C
    .language_version:
      - 2
      - 0
    .max_flat_workgroup_size: 512
    .name:           _ZN2at6native12_GLOBAL__N_125multi_tensor_apply_kernelINS1_18TensorListMetadataILi1EEENS1_14UnaryOpFunctorIdLi1ELi1ELi0EEEJNS0_4AcosIdEEEEEvT_T0_DpT1_
    .private_segment_fixed_size: 0
    .sgpr_count:     59
    .sgpr_spill_count: 0
    .symbol:         _ZN2at6native12_GLOBAL__N_125multi_tensor_apply_kernelINS1_18TensorListMetadataILi1EEENS1_14UnaryOpFunctorIdLi1ELi1ELi0EEEJNS0_4AcosIdEEEEEvT_T0_DpT1_.kd
    .uniform_work_group_size: 1
    .uses_dynamic_stack: false
    .vgpr_count:     37
    .vgpr_spill_count: 0
    .wavefront_size: 64
  - .args:
      - .offset:         0
        .size:           3368
        .value_kind:     by_value
      - .offset:         3368
        .size:           1
        .value_kind:     by_value
      - .offset:         3369
        .size:           1
        .value_kind:     by_value
      - .offset:         3376
        .size:           4
        .value_kind:     hidden_block_count_x
      - .offset:         3380
        .size:           4
        .value_kind:     hidden_block_count_y
      - .offset:         3384
        .size:           4
        .value_kind:     hidden_block_count_z
      - .offset:         3388
        .size:           2
        .value_kind:     hidden_group_size_x
      - .offset:         3390
        .size:           2
        .value_kind:     hidden_group_size_y
      - .offset:         3392
        .size:           2
        .value_kind:     hidden_group_size_z
      - .offset:         3394
        .size:           2
        .value_kind:     hidden_remainder_x
      - .offset:         3396
        .size:           2
        .value_kind:     hidden_remainder_y
      - .offset:         3398
        .size:           2
        .value_kind:     hidden_remainder_z
      - .offset:         3416
        .size:           8
        .value_kind:     hidden_global_offset_x
      - .offset:         3424
        .size:           8
        .value_kind:     hidden_global_offset_y
      - .offset:         3432
        .size:           8
        .value_kind:     hidden_global_offset_z
      - .offset:         3440
        .size:           2
        .value_kind:     hidden_grid_dims
    .group_segment_fixed_size: 0
    .kernarg_segment_align: 8
    .kernarg_segment_size: 3632
    .language:       OpenCL C
    .language_version:
      - 2
      - 0
    .max_flat_workgroup_size: 512
    .name:           _ZN2at6native12_GLOBAL__N_125multi_tensor_apply_kernelINS1_18TensorListMetadataILi1EEENS1_14UnaryOpFunctorIfLi1ELi1ELi0EEEJNS0_4AcosIfEEEEEvT_T0_DpT1_
    .private_segment_fixed_size: 0
    .sgpr_count:     32
    .sgpr_spill_count: 0
    .symbol:         _ZN2at6native12_GLOBAL__N_125multi_tensor_apply_kernelINS1_18TensorListMetadataILi1EEENS1_14UnaryOpFunctorIfLi1ELi1ELi0EEEJNS0_4AcosIfEEEEEvT_T0_DpT1_.kd
    .uniform_work_group_size: 1
    .uses_dynamic_stack: false
    .vgpr_count:     22
    .vgpr_spill_count: 0
    .wavefront_size: 64
  - .args:
      - .offset:         0
        .size:           3368
        .value_kind:     by_value
      - .offset:         3368
        .size:           1
        .value_kind:     by_value
      - .offset:         3369
        .size:           1
        .value_kind:     by_value
      - .offset:         3376
        .size:           4
        .value_kind:     hidden_block_count_x
      - .offset:         3380
        .size:           4
        .value_kind:     hidden_block_count_y
      - .offset:         3384
        .size:           4
        .value_kind:     hidden_block_count_z
      - .offset:         3388
        .size:           2
        .value_kind:     hidden_group_size_x
      - .offset:         3390
        .size:           2
        .value_kind:     hidden_group_size_y
      - .offset:         3392
        .size:           2
        .value_kind:     hidden_group_size_z
      - .offset:         3394
        .size:           2
        .value_kind:     hidden_remainder_x
      - .offset:         3396
        .size:           2
        .value_kind:     hidden_remainder_y
      - .offset:         3398
        .size:           2
        .value_kind:     hidden_remainder_z
      - .offset:         3416
        .size:           8
        .value_kind:     hidden_global_offset_x
      - .offset:         3424
        .size:           8
        .value_kind:     hidden_global_offset_y
      - .offset:         3432
        .size:           8
        .value_kind:     hidden_global_offset_z
      - .offset:         3440
        .size:           2
        .value_kind:     hidden_grid_dims
    .group_segment_fixed_size: 0
    .kernarg_segment_align: 8
    .kernarg_segment_size: 3632
    .language:       OpenCL C
    .language_version:
      - 2
      - 0
    .max_flat_workgroup_size: 512
    .name:           _ZN2at6native12_GLOBAL__N_125multi_tensor_apply_kernelINS1_18TensorListMetadataILi1EEENS1_14UnaryOpFunctorIN3c107complexIdEELi1ELi1ELi0EEEJNS0_4AcosIS8_EEEEEvT_T0_DpT1_
    .private_segment_fixed_size: 24
    .sgpr_count:     106
    .sgpr_spill_count: 22
    .symbol:         _ZN2at6native12_GLOBAL__N_125multi_tensor_apply_kernelINS1_18TensorListMetadataILi1EEENS1_14UnaryOpFunctorIN3c107complexIdEELi1ELi1ELi0EEEJNS0_4AcosIS8_EEEEEvT_T0_DpT1_.kd
    .uniform_work_group_size: 1
    .uses_dynamic_stack: false
    .vgpr_count:     88
    .vgpr_spill_count: 0
    .wavefront_size: 64
  - .args:
      - .offset:         0
        .size:           3368
        .value_kind:     by_value
      - .offset:         3368
        .size:           1
        .value_kind:     by_value
      - .offset:         3369
        .size:           1
        .value_kind:     by_value
      - .offset:         3376
        .size:           4
        .value_kind:     hidden_block_count_x
      - .offset:         3380
        .size:           4
        .value_kind:     hidden_block_count_y
      - .offset:         3384
        .size:           4
        .value_kind:     hidden_block_count_z
      - .offset:         3388
        .size:           2
        .value_kind:     hidden_group_size_x
      - .offset:         3390
        .size:           2
        .value_kind:     hidden_group_size_y
      - .offset:         3392
        .size:           2
        .value_kind:     hidden_group_size_z
      - .offset:         3394
        .size:           2
        .value_kind:     hidden_remainder_x
      - .offset:         3396
        .size:           2
        .value_kind:     hidden_remainder_y
      - .offset:         3398
        .size:           2
        .value_kind:     hidden_remainder_z
      - .offset:         3416
        .size:           8
        .value_kind:     hidden_global_offset_x
      - .offset:         3424
        .size:           8
        .value_kind:     hidden_global_offset_y
      - .offset:         3432
        .size:           8
        .value_kind:     hidden_global_offset_z
      - .offset:         3440
        .size:           2
        .value_kind:     hidden_grid_dims
    .group_segment_fixed_size: 0
    .kernarg_segment_align: 8
    .kernarg_segment_size: 3632
    .language:       OpenCL C
    .language_version:
      - 2
      - 0
    .max_flat_workgroup_size: 512
    .name:           _ZN2at6native12_GLOBAL__N_125multi_tensor_apply_kernelINS1_18TensorListMetadataILi1EEENS1_14UnaryOpFunctorIN3c107complexIfEELi1ELi1ELi0EEEJNS0_4AcosIS8_EEEEEvT_T0_DpT1_
    .private_segment_fixed_size: 16
    .sgpr_count:     94
    .sgpr_spill_count: 0
    .symbol:         _ZN2at6native12_GLOBAL__N_125multi_tensor_apply_kernelINS1_18TensorListMetadataILi1EEENS1_14UnaryOpFunctorIN3c107complexIfEELi1ELi1ELi0EEEJNS0_4AcosIS8_EEEEEvT_T0_DpT1_.kd
    .uniform_work_group_size: 1
    .uses_dynamic_stack: false
    .vgpr_count:     60
    .vgpr_spill_count: 0
    .wavefront_size: 64
  - .args:
      - .offset:         0
        .size:           3368
        .value_kind:     by_value
      - .offset:         3368
        .size:           1
        .value_kind:     by_value
      - .offset:         3369
        .size:           1
        .value_kind:     by_value
      - .offset:         3376
        .size:           4
        .value_kind:     hidden_block_count_x
      - .offset:         3380
        .size:           4
        .value_kind:     hidden_block_count_y
      - .offset:         3384
        .size:           4
        .value_kind:     hidden_block_count_z
      - .offset:         3388
        .size:           2
        .value_kind:     hidden_group_size_x
      - .offset:         3390
        .size:           2
        .value_kind:     hidden_group_size_y
      - .offset:         3392
        .size:           2
        .value_kind:     hidden_group_size_z
      - .offset:         3394
        .size:           2
        .value_kind:     hidden_remainder_x
      - .offset:         3396
        .size:           2
        .value_kind:     hidden_remainder_y
      - .offset:         3398
        .size:           2
        .value_kind:     hidden_remainder_z
      - .offset:         3416
        .size:           8
        .value_kind:     hidden_global_offset_x
      - .offset:         3424
        .size:           8
        .value_kind:     hidden_global_offset_y
      - .offset:         3432
        .size:           8
        .value_kind:     hidden_global_offset_z
      - .offset:         3440
        .size:           2
        .value_kind:     hidden_grid_dims
    .group_segment_fixed_size: 0
    .kernarg_segment_align: 8
    .kernarg_segment_size: 3632
    .language:       OpenCL C
    .language_version:
      - 2
      - 0
    .max_flat_workgroup_size: 512
    .name:           _ZN2at6native12_GLOBAL__N_125multi_tensor_apply_kernelINS1_18TensorListMetadataILi1EEENS1_14UnaryOpFunctorIN3c104HalfELi1ELi1ELi0EEEJNS0_4AcosIfEEEEEvT_T0_DpT1_
    .private_segment_fixed_size: 0
    .sgpr_count:     32
    .sgpr_spill_count: 0
    .symbol:         _ZN2at6native12_GLOBAL__N_125multi_tensor_apply_kernelINS1_18TensorListMetadataILi1EEENS1_14UnaryOpFunctorIN3c104HalfELi1ELi1ELi0EEEJNS0_4AcosIfEEEEEvT_T0_DpT1_.kd
    .uniform_work_group_size: 1
    .uses_dynamic_stack: false
    .vgpr_count:     24
    .vgpr_spill_count: 0
    .wavefront_size: 64
  - .args:
      - .offset:         0
        .size:           3368
        .value_kind:     by_value
      - .offset:         3368
        .size:           1
        .value_kind:     by_value
      - .offset:         3369
        .size:           1
        .value_kind:     by_value
      - .offset:         3376
        .size:           4
        .value_kind:     hidden_block_count_x
      - .offset:         3380
        .size:           4
        .value_kind:     hidden_block_count_y
      - .offset:         3384
        .size:           4
        .value_kind:     hidden_block_count_z
      - .offset:         3388
        .size:           2
        .value_kind:     hidden_group_size_x
      - .offset:         3390
        .size:           2
        .value_kind:     hidden_group_size_y
      - .offset:         3392
        .size:           2
        .value_kind:     hidden_group_size_z
      - .offset:         3394
        .size:           2
        .value_kind:     hidden_remainder_x
      - .offset:         3396
        .size:           2
        .value_kind:     hidden_remainder_y
      - .offset:         3398
        .size:           2
        .value_kind:     hidden_remainder_z
      - .offset:         3416
        .size:           8
        .value_kind:     hidden_global_offset_x
      - .offset:         3424
        .size:           8
        .value_kind:     hidden_global_offset_y
      - .offset:         3432
        .size:           8
        .value_kind:     hidden_global_offset_z
      - .offset:         3440
        .size:           2
        .value_kind:     hidden_grid_dims
    .group_segment_fixed_size: 0
    .kernarg_segment_align: 8
    .kernarg_segment_size: 3632
    .language:       OpenCL C
    .language_version:
      - 2
      - 0
    .max_flat_workgroup_size: 512
    .name:           _ZN2at6native12_GLOBAL__N_125multi_tensor_apply_kernelINS1_18TensorListMetadataILi1EEENS1_14UnaryOpFunctorIN3c108BFloat16ELi1ELi1ELi0EEEJNS0_4AcosIfEEEEEvT_T0_DpT1_
    .private_segment_fixed_size: 0
    .sgpr_count:     32
    .sgpr_spill_count: 0
    .symbol:         _ZN2at6native12_GLOBAL__N_125multi_tensor_apply_kernelINS1_18TensorListMetadataILi1EEENS1_14UnaryOpFunctorIN3c108BFloat16ELi1ELi1ELi0EEEJNS0_4AcosIfEEEEEvT_T0_DpT1_.kd
    .uniform_work_group_size: 1
    .uses_dynamic_stack: false
    .vgpr_count:     23
    .vgpr_spill_count: 0
    .wavefront_size: 64
  - .args:
      - .offset:         0
        .size:           3144
        .value_kind:     by_value
      - .offset:         3144
        .size:           1
        .value_kind:     by_value
      - .offset:         3145
        .size:           1
        .value_kind:     by_value
      - .offset:         3152
        .size:           4
        .value_kind:     hidden_block_count_x
      - .offset:         3156
        .size:           4
        .value_kind:     hidden_block_count_y
      - .offset:         3160
        .size:           4
        .value_kind:     hidden_block_count_z
      - .offset:         3164
        .size:           2
        .value_kind:     hidden_group_size_x
      - .offset:         3166
        .size:           2
        .value_kind:     hidden_group_size_y
      - .offset:         3168
        .size:           2
        .value_kind:     hidden_group_size_z
      - .offset:         3170
        .size:           2
        .value_kind:     hidden_remainder_x
      - .offset:         3172
        .size:           2
        .value_kind:     hidden_remainder_y
      - .offset:         3174
        .size:           2
        .value_kind:     hidden_remainder_z
      - .offset:         3192
        .size:           8
        .value_kind:     hidden_global_offset_x
      - .offset:         3200
        .size:           8
        .value_kind:     hidden_global_offset_y
      - .offset:         3208
        .size:           8
        .value_kind:     hidden_global_offset_z
      - .offset:         3216
        .size:           2
        .value_kind:     hidden_grid_dims
    .group_segment_fixed_size: 0
    .kernarg_segment_align: 8
    .kernarg_segment_size: 3408
    .language:       OpenCL C
    .language_version:
      - 2
      - 0
    .max_flat_workgroup_size: 512
    .name:           _ZN2at6native12_GLOBAL__N_125multi_tensor_apply_kernelINS1_18TensorListMetadataILi2EEENS1_14UnaryOpFunctorIdLi2ELi1ELi1EEEJNS0_4AsinIdEEEEEvT_T0_DpT1_
    .private_segment_fixed_size: 0
    .sgpr_count:     52
    .sgpr_spill_count: 0
    .symbol:         _ZN2at6native12_GLOBAL__N_125multi_tensor_apply_kernelINS1_18TensorListMetadataILi2EEENS1_14UnaryOpFunctorIdLi2ELi1ELi1EEEJNS0_4AsinIdEEEEEvT_T0_DpT1_.kd
    .uniform_work_group_size: 1
    .uses_dynamic_stack: false
    .vgpr_count:     59
    .vgpr_spill_count: 0
    .wavefront_size: 64
  - .args:
      - .offset:         0
        .size:           3144
        .value_kind:     by_value
      - .offset:         3144
        .size:           1
        .value_kind:     by_value
      - .offset:         3145
        .size:           1
        .value_kind:     by_value
      - .offset:         3152
        .size:           4
        .value_kind:     hidden_block_count_x
      - .offset:         3156
        .size:           4
        .value_kind:     hidden_block_count_y
      - .offset:         3160
        .size:           4
        .value_kind:     hidden_block_count_z
      - .offset:         3164
        .size:           2
        .value_kind:     hidden_group_size_x
      - .offset:         3166
        .size:           2
        .value_kind:     hidden_group_size_y
      - .offset:         3168
        .size:           2
        .value_kind:     hidden_group_size_z
      - .offset:         3170
        .size:           2
        .value_kind:     hidden_remainder_x
      - .offset:         3172
        .size:           2
        .value_kind:     hidden_remainder_y
      - .offset:         3174
        .size:           2
        .value_kind:     hidden_remainder_z
      - .offset:         3192
        .size:           8
        .value_kind:     hidden_global_offset_x
      - .offset:         3200
        .size:           8
        .value_kind:     hidden_global_offset_y
      - .offset:         3208
        .size:           8
        .value_kind:     hidden_global_offset_z
      - .offset:         3216
        .size:           2
        .value_kind:     hidden_grid_dims
    .group_segment_fixed_size: 0
    .kernarg_segment_align: 8
    .kernarg_segment_size: 3408
    .language:       OpenCL C
    .language_version:
      - 2
      - 0
    .max_flat_workgroup_size: 512
    .name:           _ZN2at6native12_GLOBAL__N_125multi_tensor_apply_kernelINS1_18TensorListMetadataILi2EEENS1_14UnaryOpFunctorIfLi2ELi1ELi1EEEJNS0_4AsinIfEEEEEvT_T0_DpT1_
    .private_segment_fixed_size: 0
    .sgpr_count:     29
    .sgpr_spill_count: 0
    .symbol:         _ZN2at6native12_GLOBAL__N_125multi_tensor_apply_kernelINS1_18TensorListMetadataILi2EEENS1_14UnaryOpFunctorIfLi2ELi1ELi1EEEJNS0_4AsinIfEEEEEvT_T0_DpT1_.kd
    .uniform_work_group_size: 1
    .uses_dynamic_stack: false
    .vgpr_count:     34
    .vgpr_spill_count: 0
    .wavefront_size: 64
  - .args:
      - .offset:         0
        .size:           3144
        .value_kind:     by_value
      - .offset:         3144
        .size:           1
        .value_kind:     by_value
      - .offset:         3145
        .size:           1
        .value_kind:     by_value
      - .offset:         3152
        .size:           4
        .value_kind:     hidden_block_count_x
      - .offset:         3156
        .size:           4
        .value_kind:     hidden_block_count_y
      - .offset:         3160
        .size:           4
        .value_kind:     hidden_block_count_z
      - .offset:         3164
        .size:           2
        .value_kind:     hidden_group_size_x
      - .offset:         3166
        .size:           2
        .value_kind:     hidden_group_size_y
      - .offset:         3168
        .size:           2
        .value_kind:     hidden_group_size_z
      - .offset:         3170
        .size:           2
        .value_kind:     hidden_remainder_x
      - .offset:         3172
        .size:           2
        .value_kind:     hidden_remainder_y
      - .offset:         3174
        .size:           2
        .value_kind:     hidden_remainder_z
      - .offset:         3192
        .size:           8
        .value_kind:     hidden_global_offset_x
      - .offset:         3200
        .size:           8
        .value_kind:     hidden_global_offset_y
      - .offset:         3208
        .size:           8
        .value_kind:     hidden_global_offset_z
      - .offset:         3216
        .size:           2
        .value_kind:     hidden_grid_dims
    .group_segment_fixed_size: 0
    .kernarg_segment_align: 8
    .kernarg_segment_size: 3408
    .language:       OpenCL C
    .language_version:
      - 2
      - 0
    .max_flat_workgroup_size: 512
    .name:           _ZN2at6native12_GLOBAL__N_125multi_tensor_apply_kernelINS1_18TensorListMetadataILi2EEENS1_14UnaryOpFunctorIN3c107complexIdEELi2ELi1ELi1EEEJNS0_4AsinIS8_EEEEEvT_T0_DpT1_
    .private_segment_fixed_size: 12
    .sgpr_count:     64
    .sgpr_spill_count: 0
    .symbol:         _ZN2at6native12_GLOBAL__N_125multi_tensor_apply_kernelINS1_18TensorListMetadataILi2EEENS1_14UnaryOpFunctorIN3c107complexIdEELi2ELi1ELi1EEEJNS0_4AsinIS8_EEEEEvT_T0_DpT1_.kd
    .uniform_work_group_size: 1
    .uses_dynamic_stack: false
    .vgpr_count:     67
    .vgpr_spill_count: 0
    .wavefront_size: 64
  - .args:
      - .offset:         0
        .size:           3144
        .value_kind:     by_value
      - .offset:         3144
        .size:           1
        .value_kind:     by_value
      - .offset:         3145
        .size:           1
        .value_kind:     by_value
      - .offset:         3152
        .size:           4
        .value_kind:     hidden_block_count_x
      - .offset:         3156
        .size:           4
        .value_kind:     hidden_block_count_y
      - .offset:         3160
        .size:           4
        .value_kind:     hidden_block_count_z
      - .offset:         3164
        .size:           2
        .value_kind:     hidden_group_size_x
      - .offset:         3166
        .size:           2
        .value_kind:     hidden_group_size_y
      - .offset:         3168
        .size:           2
        .value_kind:     hidden_group_size_z
      - .offset:         3170
        .size:           2
        .value_kind:     hidden_remainder_x
      - .offset:         3172
        .size:           2
        .value_kind:     hidden_remainder_y
      - .offset:         3174
        .size:           2
        .value_kind:     hidden_remainder_z
      - .offset:         3192
        .size:           8
        .value_kind:     hidden_global_offset_x
      - .offset:         3200
        .size:           8
        .value_kind:     hidden_global_offset_y
      - .offset:         3208
        .size:           8
        .value_kind:     hidden_global_offset_z
      - .offset:         3216
        .size:           2
        .value_kind:     hidden_grid_dims
    .group_segment_fixed_size: 0
    .kernarg_segment_align: 8
    .kernarg_segment_size: 3408
    .language:       OpenCL C
    .language_version:
      - 2
      - 0
    .max_flat_workgroup_size: 512
    .name:           _ZN2at6native12_GLOBAL__N_125multi_tensor_apply_kernelINS1_18TensorListMetadataILi2EEENS1_14UnaryOpFunctorIN3c107complexIfEELi2ELi1ELi1EEEJNS0_4AsinIS8_EEEEEvT_T0_DpT1_
    .private_segment_fixed_size: 12
    .sgpr_count:     86
    .sgpr_spill_count: 0
    .symbol:         _ZN2at6native12_GLOBAL__N_125multi_tensor_apply_kernelINS1_18TensorListMetadataILi2EEENS1_14UnaryOpFunctorIN3c107complexIfEELi2ELi1ELi1EEEJNS0_4AsinIS8_EEEEEvT_T0_DpT1_.kd
    .uniform_work_group_size: 1
    .uses_dynamic_stack: false
    .vgpr_count:     55
    .vgpr_spill_count: 0
    .wavefront_size: 64
  - .args:
      - .offset:         0
        .size:           3144
        .value_kind:     by_value
      - .offset:         3144
        .size:           1
        .value_kind:     by_value
      - .offset:         3145
        .size:           1
        .value_kind:     by_value
      - .offset:         3152
        .size:           4
        .value_kind:     hidden_block_count_x
      - .offset:         3156
        .size:           4
        .value_kind:     hidden_block_count_y
      - .offset:         3160
        .size:           4
        .value_kind:     hidden_block_count_z
      - .offset:         3164
        .size:           2
        .value_kind:     hidden_group_size_x
      - .offset:         3166
        .size:           2
        .value_kind:     hidden_group_size_y
      - .offset:         3168
        .size:           2
        .value_kind:     hidden_group_size_z
      - .offset:         3170
        .size:           2
        .value_kind:     hidden_remainder_x
      - .offset:         3172
        .size:           2
        .value_kind:     hidden_remainder_y
      - .offset:         3174
        .size:           2
        .value_kind:     hidden_remainder_z
      - .offset:         3192
        .size:           8
        .value_kind:     hidden_global_offset_x
      - .offset:         3200
        .size:           8
        .value_kind:     hidden_global_offset_y
      - .offset:         3208
        .size:           8
        .value_kind:     hidden_global_offset_z
      - .offset:         3216
        .size:           2
        .value_kind:     hidden_grid_dims
    .group_segment_fixed_size: 0
    .kernarg_segment_align: 8
    .kernarg_segment_size: 3408
    .language:       OpenCL C
    .language_version:
      - 2
      - 0
    .max_flat_workgroup_size: 512
    .name:           _ZN2at6native12_GLOBAL__N_125multi_tensor_apply_kernelINS1_18TensorListMetadataILi2EEENS1_14UnaryOpFunctorIN3c104HalfELi2ELi1ELi1EEEJNS0_4AsinIfEEEEEvT_T0_DpT1_
    .private_segment_fixed_size: 0
    .sgpr_count:     26
    .sgpr_spill_count: 0
    .symbol:         _ZN2at6native12_GLOBAL__N_125multi_tensor_apply_kernelINS1_18TensorListMetadataILi2EEENS1_14UnaryOpFunctorIN3c104HalfELi2ELi1ELi1EEEJNS0_4AsinIfEEEEEvT_T0_DpT1_.kd
    .uniform_work_group_size: 1
    .uses_dynamic_stack: false
    .vgpr_count:     34
    .vgpr_spill_count: 0
    .wavefront_size: 64
  - .args:
      - .offset:         0
        .size:           3144
        .value_kind:     by_value
      - .offset:         3144
        .size:           1
        .value_kind:     by_value
      - .offset:         3145
        .size:           1
        .value_kind:     by_value
      - .offset:         3152
        .size:           4
        .value_kind:     hidden_block_count_x
      - .offset:         3156
        .size:           4
        .value_kind:     hidden_block_count_y
      - .offset:         3160
        .size:           4
        .value_kind:     hidden_block_count_z
      - .offset:         3164
        .size:           2
        .value_kind:     hidden_group_size_x
      - .offset:         3166
        .size:           2
        .value_kind:     hidden_group_size_y
      - .offset:         3168
        .size:           2
        .value_kind:     hidden_group_size_z
      - .offset:         3170
        .size:           2
        .value_kind:     hidden_remainder_x
      - .offset:         3172
        .size:           2
        .value_kind:     hidden_remainder_y
      - .offset:         3174
        .size:           2
        .value_kind:     hidden_remainder_z
      - .offset:         3192
        .size:           8
        .value_kind:     hidden_global_offset_x
      - .offset:         3200
        .size:           8
        .value_kind:     hidden_global_offset_y
      - .offset:         3208
        .size:           8
        .value_kind:     hidden_global_offset_z
      - .offset:         3216
        .size:           2
        .value_kind:     hidden_grid_dims
    .group_segment_fixed_size: 0
    .kernarg_segment_align: 8
    .kernarg_segment_size: 3408
    .language:       OpenCL C
    .language_version:
      - 2
      - 0
    .max_flat_workgroup_size: 512
    .name:           _ZN2at6native12_GLOBAL__N_125multi_tensor_apply_kernelINS1_18TensorListMetadataILi2EEENS1_14UnaryOpFunctorIN3c108BFloat16ELi2ELi1ELi1EEEJNS0_4AsinIfEEEEEvT_T0_DpT1_
    .private_segment_fixed_size: 0
    .sgpr_count:     28
    .sgpr_spill_count: 0
    .symbol:         _ZN2at6native12_GLOBAL__N_125multi_tensor_apply_kernelINS1_18TensorListMetadataILi2EEENS1_14UnaryOpFunctorIN3c108BFloat16ELi2ELi1ELi1EEEJNS0_4AsinIfEEEEEvT_T0_DpT1_.kd
    .uniform_work_group_size: 1
    .uses_dynamic_stack: false
    .vgpr_count:     35
    .vgpr_spill_count: 0
    .wavefront_size: 64
  - .args:
      - .offset:         0
        .size:           3368
        .value_kind:     by_value
      - .offset:         3368
        .size:           1
        .value_kind:     by_value
      - .offset:         3369
        .size:           1
        .value_kind:     by_value
      - .offset:         3376
        .size:           4
        .value_kind:     hidden_block_count_x
      - .offset:         3380
        .size:           4
        .value_kind:     hidden_block_count_y
      - .offset:         3384
        .size:           4
        .value_kind:     hidden_block_count_z
      - .offset:         3388
        .size:           2
        .value_kind:     hidden_group_size_x
      - .offset:         3390
        .size:           2
        .value_kind:     hidden_group_size_y
      - .offset:         3392
        .size:           2
        .value_kind:     hidden_group_size_z
      - .offset:         3394
        .size:           2
        .value_kind:     hidden_remainder_x
      - .offset:         3396
        .size:           2
        .value_kind:     hidden_remainder_y
      - .offset:         3398
        .size:           2
        .value_kind:     hidden_remainder_z
      - .offset:         3416
        .size:           8
        .value_kind:     hidden_global_offset_x
      - .offset:         3424
        .size:           8
        .value_kind:     hidden_global_offset_y
      - .offset:         3432
        .size:           8
        .value_kind:     hidden_global_offset_z
      - .offset:         3440
        .size:           2
        .value_kind:     hidden_grid_dims
    .group_segment_fixed_size: 0
    .kernarg_segment_align: 8
    .kernarg_segment_size: 3632
    .language:       OpenCL C
    .language_version:
      - 2
      - 0
    .max_flat_workgroup_size: 512
    .name:           _ZN2at6native12_GLOBAL__N_125multi_tensor_apply_kernelINS1_18TensorListMetadataILi1EEENS1_14UnaryOpFunctorIdLi1ELi1ELi0EEEJNS0_4AsinIdEEEEEvT_T0_DpT1_
    .private_segment_fixed_size: 0
    .sgpr_count:     60
    .sgpr_spill_count: 0
    .symbol:         _ZN2at6native12_GLOBAL__N_125multi_tensor_apply_kernelINS1_18TensorListMetadataILi1EEENS1_14UnaryOpFunctorIdLi1ELi1ELi0EEEJNS0_4AsinIdEEEEEvT_T0_DpT1_.kd
    .uniform_work_group_size: 1
    .uses_dynamic_stack: false
    .vgpr_count:     41
    .vgpr_spill_count: 0
    .wavefront_size: 64
  - .args:
      - .offset:         0
        .size:           3368
        .value_kind:     by_value
      - .offset:         3368
        .size:           1
        .value_kind:     by_value
      - .offset:         3369
        .size:           1
        .value_kind:     by_value
      - .offset:         3376
        .size:           4
        .value_kind:     hidden_block_count_x
      - .offset:         3380
        .size:           4
        .value_kind:     hidden_block_count_y
      - .offset:         3384
        .size:           4
        .value_kind:     hidden_block_count_z
      - .offset:         3388
        .size:           2
        .value_kind:     hidden_group_size_x
      - .offset:         3390
        .size:           2
        .value_kind:     hidden_group_size_y
      - .offset:         3392
        .size:           2
        .value_kind:     hidden_group_size_z
      - .offset:         3394
        .size:           2
        .value_kind:     hidden_remainder_x
      - .offset:         3396
        .size:           2
        .value_kind:     hidden_remainder_y
      - .offset:         3398
        .size:           2
        .value_kind:     hidden_remainder_z
      - .offset:         3416
        .size:           8
        .value_kind:     hidden_global_offset_x
      - .offset:         3424
        .size:           8
        .value_kind:     hidden_global_offset_y
      - .offset:         3432
        .size:           8
        .value_kind:     hidden_global_offset_z
      - .offset:         3440
        .size:           2
        .value_kind:     hidden_grid_dims
    .group_segment_fixed_size: 0
    .kernarg_segment_align: 8
    .kernarg_segment_size: 3632
    .language:       OpenCL C
    .language_version:
      - 2
      - 0
    .max_flat_workgroup_size: 512
    .name:           _ZN2at6native12_GLOBAL__N_125multi_tensor_apply_kernelINS1_18TensorListMetadataILi1EEENS1_14UnaryOpFunctorIfLi1ELi1ELi0EEEJNS0_4AsinIfEEEEEvT_T0_DpT1_
    .private_segment_fixed_size: 0
    .sgpr_count:     33
    .sgpr_spill_count: 0
    .symbol:         _ZN2at6native12_GLOBAL__N_125multi_tensor_apply_kernelINS1_18TensorListMetadataILi1EEENS1_14UnaryOpFunctorIfLi1ELi1ELi0EEEJNS0_4AsinIfEEEEEvT_T0_DpT1_.kd
    .uniform_work_group_size: 1
    .uses_dynamic_stack: false
    .vgpr_count:     22
    .vgpr_spill_count: 0
    .wavefront_size: 64
  - .args:
      - .offset:         0
        .size:           3368
        .value_kind:     by_value
      - .offset:         3368
        .size:           1
        .value_kind:     by_value
      - .offset:         3369
        .size:           1
        .value_kind:     by_value
      - .offset:         3376
        .size:           4
        .value_kind:     hidden_block_count_x
      - .offset:         3380
        .size:           4
        .value_kind:     hidden_block_count_y
      - .offset:         3384
        .size:           4
        .value_kind:     hidden_block_count_z
      - .offset:         3388
        .size:           2
        .value_kind:     hidden_group_size_x
      - .offset:         3390
        .size:           2
        .value_kind:     hidden_group_size_y
      - .offset:         3392
        .size:           2
        .value_kind:     hidden_group_size_z
      - .offset:         3394
        .size:           2
        .value_kind:     hidden_remainder_x
      - .offset:         3396
        .size:           2
        .value_kind:     hidden_remainder_y
      - .offset:         3398
        .size:           2
        .value_kind:     hidden_remainder_z
      - .offset:         3416
        .size:           8
        .value_kind:     hidden_global_offset_x
      - .offset:         3424
        .size:           8
        .value_kind:     hidden_global_offset_y
      - .offset:         3432
        .size:           8
        .value_kind:     hidden_global_offset_z
      - .offset:         3440
        .size:           2
        .value_kind:     hidden_grid_dims
    .group_segment_fixed_size: 0
    .kernarg_segment_align: 8
    .kernarg_segment_size: 3632
    .language:       OpenCL C
    .language_version:
      - 2
      - 0
    .max_flat_workgroup_size: 512
    .name:           _ZN2at6native12_GLOBAL__N_125multi_tensor_apply_kernelINS1_18TensorListMetadataILi1EEENS1_14UnaryOpFunctorIN3c107complexIdEELi1ELi1ELi0EEEJNS0_4AsinIS8_EEEEEvT_T0_DpT1_
    .private_segment_fixed_size: 12
    .sgpr_count:     66
    .sgpr_spill_count: 0
    .symbol:         _ZN2at6native12_GLOBAL__N_125multi_tensor_apply_kernelINS1_18TensorListMetadataILi1EEENS1_14UnaryOpFunctorIN3c107complexIdEELi1ELi1ELi0EEEJNS0_4AsinIS8_EEEEEvT_T0_DpT1_.kd
    .uniform_work_group_size: 1
    .uses_dynamic_stack: false
    .vgpr_count:     70
    .vgpr_spill_count: 0
    .wavefront_size: 64
  - .args:
      - .offset:         0
        .size:           3368
        .value_kind:     by_value
      - .offset:         3368
        .size:           1
        .value_kind:     by_value
      - .offset:         3369
        .size:           1
        .value_kind:     by_value
      - .offset:         3376
        .size:           4
        .value_kind:     hidden_block_count_x
      - .offset:         3380
        .size:           4
        .value_kind:     hidden_block_count_y
      - .offset:         3384
        .size:           4
        .value_kind:     hidden_block_count_z
      - .offset:         3388
        .size:           2
        .value_kind:     hidden_group_size_x
      - .offset:         3390
        .size:           2
        .value_kind:     hidden_group_size_y
      - .offset:         3392
        .size:           2
        .value_kind:     hidden_group_size_z
      - .offset:         3394
        .size:           2
        .value_kind:     hidden_remainder_x
      - .offset:         3396
        .size:           2
        .value_kind:     hidden_remainder_y
      - .offset:         3398
        .size:           2
        .value_kind:     hidden_remainder_z
      - .offset:         3416
        .size:           8
        .value_kind:     hidden_global_offset_x
      - .offset:         3424
        .size:           8
        .value_kind:     hidden_global_offset_y
      - .offset:         3432
        .size:           8
        .value_kind:     hidden_global_offset_z
      - .offset:         3440
        .size:           2
        .value_kind:     hidden_grid_dims
    .group_segment_fixed_size: 0
    .kernarg_segment_align: 8
    .kernarg_segment_size: 3632
    .language:       OpenCL C
    .language_version:
      - 2
      - 0
    .max_flat_workgroup_size: 512
    .name:           _ZN2at6native12_GLOBAL__N_125multi_tensor_apply_kernelINS1_18TensorListMetadataILi1EEENS1_14UnaryOpFunctorIN3c107complexIfEELi1ELi1ELi0EEEJNS0_4AsinIS8_EEEEEvT_T0_DpT1_
    .private_segment_fixed_size: 12
    .sgpr_count:     88
    .sgpr_spill_count: 0
    .symbol:         _ZN2at6native12_GLOBAL__N_125multi_tensor_apply_kernelINS1_18TensorListMetadataILi1EEENS1_14UnaryOpFunctorIN3c107complexIfEELi1ELi1ELi0EEEJNS0_4AsinIS8_EEEEEvT_T0_DpT1_.kd
    .uniform_work_group_size: 1
    .uses_dynamic_stack: false
    .vgpr_count:     59
    .vgpr_spill_count: 0
    .wavefront_size: 64
  - .args:
      - .offset:         0
        .size:           3368
        .value_kind:     by_value
      - .offset:         3368
        .size:           1
        .value_kind:     by_value
      - .offset:         3369
        .size:           1
        .value_kind:     by_value
      - .offset:         3376
        .size:           4
        .value_kind:     hidden_block_count_x
      - .offset:         3380
        .size:           4
        .value_kind:     hidden_block_count_y
      - .offset:         3384
        .size:           4
        .value_kind:     hidden_block_count_z
      - .offset:         3388
        .size:           2
        .value_kind:     hidden_group_size_x
      - .offset:         3390
        .size:           2
        .value_kind:     hidden_group_size_y
      - .offset:         3392
        .size:           2
        .value_kind:     hidden_group_size_z
      - .offset:         3394
        .size:           2
        .value_kind:     hidden_remainder_x
      - .offset:         3396
        .size:           2
        .value_kind:     hidden_remainder_y
      - .offset:         3398
        .size:           2
        .value_kind:     hidden_remainder_z
      - .offset:         3416
        .size:           8
        .value_kind:     hidden_global_offset_x
      - .offset:         3424
        .size:           8
        .value_kind:     hidden_global_offset_y
      - .offset:         3432
        .size:           8
        .value_kind:     hidden_global_offset_z
      - .offset:         3440
        .size:           2
        .value_kind:     hidden_grid_dims
    .group_segment_fixed_size: 0
    .kernarg_segment_align: 8
    .kernarg_segment_size: 3632
    .language:       OpenCL C
    .language_version:
      - 2
      - 0
    .max_flat_workgroup_size: 512
    .name:           _ZN2at6native12_GLOBAL__N_125multi_tensor_apply_kernelINS1_18TensorListMetadataILi1EEENS1_14UnaryOpFunctorIN3c104HalfELi1ELi1ELi0EEEJNS0_4AsinIfEEEEEvT_T0_DpT1_
    .private_segment_fixed_size: 0
    .sgpr_count:     32
    .sgpr_spill_count: 0
    .symbol:         _ZN2at6native12_GLOBAL__N_125multi_tensor_apply_kernelINS1_18TensorListMetadataILi1EEENS1_14UnaryOpFunctorIN3c104HalfELi1ELi1ELi0EEEJNS0_4AsinIfEEEEEvT_T0_DpT1_.kd
    .uniform_work_group_size: 1
    .uses_dynamic_stack: false
    .vgpr_count:     22
    .vgpr_spill_count: 0
    .wavefront_size: 64
  - .args:
      - .offset:         0
        .size:           3368
        .value_kind:     by_value
      - .offset:         3368
        .size:           1
        .value_kind:     by_value
      - .offset:         3369
        .size:           1
        .value_kind:     by_value
      - .offset:         3376
        .size:           4
        .value_kind:     hidden_block_count_x
      - .offset:         3380
        .size:           4
        .value_kind:     hidden_block_count_y
      - .offset:         3384
        .size:           4
        .value_kind:     hidden_block_count_z
      - .offset:         3388
        .size:           2
        .value_kind:     hidden_group_size_x
      - .offset:         3390
        .size:           2
        .value_kind:     hidden_group_size_y
      - .offset:         3392
        .size:           2
        .value_kind:     hidden_group_size_z
      - .offset:         3394
        .size:           2
        .value_kind:     hidden_remainder_x
      - .offset:         3396
        .size:           2
        .value_kind:     hidden_remainder_y
      - .offset:         3398
        .size:           2
        .value_kind:     hidden_remainder_z
      - .offset:         3416
        .size:           8
        .value_kind:     hidden_global_offset_x
      - .offset:         3424
        .size:           8
        .value_kind:     hidden_global_offset_y
      - .offset:         3432
        .size:           8
        .value_kind:     hidden_global_offset_z
      - .offset:         3440
        .size:           2
        .value_kind:     hidden_grid_dims
    .group_segment_fixed_size: 0
    .kernarg_segment_align: 8
    .kernarg_segment_size: 3632
    .language:       OpenCL C
    .language_version:
      - 2
      - 0
    .max_flat_workgroup_size: 512
    .name:           _ZN2at6native12_GLOBAL__N_125multi_tensor_apply_kernelINS1_18TensorListMetadataILi1EEENS1_14UnaryOpFunctorIN3c108BFloat16ELi1ELi1ELi0EEEJNS0_4AsinIfEEEEEvT_T0_DpT1_
    .private_segment_fixed_size: 0
    .sgpr_count:     33
    .sgpr_spill_count: 0
    .symbol:         _ZN2at6native12_GLOBAL__N_125multi_tensor_apply_kernelINS1_18TensorListMetadataILi1EEENS1_14UnaryOpFunctorIN3c108BFloat16ELi1ELi1ELi0EEEJNS0_4AsinIfEEEEEvT_T0_DpT1_.kd
    .uniform_work_group_size: 1
    .uses_dynamic_stack: false
    .vgpr_count:     23
    .vgpr_spill_count: 0
    .wavefront_size: 64
  - .args:
      - .offset:         0
        .size:           3144
        .value_kind:     by_value
      - .offset:         3144
        .size:           1
        .value_kind:     by_value
      - .offset:         3145
        .size:           1
        .value_kind:     by_value
      - .offset:         3152
        .size:           4
        .value_kind:     hidden_block_count_x
      - .offset:         3156
        .size:           4
        .value_kind:     hidden_block_count_y
      - .offset:         3160
        .size:           4
        .value_kind:     hidden_block_count_z
      - .offset:         3164
        .size:           2
        .value_kind:     hidden_group_size_x
      - .offset:         3166
        .size:           2
        .value_kind:     hidden_group_size_y
      - .offset:         3168
        .size:           2
        .value_kind:     hidden_group_size_z
      - .offset:         3170
        .size:           2
        .value_kind:     hidden_remainder_x
      - .offset:         3172
        .size:           2
        .value_kind:     hidden_remainder_y
      - .offset:         3174
        .size:           2
        .value_kind:     hidden_remainder_z
      - .offset:         3192
        .size:           8
        .value_kind:     hidden_global_offset_x
      - .offset:         3200
        .size:           8
        .value_kind:     hidden_global_offset_y
      - .offset:         3208
        .size:           8
        .value_kind:     hidden_global_offset_z
      - .offset:         3216
        .size:           2
        .value_kind:     hidden_grid_dims
    .group_segment_fixed_size: 0
    .kernarg_segment_align: 8
    .kernarg_segment_size: 3408
    .language:       OpenCL C
    .language_version:
      - 2
      - 0
    .max_flat_workgroup_size: 512
    .name:           _ZN2at6native12_GLOBAL__N_125multi_tensor_apply_kernelINS1_18TensorListMetadataILi2EEENS1_14UnaryOpFunctorIdLi2ELi1ELi1EEEJNS0_4AtanIdEEEEEvT_T0_DpT1_
    .private_segment_fixed_size: 0
    .sgpr_count:     72
    .sgpr_spill_count: 0
    .symbol:         _ZN2at6native12_GLOBAL__N_125multi_tensor_apply_kernelINS1_18TensorListMetadataILi2EEENS1_14UnaryOpFunctorIdLi2ELi1ELi1EEEJNS0_4AtanIdEEEEEvT_T0_DpT1_.kd
    .uniform_work_group_size: 1
    .uses_dynamic_stack: false
    .vgpr_count:     46
    .vgpr_spill_count: 0
    .wavefront_size: 64
  - .args:
      - .offset:         0
        .size:           3144
        .value_kind:     by_value
      - .offset:         3144
        .size:           1
        .value_kind:     by_value
      - .offset:         3145
        .size:           1
        .value_kind:     by_value
      - .offset:         3152
        .size:           4
        .value_kind:     hidden_block_count_x
      - .offset:         3156
        .size:           4
        .value_kind:     hidden_block_count_y
      - .offset:         3160
        .size:           4
        .value_kind:     hidden_block_count_z
      - .offset:         3164
        .size:           2
        .value_kind:     hidden_group_size_x
      - .offset:         3166
        .size:           2
        .value_kind:     hidden_group_size_y
      - .offset:         3168
        .size:           2
        .value_kind:     hidden_group_size_z
      - .offset:         3170
        .size:           2
        .value_kind:     hidden_remainder_x
      - .offset:         3172
        .size:           2
        .value_kind:     hidden_remainder_y
      - .offset:         3174
        .size:           2
        .value_kind:     hidden_remainder_z
      - .offset:         3192
        .size:           8
        .value_kind:     hidden_global_offset_x
      - .offset:         3200
        .size:           8
        .value_kind:     hidden_global_offset_y
      - .offset:         3208
        .size:           8
        .value_kind:     hidden_global_offset_z
      - .offset:         3216
        .size:           2
        .value_kind:     hidden_grid_dims
    .group_segment_fixed_size: 0
    .kernarg_segment_align: 8
    .kernarg_segment_size: 3408
    .language:       OpenCL C
    .language_version:
      - 2
      - 0
    .max_flat_workgroup_size: 512
    .name:           _ZN2at6native12_GLOBAL__N_125multi_tensor_apply_kernelINS1_18TensorListMetadataILi2EEENS1_14UnaryOpFunctorIfLi2ELi1ELi1EEEJNS0_4AtanIfEEEEEvT_T0_DpT1_
    .private_segment_fixed_size: 0
    .sgpr_count:     29
    .sgpr_spill_count: 0
    .symbol:         _ZN2at6native12_GLOBAL__N_125multi_tensor_apply_kernelINS1_18TensorListMetadataILi2EEENS1_14UnaryOpFunctorIfLi2ELi1ELi1EEEJNS0_4AtanIfEEEEEvT_T0_DpT1_.kd
    .uniform_work_group_size: 1
    .uses_dynamic_stack: false
    .vgpr_count:     37
    .vgpr_spill_count: 0
    .wavefront_size: 64
  - .args:
      - .offset:         0
        .size:           3144
        .value_kind:     by_value
      - .offset:         3144
        .size:           1
        .value_kind:     by_value
      - .offset:         3145
        .size:           1
        .value_kind:     by_value
      - .offset:         3152
        .size:           4
        .value_kind:     hidden_block_count_x
      - .offset:         3156
        .size:           4
        .value_kind:     hidden_block_count_y
      - .offset:         3160
        .size:           4
        .value_kind:     hidden_block_count_z
      - .offset:         3164
        .size:           2
        .value_kind:     hidden_group_size_x
      - .offset:         3166
        .size:           2
        .value_kind:     hidden_group_size_y
      - .offset:         3168
        .size:           2
        .value_kind:     hidden_group_size_z
      - .offset:         3170
        .size:           2
        .value_kind:     hidden_remainder_x
      - .offset:         3172
        .size:           2
        .value_kind:     hidden_remainder_y
      - .offset:         3174
        .size:           2
        .value_kind:     hidden_remainder_z
      - .offset:         3192
        .size:           8
        .value_kind:     hidden_global_offset_x
      - .offset:         3200
        .size:           8
        .value_kind:     hidden_global_offset_y
      - .offset:         3208
        .size:           8
        .value_kind:     hidden_global_offset_z
      - .offset:         3216
        .size:           2
        .value_kind:     hidden_grid_dims
    .group_segment_fixed_size: 0
    .kernarg_segment_align: 8
    .kernarg_segment_size: 3408
    .language:       OpenCL C
    .language_version:
      - 2
      - 0
    .max_flat_workgroup_size: 512
    .name:           _ZN2at6native12_GLOBAL__N_125multi_tensor_apply_kernelINS1_18TensorListMetadataILi2EEENS1_14UnaryOpFunctorIN3c107complexIdEELi2ELi1ELi1EEEJNS0_4AtanIS8_EEEEEvT_T0_DpT1_
    .private_segment_fixed_size: 0
    .sgpr_count:     100
    .sgpr_spill_count: 0
    .symbol:         _ZN2at6native12_GLOBAL__N_125multi_tensor_apply_kernelINS1_18TensorListMetadataILi2EEENS1_14UnaryOpFunctorIN3c107complexIdEELi2ELi1ELi1EEEJNS0_4AtanIS8_EEEEEvT_T0_DpT1_.kd
    .uniform_work_group_size: 1
    .uses_dynamic_stack: false
    .vgpr_count:     59
    .vgpr_spill_count: 0
    .wavefront_size: 64
  - .args:
      - .offset:         0
        .size:           3144
        .value_kind:     by_value
      - .offset:         3144
        .size:           1
        .value_kind:     by_value
      - .offset:         3145
        .size:           1
        .value_kind:     by_value
      - .offset:         3152
        .size:           4
        .value_kind:     hidden_block_count_x
      - .offset:         3156
        .size:           4
        .value_kind:     hidden_block_count_y
      - .offset:         3160
        .size:           4
        .value_kind:     hidden_block_count_z
      - .offset:         3164
        .size:           2
        .value_kind:     hidden_group_size_x
      - .offset:         3166
        .size:           2
        .value_kind:     hidden_group_size_y
      - .offset:         3168
        .size:           2
        .value_kind:     hidden_group_size_z
      - .offset:         3170
        .size:           2
        .value_kind:     hidden_remainder_x
      - .offset:         3172
        .size:           2
        .value_kind:     hidden_remainder_y
      - .offset:         3174
        .size:           2
        .value_kind:     hidden_remainder_z
      - .offset:         3192
        .size:           8
        .value_kind:     hidden_global_offset_x
      - .offset:         3200
        .size:           8
        .value_kind:     hidden_global_offset_y
      - .offset:         3208
        .size:           8
        .value_kind:     hidden_global_offset_z
      - .offset:         3216
        .size:           2
        .value_kind:     hidden_grid_dims
    .group_segment_fixed_size: 0
    .kernarg_segment_align: 8
    .kernarg_segment_size: 3408
    .language:       OpenCL C
    .language_version:
      - 2
      - 0
    .max_flat_workgroup_size: 512
    .name:           _ZN2at6native12_GLOBAL__N_125multi_tensor_apply_kernelINS1_18TensorListMetadataILi2EEENS1_14UnaryOpFunctorIN3c107complexIfEELi2ELi1ELi1EEEJNS0_4AtanIS8_EEEEEvT_T0_DpT1_
    .private_segment_fixed_size: 16
    .sgpr_count:     72
    .sgpr_spill_count: 0
    .symbol:         _ZN2at6native12_GLOBAL__N_125multi_tensor_apply_kernelINS1_18TensorListMetadataILi2EEENS1_14UnaryOpFunctorIN3c107complexIfEELi2ELi1ELi1EEEJNS0_4AtanIS8_EEEEEvT_T0_DpT1_.kd
    .uniform_work_group_size: 1
    .uses_dynamic_stack: false
    .vgpr_count:     47
    .vgpr_spill_count: 0
    .wavefront_size: 64
  - .args:
      - .offset:         0
        .size:           3144
        .value_kind:     by_value
      - .offset:         3144
        .size:           1
        .value_kind:     by_value
      - .offset:         3145
        .size:           1
        .value_kind:     by_value
      - .offset:         3152
        .size:           4
        .value_kind:     hidden_block_count_x
      - .offset:         3156
        .size:           4
        .value_kind:     hidden_block_count_y
      - .offset:         3160
        .size:           4
        .value_kind:     hidden_block_count_z
      - .offset:         3164
        .size:           2
        .value_kind:     hidden_group_size_x
      - .offset:         3166
        .size:           2
        .value_kind:     hidden_group_size_y
      - .offset:         3168
        .size:           2
        .value_kind:     hidden_group_size_z
      - .offset:         3170
        .size:           2
        .value_kind:     hidden_remainder_x
      - .offset:         3172
        .size:           2
        .value_kind:     hidden_remainder_y
      - .offset:         3174
        .size:           2
        .value_kind:     hidden_remainder_z
      - .offset:         3192
        .size:           8
        .value_kind:     hidden_global_offset_x
      - .offset:         3200
        .size:           8
        .value_kind:     hidden_global_offset_y
      - .offset:         3208
        .size:           8
        .value_kind:     hidden_global_offset_z
      - .offset:         3216
        .size:           2
        .value_kind:     hidden_grid_dims
    .group_segment_fixed_size: 0
    .kernarg_segment_align: 8
    .kernarg_segment_size: 3408
    .language:       OpenCL C
    .language_version:
      - 2
      - 0
    .max_flat_workgroup_size: 512
    .name:           _ZN2at6native12_GLOBAL__N_125multi_tensor_apply_kernelINS1_18TensorListMetadataILi2EEENS1_14UnaryOpFunctorIN3c104HalfELi2ELi1ELi1EEEJNS0_4AtanIfEEEEEvT_T0_DpT1_
    .private_segment_fixed_size: 0
    .sgpr_count:     29
    .sgpr_spill_count: 0
    .symbol:         _ZN2at6native12_GLOBAL__N_125multi_tensor_apply_kernelINS1_18TensorListMetadataILi2EEENS1_14UnaryOpFunctorIN3c104HalfELi2ELi1ELi1EEEJNS0_4AtanIfEEEEEvT_T0_DpT1_.kd
    .uniform_work_group_size: 1
    .uses_dynamic_stack: false
    .vgpr_count:     36
    .vgpr_spill_count: 0
    .wavefront_size: 64
  - .args:
      - .offset:         0
        .size:           3144
        .value_kind:     by_value
      - .offset:         3144
        .size:           1
        .value_kind:     by_value
      - .offset:         3145
        .size:           1
        .value_kind:     by_value
      - .offset:         3152
        .size:           4
        .value_kind:     hidden_block_count_x
      - .offset:         3156
        .size:           4
        .value_kind:     hidden_block_count_y
      - .offset:         3160
        .size:           4
        .value_kind:     hidden_block_count_z
      - .offset:         3164
        .size:           2
        .value_kind:     hidden_group_size_x
      - .offset:         3166
        .size:           2
        .value_kind:     hidden_group_size_y
      - .offset:         3168
        .size:           2
        .value_kind:     hidden_group_size_z
      - .offset:         3170
        .size:           2
        .value_kind:     hidden_remainder_x
      - .offset:         3172
        .size:           2
        .value_kind:     hidden_remainder_y
      - .offset:         3174
        .size:           2
        .value_kind:     hidden_remainder_z
      - .offset:         3192
        .size:           8
        .value_kind:     hidden_global_offset_x
      - .offset:         3200
        .size:           8
        .value_kind:     hidden_global_offset_y
      - .offset:         3208
        .size:           8
        .value_kind:     hidden_global_offset_z
      - .offset:         3216
        .size:           2
        .value_kind:     hidden_grid_dims
    .group_segment_fixed_size: 0
    .kernarg_segment_align: 8
    .kernarg_segment_size: 3408
    .language:       OpenCL C
    .language_version:
      - 2
      - 0
    .max_flat_workgroup_size: 512
    .name:           _ZN2at6native12_GLOBAL__N_125multi_tensor_apply_kernelINS1_18TensorListMetadataILi2EEENS1_14UnaryOpFunctorIN3c108BFloat16ELi2ELi1ELi1EEEJNS0_4AtanIfEEEEEvT_T0_DpT1_
    .private_segment_fixed_size: 0
    .sgpr_count:     30
    .sgpr_spill_count: 0
    .symbol:         _ZN2at6native12_GLOBAL__N_125multi_tensor_apply_kernelINS1_18TensorListMetadataILi2EEENS1_14UnaryOpFunctorIN3c108BFloat16ELi2ELi1ELi1EEEJNS0_4AtanIfEEEEEvT_T0_DpT1_.kd
    .uniform_work_group_size: 1
    .uses_dynamic_stack: false
    .vgpr_count:     37
    .vgpr_spill_count: 0
    .wavefront_size: 64
  - .args:
      - .offset:         0
        .size:           3368
        .value_kind:     by_value
      - .offset:         3368
        .size:           1
        .value_kind:     by_value
      - .offset:         3369
        .size:           1
        .value_kind:     by_value
      - .offset:         3376
        .size:           4
        .value_kind:     hidden_block_count_x
      - .offset:         3380
        .size:           4
        .value_kind:     hidden_block_count_y
      - .offset:         3384
        .size:           4
        .value_kind:     hidden_block_count_z
      - .offset:         3388
        .size:           2
        .value_kind:     hidden_group_size_x
      - .offset:         3390
        .size:           2
        .value_kind:     hidden_group_size_y
      - .offset:         3392
        .size:           2
        .value_kind:     hidden_group_size_z
      - .offset:         3394
        .size:           2
        .value_kind:     hidden_remainder_x
      - .offset:         3396
        .size:           2
        .value_kind:     hidden_remainder_y
      - .offset:         3398
        .size:           2
        .value_kind:     hidden_remainder_z
      - .offset:         3416
        .size:           8
        .value_kind:     hidden_global_offset_x
      - .offset:         3424
        .size:           8
        .value_kind:     hidden_global_offset_y
      - .offset:         3432
        .size:           8
        .value_kind:     hidden_global_offset_z
      - .offset:         3440
        .size:           2
        .value_kind:     hidden_grid_dims
    .group_segment_fixed_size: 0
    .kernarg_segment_align: 8
    .kernarg_segment_size: 3632
    .language:       OpenCL C
    .language_version:
      - 2
      - 0
    .max_flat_workgroup_size: 512
    .name:           _ZN2at6native12_GLOBAL__N_125multi_tensor_apply_kernelINS1_18TensorListMetadataILi1EEENS1_14UnaryOpFunctorIdLi1ELi1ELi0EEEJNS0_4AtanIdEEEEEvT_T0_DpT1_
    .private_segment_fixed_size: 0
    .sgpr_count:     74
    .sgpr_spill_count: 0
    .symbol:         _ZN2at6native12_GLOBAL__N_125multi_tensor_apply_kernelINS1_18TensorListMetadataILi1EEENS1_14UnaryOpFunctorIdLi1ELi1ELi0EEEJNS0_4AtanIdEEEEEvT_T0_DpT1_.kd
    .uniform_work_group_size: 1
    .uses_dynamic_stack: false
    .vgpr_count:     38
    .vgpr_spill_count: 0
    .wavefront_size: 64
  - .args:
      - .offset:         0
        .size:           3368
        .value_kind:     by_value
      - .offset:         3368
        .size:           1
        .value_kind:     by_value
      - .offset:         3369
        .size:           1
        .value_kind:     by_value
      - .offset:         3376
        .size:           4
        .value_kind:     hidden_block_count_x
      - .offset:         3380
        .size:           4
        .value_kind:     hidden_block_count_y
      - .offset:         3384
        .size:           4
        .value_kind:     hidden_block_count_z
      - .offset:         3388
        .size:           2
        .value_kind:     hidden_group_size_x
      - .offset:         3390
        .size:           2
        .value_kind:     hidden_group_size_y
      - .offset:         3392
        .size:           2
        .value_kind:     hidden_group_size_z
      - .offset:         3394
        .size:           2
        .value_kind:     hidden_remainder_x
      - .offset:         3396
        .size:           2
        .value_kind:     hidden_remainder_y
      - .offset:         3398
        .size:           2
        .value_kind:     hidden_remainder_z
      - .offset:         3416
        .size:           8
        .value_kind:     hidden_global_offset_x
      - .offset:         3424
        .size:           8
        .value_kind:     hidden_global_offset_y
      - .offset:         3432
        .size:           8
        .value_kind:     hidden_global_offset_z
      - .offset:         3440
        .size:           2
        .value_kind:     hidden_grid_dims
    .group_segment_fixed_size: 0
    .kernarg_segment_align: 8
    .kernarg_segment_size: 3632
    .language:       OpenCL C
    .language_version:
      - 2
      - 0
    .max_flat_workgroup_size: 512
    .name:           _ZN2at6native12_GLOBAL__N_125multi_tensor_apply_kernelINS1_18TensorListMetadataILi1EEENS1_14UnaryOpFunctorIfLi1ELi1ELi0EEEJNS0_4AtanIfEEEEEvT_T0_DpT1_
    .private_segment_fixed_size: 0
    .sgpr_count:     33
    .sgpr_spill_count: 0
    .symbol:         _ZN2at6native12_GLOBAL__N_125multi_tensor_apply_kernelINS1_18TensorListMetadataILi1EEENS1_14UnaryOpFunctorIfLi1ELi1ELi0EEEJNS0_4AtanIfEEEEEvT_T0_DpT1_.kd
    .uniform_work_group_size: 1
    .uses_dynamic_stack: false
    .vgpr_count:     24
    .vgpr_spill_count: 0
    .wavefront_size: 64
  - .args:
      - .offset:         0
        .size:           3368
        .value_kind:     by_value
      - .offset:         3368
        .size:           1
        .value_kind:     by_value
      - .offset:         3369
        .size:           1
        .value_kind:     by_value
      - .offset:         3376
        .size:           4
        .value_kind:     hidden_block_count_x
      - .offset:         3380
        .size:           4
        .value_kind:     hidden_block_count_y
      - .offset:         3384
        .size:           4
        .value_kind:     hidden_block_count_z
      - .offset:         3388
        .size:           2
        .value_kind:     hidden_group_size_x
      - .offset:         3390
        .size:           2
        .value_kind:     hidden_group_size_y
      - .offset:         3392
        .size:           2
        .value_kind:     hidden_group_size_z
      - .offset:         3394
        .size:           2
        .value_kind:     hidden_remainder_x
      - .offset:         3396
        .size:           2
        .value_kind:     hidden_remainder_y
      - .offset:         3398
        .size:           2
        .value_kind:     hidden_remainder_z
      - .offset:         3416
        .size:           8
        .value_kind:     hidden_global_offset_x
      - .offset:         3424
        .size:           8
        .value_kind:     hidden_global_offset_y
      - .offset:         3432
        .size:           8
        .value_kind:     hidden_global_offset_z
      - .offset:         3440
        .size:           2
        .value_kind:     hidden_grid_dims
    .group_segment_fixed_size: 0
    .kernarg_segment_align: 8
    .kernarg_segment_size: 3632
    .language:       OpenCL C
    .language_version:
      - 2
      - 0
    .max_flat_workgroup_size: 512
    .name:           _ZN2at6native12_GLOBAL__N_125multi_tensor_apply_kernelINS1_18TensorListMetadataILi1EEENS1_14UnaryOpFunctorIN3c107complexIdEELi1ELi1ELi0EEEJNS0_4AtanIS8_EEEEEvT_T0_DpT1_
    .private_segment_fixed_size: 0
    .sgpr_count:     100
    .sgpr_spill_count: 8
    .symbol:         _ZN2at6native12_GLOBAL__N_125multi_tensor_apply_kernelINS1_18TensorListMetadataILi1EEENS1_14UnaryOpFunctorIN3c107complexIdEELi1ELi1ELi0EEEJNS0_4AtanIS8_EEEEEvT_T0_DpT1_.kd
    .uniform_work_group_size: 1
    .uses_dynamic_stack: false
    .vgpr_count:     82
    .vgpr_spill_count: 0
    .wavefront_size: 64
  - .args:
      - .offset:         0
        .size:           3368
        .value_kind:     by_value
      - .offset:         3368
        .size:           1
        .value_kind:     by_value
      - .offset:         3369
        .size:           1
        .value_kind:     by_value
      - .offset:         3376
        .size:           4
        .value_kind:     hidden_block_count_x
      - .offset:         3380
        .size:           4
        .value_kind:     hidden_block_count_y
      - .offset:         3384
        .size:           4
        .value_kind:     hidden_block_count_z
      - .offset:         3388
        .size:           2
        .value_kind:     hidden_group_size_x
      - .offset:         3390
        .size:           2
        .value_kind:     hidden_group_size_y
      - .offset:         3392
        .size:           2
        .value_kind:     hidden_group_size_z
      - .offset:         3394
        .size:           2
        .value_kind:     hidden_remainder_x
      - .offset:         3396
        .size:           2
        .value_kind:     hidden_remainder_y
      - .offset:         3398
        .size:           2
        .value_kind:     hidden_remainder_z
      - .offset:         3416
        .size:           8
        .value_kind:     hidden_global_offset_x
      - .offset:         3424
        .size:           8
        .value_kind:     hidden_global_offset_y
      - .offset:         3432
        .size:           8
        .value_kind:     hidden_global_offset_z
      - .offset:         3440
        .size:           2
        .value_kind:     hidden_grid_dims
    .group_segment_fixed_size: 0
    .kernarg_segment_align: 8
    .kernarg_segment_size: 3632
    .language:       OpenCL C
    .language_version:
      - 2
      - 0
    .max_flat_workgroup_size: 512
    .name:           _ZN2at6native12_GLOBAL__N_125multi_tensor_apply_kernelINS1_18TensorListMetadataILi1EEENS1_14UnaryOpFunctorIN3c107complexIfEELi1ELi1ELi0EEEJNS0_4AtanIS8_EEEEEvT_T0_DpT1_
    .private_segment_fixed_size: 16
    .sgpr_count:     74
    .sgpr_spill_count: 0
    .symbol:         _ZN2at6native12_GLOBAL__N_125multi_tensor_apply_kernelINS1_18TensorListMetadataILi1EEENS1_14UnaryOpFunctorIN3c107complexIfEELi1ELi1ELi0EEEJNS0_4AtanIS8_EEEEEvT_T0_DpT1_.kd
    .uniform_work_group_size: 1
    .uses_dynamic_stack: false
    .vgpr_count:     52
    .vgpr_spill_count: 0
    .wavefront_size: 64
  - .args:
      - .offset:         0
        .size:           3368
        .value_kind:     by_value
      - .offset:         3368
        .size:           1
        .value_kind:     by_value
      - .offset:         3369
        .size:           1
        .value_kind:     by_value
      - .offset:         3376
        .size:           4
        .value_kind:     hidden_block_count_x
      - .offset:         3380
        .size:           4
        .value_kind:     hidden_block_count_y
      - .offset:         3384
        .size:           4
        .value_kind:     hidden_block_count_z
      - .offset:         3388
        .size:           2
        .value_kind:     hidden_group_size_x
      - .offset:         3390
        .size:           2
        .value_kind:     hidden_group_size_y
      - .offset:         3392
        .size:           2
        .value_kind:     hidden_group_size_z
      - .offset:         3394
        .size:           2
        .value_kind:     hidden_remainder_x
      - .offset:         3396
        .size:           2
        .value_kind:     hidden_remainder_y
      - .offset:         3398
        .size:           2
        .value_kind:     hidden_remainder_z
      - .offset:         3416
        .size:           8
        .value_kind:     hidden_global_offset_x
      - .offset:         3424
        .size:           8
        .value_kind:     hidden_global_offset_y
      - .offset:         3432
        .size:           8
        .value_kind:     hidden_global_offset_z
      - .offset:         3440
        .size:           2
        .value_kind:     hidden_grid_dims
    .group_segment_fixed_size: 0
    .kernarg_segment_align: 8
    .kernarg_segment_size: 3632
    .language:       OpenCL C
    .language_version:
      - 2
      - 0
    .max_flat_workgroup_size: 512
    .name:           _ZN2at6native12_GLOBAL__N_125multi_tensor_apply_kernelINS1_18TensorListMetadataILi1EEENS1_14UnaryOpFunctorIN3c104HalfELi1ELi1ELi0EEEJNS0_4AtanIfEEEEEvT_T0_DpT1_
    .private_segment_fixed_size: 0
    .sgpr_count:     32
    .sgpr_spill_count: 0
    .symbol:         _ZN2at6native12_GLOBAL__N_125multi_tensor_apply_kernelINS1_18TensorListMetadataILi1EEENS1_14UnaryOpFunctorIN3c104HalfELi1ELi1ELi0EEEJNS0_4AtanIfEEEEEvT_T0_DpT1_.kd
    .uniform_work_group_size: 1
    .uses_dynamic_stack: false
    .vgpr_count:     24
    .vgpr_spill_count: 0
    .wavefront_size: 64
  - .args:
      - .offset:         0
        .size:           3368
        .value_kind:     by_value
      - .offset:         3368
        .size:           1
        .value_kind:     by_value
      - .offset:         3369
        .size:           1
        .value_kind:     by_value
      - .offset:         3376
        .size:           4
        .value_kind:     hidden_block_count_x
      - .offset:         3380
        .size:           4
        .value_kind:     hidden_block_count_y
      - .offset:         3384
        .size:           4
        .value_kind:     hidden_block_count_z
      - .offset:         3388
        .size:           2
        .value_kind:     hidden_group_size_x
      - .offset:         3390
        .size:           2
        .value_kind:     hidden_group_size_y
      - .offset:         3392
        .size:           2
        .value_kind:     hidden_group_size_z
      - .offset:         3394
        .size:           2
        .value_kind:     hidden_remainder_x
      - .offset:         3396
        .size:           2
        .value_kind:     hidden_remainder_y
      - .offset:         3398
        .size:           2
        .value_kind:     hidden_remainder_z
      - .offset:         3416
        .size:           8
        .value_kind:     hidden_global_offset_x
      - .offset:         3424
        .size:           8
        .value_kind:     hidden_global_offset_y
      - .offset:         3432
        .size:           8
        .value_kind:     hidden_global_offset_z
      - .offset:         3440
        .size:           2
        .value_kind:     hidden_grid_dims
    .group_segment_fixed_size: 0
    .kernarg_segment_align: 8
    .kernarg_segment_size: 3632
    .language:       OpenCL C
    .language_version:
      - 2
      - 0
    .max_flat_workgroup_size: 512
    .name:           _ZN2at6native12_GLOBAL__N_125multi_tensor_apply_kernelINS1_18TensorListMetadataILi1EEENS1_14UnaryOpFunctorIN3c108BFloat16ELi1ELi1ELi0EEEJNS0_4AtanIfEEEEEvT_T0_DpT1_
    .private_segment_fixed_size: 0
    .sgpr_count:     33
    .sgpr_spill_count: 0
    .symbol:         _ZN2at6native12_GLOBAL__N_125multi_tensor_apply_kernelINS1_18TensorListMetadataILi1EEENS1_14UnaryOpFunctorIN3c108BFloat16ELi1ELi1ELi0EEEJNS0_4AtanIfEEEEEvT_T0_DpT1_.kd
    .uniform_work_group_size: 1
    .uses_dynamic_stack: false
    .vgpr_count:     25
    .vgpr_spill_count: 0
    .wavefront_size: 64
  - .args:
      - .offset:         0
        .size:           3144
        .value_kind:     by_value
      - .offset:         3144
        .size:           1
        .value_kind:     by_value
      - .offset:         3145
        .size:           1
        .value_kind:     by_value
      - .offset:         3152
        .size:           4
        .value_kind:     hidden_block_count_x
      - .offset:         3156
        .size:           4
        .value_kind:     hidden_block_count_y
      - .offset:         3160
        .size:           4
        .value_kind:     hidden_block_count_z
      - .offset:         3164
        .size:           2
        .value_kind:     hidden_group_size_x
      - .offset:         3166
        .size:           2
        .value_kind:     hidden_group_size_y
      - .offset:         3168
        .size:           2
        .value_kind:     hidden_group_size_z
      - .offset:         3170
        .size:           2
        .value_kind:     hidden_remainder_x
      - .offset:         3172
        .size:           2
        .value_kind:     hidden_remainder_y
      - .offset:         3174
        .size:           2
        .value_kind:     hidden_remainder_z
      - .offset:         3192
        .size:           8
        .value_kind:     hidden_global_offset_x
      - .offset:         3200
        .size:           8
        .value_kind:     hidden_global_offset_y
      - .offset:         3208
        .size:           8
        .value_kind:     hidden_global_offset_z
      - .offset:         3216
        .size:           2
        .value_kind:     hidden_grid_dims
    .group_segment_fixed_size: 0
    .kernarg_segment_align: 8
    .kernarg_segment_size: 3408
    .language:       OpenCL C
    .language_version:
      - 2
      - 0
    .max_flat_workgroup_size: 512
    .name:           _ZN2at6native12_GLOBAL__N_125multi_tensor_apply_kernelINS1_18TensorListMetadataILi2EEENS1_14UnaryOpFunctorIdLi2ELi1ELi1EEEJNS0_4CoshIdEEEEEvT_T0_DpT1_
    .private_segment_fixed_size: 0
    .sgpr_count:     59
    .sgpr_spill_count: 0
    .symbol:         _ZN2at6native12_GLOBAL__N_125multi_tensor_apply_kernelINS1_18TensorListMetadataILi2EEENS1_14UnaryOpFunctorIdLi2ELi1ELi1EEEJNS0_4CoshIdEEEEEvT_T0_DpT1_.kd
    .uniform_work_group_size: 1
    .uses_dynamic_stack: false
    .vgpr_count:     56
    .vgpr_spill_count: 0
    .wavefront_size: 64
  - .args:
      - .offset:         0
        .size:           3144
        .value_kind:     by_value
      - .offset:         3144
        .size:           1
        .value_kind:     by_value
      - .offset:         3145
        .size:           1
        .value_kind:     by_value
      - .offset:         3152
        .size:           4
        .value_kind:     hidden_block_count_x
      - .offset:         3156
        .size:           4
        .value_kind:     hidden_block_count_y
      - .offset:         3160
        .size:           4
        .value_kind:     hidden_block_count_z
      - .offset:         3164
        .size:           2
        .value_kind:     hidden_group_size_x
      - .offset:         3166
        .size:           2
        .value_kind:     hidden_group_size_y
      - .offset:         3168
        .size:           2
        .value_kind:     hidden_group_size_z
      - .offset:         3170
        .size:           2
        .value_kind:     hidden_remainder_x
      - .offset:         3172
        .size:           2
        .value_kind:     hidden_remainder_y
      - .offset:         3174
        .size:           2
        .value_kind:     hidden_remainder_z
      - .offset:         3192
        .size:           8
        .value_kind:     hidden_global_offset_x
      - .offset:         3200
        .size:           8
        .value_kind:     hidden_global_offset_y
      - .offset:         3208
        .size:           8
        .value_kind:     hidden_global_offset_z
      - .offset:         3216
        .size:           2
        .value_kind:     hidden_grid_dims
    .group_segment_fixed_size: 0
    .kernarg_segment_align: 8
    .kernarg_segment_size: 3408
    .language:       OpenCL C
    .language_version:
      - 2
      - 0
    .max_flat_workgroup_size: 512
    .name:           _ZN2at6native12_GLOBAL__N_125multi_tensor_apply_kernelINS1_18TensorListMetadataILi2EEENS1_14UnaryOpFunctorIfLi2ELi1ELi1EEEJNS0_4CoshIfEEEEEvT_T0_DpT1_
    .private_segment_fixed_size: 0
    .sgpr_count:     25
    .sgpr_spill_count: 0
    .symbol:         _ZN2at6native12_GLOBAL__N_125multi_tensor_apply_kernelINS1_18TensorListMetadataILi2EEENS1_14UnaryOpFunctorIfLi2ELi1ELi1EEEJNS0_4CoshIfEEEEEvT_T0_DpT1_.kd
    .uniform_work_group_size: 1
    .uses_dynamic_stack: false
    .vgpr_count:     43
    .vgpr_spill_count: 0
    .wavefront_size: 64
  - .args:
      - .offset:         0
        .size:           3144
        .value_kind:     by_value
      - .offset:         3144
        .size:           1
        .value_kind:     by_value
      - .offset:         3145
        .size:           1
        .value_kind:     by_value
      - .offset:         3152
        .size:           4
        .value_kind:     hidden_block_count_x
      - .offset:         3156
        .size:           4
        .value_kind:     hidden_block_count_y
      - .offset:         3160
        .size:           4
        .value_kind:     hidden_block_count_z
      - .offset:         3164
        .size:           2
        .value_kind:     hidden_group_size_x
      - .offset:         3166
        .size:           2
        .value_kind:     hidden_group_size_y
      - .offset:         3168
        .size:           2
        .value_kind:     hidden_group_size_z
      - .offset:         3170
        .size:           2
        .value_kind:     hidden_remainder_x
      - .offset:         3172
        .size:           2
        .value_kind:     hidden_remainder_y
      - .offset:         3174
        .size:           2
        .value_kind:     hidden_remainder_z
      - .offset:         3192
        .size:           8
        .value_kind:     hidden_global_offset_x
      - .offset:         3200
        .size:           8
        .value_kind:     hidden_global_offset_y
      - .offset:         3208
        .size:           8
        .value_kind:     hidden_global_offset_z
      - .offset:         3216
        .size:           2
        .value_kind:     hidden_grid_dims
    .group_segment_fixed_size: 0
    .kernarg_segment_align: 8
    .kernarg_segment_size: 3408
    .language:       OpenCL C
    .language_version:
      - 2
      - 0
    .max_flat_workgroup_size: 512
    .name:           _ZN2at6native12_GLOBAL__N_125multi_tensor_apply_kernelINS1_18TensorListMetadataILi2EEENS1_14UnaryOpFunctorIN3c107complexIdEELi2ELi1ELi1EEEJNS0_4CoshIS8_EEEEEvT_T0_DpT1_
    .private_segment_fixed_size: 0
    .sgpr_count:     68
    .sgpr_spill_count: 0
    .symbol:         _ZN2at6native12_GLOBAL__N_125multi_tensor_apply_kernelINS1_18TensorListMetadataILi2EEENS1_14UnaryOpFunctorIN3c107complexIdEELi2ELi1ELi1EEEJNS0_4CoshIS8_EEEEEvT_T0_DpT1_.kd
    .uniform_work_group_size: 1
    .uses_dynamic_stack: false
    .vgpr_count:     67
    .vgpr_spill_count: 0
    .wavefront_size: 64
  - .args:
      - .offset:         0
        .size:           3144
        .value_kind:     by_value
      - .offset:         3144
        .size:           1
        .value_kind:     by_value
      - .offset:         3145
        .size:           1
        .value_kind:     by_value
      - .offset:         3152
        .size:           4
        .value_kind:     hidden_block_count_x
      - .offset:         3156
        .size:           4
        .value_kind:     hidden_block_count_y
      - .offset:         3160
        .size:           4
        .value_kind:     hidden_block_count_z
      - .offset:         3164
        .size:           2
        .value_kind:     hidden_group_size_x
      - .offset:         3166
        .size:           2
        .value_kind:     hidden_group_size_y
      - .offset:         3168
        .size:           2
        .value_kind:     hidden_group_size_z
      - .offset:         3170
        .size:           2
        .value_kind:     hidden_remainder_x
      - .offset:         3172
        .size:           2
        .value_kind:     hidden_remainder_y
      - .offset:         3174
        .size:           2
        .value_kind:     hidden_remainder_z
      - .offset:         3192
        .size:           8
        .value_kind:     hidden_global_offset_x
      - .offset:         3200
        .size:           8
        .value_kind:     hidden_global_offset_y
      - .offset:         3208
        .size:           8
        .value_kind:     hidden_global_offset_z
      - .offset:         3216
        .size:           2
        .value_kind:     hidden_grid_dims
    .group_segment_fixed_size: 0
    .kernarg_segment_align: 8
    .kernarg_segment_size: 3408
    .language:       OpenCL C
    .language_version:
      - 2
      - 0
    .max_flat_workgroup_size: 512
    .name:           _ZN2at6native12_GLOBAL__N_125multi_tensor_apply_kernelINS1_18TensorListMetadataILi2EEENS1_14UnaryOpFunctorIN3c107complexIfEELi2ELi1ELi1EEEJNS0_4CoshIS8_EEEEEvT_T0_DpT1_
    .private_segment_fixed_size: 0
    .sgpr_count:     56
    .sgpr_spill_count: 0
    .symbol:         _ZN2at6native12_GLOBAL__N_125multi_tensor_apply_kernelINS1_18TensorListMetadataILi2EEENS1_14UnaryOpFunctorIN3c107complexIfEELi2ELi1ELi1EEEJNS0_4CoshIS8_EEEEEvT_T0_DpT1_.kd
    .uniform_work_group_size: 1
    .uses_dynamic_stack: false
    .vgpr_count:     35
    .vgpr_spill_count: 0
    .wavefront_size: 64
  - .args:
      - .offset:         0
        .size:           3144
        .value_kind:     by_value
      - .offset:         3144
        .size:           1
        .value_kind:     by_value
      - .offset:         3145
        .size:           1
        .value_kind:     by_value
      - .offset:         3152
        .size:           4
        .value_kind:     hidden_block_count_x
      - .offset:         3156
        .size:           4
        .value_kind:     hidden_block_count_y
      - .offset:         3160
        .size:           4
        .value_kind:     hidden_block_count_z
      - .offset:         3164
        .size:           2
        .value_kind:     hidden_group_size_x
      - .offset:         3166
        .size:           2
        .value_kind:     hidden_group_size_y
      - .offset:         3168
        .size:           2
        .value_kind:     hidden_group_size_z
      - .offset:         3170
        .size:           2
        .value_kind:     hidden_remainder_x
      - .offset:         3172
        .size:           2
        .value_kind:     hidden_remainder_y
      - .offset:         3174
        .size:           2
        .value_kind:     hidden_remainder_z
      - .offset:         3192
        .size:           8
        .value_kind:     hidden_global_offset_x
      - .offset:         3200
        .size:           8
        .value_kind:     hidden_global_offset_y
      - .offset:         3208
        .size:           8
        .value_kind:     hidden_global_offset_z
      - .offset:         3216
        .size:           2
        .value_kind:     hidden_grid_dims
    .group_segment_fixed_size: 0
    .kernarg_segment_align: 8
    .kernarg_segment_size: 3408
    .language:       OpenCL C
    .language_version:
      - 2
      - 0
    .max_flat_workgroup_size: 512
    .name:           _ZN2at6native12_GLOBAL__N_125multi_tensor_apply_kernelINS1_18TensorListMetadataILi2EEENS1_14UnaryOpFunctorIN3c104HalfELi2ELi1ELi1EEEJNS0_4CoshIfEEEEEvT_T0_DpT1_
    .private_segment_fixed_size: 0
    .sgpr_count:     25
    .sgpr_spill_count: 0
    .symbol:         _ZN2at6native12_GLOBAL__N_125multi_tensor_apply_kernelINS1_18TensorListMetadataILi2EEENS1_14UnaryOpFunctorIN3c104HalfELi2ELi1ELi1EEEJNS0_4CoshIfEEEEEvT_T0_DpT1_.kd
    .uniform_work_group_size: 1
    .uses_dynamic_stack: false
    .vgpr_count:     43
    .vgpr_spill_count: 0
    .wavefront_size: 64
  - .args:
      - .offset:         0
        .size:           3144
        .value_kind:     by_value
      - .offset:         3144
        .size:           1
        .value_kind:     by_value
      - .offset:         3145
        .size:           1
        .value_kind:     by_value
      - .offset:         3152
        .size:           4
        .value_kind:     hidden_block_count_x
      - .offset:         3156
        .size:           4
        .value_kind:     hidden_block_count_y
      - .offset:         3160
        .size:           4
        .value_kind:     hidden_block_count_z
      - .offset:         3164
        .size:           2
        .value_kind:     hidden_group_size_x
      - .offset:         3166
        .size:           2
        .value_kind:     hidden_group_size_y
      - .offset:         3168
        .size:           2
        .value_kind:     hidden_group_size_z
      - .offset:         3170
        .size:           2
        .value_kind:     hidden_remainder_x
      - .offset:         3172
        .size:           2
        .value_kind:     hidden_remainder_y
      - .offset:         3174
        .size:           2
        .value_kind:     hidden_remainder_z
      - .offset:         3192
        .size:           8
        .value_kind:     hidden_global_offset_x
      - .offset:         3200
        .size:           8
        .value_kind:     hidden_global_offset_y
      - .offset:         3208
        .size:           8
        .value_kind:     hidden_global_offset_z
      - .offset:         3216
        .size:           2
        .value_kind:     hidden_grid_dims
    .group_segment_fixed_size: 0
    .kernarg_segment_align: 8
    .kernarg_segment_size: 3408
    .language:       OpenCL C
    .language_version:
      - 2
      - 0
    .max_flat_workgroup_size: 512
    .name:           _ZN2at6native12_GLOBAL__N_125multi_tensor_apply_kernelINS1_18TensorListMetadataILi2EEENS1_14UnaryOpFunctorIN3c108BFloat16ELi2ELi1ELi1EEEJNS0_4CoshIfEEEEEvT_T0_DpT1_
    .private_segment_fixed_size: 0
    .sgpr_count:     26
    .sgpr_spill_count: 0
    .symbol:         _ZN2at6native12_GLOBAL__N_125multi_tensor_apply_kernelINS1_18TensorListMetadataILi2EEENS1_14UnaryOpFunctorIN3c108BFloat16ELi2ELi1ELi1EEEJNS0_4CoshIfEEEEEvT_T0_DpT1_.kd
    .uniform_work_group_size: 1
    .uses_dynamic_stack: false
    .vgpr_count:     44
    .vgpr_spill_count: 0
    .wavefront_size: 64
  - .args:
      - .offset:         0
        .size:           3368
        .value_kind:     by_value
      - .offset:         3368
        .size:           1
        .value_kind:     by_value
      - .offset:         3369
        .size:           1
        .value_kind:     by_value
      - .offset:         3376
        .size:           4
        .value_kind:     hidden_block_count_x
      - .offset:         3380
        .size:           4
        .value_kind:     hidden_block_count_y
      - .offset:         3384
        .size:           4
        .value_kind:     hidden_block_count_z
      - .offset:         3388
        .size:           2
        .value_kind:     hidden_group_size_x
      - .offset:         3390
        .size:           2
        .value_kind:     hidden_group_size_y
      - .offset:         3392
        .size:           2
        .value_kind:     hidden_group_size_z
      - .offset:         3394
        .size:           2
        .value_kind:     hidden_remainder_x
      - .offset:         3396
        .size:           2
        .value_kind:     hidden_remainder_y
      - .offset:         3398
        .size:           2
        .value_kind:     hidden_remainder_z
      - .offset:         3416
        .size:           8
        .value_kind:     hidden_global_offset_x
      - .offset:         3424
        .size:           8
        .value_kind:     hidden_global_offset_y
      - .offset:         3432
        .size:           8
        .value_kind:     hidden_global_offset_z
      - .offset:         3440
        .size:           2
        .value_kind:     hidden_grid_dims
    .group_segment_fixed_size: 0
    .kernarg_segment_align: 8
    .kernarg_segment_size: 3632
    .language:       OpenCL C
    .language_version:
      - 2
      - 0
    .max_flat_workgroup_size: 512
    .name:           _ZN2at6native12_GLOBAL__N_125multi_tensor_apply_kernelINS1_18TensorListMetadataILi1EEENS1_14UnaryOpFunctorIdLi1ELi1ELi0EEEJNS0_4CoshIdEEEEEvT_T0_DpT1_
    .private_segment_fixed_size: 0
    .sgpr_count:     67
    .sgpr_spill_count: 0
    .symbol:         _ZN2at6native12_GLOBAL__N_125multi_tensor_apply_kernelINS1_18TensorListMetadataILi1EEENS1_14UnaryOpFunctorIdLi1ELi1ELi0EEEJNS0_4CoshIdEEEEEvT_T0_DpT1_.kd
    .uniform_work_group_size: 1
    .uses_dynamic_stack: false
    .vgpr_count:     44
    .vgpr_spill_count: 0
    .wavefront_size: 64
  - .args:
      - .offset:         0
        .size:           3368
        .value_kind:     by_value
      - .offset:         3368
        .size:           1
        .value_kind:     by_value
      - .offset:         3369
        .size:           1
        .value_kind:     by_value
      - .offset:         3376
        .size:           4
        .value_kind:     hidden_block_count_x
      - .offset:         3380
        .size:           4
        .value_kind:     hidden_block_count_y
      - .offset:         3384
        .size:           4
        .value_kind:     hidden_block_count_z
      - .offset:         3388
        .size:           2
        .value_kind:     hidden_group_size_x
      - .offset:         3390
        .size:           2
        .value_kind:     hidden_group_size_y
      - .offset:         3392
        .size:           2
        .value_kind:     hidden_group_size_z
      - .offset:         3394
        .size:           2
        .value_kind:     hidden_remainder_x
      - .offset:         3396
        .size:           2
        .value_kind:     hidden_remainder_y
      - .offset:         3398
        .size:           2
        .value_kind:     hidden_remainder_z
      - .offset:         3416
        .size:           8
        .value_kind:     hidden_global_offset_x
      - .offset:         3424
        .size:           8
        .value_kind:     hidden_global_offset_y
      - .offset:         3432
        .size:           8
        .value_kind:     hidden_global_offset_z
      - .offset:         3440
        .size:           2
        .value_kind:     hidden_grid_dims
    .group_segment_fixed_size: 0
    .kernarg_segment_align: 8
    .kernarg_segment_size: 3632
    .language:       OpenCL C
    .language_version:
      - 2
      - 0
    .max_flat_workgroup_size: 512
    .name:           _ZN2at6native12_GLOBAL__N_125multi_tensor_apply_kernelINS1_18TensorListMetadataILi1EEENS1_14UnaryOpFunctorIfLi1ELi1ELi0EEEJNS0_4CoshIfEEEEEvT_T0_DpT1_
    .private_segment_fixed_size: 0
    .sgpr_count:     33
    .sgpr_spill_count: 0
    .symbol:         _ZN2at6native12_GLOBAL__N_125multi_tensor_apply_kernelINS1_18TensorListMetadataILi1EEENS1_14UnaryOpFunctorIfLi1ELi1ELi0EEEJNS0_4CoshIfEEEEEvT_T0_DpT1_.kd
    .uniform_work_group_size: 1
    .uses_dynamic_stack: false
    .vgpr_count:     30
    .vgpr_spill_count: 0
    .wavefront_size: 64
  - .args:
      - .offset:         0
        .size:           3368
        .value_kind:     by_value
      - .offset:         3368
        .size:           1
        .value_kind:     by_value
      - .offset:         3369
        .size:           1
        .value_kind:     by_value
      - .offset:         3376
        .size:           4
        .value_kind:     hidden_block_count_x
      - .offset:         3380
        .size:           4
        .value_kind:     hidden_block_count_y
      - .offset:         3384
        .size:           4
        .value_kind:     hidden_block_count_z
      - .offset:         3388
        .size:           2
        .value_kind:     hidden_group_size_x
      - .offset:         3390
        .size:           2
        .value_kind:     hidden_group_size_y
      - .offset:         3392
        .size:           2
        .value_kind:     hidden_group_size_z
      - .offset:         3394
        .size:           2
        .value_kind:     hidden_remainder_x
      - .offset:         3396
        .size:           2
        .value_kind:     hidden_remainder_y
      - .offset:         3398
        .size:           2
        .value_kind:     hidden_remainder_z
      - .offset:         3416
        .size:           8
        .value_kind:     hidden_global_offset_x
      - .offset:         3424
        .size:           8
        .value_kind:     hidden_global_offset_y
      - .offset:         3432
        .size:           8
        .value_kind:     hidden_global_offset_z
      - .offset:         3440
        .size:           2
        .value_kind:     hidden_grid_dims
    .group_segment_fixed_size: 0
    .kernarg_segment_align: 8
    .kernarg_segment_size: 3632
    .language:       OpenCL C
    .language_version:
      - 2
      - 0
    .max_flat_workgroup_size: 512
    .name:           _ZN2at6native12_GLOBAL__N_125multi_tensor_apply_kernelINS1_18TensorListMetadataILi1EEENS1_14UnaryOpFunctorIN3c107complexIdEELi1ELi1ELi0EEEJNS0_4CoshIS8_EEEEEvT_T0_DpT1_
    .private_segment_fixed_size: 0
    .sgpr_count:     71
    .sgpr_spill_count: 0
    .symbol:         _ZN2at6native12_GLOBAL__N_125multi_tensor_apply_kernelINS1_18TensorListMetadataILi1EEENS1_14UnaryOpFunctorIN3c107complexIdEELi1ELi1ELi0EEEJNS0_4CoshIS8_EEEEEvT_T0_DpT1_.kd
    .uniform_work_group_size: 1
    .uses_dynamic_stack: false
    .vgpr_count:     71
    .vgpr_spill_count: 0
    .wavefront_size: 64
  - .args:
      - .offset:         0
        .size:           3368
        .value_kind:     by_value
      - .offset:         3368
        .size:           1
        .value_kind:     by_value
      - .offset:         3369
        .size:           1
        .value_kind:     by_value
      - .offset:         3376
        .size:           4
        .value_kind:     hidden_block_count_x
      - .offset:         3380
        .size:           4
        .value_kind:     hidden_block_count_y
      - .offset:         3384
        .size:           4
        .value_kind:     hidden_block_count_z
      - .offset:         3388
        .size:           2
        .value_kind:     hidden_group_size_x
      - .offset:         3390
        .size:           2
        .value_kind:     hidden_group_size_y
      - .offset:         3392
        .size:           2
        .value_kind:     hidden_group_size_z
      - .offset:         3394
        .size:           2
        .value_kind:     hidden_remainder_x
      - .offset:         3396
        .size:           2
        .value_kind:     hidden_remainder_y
      - .offset:         3398
        .size:           2
        .value_kind:     hidden_remainder_z
      - .offset:         3416
        .size:           8
        .value_kind:     hidden_global_offset_x
      - .offset:         3424
        .size:           8
        .value_kind:     hidden_global_offset_y
      - .offset:         3432
        .size:           8
        .value_kind:     hidden_global_offset_z
      - .offset:         3440
        .size:           2
        .value_kind:     hidden_grid_dims
    .group_segment_fixed_size: 0
    .kernarg_segment_align: 8
    .kernarg_segment_size: 3632
    .language:       OpenCL C
    .language_version:
      - 2
      - 0
    .max_flat_workgroup_size: 512
    .name:           _ZN2at6native12_GLOBAL__N_125multi_tensor_apply_kernelINS1_18TensorListMetadataILi1EEENS1_14UnaryOpFunctorIN3c107complexIfEELi1ELi1ELi0EEEJNS0_4CoshIS8_EEEEEvT_T0_DpT1_
    .private_segment_fixed_size: 0
    .sgpr_count:     59
    .sgpr_spill_count: 0
    .symbol:         _ZN2at6native12_GLOBAL__N_125multi_tensor_apply_kernelINS1_18TensorListMetadataILi1EEENS1_14UnaryOpFunctorIN3c107complexIfEELi1ELi1ELi0EEEJNS0_4CoshIS8_EEEEEvT_T0_DpT1_.kd
    .uniform_work_group_size: 1
    .uses_dynamic_stack: false
    .vgpr_count:     39
    .vgpr_spill_count: 0
    .wavefront_size: 64
  - .args:
      - .offset:         0
        .size:           3368
        .value_kind:     by_value
      - .offset:         3368
        .size:           1
        .value_kind:     by_value
      - .offset:         3369
        .size:           1
        .value_kind:     by_value
      - .offset:         3376
        .size:           4
        .value_kind:     hidden_block_count_x
      - .offset:         3380
        .size:           4
        .value_kind:     hidden_block_count_y
      - .offset:         3384
        .size:           4
        .value_kind:     hidden_block_count_z
      - .offset:         3388
        .size:           2
        .value_kind:     hidden_group_size_x
      - .offset:         3390
        .size:           2
        .value_kind:     hidden_group_size_y
      - .offset:         3392
        .size:           2
        .value_kind:     hidden_group_size_z
      - .offset:         3394
        .size:           2
        .value_kind:     hidden_remainder_x
      - .offset:         3396
        .size:           2
        .value_kind:     hidden_remainder_y
      - .offset:         3398
        .size:           2
        .value_kind:     hidden_remainder_z
      - .offset:         3416
        .size:           8
        .value_kind:     hidden_global_offset_x
      - .offset:         3424
        .size:           8
        .value_kind:     hidden_global_offset_y
      - .offset:         3432
        .size:           8
        .value_kind:     hidden_global_offset_z
      - .offset:         3440
        .size:           2
        .value_kind:     hidden_grid_dims
    .group_segment_fixed_size: 0
    .kernarg_segment_align: 8
    .kernarg_segment_size: 3632
    .language:       OpenCL C
    .language_version:
      - 2
      - 0
    .max_flat_workgroup_size: 512
    .name:           _ZN2at6native12_GLOBAL__N_125multi_tensor_apply_kernelINS1_18TensorListMetadataILi1EEENS1_14UnaryOpFunctorIN3c104HalfELi1ELi1ELi0EEEJNS0_4CoshIfEEEEEvT_T0_DpT1_
    .private_segment_fixed_size: 0
    .sgpr_count:     32
    .sgpr_spill_count: 0
    .symbol:         _ZN2at6native12_GLOBAL__N_125multi_tensor_apply_kernelINS1_18TensorListMetadataILi1EEENS1_14UnaryOpFunctorIN3c104HalfELi1ELi1ELi0EEEJNS0_4CoshIfEEEEEvT_T0_DpT1_.kd
    .uniform_work_group_size: 1
    .uses_dynamic_stack: false
    .vgpr_count:     30
    .vgpr_spill_count: 0
    .wavefront_size: 64
  - .args:
      - .offset:         0
        .size:           3368
        .value_kind:     by_value
      - .offset:         3368
        .size:           1
        .value_kind:     by_value
      - .offset:         3369
        .size:           1
        .value_kind:     by_value
      - .offset:         3376
        .size:           4
        .value_kind:     hidden_block_count_x
      - .offset:         3380
        .size:           4
        .value_kind:     hidden_block_count_y
      - .offset:         3384
        .size:           4
        .value_kind:     hidden_block_count_z
      - .offset:         3388
        .size:           2
        .value_kind:     hidden_group_size_x
      - .offset:         3390
        .size:           2
        .value_kind:     hidden_group_size_y
      - .offset:         3392
        .size:           2
        .value_kind:     hidden_group_size_z
      - .offset:         3394
        .size:           2
        .value_kind:     hidden_remainder_x
      - .offset:         3396
        .size:           2
        .value_kind:     hidden_remainder_y
      - .offset:         3398
        .size:           2
        .value_kind:     hidden_remainder_z
      - .offset:         3416
        .size:           8
        .value_kind:     hidden_global_offset_x
      - .offset:         3424
        .size:           8
        .value_kind:     hidden_global_offset_y
      - .offset:         3432
        .size:           8
        .value_kind:     hidden_global_offset_z
      - .offset:         3440
        .size:           2
        .value_kind:     hidden_grid_dims
    .group_segment_fixed_size: 0
    .kernarg_segment_align: 8
    .kernarg_segment_size: 3632
    .language:       OpenCL C
    .language_version:
      - 2
      - 0
    .max_flat_workgroup_size: 512
    .name:           _ZN2at6native12_GLOBAL__N_125multi_tensor_apply_kernelINS1_18TensorListMetadataILi1EEENS1_14UnaryOpFunctorIN3c108BFloat16ELi1ELi1ELi0EEEJNS0_4CoshIfEEEEEvT_T0_DpT1_
    .private_segment_fixed_size: 0
    .sgpr_count:     33
    .sgpr_spill_count: 0
    .symbol:         _ZN2at6native12_GLOBAL__N_125multi_tensor_apply_kernelINS1_18TensorListMetadataILi1EEENS1_14UnaryOpFunctorIN3c108BFloat16ELi1ELi1ELi0EEEJNS0_4CoshIfEEEEEvT_T0_DpT1_.kd
    .uniform_work_group_size: 1
    .uses_dynamic_stack: false
    .vgpr_count:     32
    .vgpr_spill_count: 0
    .wavefront_size: 64
  - .args:
      - .offset:         0
        .size:           3144
        .value_kind:     by_value
      - .offset:         3144
        .size:           1
        .value_kind:     by_value
      - .offset:         3145
        .size:           1
        .value_kind:     by_value
      - .offset:         3152
        .size:           4
        .value_kind:     hidden_block_count_x
      - .offset:         3156
        .size:           4
        .value_kind:     hidden_block_count_y
      - .offset:         3160
        .size:           4
        .value_kind:     hidden_block_count_z
      - .offset:         3164
        .size:           2
        .value_kind:     hidden_group_size_x
      - .offset:         3166
        .size:           2
        .value_kind:     hidden_group_size_y
      - .offset:         3168
        .size:           2
        .value_kind:     hidden_group_size_z
      - .offset:         3170
        .size:           2
        .value_kind:     hidden_remainder_x
      - .offset:         3172
        .size:           2
        .value_kind:     hidden_remainder_y
      - .offset:         3174
        .size:           2
        .value_kind:     hidden_remainder_z
      - .offset:         3192
        .size:           8
        .value_kind:     hidden_global_offset_x
      - .offset:         3200
        .size:           8
        .value_kind:     hidden_global_offset_y
      - .offset:         3208
        .size:           8
        .value_kind:     hidden_global_offset_z
      - .offset:         3216
        .size:           2
        .value_kind:     hidden_grid_dims
    .group_segment_fixed_size: 0
    .kernarg_segment_align: 8
    .kernarg_segment_size: 3408
    .language:       OpenCL C
    .language_version:
      - 2
      - 0
    .max_flat_workgroup_size: 512
    .name:           _ZN2at6native12_GLOBAL__N_125multi_tensor_apply_kernelINS1_18TensorListMetadataILi2EEENS1_14UnaryOpFunctorIdLi2ELi1ELi1EEEJNS0_3TanIdEEEEEvT_T0_DpT1_
    .private_segment_fixed_size: 0
    .sgpr_count:     79
    .sgpr_spill_count: 0
    .symbol:         _ZN2at6native12_GLOBAL__N_125multi_tensor_apply_kernelINS1_18TensorListMetadataILi2EEENS1_14UnaryOpFunctorIdLi2ELi1ELi1EEEJNS0_3TanIdEEEEEvT_T0_DpT1_.kd
    .uniform_work_group_size: 1
    .uses_dynamic_stack: false
    .vgpr_count:     83
    .vgpr_spill_count: 0
    .wavefront_size: 64
  - .args:
      - .offset:         0
        .size:           3144
        .value_kind:     by_value
      - .offset:         3144
        .size:           1
        .value_kind:     by_value
      - .offset:         3145
        .size:           1
        .value_kind:     by_value
      - .offset:         3152
        .size:           4
        .value_kind:     hidden_block_count_x
      - .offset:         3156
        .size:           4
        .value_kind:     hidden_block_count_y
      - .offset:         3160
        .size:           4
        .value_kind:     hidden_block_count_z
      - .offset:         3164
        .size:           2
        .value_kind:     hidden_group_size_x
      - .offset:         3166
        .size:           2
        .value_kind:     hidden_group_size_y
      - .offset:         3168
        .size:           2
        .value_kind:     hidden_group_size_z
      - .offset:         3170
        .size:           2
        .value_kind:     hidden_remainder_x
      - .offset:         3172
        .size:           2
        .value_kind:     hidden_remainder_y
      - .offset:         3174
        .size:           2
        .value_kind:     hidden_remainder_z
      - .offset:         3192
        .size:           8
        .value_kind:     hidden_global_offset_x
      - .offset:         3200
        .size:           8
        .value_kind:     hidden_global_offset_y
      - .offset:         3208
        .size:           8
        .value_kind:     hidden_global_offset_z
      - .offset:         3216
        .size:           2
        .value_kind:     hidden_grid_dims
    .group_segment_fixed_size: 0
    .kernarg_segment_align: 8
    .kernarg_segment_size: 3408
    .language:       OpenCL C
    .language_version:
      - 2
      - 0
    .max_flat_workgroup_size: 512
    .name:           _ZN2at6native12_GLOBAL__N_125multi_tensor_apply_kernelINS1_18TensorListMetadataILi2EEENS1_14UnaryOpFunctorIfLi2ELi1ELi1EEEJNS0_3TanIfEEEEEvT_T0_DpT1_
    .private_segment_fixed_size: 0
    .sgpr_count:     43
    .sgpr_spill_count: 0
    .symbol:         _ZN2at6native12_GLOBAL__N_125multi_tensor_apply_kernelINS1_18TensorListMetadataILi2EEENS1_14UnaryOpFunctorIfLi2ELi1ELi1EEEJNS0_3TanIfEEEEEvT_T0_DpT1_.kd
    .uniform_work_group_size: 1
    .uses_dynamic_stack: false
    .vgpr_count:     54
    .vgpr_spill_count: 0
    .wavefront_size: 64
  - .args:
      - .offset:         0
        .size:           3144
        .value_kind:     by_value
      - .offset:         3144
        .size:           1
        .value_kind:     by_value
      - .offset:         3145
        .size:           1
        .value_kind:     by_value
      - .offset:         3152
        .size:           4
        .value_kind:     hidden_block_count_x
      - .offset:         3156
        .size:           4
        .value_kind:     hidden_block_count_y
      - .offset:         3160
        .size:           4
        .value_kind:     hidden_block_count_z
      - .offset:         3164
        .size:           2
        .value_kind:     hidden_group_size_x
      - .offset:         3166
        .size:           2
        .value_kind:     hidden_group_size_y
      - .offset:         3168
        .size:           2
        .value_kind:     hidden_group_size_z
      - .offset:         3170
        .size:           2
        .value_kind:     hidden_remainder_x
      - .offset:         3172
        .size:           2
        .value_kind:     hidden_remainder_y
      - .offset:         3174
        .size:           2
        .value_kind:     hidden_remainder_z
      - .offset:         3192
        .size:           8
        .value_kind:     hidden_global_offset_x
      - .offset:         3200
        .size:           8
        .value_kind:     hidden_global_offset_y
      - .offset:         3208
        .size:           8
        .value_kind:     hidden_global_offset_z
      - .offset:         3216
        .size:           2
        .value_kind:     hidden_grid_dims
    .group_segment_fixed_size: 0
    .kernarg_segment_align: 8
    .kernarg_segment_size: 3408
    .language:       OpenCL C
    .language_version:
      - 2
      - 0
    .max_flat_workgroup_size: 512
    .name:           _ZN2at6native12_GLOBAL__N_125multi_tensor_apply_kernelINS1_18TensorListMetadataILi2EEENS1_14UnaryOpFunctorIN3c107complexIdEELi2ELi1ELi1EEEJNS0_3TanIS8_EEEEEvT_T0_DpT1_
    .private_segment_fixed_size: 0
    .sgpr_count:     100
    .sgpr_spill_count: 2
    .symbol:         _ZN2at6native12_GLOBAL__N_125multi_tensor_apply_kernelINS1_18TensorListMetadataILi2EEENS1_14UnaryOpFunctorIN3c107complexIdEELi2ELi1ELi1EEEJNS0_3TanIS8_EEEEEvT_T0_DpT1_.kd
    .uniform_work_group_size: 1
    .uses_dynamic_stack: false
    .vgpr_count:     82
    .vgpr_spill_count: 0
    .wavefront_size: 64
  - .args:
      - .offset:         0
        .size:           3144
        .value_kind:     by_value
      - .offset:         3144
        .size:           1
        .value_kind:     by_value
      - .offset:         3145
        .size:           1
        .value_kind:     by_value
      - .offset:         3152
        .size:           4
        .value_kind:     hidden_block_count_x
      - .offset:         3156
        .size:           4
        .value_kind:     hidden_block_count_y
      - .offset:         3160
        .size:           4
        .value_kind:     hidden_block_count_z
      - .offset:         3164
        .size:           2
        .value_kind:     hidden_group_size_x
      - .offset:         3166
        .size:           2
        .value_kind:     hidden_group_size_y
      - .offset:         3168
        .size:           2
        .value_kind:     hidden_group_size_z
      - .offset:         3170
        .size:           2
        .value_kind:     hidden_remainder_x
      - .offset:         3172
        .size:           2
        .value_kind:     hidden_remainder_y
      - .offset:         3174
        .size:           2
        .value_kind:     hidden_remainder_z
      - .offset:         3192
        .size:           8
        .value_kind:     hidden_global_offset_x
      - .offset:         3200
        .size:           8
        .value_kind:     hidden_global_offset_y
      - .offset:         3208
        .size:           8
        .value_kind:     hidden_global_offset_z
      - .offset:         3216
        .size:           2
        .value_kind:     hidden_grid_dims
    .group_segment_fixed_size: 0
    .kernarg_segment_align: 8
    .kernarg_segment_size: 3408
    .language:       OpenCL C
    .language_version:
      - 2
      - 0
    .max_flat_workgroup_size: 512
    .name:           _ZN2at6native12_GLOBAL__N_125multi_tensor_apply_kernelINS1_18TensorListMetadataILi2EEENS1_14UnaryOpFunctorIN3c107complexIfEELi2ELi1ELi1EEEJNS0_3TanIS8_EEEEEvT_T0_DpT1_
    .private_segment_fixed_size: 0
    .sgpr_count:     66
    .sgpr_spill_count: 0
    .symbol:         _ZN2at6native12_GLOBAL__N_125multi_tensor_apply_kernelINS1_18TensorListMetadataILi2EEENS1_14UnaryOpFunctorIN3c107complexIfEELi2ELi1ELi1EEEJNS0_3TanIS8_EEEEEvT_T0_DpT1_.kd
    .uniform_work_group_size: 1
    .uses_dynamic_stack: false
    .vgpr_count:     45
    .vgpr_spill_count: 0
    .wavefront_size: 64
  - .args:
      - .offset:         0
        .size:           3144
        .value_kind:     by_value
      - .offset:         3144
        .size:           1
        .value_kind:     by_value
      - .offset:         3145
        .size:           1
        .value_kind:     by_value
      - .offset:         3152
        .size:           4
        .value_kind:     hidden_block_count_x
      - .offset:         3156
        .size:           4
        .value_kind:     hidden_block_count_y
      - .offset:         3160
        .size:           4
        .value_kind:     hidden_block_count_z
      - .offset:         3164
        .size:           2
        .value_kind:     hidden_group_size_x
      - .offset:         3166
        .size:           2
        .value_kind:     hidden_group_size_y
      - .offset:         3168
        .size:           2
        .value_kind:     hidden_group_size_z
      - .offset:         3170
        .size:           2
        .value_kind:     hidden_remainder_x
      - .offset:         3172
        .size:           2
        .value_kind:     hidden_remainder_y
      - .offset:         3174
        .size:           2
        .value_kind:     hidden_remainder_z
      - .offset:         3192
        .size:           8
        .value_kind:     hidden_global_offset_x
      - .offset:         3200
        .size:           8
        .value_kind:     hidden_global_offset_y
      - .offset:         3208
        .size:           8
        .value_kind:     hidden_global_offset_z
      - .offset:         3216
        .size:           2
        .value_kind:     hidden_grid_dims
    .group_segment_fixed_size: 0
    .kernarg_segment_align: 8
    .kernarg_segment_size: 3408
    .language:       OpenCL C
    .language_version:
      - 2
      - 0
    .max_flat_workgroup_size: 512
    .name:           _ZN2at6native12_GLOBAL__N_125multi_tensor_apply_kernelINS1_18TensorListMetadataILi2EEENS1_14UnaryOpFunctorIN3c104HalfELi2ELi1ELi1EEEJNS0_3TanIfEEEEEvT_T0_DpT1_
    .private_segment_fixed_size: 0
    .sgpr_count:     43
    .sgpr_spill_count: 0
    .symbol:         _ZN2at6native12_GLOBAL__N_125multi_tensor_apply_kernelINS1_18TensorListMetadataILi2EEENS1_14UnaryOpFunctorIN3c104HalfELi2ELi1ELi1EEEJNS0_3TanIfEEEEEvT_T0_DpT1_.kd
    .uniform_work_group_size: 1
    .uses_dynamic_stack: false
    .vgpr_count:     54
    .vgpr_spill_count: 0
    .wavefront_size: 64
  - .args:
      - .offset:         0
        .size:           3144
        .value_kind:     by_value
      - .offset:         3144
        .size:           1
        .value_kind:     by_value
      - .offset:         3145
        .size:           1
        .value_kind:     by_value
      - .offset:         3152
        .size:           4
        .value_kind:     hidden_block_count_x
      - .offset:         3156
        .size:           4
        .value_kind:     hidden_block_count_y
      - .offset:         3160
        .size:           4
        .value_kind:     hidden_block_count_z
      - .offset:         3164
        .size:           2
        .value_kind:     hidden_group_size_x
      - .offset:         3166
        .size:           2
        .value_kind:     hidden_group_size_y
      - .offset:         3168
        .size:           2
        .value_kind:     hidden_group_size_z
      - .offset:         3170
        .size:           2
        .value_kind:     hidden_remainder_x
      - .offset:         3172
        .size:           2
        .value_kind:     hidden_remainder_y
      - .offset:         3174
        .size:           2
        .value_kind:     hidden_remainder_z
      - .offset:         3192
        .size:           8
        .value_kind:     hidden_global_offset_x
      - .offset:         3200
        .size:           8
        .value_kind:     hidden_global_offset_y
      - .offset:         3208
        .size:           8
        .value_kind:     hidden_global_offset_z
      - .offset:         3216
        .size:           2
        .value_kind:     hidden_grid_dims
    .group_segment_fixed_size: 0
    .kernarg_segment_align: 8
    .kernarg_segment_size: 3408
    .language:       OpenCL C
    .language_version:
      - 2
      - 0
    .max_flat_workgroup_size: 512
    .name:           _ZN2at6native12_GLOBAL__N_125multi_tensor_apply_kernelINS1_18TensorListMetadataILi2EEENS1_14UnaryOpFunctorIN3c108BFloat16ELi2ELi1ELi1EEEJNS0_3TanIfEEEEEvT_T0_DpT1_
    .private_segment_fixed_size: 0
    .sgpr_count:     44
    .sgpr_spill_count: 0
    .symbol:         _ZN2at6native12_GLOBAL__N_125multi_tensor_apply_kernelINS1_18TensorListMetadataILi2EEENS1_14UnaryOpFunctorIN3c108BFloat16ELi2ELi1ELi1EEEJNS0_3TanIfEEEEEvT_T0_DpT1_.kd
    .uniform_work_group_size: 1
    .uses_dynamic_stack: false
    .vgpr_count:     55
    .vgpr_spill_count: 0
    .wavefront_size: 64
  - .args:
      - .offset:         0
        .size:           3368
        .value_kind:     by_value
      - .offset:         3368
        .size:           1
        .value_kind:     by_value
      - .offset:         3369
        .size:           1
        .value_kind:     by_value
      - .offset:         3376
        .size:           4
        .value_kind:     hidden_block_count_x
      - .offset:         3380
        .size:           4
        .value_kind:     hidden_block_count_y
      - .offset:         3384
        .size:           4
        .value_kind:     hidden_block_count_z
      - .offset:         3388
        .size:           2
        .value_kind:     hidden_group_size_x
      - .offset:         3390
        .size:           2
        .value_kind:     hidden_group_size_y
      - .offset:         3392
        .size:           2
        .value_kind:     hidden_group_size_z
      - .offset:         3394
        .size:           2
        .value_kind:     hidden_remainder_x
      - .offset:         3396
        .size:           2
        .value_kind:     hidden_remainder_y
      - .offset:         3398
        .size:           2
        .value_kind:     hidden_remainder_z
      - .offset:         3416
        .size:           8
        .value_kind:     hidden_global_offset_x
      - .offset:         3424
        .size:           8
        .value_kind:     hidden_global_offset_y
      - .offset:         3432
        .size:           8
        .value_kind:     hidden_global_offset_z
      - .offset:         3440
        .size:           2
        .value_kind:     hidden_grid_dims
    .group_segment_fixed_size: 0
    .kernarg_segment_align: 8
    .kernarg_segment_size: 3632
    .language:       OpenCL C
    .language_version:
      - 2
      - 0
    .max_flat_workgroup_size: 512
    .name:           _ZN2at6native12_GLOBAL__N_125multi_tensor_apply_kernelINS1_18TensorListMetadataILi1EEENS1_14UnaryOpFunctorIdLi1ELi1ELi0EEEJNS0_3TanIdEEEEEvT_T0_DpT1_
    .private_segment_fixed_size: 0
    .sgpr_count:     83
    .sgpr_spill_count: 0
    .symbol:         _ZN2at6native12_GLOBAL__N_125multi_tensor_apply_kernelINS1_18TensorListMetadataILi1EEENS1_14UnaryOpFunctorIdLi1ELi1ELi0EEEJNS0_3TanIdEEEEEvT_T0_DpT1_.kd
    .uniform_work_group_size: 1
    .uses_dynamic_stack: false
    .vgpr_count:     73
    .vgpr_spill_count: 0
    .wavefront_size: 64
  - .args:
      - .offset:         0
        .size:           3368
        .value_kind:     by_value
      - .offset:         3368
        .size:           1
        .value_kind:     by_value
      - .offset:         3369
        .size:           1
        .value_kind:     by_value
      - .offset:         3376
        .size:           4
        .value_kind:     hidden_block_count_x
      - .offset:         3380
        .size:           4
        .value_kind:     hidden_block_count_y
      - .offset:         3384
        .size:           4
        .value_kind:     hidden_block_count_z
      - .offset:         3388
        .size:           2
        .value_kind:     hidden_group_size_x
      - .offset:         3390
        .size:           2
        .value_kind:     hidden_group_size_y
      - .offset:         3392
        .size:           2
        .value_kind:     hidden_group_size_z
      - .offset:         3394
        .size:           2
        .value_kind:     hidden_remainder_x
      - .offset:         3396
        .size:           2
        .value_kind:     hidden_remainder_y
      - .offset:         3398
        .size:           2
        .value_kind:     hidden_remainder_z
      - .offset:         3416
        .size:           8
        .value_kind:     hidden_global_offset_x
      - .offset:         3424
        .size:           8
        .value_kind:     hidden_global_offset_y
      - .offset:         3432
        .size:           8
        .value_kind:     hidden_global_offset_z
      - .offset:         3440
        .size:           2
        .value_kind:     hidden_grid_dims
    .group_segment_fixed_size: 0
    .kernarg_segment_align: 8
    .kernarg_segment_size: 3632
    .language:       OpenCL C
    .language_version:
      - 2
      - 0
    .max_flat_workgroup_size: 512
    .name:           _ZN2at6native12_GLOBAL__N_125multi_tensor_apply_kernelINS1_18TensorListMetadataILi1EEENS1_14UnaryOpFunctorIfLi1ELi1ELi0EEEJNS0_3TanIfEEEEEvT_T0_DpT1_
    .private_segment_fixed_size: 0
    .sgpr_count:     51
    .sgpr_spill_count: 0
    .symbol:         _ZN2at6native12_GLOBAL__N_125multi_tensor_apply_kernelINS1_18TensorListMetadataILi1EEENS1_14UnaryOpFunctorIfLi1ELi1ELi0EEEJNS0_3TanIfEEEEEvT_T0_DpT1_.kd
    .uniform_work_group_size: 1
    .uses_dynamic_stack: false
    .vgpr_count:     42
    .vgpr_spill_count: 0
    .wavefront_size: 64
  - .args:
      - .offset:         0
        .size:           3368
        .value_kind:     by_value
      - .offset:         3368
        .size:           1
        .value_kind:     by_value
      - .offset:         3369
        .size:           1
        .value_kind:     by_value
      - .offset:         3376
        .size:           4
        .value_kind:     hidden_block_count_x
      - .offset:         3380
        .size:           4
        .value_kind:     hidden_block_count_y
      - .offset:         3384
        .size:           4
        .value_kind:     hidden_block_count_z
      - .offset:         3388
        .size:           2
        .value_kind:     hidden_group_size_x
      - .offset:         3390
        .size:           2
        .value_kind:     hidden_group_size_y
      - .offset:         3392
        .size:           2
        .value_kind:     hidden_group_size_z
      - .offset:         3394
        .size:           2
        .value_kind:     hidden_remainder_x
      - .offset:         3396
        .size:           2
        .value_kind:     hidden_remainder_y
      - .offset:         3398
        .size:           2
        .value_kind:     hidden_remainder_z
      - .offset:         3416
        .size:           8
        .value_kind:     hidden_global_offset_x
      - .offset:         3424
        .size:           8
        .value_kind:     hidden_global_offset_y
      - .offset:         3432
        .size:           8
        .value_kind:     hidden_global_offset_z
      - .offset:         3440
        .size:           2
        .value_kind:     hidden_grid_dims
    .group_segment_fixed_size: 0
    .kernarg_segment_align: 8
    .kernarg_segment_size: 3632
    .language:       OpenCL C
    .language_version:
      - 2
      - 0
    .max_flat_workgroup_size: 512
    .name:           _ZN2at6native12_GLOBAL__N_125multi_tensor_apply_kernelINS1_18TensorListMetadataILi1EEENS1_14UnaryOpFunctorIN3c107complexIdEELi1ELi1ELi0EEEJNS0_3TanIS8_EEEEEvT_T0_DpT1_
    .private_segment_fixed_size: 0
    .sgpr_count:     100
    .sgpr_spill_count: 4
    .symbol:         _ZN2at6native12_GLOBAL__N_125multi_tensor_apply_kernelINS1_18TensorListMetadataILi1EEENS1_14UnaryOpFunctorIN3c107complexIdEELi1ELi1ELi0EEEJNS0_3TanIS8_EEEEEvT_T0_DpT1_.kd
    .uniform_work_group_size: 1
    .uses_dynamic_stack: false
    .vgpr_count:     82
    .vgpr_spill_count: 0
    .wavefront_size: 64
  - .args:
      - .offset:         0
        .size:           3368
        .value_kind:     by_value
      - .offset:         3368
        .size:           1
        .value_kind:     by_value
      - .offset:         3369
        .size:           1
        .value_kind:     by_value
      - .offset:         3376
        .size:           4
        .value_kind:     hidden_block_count_x
      - .offset:         3380
        .size:           4
        .value_kind:     hidden_block_count_y
      - .offset:         3384
        .size:           4
        .value_kind:     hidden_block_count_z
      - .offset:         3388
        .size:           2
        .value_kind:     hidden_group_size_x
      - .offset:         3390
        .size:           2
        .value_kind:     hidden_group_size_y
      - .offset:         3392
        .size:           2
        .value_kind:     hidden_group_size_z
      - .offset:         3394
        .size:           2
        .value_kind:     hidden_remainder_x
      - .offset:         3396
        .size:           2
        .value_kind:     hidden_remainder_y
      - .offset:         3398
        .size:           2
        .value_kind:     hidden_remainder_z
      - .offset:         3416
        .size:           8
        .value_kind:     hidden_global_offset_x
      - .offset:         3424
        .size:           8
        .value_kind:     hidden_global_offset_y
      - .offset:         3432
        .size:           8
        .value_kind:     hidden_global_offset_z
      - .offset:         3440
        .size:           2
        .value_kind:     hidden_grid_dims
    .group_segment_fixed_size: 0
    .kernarg_segment_align: 8
    .kernarg_segment_size: 3632
    .language:       OpenCL C
    .language_version:
      - 2
      - 0
    .max_flat_workgroup_size: 512
    .name:           _ZN2at6native12_GLOBAL__N_125multi_tensor_apply_kernelINS1_18TensorListMetadataILi1EEENS1_14UnaryOpFunctorIN3c107complexIfEELi1ELi1ELi0EEEJNS0_3TanIS8_EEEEEvT_T0_DpT1_
    .private_segment_fixed_size: 0
    .sgpr_count:     70
    .sgpr_spill_count: 0
    .symbol:         _ZN2at6native12_GLOBAL__N_125multi_tensor_apply_kernelINS1_18TensorListMetadataILi1EEENS1_14UnaryOpFunctorIN3c107complexIfEELi1ELi1ELi0EEEJNS0_3TanIS8_EEEEEvT_T0_DpT1_.kd
    .uniform_work_group_size: 1
    .uses_dynamic_stack: false
    .vgpr_count:     49
    .vgpr_spill_count: 0
    .wavefront_size: 64
  - .args:
      - .offset:         0
        .size:           3368
        .value_kind:     by_value
      - .offset:         3368
        .size:           1
        .value_kind:     by_value
      - .offset:         3369
        .size:           1
        .value_kind:     by_value
      - .offset:         3376
        .size:           4
        .value_kind:     hidden_block_count_x
      - .offset:         3380
        .size:           4
        .value_kind:     hidden_block_count_y
      - .offset:         3384
        .size:           4
        .value_kind:     hidden_block_count_z
      - .offset:         3388
        .size:           2
        .value_kind:     hidden_group_size_x
      - .offset:         3390
        .size:           2
        .value_kind:     hidden_group_size_y
      - .offset:         3392
        .size:           2
        .value_kind:     hidden_group_size_z
      - .offset:         3394
        .size:           2
        .value_kind:     hidden_remainder_x
      - .offset:         3396
        .size:           2
        .value_kind:     hidden_remainder_y
      - .offset:         3398
        .size:           2
        .value_kind:     hidden_remainder_z
      - .offset:         3416
        .size:           8
        .value_kind:     hidden_global_offset_x
      - .offset:         3424
        .size:           8
        .value_kind:     hidden_global_offset_y
      - .offset:         3432
        .size:           8
        .value_kind:     hidden_global_offset_z
      - .offset:         3440
        .size:           2
        .value_kind:     hidden_grid_dims
    .group_segment_fixed_size: 0
    .kernarg_segment_align: 8
    .kernarg_segment_size: 3632
    .language:       OpenCL C
    .language_version:
      - 2
      - 0
    .max_flat_workgroup_size: 512
    .name:           _ZN2at6native12_GLOBAL__N_125multi_tensor_apply_kernelINS1_18TensorListMetadataILi1EEENS1_14UnaryOpFunctorIN3c104HalfELi1ELi1ELi0EEEJNS0_3TanIfEEEEEvT_T0_DpT1_
    .private_segment_fixed_size: 0
    .sgpr_count:     50
    .sgpr_spill_count: 0
    .symbol:         _ZN2at6native12_GLOBAL__N_125multi_tensor_apply_kernelINS1_18TensorListMetadataILi1EEENS1_14UnaryOpFunctorIN3c104HalfELi1ELi1ELi0EEEJNS0_3TanIfEEEEEvT_T0_DpT1_.kd
    .uniform_work_group_size: 1
    .uses_dynamic_stack: false
    .vgpr_count:     42
    .vgpr_spill_count: 0
    .wavefront_size: 64
  - .args:
      - .offset:         0
        .size:           3368
        .value_kind:     by_value
      - .offset:         3368
        .size:           1
        .value_kind:     by_value
      - .offset:         3369
        .size:           1
        .value_kind:     by_value
      - .offset:         3376
        .size:           4
        .value_kind:     hidden_block_count_x
      - .offset:         3380
        .size:           4
        .value_kind:     hidden_block_count_y
      - .offset:         3384
        .size:           4
        .value_kind:     hidden_block_count_z
      - .offset:         3388
        .size:           2
        .value_kind:     hidden_group_size_x
      - .offset:         3390
        .size:           2
        .value_kind:     hidden_group_size_y
      - .offset:         3392
        .size:           2
        .value_kind:     hidden_group_size_z
      - .offset:         3394
        .size:           2
        .value_kind:     hidden_remainder_x
      - .offset:         3396
        .size:           2
        .value_kind:     hidden_remainder_y
      - .offset:         3398
        .size:           2
        .value_kind:     hidden_remainder_z
      - .offset:         3416
        .size:           8
        .value_kind:     hidden_global_offset_x
      - .offset:         3424
        .size:           8
        .value_kind:     hidden_global_offset_y
      - .offset:         3432
        .size:           8
        .value_kind:     hidden_global_offset_z
      - .offset:         3440
        .size:           2
        .value_kind:     hidden_grid_dims
    .group_segment_fixed_size: 0
    .kernarg_segment_align: 8
    .kernarg_segment_size: 3632
    .language:       OpenCL C
    .language_version:
      - 2
      - 0
    .max_flat_workgroup_size: 512
    .name:           _ZN2at6native12_GLOBAL__N_125multi_tensor_apply_kernelINS1_18TensorListMetadataILi1EEENS1_14UnaryOpFunctorIN3c108BFloat16ELi1ELi1ELi0EEEJNS0_3TanIfEEEEEvT_T0_DpT1_
    .private_segment_fixed_size: 0
    .sgpr_count:     51
    .sgpr_spill_count: 0
    .symbol:         _ZN2at6native12_GLOBAL__N_125multi_tensor_apply_kernelINS1_18TensorListMetadataILi1EEENS1_14UnaryOpFunctorIN3c108BFloat16ELi1ELi1ELi0EEEJNS0_3TanIfEEEEEvT_T0_DpT1_.kd
    .uniform_work_group_size: 1
    .uses_dynamic_stack: false
    .vgpr_count:     43
    .vgpr_spill_count: 0
    .wavefront_size: 64
  - .args:
      - .offset:         0
        .size:           3144
        .value_kind:     by_value
      - .offset:         3144
        .size:           1
        .value_kind:     by_value
      - .offset:         3145
        .size:           1
        .value_kind:     by_value
      - .offset:         3152
        .size:           4
        .value_kind:     hidden_block_count_x
      - .offset:         3156
        .size:           4
        .value_kind:     hidden_block_count_y
      - .offset:         3160
        .size:           4
        .value_kind:     hidden_block_count_z
      - .offset:         3164
        .size:           2
        .value_kind:     hidden_group_size_x
      - .offset:         3166
        .size:           2
        .value_kind:     hidden_group_size_y
      - .offset:         3168
        .size:           2
        .value_kind:     hidden_group_size_z
      - .offset:         3170
        .size:           2
        .value_kind:     hidden_remainder_x
      - .offset:         3172
        .size:           2
        .value_kind:     hidden_remainder_y
      - .offset:         3174
        .size:           2
        .value_kind:     hidden_remainder_z
      - .offset:         3192
        .size:           8
        .value_kind:     hidden_global_offset_x
      - .offset:         3200
        .size:           8
        .value_kind:     hidden_global_offset_y
      - .offset:         3208
        .size:           8
        .value_kind:     hidden_global_offset_z
      - .offset:         3216
        .size:           2
        .value_kind:     hidden_grid_dims
    .group_segment_fixed_size: 0
    .kernarg_segment_align: 8
    .kernarg_segment_size: 3408
    .language:       OpenCL C
    .language_version:
      - 2
      - 0
    .max_flat_workgroup_size: 512
    .name:           _ZN2at6native12_GLOBAL__N_125multi_tensor_apply_kernelINS1_18TensorListMetadataILi2EEENS1_14UnaryOpFunctorIdLi2ELi1ELi1EEEJNS0_3SinIdEEEEEvT_T0_DpT1_
    .private_segment_fixed_size: 0
    .sgpr_count:     73
    .sgpr_spill_count: 0
    .symbol:         _ZN2at6native12_GLOBAL__N_125multi_tensor_apply_kernelINS1_18TensorListMetadataILi2EEENS1_14UnaryOpFunctorIdLi2ELi1ELi1EEEJNS0_3SinIdEEEEEvT_T0_DpT1_.kd
    .uniform_work_group_size: 1
    .uses_dynamic_stack: false
    .vgpr_count:     80
    .vgpr_spill_count: 0
    .wavefront_size: 64
  - .args:
      - .offset:         0
        .size:           3144
        .value_kind:     by_value
      - .offset:         3144
        .size:           1
        .value_kind:     by_value
      - .offset:         3145
        .size:           1
        .value_kind:     by_value
      - .offset:         3152
        .size:           4
        .value_kind:     hidden_block_count_x
      - .offset:         3156
        .size:           4
        .value_kind:     hidden_block_count_y
      - .offset:         3160
        .size:           4
        .value_kind:     hidden_block_count_z
      - .offset:         3164
        .size:           2
        .value_kind:     hidden_group_size_x
      - .offset:         3166
        .size:           2
        .value_kind:     hidden_group_size_y
      - .offset:         3168
        .size:           2
        .value_kind:     hidden_group_size_z
      - .offset:         3170
        .size:           2
        .value_kind:     hidden_remainder_x
      - .offset:         3172
        .size:           2
        .value_kind:     hidden_remainder_y
      - .offset:         3174
        .size:           2
        .value_kind:     hidden_remainder_z
      - .offset:         3192
        .size:           8
        .value_kind:     hidden_global_offset_x
      - .offset:         3200
        .size:           8
        .value_kind:     hidden_global_offset_y
      - .offset:         3208
        .size:           8
        .value_kind:     hidden_global_offset_z
      - .offset:         3216
        .size:           2
        .value_kind:     hidden_grid_dims
    .group_segment_fixed_size: 0
    .kernarg_segment_align: 8
    .kernarg_segment_size: 3408
    .language:       OpenCL C
    .language_version:
      - 2
      - 0
    .max_flat_workgroup_size: 512
    .name:           _ZN2at6native12_GLOBAL__N_125multi_tensor_apply_kernelINS1_18TensorListMetadataILi2EEENS1_14UnaryOpFunctorIfLi2ELi1ELi1EEEJNS0_3SinIfEEEEEvT_T0_DpT1_
    .private_segment_fixed_size: 0
    .sgpr_count:     43
    .sgpr_spill_count: 0
    .symbol:         _ZN2at6native12_GLOBAL__N_125multi_tensor_apply_kernelINS1_18TensorListMetadataILi2EEENS1_14UnaryOpFunctorIfLi2ELi1ELi1EEEJNS0_3SinIfEEEEEvT_T0_DpT1_.kd
    .uniform_work_group_size: 1
    .uses_dynamic_stack: false
    .vgpr_count:     56
    .vgpr_spill_count: 0
    .wavefront_size: 64
  - .args:
      - .offset:         0
        .size:           3144
        .value_kind:     by_value
      - .offset:         3144
        .size:           1
        .value_kind:     by_value
      - .offset:         3145
        .size:           1
        .value_kind:     by_value
      - .offset:         3152
        .size:           4
        .value_kind:     hidden_block_count_x
      - .offset:         3156
        .size:           4
        .value_kind:     hidden_block_count_y
      - .offset:         3160
        .size:           4
        .value_kind:     hidden_block_count_z
      - .offset:         3164
        .size:           2
        .value_kind:     hidden_group_size_x
      - .offset:         3166
        .size:           2
        .value_kind:     hidden_group_size_y
      - .offset:         3168
        .size:           2
        .value_kind:     hidden_group_size_z
      - .offset:         3170
        .size:           2
        .value_kind:     hidden_remainder_x
      - .offset:         3172
        .size:           2
        .value_kind:     hidden_remainder_y
      - .offset:         3174
        .size:           2
        .value_kind:     hidden_remainder_z
      - .offset:         3192
        .size:           8
        .value_kind:     hidden_global_offset_x
      - .offset:         3200
        .size:           8
        .value_kind:     hidden_global_offset_y
      - .offset:         3208
        .size:           8
        .value_kind:     hidden_global_offset_z
      - .offset:         3216
        .size:           2
        .value_kind:     hidden_grid_dims
    .group_segment_fixed_size: 0
    .kernarg_segment_align: 8
    .kernarg_segment_size: 3408
    .language:       OpenCL C
    .language_version:
      - 2
      - 0
    .max_flat_workgroup_size: 512
    .name:           _ZN2at6native12_GLOBAL__N_125multi_tensor_apply_kernelINS1_18TensorListMetadataILi2EEENS1_14UnaryOpFunctorIN3c107complexIdEELi2ELi1ELi1EEEJNS0_3SinIS8_EEEEEvT_T0_DpT1_
    .private_segment_fixed_size: 0
    .sgpr_count:     62
    .sgpr_spill_count: 0
    .symbol:         _ZN2at6native12_GLOBAL__N_125multi_tensor_apply_kernelINS1_18TensorListMetadataILi2EEENS1_14UnaryOpFunctorIN3c107complexIdEELi2ELi1ELi1EEEJNS0_3SinIS8_EEEEEvT_T0_DpT1_.kd
    .uniform_work_group_size: 1
    .uses_dynamic_stack: false
    .vgpr_count:     59
    .vgpr_spill_count: 0
    .wavefront_size: 64
  - .args:
      - .offset:         0
        .size:           3144
        .value_kind:     by_value
      - .offset:         3144
        .size:           1
        .value_kind:     by_value
      - .offset:         3145
        .size:           1
        .value_kind:     by_value
      - .offset:         3152
        .size:           4
        .value_kind:     hidden_block_count_x
      - .offset:         3156
        .size:           4
        .value_kind:     hidden_block_count_y
      - .offset:         3160
        .size:           4
        .value_kind:     hidden_block_count_z
      - .offset:         3164
        .size:           2
        .value_kind:     hidden_group_size_x
      - .offset:         3166
        .size:           2
        .value_kind:     hidden_group_size_y
      - .offset:         3168
        .size:           2
        .value_kind:     hidden_group_size_z
      - .offset:         3170
        .size:           2
        .value_kind:     hidden_remainder_x
      - .offset:         3172
        .size:           2
        .value_kind:     hidden_remainder_y
      - .offset:         3174
        .size:           2
        .value_kind:     hidden_remainder_z
      - .offset:         3192
        .size:           8
        .value_kind:     hidden_global_offset_x
      - .offset:         3200
        .size:           8
        .value_kind:     hidden_global_offset_y
      - .offset:         3208
        .size:           8
        .value_kind:     hidden_global_offset_z
      - .offset:         3216
        .size:           2
        .value_kind:     hidden_grid_dims
    .group_segment_fixed_size: 0
    .kernarg_segment_align: 8
    .kernarg_segment_size: 3408
    .language:       OpenCL C
    .language_version:
      - 2
      - 0
    .max_flat_workgroup_size: 512
    .name:           _ZN2at6native12_GLOBAL__N_125multi_tensor_apply_kernelINS1_18TensorListMetadataILi2EEENS1_14UnaryOpFunctorIN3c107complexIfEELi2ELi1ELi1EEEJNS0_3SinIS8_EEEEEvT_T0_DpT1_
    .private_segment_fixed_size: 0
    .sgpr_count:     56
    .sgpr_spill_count: 0
    .symbol:         _ZN2at6native12_GLOBAL__N_125multi_tensor_apply_kernelINS1_18TensorListMetadataILi2EEENS1_14UnaryOpFunctorIN3c107complexIfEELi2ELi1ELi1EEEJNS0_3SinIS8_EEEEEvT_T0_DpT1_.kd
    .uniform_work_group_size: 1
    .uses_dynamic_stack: false
    .vgpr_count:     34
    .vgpr_spill_count: 0
    .wavefront_size: 64
  - .args:
      - .offset:         0
        .size:           3144
        .value_kind:     by_value
      - .offset:         3144
        .size:           1
        .value_kind:     by_value
      - .offset:         3145
        .size:           1
        .value_kind:     by_value
      - .offset:         3152
        .size:           4
        .value_kind:     hidden_block_count_x
      - .offset:         3156
        .size:           4
        .value_kind:     hidden_block_count_y
      - .offset:         3160
        .size:           4
        .value_kind:     hidden_block_count_z
      - .offset:         3164
        .size:           2
        .value_kind:     hidden_group_size_x
      - .offset:         3166
        .size:           2
        .value_kind:     hidden_group_size_y
      - .offset:         3168
        .size:           2
        .value_kind:     hidden_group_size_z
      - .offset:         3170
        .size:           2
        .value_kind:     hidden_remainder_x
      - .offset:         3172
        .size:           2
        .value_kind:     hidden_remainder_y
      - .offset:         3174
        .size:           2
        .value_kind:     hidden_remainder_z
      - .offset:         3192
        .size:           8
        .value_kind:     hidden_global_offset_x
      - .offset:         3200
        .size:           8
        .value_kind:     hidden_global_offset_y
      - .offset:         3208
        .size:           8
        .value_kind:     hidden_global_offset_z
      - .offset:         3216
        .size:           2
        .value_kind:     hidden_grid_dims
    .group_segment_fixed_size: 0
    .kernarg_segment_align: 8
    .kernarg_segment_size: 3408
    .language:       OpenCL C
    .language_version:
      - 2
      - 0
    .max_flat_workgroup_size: 512
    .name:           _ZN2at6native12_GLOBAL__N_125multi_tensor_apply_kernelINS1_18TensorListMetadataILi2EEENS1_14UnaryOpFunctorIN3c104HalfELi2ELi1ELi1EEEJNS0_3SinIfEEEEEvT_T0_DpT1_
    .private_segment_fixed_size: 0
    .sgpr_count:     43
    .sgpr_spill_count: 0
    .symbol:         _ZN2at6native12_GLOBAL__N_125multi_tensor_apply_kernelINS1_18TensorListMetadataILi2EEENS1_14UnaryOpFunctorIN3c104HalfELi2ELi1ELi1EEEJNS0_3SinIfEEEEEvT_T0_DpT1_.kd
    .uniform_work_group_size: 1
    .uses_dynamic_stack: false
    .vgpr_count:     56
    .vgpr_spill_count: 0
    .wavefront_size: 64
  - .args:
      - .offset:         0
        .size:           3144
        .value_kind:     by_value
      - .offset:         3144
        .size:           1
        .value_kind:     by_value
      - .offset:         3145
        .size:           1
        .value_kind:     by_value
      - .offset:         3152
        .size:           4
        .value_kind:     hidden_block_count_x
      - .offset:         3156
        .size:           4
        .value_kind:     hidden_block_count_y
      - .offset:         3160
        .size:           4
        .value_kind:     hidden_block_count_z
      - .offset:         3164
        .size:           2
        .value_kind:     hidden_group_size_x
      - .offset:         3166
        .size:           2
        .value_kind:     hidden_group_size_y
      - .offset:         3168
        .size:           2
        .value_kind:     hidden_group_size_z
      - .offset:         3170
        .size:           2
        .value_kind:     hidden_remainder_x
      - .offset:         3172
        .size:           2
        .value_kind:     hidden_remainder_y
      - .offset:         3174
        .size:           2
        .value_kind:     hidden_remainder_z
      - .offset:         3192
        .size:           8
        .value_kind:     hidden_global_offset_x
      - .offset:         3200
        .size:           8
        .value_kind:     hidden_global_offset_y
      - .offset:         3208
        .size:           8
        .value_kind:     hidden_global_offset_z
      - .offset:         3216
        .size:           2
        .value_kind:     hidden_grid_dims
    .group_segment_fixed_size: 0
    .kernarg_segment_align: 8
    .kernarg_segment_size: 3408
    .language:       OpenCL C
    .language_version:
      - 2
      - 0
    .max_flat_workgroup_size: 512
    .name:           _ZN2at6native12_GLOBAL__N_125multi_tensor_apply_kernelINS1_18TensorListMetadataILi2EEENS1_14UnaryOpFunctorIN3c108BFloat16ELi2ELi1ELi1EEEJNS0_3SinIfEEEEEvT_T0_DpT1_
    .private_segment_fixed_size: 0
    .sgpr_count:     44
    .sgpr_spill_count: 0
    .symbol:         _ZN2at6native12_GLOBAL__N_125multi_tensor_apply_kernelINS1_18TensorListMetadataILi2EEENS1_14UnaryOpFunctorIN3c108BFloat16ELi2ELi1ELi1EEEJNS0_3SinIfEEEEEvT_T0_DpT1_.kd
    .uniform_work_group_size: 1
    .uses_dynamic_stack: false
    .vgpr_count:     57
    .vgpr_spill_count: 0
    .wavefront_size: 64
  - .args:
      - .offset:         0
        .size:           3368
        .value_kind:     by_value
      - .offset:         3368
        .size:           1
        .value_kind:     by_value
      - .offset:         3369
        .size:           1
        .value_kind:     by_value
      - .offset:         3376
        .size:           4
        .value_kind:     hidden_block_count_x
      - .offset:         3380
        .size:           4
        .value_kind:     hidden_block_count_y
      - .offset:         3384
        .size:           4
        .value_kind:     hidden_block_count_z
      - .offset:         3388
        .size:           2
        .value_kind:     hidden_group_size_x
      - .offset:         3390
        .size:           2
        .value_kind:     hidden_group_size_y
      - .offset:         3392
        .size:           2
        .value_kind:     hidden_group_size_z
      - .offset:         3394
        .size:           2
        .value_kind:     hidden_remainder_x
      - .offset:         3396
        .size:           2
        .value_kind:     hidden_remainder_y
      - .offset:         3398
        .size:           2
        .value_kind:     hidden_remainder_z
      - .offset:         3416
        .size:           8
        .value_kind:     hidden_global_offset_x
      - .offset:         3424
        .size:           8
        .value_kind:     hidden_global_offset_y
      - .offset:         3432
        .size:           8
        .value_kind:     hidden_global_offset_z
      - .offset:         3440
        .size:           2
        .value_kind:     hidden_grid_dims
    .group_segment_fixed_size: 0
    .kernarg_segment_align: 8
    .kernarg_segment_size: 3632
    .language:       OpenCL C
    .language_version:
      - 2
      - 0
    .max_flat_workgroup_size: 512
    .name:           _ZN2at6native12_GLOBAL__N_125multi_tensor_apply_kernelINS1_18TensorListMetadataILi1EEENS1_14UnaryOpFunctorIdLi1ELi1ELi0EEEJNS0_3SinIdEEEEEvT_T0_DpT1_
    .private_segment_fixed_size: 0
    .sgpr_count:     77
    .sgpr_spill_count: 0
    .symbol:         _ZN2at6native12_GLOBAL__N_125multi_tensor_apply_kernelINS1_18TensorListMetadataILi1EEENS1_14UnaryOpFunctorIdLi1ELi1ELi0EEEJNS0_3SinIdEEEEEvT_T0_DpT1_.kd
    .uniform_work_group_size: 1
    .uses_dynamic_stack: false
    .vgpr_count:     83
    .vgpr_spill_count: 0
    .wavefront_size: 64
  - .args:
      - .offset:         0
        .size:           3368
        .value_kind:     by_value
      - .offset:         3368
        .size:           1
        .value_kind:     by_value
      - .offset:         3369
        .size:           1
        .value_kind:     by_value
      - .offset:         3376
        .size:           4
        .value_kind:     hidden_block_count_x
      - .offset:         3380
        .size:           4
        .value_kind:     hidden_block_count_y
      - .offset:         3384
        .size:           4
        .value_kind:     hidden_block_count_z
      - .offset:         3388
        .size:           2
        .value_kind:     hidden_group_size_x
      - .offset:         3390
        .size:           2
        .value_kind:     hidden_group_size_y
      - .offset:         3392
        .size:           2
        .value_kind:     hidden_group_size_z
      - .offset:         3394
        .size:           2
        .value_kind:     hidden_remainder_x
      - .offset:         3396
        .size:           2
        .value_kind:     hidden_remainder_y
      - .offset:         3398
        .size:           2
        .value_kind:     hidden_remainder_z
      - .offset:         3416
        .size:           8
        .value_kind:     hidden_global_offset_x
      - .offset:         3424
        .size:           8
        .value_kind:     hidden_global_offset_y
      - .offset:         3432
        .size:           8
        .value_kind:     hidden_global_offset_z
      - .offset:         3440
        .size:           2
        .value_kind:     hidden_grid_dims
    .group_segment_fixed_size: 0
    .kernarg_segment_align: 8
    .kernarg_segment_size: 3632
    .language:       OpenCL C
    .language_version:
      - 2
      - 0
    .max_flat_workgroup_size: 512
    .name:           _ZN2at6native12_GLOBAL__N_125multi_tensor_apply_kernelINS1_18TensorListMetadataILi1EEENS1_14UnaryOpFunctorIfLi1ELi1ELi0EEEJNS0_3SinIfEEEEEvT_T0_DpT1_
    .private_segment_fixed_size: 0
    .sgpr_count:     51
    .sgpr_spill_count: 0
    .symbol:         _ZN2at6native12_GLOBAL__N_125multi_tensor_apply_kernelINS1_18TensorListMetadataILi1EEENS1_14UnaryOpFunctorIfLi1ELi1ELi0EEEJNS0_3SinIfEEEEEvT_T0_DpT1_.kd
    .uniform_work_group_size: 1
    .uses_dynamic_stack: false
    .vgpr_count:     44
    .vgpr_spill_count: 0
    .wavefront_size: 64
  - .args:
      - .offset:         0
        .size:           3368
        .value_kind:     by_value
      - .offset:         3368
        .size:           1
        .value_kind:     by_value
      - .offset:         3369
        .size:           1
        .value_kind:     by_value
      - .offset:         3376
        .size:           4
        .value_kind:     hidden_block_count_x
      - .offset:         3380
        .size:           4
        .value_kind:     hidden_block_count_y
      - .offset:         3384
        .size:           4
        .value_kind:     hidden_block_count_z
      - .offset:         3388
        .size:           2
        .value_kind:     hidden_group_size_x
      - .offset:         3390
        .size:           2
        .value_kind:     hidden_group_size_y
      - .offset:         3392
        .size:           2
        .value_kind:     hidden_group_size_z
      - .offset:         3394
        .size:           2
        .value_kind:     hidden_remainder_x
      - .offset:         3396
        .size:           2
        .value_kind:     hidden_remainder_y
      - .offset:         3398
        .size:           2
        .value_kind:     hidden_remainder_z
      - .offset:         3416
        .size:           8
        .value_kind:     hidden_global_offset_x
      - .offset:         3424
        .size:           8
        .value_kind:     hidden_global_offset_y
      - .offset:         3432
        .size:           8
        .value_kind:     hidden_global_offset_z
      - .offset:         3440
        .size:           2
        .value_kind:     hidden_grid_dims
    .group_segment_fixed_size: 0
    .kernarg_segment_align: 8
    .kernarg_segment_size: 3632
    .language:       OpenCL C
    .language_version:
      - 2
      - 0
    .max_flat_workgroup_size: 512
    .name:           _ZN2at6native12_GLOBAL__N_125multi_tensor_apply_kernelINS1_18TensorListMetadataILi1EEENS1_14UnaryOpFunctorIN3c107complexIdEELi1ELi1ELi0EEEJNS0_3SinIS8_EEEEEvT_T0_DpT1_
    .private_segment_fixed_size: 0
    .sgpr_count:     66
    .sgpr_spill_count: 0
    .symbol:         _ZN2at6native12_GLOBAL__N_125multi_tensor_apply_kernelINS1_18TensorListMetadataILi1EEENS1_14UnaryOpFunctorIN3c107complexIdEELi1ELi1ELi0EEEJNS0_3SinIS8_EEEEEvT_T0_DpT1_.kd
    .uniform_work_group_size: 1
    .uses_dynamic_stack: false
    .vgpr_count:     63
    .vgpr_spill_count: 0
    .wavefront_size: 64
  - .args:
      - .offset:         0
        .size:           3368
        .value_kind:     by_value
      - .offset:         3368
        .size:           1
        .value_kind:     by_value
      - .offset:         3369
        .size:           1
        .value_kind:     by_value
      - .offset:         3376
        .size:           4
        .value_kind:     hidden_block_count_x
      - .offset:         3380
        .size:           4
        .value_kind:     hidden_block_count_y
      - .offset:         3384
        .size:           4
        .value_kind:     hidden_block_count_z
      - .offset:         3388
        .size:           2
        .value_kind:     hidden_group_size_x
      - .offset:         3390
        .size:           2
        .value_kind:     hidden_group_size_y
      - .offset:         3392
        .size:           2
        .value_kind:     hidden_group_size_z
      - .offset:         3394
        .size:           2
        .value_kind:     hidden_remainder_x
      - .offset:         3396
        .size:           2
        .value_kind:     hidden_remainder_y
      - .offset:         3398
        .size:           2
        .value_kind:     hidden_remainder_z
      - .offset:         3416
        .size:           8
        .value_kind:     hidden_global_offset_x
      - .offset:         3424
        .size:           8
        .value_kind:     hidden_global_offset_y
      - .offset:         3432
        .size:           8
        .value_kind:     hidden_global_offset_z
      - .offset:         3440
        .size:           2
        .value_kind:     hidden_grid_dims
    .group_segment_fixed_size: 0
    .kernarg_segment_align: 8
    .kernarg_segment_size: 3632
    .language:       OpenCL C
    .language_version:
      - 2
      - 0
    .max_flat_workgroup_size: 512
    .name:           _ZN2at6native12_GLOBAL__N_125multi_tensor_apply_kernelINS1_18TensorListMetadataILi1EEENS1_14UnaryOpFunctorIN3c107complexIfEELi1ELi1ELi0EEEJNS0_3SinIS8_EEEEEvT_T0_DpT1_
    .private_segment_fixed_size: 0
    .sgpr_count:     59
    .sgpr_spill_count: 0
    .symbol:         _ZN2at6native12_GLOBAL__N_125multi_tensor_apply_kernelINS1_18TensorListMetadataILi1EEENS1_14UnaryOpFunctorIN3c107complexIfEELi1ELi1ELi0EEEJNS0_3SinIS8_EEEEEvT_T0_DpT1_.kd
    .uniform_work_group_size: 1
    .uses_dynamic_stack: false
    .vgpr_count:     38
    .vgpr_spill_count: 0
    .wavefront_size: 64
  - .args:
      - .offset:         0
        .size:           3368
        .value_kind:     by_value
      - .offset:         3368
        .size:           1
        .value_kind:     by_value
      - .offset:         3369
        .size:           1
        .value_kind:     by_value
      - .offset:         3376
        .size:           4
        .value_kind:     hidden_block_count_x
      - .offset:         3380
        .size:           4
        .value_kind:     hidden_block_count_y
      - .offset:         3384
        .size:           4
        .value_kind:     hidden_block_count_z
      - .offset:         3388
        .size:           2
        .value_kind:     hidden_group_size_x
      - .offset:         3390
        .size:           2
        .value_kind:     hidden_group_size_y
      - .offset:         3392
        .size:           2
        .value_kind:     hidden_group_size_z
      - .offset:         3394
        .size:           2
        .value_kind:     hidden_remainder_x
      - .offset:         3396
        .size:           2
        .value_kind:     hidden_remainder_y
      - .offset:         3398
        .size:           2
        .value_kind:     hidden_remainder_z
      - .offset:         3416
        .size:           8
        .value_kind:     hidden_global_offset_x
      - .offset:         3424
        .size:           8
        .value_kind:     hidden_global_offset_y
      - .offset:         3432
        .size:           8
        .value_kind:     hidden_global_offset_z
      - .offset:         3440
        .size:           2
        .value_kind:     hidden_grid_dims
    .group_segment_fixed_size: 0
    .kernarg_segment_align: 8
    .kernarg_segment_size: 3632
    .language:       OpenCL C
    .language_version:
      - 2
      - 0
    .max_flat_workgroup_size: 512
    .name:           _ZN2at6native12_GLOBAL__N_125multi_tensor_apply_kernelINS1_18TensorListMetadataILi1EEENS1_14UnaryOpFunctorIN3c104HalfELi1ELi1ELi0EEEJNS0_3SinIfEEEEEvT_T0_DpT1_
    .private_segment_fixed_size: 0
    .sgpr_count:     50
    .sgpr_spill_count: 0
    .symbol:         _ZN2at6native12_GLOBAL__N_125multi_tensor_apply_kernelINS1_18TensorListMetadataILi1EEENS1_14UnaryOpFunctorIN3c104HalfELi1ELi1ELi0EEEJNS0_3SinIfEEEEEvT_T0_DpT1_.kd
    .uniform_work_group_size: 1
    .uses_dynamic_stack: false
    .vgpr_count:     44
    .vgpr_spill_count: 0
    .wavefront_size: 64
  - .args:
      - .offset:         0
        .size:           3368
        .value_kind:     by_value
      - .offset:         3368
        .size:           1
        .value_kind:     by_value
      - .offset:         3369
        .size:           1
        .value_kind:     by_value
      - .offset:         3376
        .size:           4
        .value_kind:     hidden_block_count_x
      - .offset:         3380
        .size:           4
        .value_kind:     hidden_block_count_y
      - .offset:         3384
        .size:           4
        .value_kind:     hidden_block_count_z
      - .offset:         3388
        .size:           2
        .value_kind:     hidden_group_size_x
      - .offset:         3390
        .size:           2
        .value_kind:     hidden_group_size_y
      - .offset:         3392
        .size:           2
        .value_kind:     hidden_group_size_z
      - .offset:         3394
        .size:           2
        .value_kind:     hidden_remainder_x
      - .offset:         3396
        .size:           2
        .value_kind:     hidden_remainder_y
      - .offset:         3398
        .size:           2
        .value_kind:     hidden_remainder_z
      - .offset:         3416
        .size:           8
        .value_kind:     hidden_global_offset_x
      - .offset:         3424
        .size:           8
        .value_kind:     hidden_global_offset_y
      - .offset:         3432
        .size:           8
        .value_kind:     hidden_global_offset_z
      - .offset:         3440
        .size:           2
        .value_kind:     hidden_grid_dims
    .group_segment_fixed_size: 0
    .kernarg_segment_align: 8
    .kernarg_segment_size: 3632
    .language:       OpenCL C
    .language_version:
      - 2
      - 0
    .max_flat_workgroup_size: 512
    .name:           _ZN2at6native12_GLOBAL__N_125multi_tensor_apply_kernelINS1_18TensorListMetadataILi1EEENS1_14UnaryOpFunctorIN3c108BFloat16ELi1ELi1ELi0EEEJNS0_3SinIfEEEEEvT_T0_DpT1_
    .private_segment_fixed_size: 0
    .sgpr_count:     51
    .sgpr_spill_count: 0
    .symbol:         _ZN2at6native12_GLOBAL__N_125multi_tensor_apply_kernelINS1_18TensorListMetadataILi1EEENS1_14UnaryOpFunctorIN3c108BFloat16ELi1ELi1ELi0EEEJNS0_3SinIfEEEEEvT_T0_DpT1_.kd
    .uniform_work_group_size: 1
    .uses_dynamic_stack: false
    .vgpr_count:     45
    .vgpr_spill_count: 0
    .wavefront_size: 64
  - .args:
      - .offset:         0
        .size:           3144
        .value_kind:     by_value
      - .offset:         3144
        .size:           1
        .value_kind:     by_value
      - .offset:         3145
        .size:           1
        .value_kind:     by_value
      - .offset:         3152
        .size:           4
        .value_kind:     hidden_block_count_x
      - .offset:         3156
        .size:           4
        .value_kind:     hidden_block_count_y
      - .offset:         3160
        .size:           4
        .value_kind:     hidden_block_count_z
      - .offset:         3164
        .size:           2
        .value_kind:     hidden_group_size_x
      - .offset:         3166
        .size:           2
        .value_kind:     hidden_group_size_y
      - .offset:         3168
        .size:           2
        .value_kind:     hidden_group_size_z
      - .offset:         3170
        .size:           2
        .value_kind:     hidden_remainder_x
      - .offset:         3172
        .size:           2
        .value_kind:     hidden_remainder_y
      - .offset:         3174
        .size:           2
        .value_kind:     hidden_remainder_z
      - .offset:         3192
        .size:           8
        .value_kind:     hidden_global_offset_x
      - .offset:         3200
        .size:           8
        .value_kind:     hidden_global_offset_y
      - .offset:         3208
        .size:           8
        .value_kind:     hidden_global_offset_z
      - .offset:         3216
        .size:           2
        .value_kind:     hidden_grid_dims
    .group_segment_fixed_size: 0
    .kernarg_segment_align: 8
    .kernarg_segment_size: 3408
    .language:       OpenCL C
    .language_version:
      - 2
      - 0
    .max_flat_workgroup_size: 512
    .name:           _ZN2at6native12_GLOBAL__N_125multi_tensor_apply_kernelINS1_18TensorListMetadataILi2EEENS1_14UnaryOpFunctorIdLi2ELi1ELi1EEEJNS0_4SinhIdEEEEEvT_T0_DpT1_
    .private_segment_fixed_size: 0
    .sgpr_count:     64
    .sgpr_spill_count: 0
    .symbol:         _ZN2at6native12_GLOBAL__N_125multi_tensor_apply_kernelINS1_18TensorListMetadataILi2EEENS1_14UnaryOpFunctorIdLi2ELi1ELi1EEEJNS0_4SinhIdEEEEEvT_T0_DpT1_.kd
    .uniform_work_group_size: 1
    .uses_dynamic_stack: false
    .vgpr_count:     56
    .vgpr_spill_count: 0
    .wavefront_size: 64
  - .args:
      - .offset:         0
        .size:           3144
        .value_kind:     by_value
      - .offset:         3144
        .size:           1
        .value_kind:     by_value
      - .offset:         3145
        .size:           1
        .value_kind:     by_value
      - .offset:         3152
        .size:           4
        .value_kind:     hidden_block_count_x
      - .offset:         3156
        .size:           4
        .value_kind:     hidden_block_count_y
      - .offset:         3160
        .size:           4
        .value_kind:     hidden_block_count_z
      - .offset:         3164
        .size:           2
        .value_kind:     hidden_group_size_x
      - .offset:         3166
        .size:           2
        .value_kind:     hidden_group_size_y
      - .offset:         3168
        .size:           2
        .value_kind:     hidden_group_size_z
      - .offset:         3170
        .size:           2
        .value_kind:     hidden_remainder_x
      - .offset:         3172
        .size:           2
        .value_kind:     hidden_remainder_y
      - .offset:         3174
        .size:           2
        .value_kind:     hidden_remainder_z
      - .offset:         3192
        .size:           8
        .value_kind:     hidden_global_offset_x
      - .offset:         3200
        .size:           8
        .value_kind:     hidden_global_offset_y
      - .offset:         3208
        .size:           8
        .value_kind:     hidden_global_offset_z
      - .offset:         3216
        .size:           2
        .value_kind:     hidden_grid_dims
    .group_segment_fixed_size: 0
    .kernarg_segment_align: 8
    .kernarg_segment_size: 3408
    .language:       OpenCL C
    .language_version:
      - 2
      - 0
    .max_flat_workgroup_size: 512
    .name:           _ZN2at6native12_GLOBAL__N_125multi_tensor_apply_kernelINS1_18TensorListMetadataILi2EEENS1_14UnaryOpFunctorIfLi2ELi1ELi1EEEJNS0_4SinhIfEEEEEvT_T0_DpT1_
    .private_segment_fixed_size: 0
    .sgpr_count:     28
    .sgpr_spill_count: 0
    .symbol:         _ZN2at6native12_GLOBAL__N_125multi_tensor_apply_kernelINS1_18TensorListMetadataILi2EEENS1_14UnaryOpFunctorIfLi2ELi1ELi1EEEJNS0_4SinhIfEEEEEvT_T0_DpT1_.kd
    .uniform_work_group_size: 1
    .uses_dynamic_stack: false
    .vgpr_count:     43
    .vgpr_spill_count: 0
    .wavefront_size: 64
  - .args:
      - .offset:         0
        .size:           3144
        .value_kind:     by_value
      - .offset:         3144
        .size:           1
        .value_kind:     by_value
      - .offset:         3145
        .size:           1
        .value_kind:     by_value
      - .offset:         3152
        .size:           4
        .value_kind:     hidden_block_count_x
      - .offset:         3156
        .size:           4
        .value_kind:     hidden_block_count_y
      - .offset:         3160
        .size:           4
        .value_kind:     hidden_block_count_z
      - .offset:         3164
        .size:           2
        .value_kind:     hidden_group_size_x
      - .offset:         3166
        .size:           2
        .value_kind:     hidden_group_size_y
      - .offset:         3168
        .size:           2
        .value_kind:     hidden_group_size_z
      - .offset:         3170
        .size:           2
        .value_kind:     hidden_remainder_x
      - .offset:         3172
        .size:           2
        .value_kind:     hidden_remainder_y
      - .offset:         3174
        .size:           2
        .value_kind:     hidden_remainder_z
      - .offset:         3192
        .size:           8
        .value_kind:     hidden_global_offset_x
      - .offset:         3200
        .size:           8
        .value_kind:     hidden_global_offset_y
      - .offset:         3208
        .size:           8
        .value_kind:     hidden_global_offset_z
      - .offset:         3216
        .size:           2
        .value_kind:     hidden_grid_dims
    .group_segment_fixed_size: 0
    .kernarg_segment_align: 8
    .kernarg_segment_size: 3408
    .language:       OpenCL C
    .language_version:
      - 2
      - 0
    .max_flat_workgroup_size: 512
    .name:           _ZN2at6native12_GLOBAL__N_125multi_tensor_apply_kernelINS1_18TensorListMetadataILi2EEENS1_14UnaryOpFunctorIN3c107complexIdEELi2ELi1ELi1EEEJNS0_4SinhIS8_EEEEEvT_T0_DpT1_
    .private_segment_fixed_size: 0
    .sgpr_count:     62
    .sgpr_spill_count: 0
    .symbol:         _ZN2at6native12_GLOBAL__N_125multi_tensor_apply_kernelINS1_18TensorListMetadataILi2EEENS1_14UnaryOpFunctorIN3c107complexIdEELi2ELi1ELi1EEEJNS0_4SinhIS8_EEEEEvT_T0_DpT1_.kd
    .uniform_work_group_size: 1
    .uses_dynamic_stack: false
    .vgpr_count:     59
    .vgpr_spill_count: 0
    .wavefront_size: 64
  - .args:
      - .offset:         0
        .size:           3144
        .value_kind:     by_value
      - .offset:         3144
        .size:           1
        .value_kind:     by_value
      - .offset:         3145
        .size:           1
        .value_kind:     by_value
      - .offset:         3152
        .size:           4
        .value_kind:     hidden_block_count_x
      - .offset:         3156
        .size:           4
        .value_kind:     hidden_block_count_y
      - .offset:         3160
        .size:           4
        .value_kind:     hidden_block_count_z
      - .offset:         3164
        .size:           2
        .value_kind:     hidden_group_size_x
      - .offset:         3166
        .size:           2
        .value_kind:     hidden_group_size_y
      - .offset:         3168
        .size:           2
        .value_kind:     hidden_group_size_z
      - .offset:         3170
        .size:           2
        .value_kind:     hidden_remainder_x
      - .offset:         3172
        .size:           2
        .value_kind:     hidden_remainder_y
      - .offset:         3174
        .size:           2
        .value_kind:     hidden_remainder_z
      - .offset:         3192
        .size:           8
        .value_kind:     hidden_global_offset_x
      - .offset:         3200
        .size:           8
        .value_kind:     hidden_global_offset_y
      - .offset:         3208
        .size:           8
        .value_kind:     hidden_global_offset_z
      - .offset:         3216
        .size:           2
        .value_kind:     hidden_grid_dims
    .group_segment_fixed_size: 0
    .kernarg_segment_align: 8
    .kernarg_segment_size: 3408
    .language:       OpenCL C
    .language_version:
      - 2
      - 0
    .max_flat_workgroup_size: 512
    .name:           _ZN2at6native12_GLOBAL__N_125multi_tensor_apply_kernelINS1_18TensorListMetadataILi2EEENS1_14UnaryOpFunctorIN3c107complexIfEELi2ELi1ELi1EEEJNS0_4SinhIS8_EEEEEvT_T0_DpT1_
    .private_segment_fixed_size: 0
    .sgpr_count:     56
    .sgpr_spill_count: 0
    .symbol:         _ZN2at6native12_GLOBAL__N_125multi_tensor_apply_kernelINS1_18TensorListMetadataILi2EEENS1_14UnaryOpFunctorIN3c107complexIfEELi2ELi1ELi1EEEJNS0_4SinhIS8_EEEEEvT_T0_DpT1_.kd
    .uniform_work_group_size: 1
    .uses_dynamic_stack: false
    .vgpr_count:     34
    .vgpr_spill_count: 0
    .wavefront_size: 64
  - .args:
      - .offset:         0
        .size:           3144
        .value_kind:     by_value
      - .offset:         3144
        .size:           1
        .value_kind:     by_value
      - .offset:         3145
        .size:           1
        .value_kind:     by_value
      - .offset:         3152
        .size:           4
        .value_kind:     hidden_block_count_x
      - .offset:         3156
        .size:           4
        .value_kind:     hidden_block_count_y
      - .offset:         3160
        .size:           4
        .value_kind:     hidden_block_count_z
      - .offset:         3164
        .size:           2
        .value_kind:     hidden_group_size_x
      - .offset:         3166
        .size:           2
        .value_kind:     hidden_group_size_y
      - .offset:         3168
        .size:           2
        .value_kind:     hidden_group_size_z
      - .offset:         3170
        .size:           2
        .value_kind:     hidden_remainder_x
      - .offset:         3172
        .size:           2
        .value_kind:     hidden_remainder_y
      - .offset:         3174
        .size:           2
        .value_kind:     hidden_remainder_z
      - .offset:         3192
        .size:           8
        .value_kind:     hidden_global_offset_x
      - .offset:         3200
        .size:           8
        .value_kind:     hidden_global_offset_y
      - .offset:         3208
        .size:           8
        .value_kind:     hidden_global_offset_z
      - .offset:         3216
        .size:           2
        .value_kind:     hidden_grid_dims
    .group_segment_fixed_size: 0
    .kernarg_segment_align: 8
    .kernarg_segment_size: 3408
    .language:       OpenCL C
    .language_version:
      - 2
      - 0
    .max_flat_workgroup_size: 512
    .name:           _ZN2at6native12_GLOBAL__N_125multi_tensor_apply_kernelINS1_18TensorListMetadataILi2EEENS1_14UnaryOpFunctorIN3c104HalfELi2ELi1ELi1EEEJNS0_4SinhIfEEEEEvT_T0_DpT1_
    .private_segment_fixed_size: 0
    .sgpr_count:     28
    .sgpr_spill_count: 0
    .symbol:         _ZN2at6native12_GLOBAL__N_125multi_tensor_apply_kernelINS1_18TensorListMetadataILi2EEENS1_14UnaryOpFunctorIN3c104HalfELi2ELi1ELi1EEEJNS0_4SinhIfEEEEEvT_T0_DpT1_.kd
    .uniform_work_group_size: 1
    .uses_dynamic_stack: false
    .vgpr_count:     43
    .vgpr_spill_count: 0
    .wavefront_size: 64
  - .args:
      - .offset:         0
        .size:           3144
        .value_kind:     by_value
      - .offset:         3144
        .size:           1
        .value_kind:     by_value
      - .offset:         3145
        .size:           1
        .value_kind:     by_value
      - .offset:         3152
        .size:           4
        .value_kind:     hidden_block_count_x
      - .offset:         3156
        .size:           4
        .value_kind:     hidden_block_count_y
      - .offset:         3160
        .size:           4
        .value_kind:     hidden_block_count_z
      - .offset:         3164
        .size:           2
        .value_kind:     hidden_group_size_x
      - .offset:         3166
        .size:           2
        .value_kind:     hidden_group_size_y
      - .offset:         3168
        .size:           2
        .value_kind:     hidden_group_size_z
      - .offset:         3170
        .size:           2
        .value_kind:     hidden_remainder_x
      - .offset:         3172
        .size:           2
        .value_kind:     hidden_remainder_y
      - .offset:         3174
        .size:           2
        .value_kind:     hidden_remainder_z
      - .offset:         3192
        .size:           8
        .value_kind:     hidden_global_offset_x
      - .offset:         3200
        .size:           8
        .value_kind:     hidden_global_offset_y
      - .offset:         3208
        .size:           8
        .value_kind:     hidden_global_offset_z
      - .offset:         3216
        .size:           2
        .value_kind:     hidden_grid_dims
    .group_segment_fixed_size: 0
    .kernarg_segment_align: 8
    .kernarg_segment_size: 3408
    .language:       OpenCL C
    .language_version:
      - 2
      - 0
    .max_flat_workgroup_size: 512
    .name:           _ZN2at6native12_GLOBAL__N_125multi_tensor_apply_kernelINS1_18TensorListMetadataILi2EEENS1_14UnaryOpFunctorIN3c108BFloat16ELi2ELi1ELi1EEEJNS0_4SinhIfEEEEEvT_T0_DpT1_
    .private_segment_fixed_size: 0
    .sgpr_count:     30
    .sgpr_spill_count: 0
    .symbol:         _ZN2at6native12_GLOBAL__N_125multi_tensor_apply_kernelINS1_18TensorListMetadataILi2EEENS1_14UnaryOpFunctorIN3c108BFloat16ELi2ELi1ELi1EEEJNS0_4SinhIfEEEEEvT_T0_DpT1_.kd
    .uniform_work_group_size: 1
    .uses_dynamic_stack: false
    .vgpr_count:     44
    .vgpr_spill_count: 0
    .wavefront_size: 64
  - .args:
      - .offset:         0
        .size:           3368
        .value_kind:     by_value
      - .offset:         3368
        .size:           1
        .value_kind:     by_value
      - .offset:         3369
        .size:           1
        .value_kind:     by_value
      - .offset:         3376
        .size:           4
        .value_kind:     hidden_block_count_x
      - .offset:         3380
        .size:           4
        .value_kind:     hidden_block_count_y
      - .offset:         3384
        .size:           4
        .value_kind:     hidden_block_count_z
      - .offset:         3388
        .size:           2
        .value_kind:     hidden_group_size_x
      - .offset:         3390
        .size:           2
        .value_kind:     hidden_group_size_y
      - .offset:         3392
        .size:           2
        .value_kind:     hidden_group_size_z
      - .offset:         3394
        .size:           2
        .value_kind:     hidden_remainder_x
      - .offset:         3396
        .size:           2
        .value_kind:     hidden_remainder_y
      - .offset:         3398
        .size:           2
        .value_kind:     hidden_remainder_z
      - .offset:         3416
        .size:           8
        .value_kind:     hidden_global_offset_x
      - .offset:         3424
        .size:           8
        .value_kind:     hidden_global_offset_y
      - .offset:         3432
        .size:           8
        .value_kind:     hidden_global_offset_z
      - .offset:         3440
        .size:           2
        .value_kind:     hidden_grid_dims
    .group_segment_fixed_size: 0
    .kernarg_segment_align: 8
    .kernarg_segment_size: 3632
    .language:       OpenCL C
    .language_version:
      - 2
      - 0
    .max_flat_workgroup_size: 512
    .name:           _ZN2at6native12_GLOBAL__N_125multi_tensor_apply_kernelINS1_18TensorListMetadataILi1EEENS1_14UnaryOpFunctorIdLi1ELi1ELi0EEEJNS0_4SinhIdEEEEEvT_T0_DpT1_
    .private_segment_fixed_size: 0
    .sgpr_count:     70
    .sgpr_spill_count: 0
    .symbol:         _ZN2at6native12_GLOBAL__N_125multi_tensor_apply_kernelINS1_18TensorListMetadataILi1EEENS1_14UnaryOpFunctorIdLi1ELi1ELi0EEEJNS0_4SinhIdEEEEEvT_T0_DpT1_.kd
    .uniform_work_group_size: 1
    .uses_dynamic_stack: false
    .vgpr_count:     44
    .vgpr_spill_count: 0
    .wavefront_size: 64
  - .args:
      - .offset:         0
        .size:           3368
        .value_kind:     by_value
      - .offset:         3368
        .size:           1
        .value_kind:     by_value
      - .offset:         3369
        .size:           1
        .value_kind:     by_value
      - .offset:         3376
        .size:           4
        .value_kind:     hidden_block_count_x
      - .offset:         3380
        .size:           4
        .value_kind:     hidden_block_count_y
      - .offset:         3384
        .size:           4
        .value_kind:     hidden_block_count_z
      - .offset:         3388
        .size:           2
        .value_kind:     hidden_group_size_x
      - .offset:         3390
        .size:           2
        .value_kind:     hidden_group_size_y
      - .offset:         3392
        .size:           2
        .value_kind:     hidden_group_size_z
      - .offset:         3394
        .size:           2
        .value_kind:     hidden_remainder_x
      - .offset:         3396
        .size:           2
        .value_kind:     hidden_remainder_y
      - .offset:         3398
        .size:           2
        .value_kind:     hidden_remainder_z
      - .offset:         3416
        .size:           8
        .value_kind:     hidden_global_offset_x
      - .offset:         3424
        .size:           8
        .value_kind:     hidden_global_offset_y
      - .offset:         3432
        .size:           8
        .value_kind:     hidden_global_offset_z
      - .offset:         3440
        .size:           2
        .value_kind:     hidden_grid_dims
    .group_segment_fixed_size: 0
    .kernarg_segment_align: 8
    .kernarg_segment_size: 3632
    .language:       OpenCL C
    .language_version:
      - 2
      - 0
    .max_flat_workgroup_size: 512
    .name:           _ZN2at6native12_GLOBAL__N_125multi_tensor_apply_kernelINS1_18TensorListMetadataILi1EEENS1_14UnaryOpFunctorIfLi1ELi1ELi0EEEJNS0_4SinhIfEEEEEvT_T0_DpT1_
    .private_segment_fixed_size: 0
    .sgpr_count:     36
    .sgpr_spill_count: 0
    .symbol:         _ZN2at6native12_GLOBAL__N_125multi_tensor_apply_kernelINS1_18TensorListMetadataILi1EEENS1_14UnaryOpFunctorIfLi1ELi1ELi0EEEJNS0_4SinhIfEEEEEvT_T0_DpT1_.kd
    .uniform_work_group_size: 1
    .uses_dynamic_stack: false
    .vgpr_count:     30
    .vgpr_spill_count: 0
    .wavefront_size: 64
  - .args:
      - .offset:         0
        .size:           3368
        .value_kind:     by_value
      - .offset:         3368
        .size:           1
        .value_kind:     by_value
      - .offset:         3369
        .size:           1
        .value_kind:     by_value
      - .offset:         3376
        .size:           4
        .value_kind:     hidden_block_count_x
      - .offset:         3380
        .size:           4
        .value_kind:     hidden_block_count_y
      - .offset:         3384
        .size:           4
        .value_kind:     hidden_block_count_z
      - .offset:         3388
        .size:           2
        .value_kind:     hidden_group_size_x
      - .offset:         3390
        .size:           2
        .value_kind:     hidden_group_size_y
      - .offset:         3392
        .size:           2
        .value_kind:     hidden_group_size_z
      - .offset:         3394
        .size:           2
        .value_kind:     hidden_remainder_x
      - .offset:         3396
        .size:           2
        .value_kind:     hidden_remainder_y
      - .offset:         3398
        .size:           2
        .value_kind:     hidden_remainder_z
      - .offset:         3416
        .size:           8
        .value_kind:     hidden_global_offset_x
      - .offset:         3424
        .size:           8
        .value_kind:     hidden_global_offset_y
      - .offset:         3432
        .size:           8
        .value_kind:     hidden_global_offset_z
      - .offset:         3440
        .size:           2
        .value_kind:     hidden_grid_dims
    .group_segment_fixed_size: 0
    .kernarg_segment_align: 8
    .kernarg_segment_size: 3632
    .language:       OpenCL C
    .language_version:
      - 2
      - 0
    .max_flat_workgroup_size: 512
    .name:           _ZN2at6native12_GLOBAL__N_125multi_tensor_apply_kernelINS1_18TensorListMetadataILi1EEENS1_14UnaryOpFunctorIN3c107complexIdEELi1ELi1ELi0EEEJNS0_4SinhIS8_EEEEEvT_T0_DpT1_
    .private_segment_fixed_size: 0
    .sgpr_count:     66
    .sgpr_spill_count: 0
    .symbol:         _ZN2at6native12_GLOBAL__N_125multi_tensor_apply_kernelINS1_18TensorListMetadataILi1EEENS1_14UnaryOpFunctorIN3c107complexIdEELi1ELi1ELi0EEEJNS0_4SinhIS8_EEEEEvT_T0_DpT1_.kd
    .uniform_work_group_size: 1
    .uses_dynamic_stack: false
    .vgpr_count:     63
    .vgpr_spill_count: 0
    .wavefront_size: 64
  - .args:
      - .offset:         0
        .size:           3368
        .value_kind:     by_value
      - .offset:         3368
        .size:           1
        .value_kind:     by_value
      - .offset:         3369
        .size:           1
        .value_kind:     by_value
      - .offset:         3376
        .size:           4
        .value_kind:     hidden_block_count_x
      - .offset:         3380
        .size:           4
        .value_kind:     hidden_block_count_y
      - .offset:         3384
        .size:           4
        .value_kind:     hidden_block_count_z
      - .offset:         3388
        .size:           2
        .value_kind:     hidden_group_size_x
      - .offset:         3390
        .size:           2
        .value_kind:     hidden_group_size_y
      - .offset:         3392
        .size:           2
        .value_kind:     hidden_group_size_z
      - .offset:         3394
        .size:           2
        .value_kind:     hidden_remainder_x
      - .offset:         3396
        .size:           2
        .value_kind:     hidden_remainder_y
      - .offset:         3398
        .size:           2
        .value_kind:     hidden_remainder_z
      - .offset:         3416
        .size:           8
        .value_kind:     hidden_global_offset_x
      - .offset:         3424
        .size:           8
        .value_kind:     hidden_global_offset_y
      - .offset:         3432
        .size:           8
        .value_kind:     hidden_global_offset_z
      - .offset:         3440
        .size:           2
        .value_kind:     hidden_grid_dims
    .group_segment_fixed_size: 0
    .kernarg_segment_align: 8
    .kernarg_segment_size: 3632
    .language:       OpenCL C
    .language_version:
      - 2
      - 0
    .max_flat_workgroup_size: 512
    .name:           _ZN2at6native12_GLOBAL__N_125multi_tensor_apply_kernelINS1_18TensorListMetadataILi1EEENS1_14UnaryOpFunctorIN3c107complexIfEELi1ELi1ELi0EEEJNS0_4SinhIS8_EEEEEvT_T0_DpT1_
    .private_segment_fixed_size: 0
    .sgpr_count:     59
    .sgpr_spill_count: 0
    .symbol:         _ZN2at6native12_GLOBAL__N_125multi_tensor_apply_kernelINS1_18TensorListMetadataILi1EEENS1_14UnaryOpFunctorIN3c107complexIfEELi1ELi1ELi0EEEJNS0_4SinhIS8_EEEEEvT_T0_DpT1_.kd
    .uniform_work_group_size: 1
    .uses_dynamic_stack: false
    .vgpr_count:     38
    .vgpr_spill_count: 0
    .wavefront_size: 64
  - .args:
      - .offset:         0
        .size:           3368
        .value_kind:     by_value
      - .offset:         3368
        .size:           1
        .value_kind:     by_value
      - .offset:         3369
        .size:           1
        .value_kind:     by_value
      - .offset:         3376
        .size:           4
        .value_kind:     hidden_block_count_x
      - .offset:         3380
        .size:           4
        .value_kind:     hidden_block_count_y
      - .offset:         3384
        .size:           4
        .value_kind:     hidden_block_count_z
      - .offset:         3388
        .size:           2
        .value_kind:     hidden_group_size_x
      - .offset:         3390
        .size:           2
        .value_kind:     hidden_group_size_y
      - .offset:         3392
        .size:           2
        .value_kind:     hidden_group_size_z
      - .offset:         3394
        .size:           2
        .value_kind:     hidden_remainder_x
      - .offset:         3396
        .size:           2
        .value_kind:     hidden_remainder_y
      - .offset:         3398
        .size:           2
        .value_kind:     hidden_remainder_z
      - .offset:         3416
        .size:           8
        .value_kind:     hidden_global_offset_x
      - .offset:         3424
        .size:           8
        .value_kind:     hidden_global_offset_y
      - .offset:         3432
        .size:           8
        .value_kind:     hidden_global_offset_z
      - .offset:         3440
        .size:           2
        .value_kind:     hidden_grid_dims
    .group_segment_fixed_size: 0
    .kernarg_segment_align: 8
    .kernarg_segment_size: 3632
    .language:       OpenCL C
    .language_version:
      - 2
      - 0
    .max_flat_workgroup_size: 512
    .name:           _ZN2at6native12_GLOBAL__N_125multi_tensor_apply_kernelINS1_18TensorListMetadataILi1EEENS1_14UnaryOpFunctorIN3c104HalfELi1ELi1ELi0EEEJNS0_4SinhIfEEEEEvT_T0_DpT1_
    .private_segment_fixed_size: 0
    .sgpr_count:     35
    .sgpr_spill_count: 0
    .symbol:         _ZN2at6native12_GLOBAL__N_125multi_tensor_apply_kernelINS1_18TensorListMetadataILi1EEENS1_14UnaryOpFunctorIN3c104HalfELi1ELi1ELi0EEEJNS0_4SinhIfEEEEEvT_T0_DpT1_.kd
    .uniform_work_group_size: 1
    .uses_dynamic_stack: false
    .vgpr_count:     30
    .vgpr_spill_count: 0
    .wavefront_size: 64
  - .args:
      - .offset:         0
        .size:           3368
        .value_kind:     by_value
      - .offset:         3368
        .size:           1
        .value_kind:     by_value
      - .offset:         3369
        .size:           1
        .value_kind:     by_value
      - .offset:         3376
        .size:           4
        .value_kind:     hidden_block_count_x
      - .offset:         3380
        .size:           4
        .value_kind:     hidden_block_count_y
      - .offset:         3384
        .size:           4
        .value_kind:     hidden_block_count_z
      - .offset:         3388
        .size:           2
        .value_kind:     hidden_group_size_x
      - .offset:         3390
        .size:           2
        .value_kind:     hidden_group_size_y
      - .offset:         3392
        .size:           2
        .value_kind:     hidden_group_size_z
      - .offset:         3394
        .size:           2
        .value_kind:     hidden_remainder_x
      - .offset:         3396
        .size:           2
        .value_kind:     hidden_remainder_y
      - .offset:         3398
        .size:           2
        .value_kind:     hidden_remainder_z
      - .offset:         3416
        .size:           8
        .value_kind:     hidden_global_offset_x
      - .offset:         3424
        .size:           8
        .value_kind:     hidden_global_offset_y
      - .offset:         3432
        .size:           8
        .value_kind:     hidden_global_offset_z
      - .offset:         3440
        .size:           2
        .value_kind:     hidden_grid_dims
    .group_segment_fixed_size: 0
    .kernarg_segment_align: 8
    .kernarg_segment_size: 3632
    .language:       OpenCL C
    .language_version:
      - 2
      - 0
    .max_flat_workgroup_size: 512
    .name:           _ZN2at6native12_GLOBAL__N_125multi_tensor_apply_kernelINS1_18TensorListMetadataILi1EEENS1_14UnaryOpFunctorIN3c108BFloat16ELi1ELi1ELi0EEEJNS0_4SinhIfEEEEEvT_T0_DpT1_
    .private_segment_fixed_size: 0
    .sgpr_count:     36
    .sgpr_spill_count: 0
    .symbol:         _ZN2at6native12_GLOBAL__N_125multi_tensor_apply_kernelINS1_18TensorListMetadataILi1EEENS1_14UnaryOpFunctorIN3c108BFloat16ELi1ELi1ELi0EEEJNS0_4SinhIfEEEEEvT_T0_DpT1_.kd
    .uniform_work_group_size: 1
    .uses_dynamic_stack: false
    .vgpr_count:     32
    .vgpr_spill_count: 0
    .wavefront_size: 64
  - .args:
      - .offset:         0
        .size:           3144
        .value_kind:     by_value
      - .offset:         3144
        .size:           1
        .value_kind:     by_value
      - .offset:         3145
        .size:           1
        .value_kind:     by_value
      - .offset:         3152
        .size:           4
        .value_kind:     hidden_block_count_x
      - .offset:         3156
        .size:           4
        .value_kind:     hidden_block_count_y
      - .offset:         3160
        .size:           4
        .value_kind:     hidden_block_count_z
      - .offset:         3164
        .size:           2
        .value_kind:     hidden_group_size_x
      - .offset:         3166
        .size:           2
        .value_kind:     hidden_group_size_y
      - .offset:         3168
        .size:           2
        .value_kind:     hidden_group_size_z
      - .offset:         3170
        .size:           2
        .value_kind:     hidden_remainder_x
      - .offset:         3172
        .size:           2
        .value_kind:     hidden_remainder_y
      - .offset:         3174
        .size:           2
        .value_kind:     hidden_remainder_z
      - .offset:         3192
        .size:           8
        .value_kind:     hidden_global_offset_x
      - .offset:         3200
        .size:           8
        .value_kind:     hidden_global_offset_y
      - .offset:         3208
        .size:           8
        .value_kind:     hidden_global_offset_z
      - .offset:         3216
        .size:           2
        .value_kind:     hidden_grid_dims
    .group_segment_fixed_size: 0
    .kernarg_segment_align: 8
    .kernarg_segment_size: 3408
    .language:       OpenCL C
    .language_version:
      - 2
      - 0
    .max_flat_workgroup_size: 512
    .name:           _ZN2at6native12_GLOBAL__N_125multi_tensor_apply_kernelINS1_18TensorListMetadataILi2EEENS1_14UnaryOpFunctorIdLi2ELi1ELi1EEEJNS0_3ExpIdEEEEEvT_T0_DpT1_
    .private_segment_fixed_size: 0
    .sgpr_count:     67
    .sgpr_spill_count: 0
    .symbol:         _ZN2at6native12_GLOBAL__N_125multi_tensor_apply_kernelINS1_18TensorListMetadataILi2EEENS1_14UnaryOpFunctorIdLi2ELi1ELi1EEEJNS0_3ExpIdEEEEEvT_T0_DpT1_.kd
    .uniform_work_group_size: 1
    .uses_dynamic_stack: false
    .vgpr_count:     40
    .vgpr_spill_count: 0
    .wavefront_size: 64
  - .args:
      - .offset:         0
        .size:           3144
        .value_kind:     by_value
      - .offset:         3144
        .size:           1
        .value_kind:     by_value
      - .offset:         3145
        .size:           1
        .value_kind:     by_value
      - .offset:         3152
        .size:           4
        .value_kind:     hidden_block_count_x
      - .offset:         3156
        .size:           4
        .value_kind:     hidden_block_count_y
      - .offset:         3160
        .size:           4
        .value_kind:     hidden_block_count_z
      - .offset:         3164
        .size:           2
        .value_kind:     hidden_group_size_x
      - .offset:         3166
        .size:           2
        .value_kind:     hidden_group_size_y
      - .offset:         3168
        .size:           2
        .value_kind:     hidden_group_size_z
      - .offset:         3170
        .size:           2
        .value_kind:     hidden_remainder_x
      - .offset:         3172
        .size:           2
        .value_kind:     hidden_remainder_y
      - .offset:         3174
        .size:           2
        .value_kind:     hidden_remainder_z
      - .offset:         3192
        .size:           8
        .value_kind:     hidden_global_offset_x
      - .offset:         3200
        .size:           8
        .value_kind:     hidden_global_offset_y
      - .offset:         3208
        .size:           8
        .value_kind:     hidden_global_offset_z
      - .offset:         3216
        .size:           2
        .value_kind:     hidden_grid_dims
    .group_segment_fixed_size: 0
    .kernarg_segment_align: 8
    .kernarg_segment_size: 3408
    .language:       OpenCL C
    .language_version:
      - 2
      - 0
    .max_flat_workgroup_size: 512
    .name:           _ZN2at6native12_GLOBAL__N_125multi_tensor_apply_kernelINS1_18TensorListMetadataILi2EEENS1_14UnaryOpFunctorIfLi2ELi1ELi1EEEJNS0_3ExpIfEEEEEvT_T0_DpT1_
    .private_segment_fixed_size: 0
    .sgpr_count:     31
    .sgpr_spill_count: 0
    .symbol:         _ZN2at6native12_GLOBAL__N_125multi_tensor_apply_kernelINS1_18TensorListMetadataILi2EEENS1_14UnaryOpFunctorIfLi2ELi1ELi1EEEJNS0_3ExpIfEEEEEvT_T0_DpT1_.kd
    .uniform_work_group_size: 1
    .uses_dynamic_stack: false
    .vgpr_count:     31
    .vgpr_spill_count: 0
    .wavefront_size: 64
  - .args:
      - .offset:         0
        .size:           3144
        .value_kind:     by_value
      - .offset:         3144
        .size:           1
        .value_kind:     by_value
      - .offset:         3145
        .size:           1
        .value_kind:     by_value
      - .offset:         3152
        .size:           4
        .value_kind:     hidden_block_count_x
      - .offset:         3156
        .size:           4
        .value_kind:     hidden_block_count_y
      - .offset:         3160
        .size:           4
        .value_kind:     hidden_block_count_z
      - .offset:         3164
        .size:           2
        .value_kind:     hidden_group_size_x
      - .offset:         3166
        .size:           2
        .value_kind:     hidden_group_size_y
      - .offset:         3168
        .size:           2
        .value_kind:     hidden_group_size_z
      - .offset:         3170
        .size:           2
        .value_kind:     hidden_remainder_x
      - .offset:         3172
        .size:           2
        .value_kind:     hidden_remainder_y
      - .offset:         3174
        .size:           2
        .value_kind:     hidden_remainder_z
      - .offset:         3192
        .size:           8
        .value_kind:     hidden_global_offset_x
      - .offset:         3200
        .size:           8
        .value_kind:     hidden_global_offset_y
      - .offset:         3208
        .size:           8
        .value_kind:     hidden_global_offset_z
      - .offset:         3216
        .size:           2
        .value_kind:     hidden_grid_dims
    .group_segment_fixed_size: 0
    .kernarg_segment_align: 8
    .kernarg_segment_size: 3408
    .language:       OpenCL C
    .language_version:
      - 2
      - 0
    .max_flat_workgroup_size: 512
    .name:           _ZN2at6native12_GLOBAL__N_125multi_tensor_apply_kernelINS1_18TensorListMetadataILi2EEENS1_14UnaryOpFunctorIN3c107complexIdEELi2ELi1ELi1EEEJNS0_3ExpIS8_EEEEEvT_T0_DpT1_
    .private_segment_fixed_size: 0
    .sgpr_count:     100
    .sgpr_spill_count: 2
    .symbol:         _ZN2at6native12_GLOBAL__N_125multi_tensor_apply_kernelINS1_18TensorListMetadataILi2EEENS1_14UnaryOpFunctorIN3c107complexIdEELi2ELi1ELi1EEEJNS0_3ExpIS8_EEEEEvT_T0_DpT1_.kd
    .uniform_work_group_size: 1
    .uses_dynamic_stack: false
    .vgpr_count:     66
    .vgpr_spill_count: 0
    .wavefront_size: 64
  - .args:
      - .offset:         0
        .size:           3144
        .value_kind:     by_value
      - .offset:         3144
        .size:           1
        .value_kind:     by_value
      - .offset:         3145
        .size:           1
        .value_kind:     by_value
      - .offset:         3152
        .size:           4
        .value_kind:     hidden_block_count_x
      - .offset:         3156
        .size:           4
        .value_kind:     hidden_block_count_y
      - .offset:         3160
        .size:           4
        .value_kind:     hidden_block_count_z
      - .offset:         3164
        .size:           2
        .value_kind:     hidden_group_size_x
      - .offset:         3166
        .size:           2
        .value_kind:     hidden_group_size_y
      - .offset:         3168
        .size:           2
        .value_kind:     hidden_group_size_z
      - .offset:         3170
        .size:           2
        .value_kind:     hidden_remainder_x
      - .offset:         3172
        .size:           2
        .value_kind:     hidden_remainder_y
      - .offset:         3174
        .size:           2
        .value_kind:     hidden_remainder_z
      - .offset:         3192
        .size:           8
        .value_kind:     hidden_global_offset_x
      - .offset:         3200
        .size:           8
        .value_kind:     hidden_global_offset_y
      - .offset:         3208
        .size:           8
        .value_kind:     hidden_global_offset_z
      - .offset:         3216
        .size:           2
        .value_kind:     hidden_grid_dims
    .group_segment_fixed_size: 0
    .kernarg_segment_align: 8
    .kernarg_segment_size: 3408
    .language:       OpenCL C
    .language_version:
      - 2
      - 0
    .max_flat_workgroup_size: 512
    .name:           _ZN2at6native12_GLOBAL__N_125multi_tensor_apply_kernelINS1_18TensorListMetadataILi2EEENS1_14UnaryOpFunctorIN3c107complexIfEELi2ELi1ELi1EEEJNS0_3ExpIS8_EEEEEvT_T0_DpT1_
    .private_segment_fixed_size: 0
    .sgpr_count:     63
    .sgpr_spill_count: 0
    .symbol:         _ZN2at6native12_GLOBAL__N_125multi_tensor_apply_kernelINS1_18TensorListMetadataILi2EEENS1_14UnaryOpFunctorIN3c107complexIfEELi2ELi1ELi1EEEJNS0_3ExpIS8_EEEEEvT_T0_DpT1_.kd
    .uniform_work_group_size: 1
    .uses_dynamic_stack: false
    .vgpr_count:     40
    .vgpr_spill_count: 0
    .wavefront_size: 64
  - .args:
      - .offset:         0
        .size:           3144
        .value_kind:     by_value
      - .offset:         3144
        .size:           1
        .value_kind:     by_value
      - .offset:         3145
        .size:           1
        .value_kind:     by_value
      - .offset:         3152
        .size:           4
        .value_kind:     hidden_block_count_x
      - .offset:         3156
        .size:           4
        .value_kind:     hidden_block_count_y
      - .offset:         3160
        .size:           4
        .value_kind:     hidden_block_count_z
      - .offset:         3164
        .size:           2
        .value_kind:     hidden_group_size_x
      - .offset:         3166
        .size:           2
        .value_kind:     hidden_group_size_y
      - .offset:         3168
        .size:           2
        .value_kind:     hidden_group_size_z
      - .offset:         3170
        .size:           2
        .value_kind:     hidden_remainder_x
      - .offset:         3172
        .size:           2
        .value_kind:     hidden_remainder_y
      - .offset:         3174
        .size:           2
        .value_kind:     hidden_remainder_z
      - .offset:         3192
        .size:           8
        .value_kind:     hidden_global_offset_x
      - .offset:         3200
        .size:           8
        .value_kind:     hidden_global_offset_y
      - .offset:         3208
        .size:           8
        .value_kind:     hidden_global_offset_z
      - .offset:         3216
        .size:           2
        .value_kind:     hidden_grid_dims
    .group_segment_fixed_size: 0
    .kernarg_segment_align: 8
    .kernarg_segment_size: 3408
    .language:       OpenCL C
    .language_version:
      - 2
      - 0
    .max_flat_workgroup_size: 512
    .name:           _ZN2at6native12_GLOBAL__N_125multi_tensor_apply_kernelINS1_18TensorListMetadataILi2EEENS1_14UnaryOpFunctorIN3c104HalfELi2ELi1ELi1EEEJNS0_3ExpIfEEEEEvT_T0_DpT1_
    .private_segment_fixed_size: 0
    .sgpr_count:     32
    .sgpr_spill_count: 0
    .symbol:         _ZN2at6native12_GLOBAL__N_125multi_tensor_apply_kernelINS1_18TensorListMetadataILi2EEENS1_14UnaryOpFunctorIN3c104HalfELi2ELi1ELi1EEEJNS0_3ExpIfEEEEEvT_T0_DpT1_.kd
    .uniform_work_group_size: 1
    .uses_dynamic_stack: false
    .vgpr_count:     31
    .vgpr_spill_count: 0
    .wavefront_size: 64
  - .args:
      - .offset:         0
        .size:           3144
        .value_kind:     by_value
      - .offset:         3144
        .size:           1
        .value_kind:     by_value
      - .offset:         3145
        .size:           1
        .value_kind:     by_value
      - .offset:         3152
        .size:           4
        .value_kind:     hidden_block_count_x
      - .offset:         3156
        .size:           4
        .value_kind:     hidden_block_count_y
      - .offset:         3160
        .size:           4
        .value_kind:     hidden_block_count_z
      - .offset:         3164
        .size:           2
        .value_kind:     hidden_group_size_x
      - .offset:         3166
        .size:           2
        .value_kind:     hidden_group_size_y
      - .offset:         3168
        .size:           2
        .value_kind:     hidden_group_size_z
      - .offset:         3170
        .size:           2
        .value_kind:     hidden_remainder_x
      - .offset:         3172
        .size:           2
        .value_kind:     hidden_remainder_y
      - .offset:         3174
        .size:           2
        .value_kind:     hidden_remainder_z
      - .offset:         3192
        .size:           8
        .value_kind:     hidden_global_offset_x
      - .offset:         3200
        .size:           8
        .value_kind:     hidden_global_offset_y
      - .offset:         3208
        .size:           8
        .value_kind:     hidden_global_offset_z
      - .offset:         3216
        .size:           2
        .value_kind:     hidden_grid_dims
    .group_segment_fixed_size: 0
    .kernarg_segment_align: 8
    .kernarg_segment_size: 3408
    .language:       OpenCL C
    .language_version:
      - 2
      - 0
    .max_flat_workgroup_size: 512
    .name:           _ZN2at6native12_GLOBAL__N_125multi_tensor_apply_kernelINS1_18TensorListMetadataILi2EEENS1_14UnaryOpFunctorIN3c108BFloat16ELi2ELi1ELi1EEEJNS0_3ExpIfEEEEEvT_T0_DpT1_
    .private_segment_fixed_size: 0
    .sgpr_count:     32
    .sgpr_spill_count: 0
    .symbol:         _ZN2at6native12_GLOBAL__N_125multi_tensor_apply_kernelINS1_18TensorListMetadataILi2EEENS1_14UnaryOpFunctorIN3c108BFloat16ELi2ELi1ELi1EEEJNS0_3ExpIfEEEEEvT_T0_DpT1_.kd
    .uniform_work_group_size: 1
    .uses_dynamic_stack: false
    .vgpr_count:     32
    .vgpr_spill_count: 0
    .wavefront_size: 64
  - .args:
      - .offset:         0
        .size:           3368
        .value_kind:     by_value
      - .offset:         3368
        .size:           1
        .value_kind:     by_value
      - .offset:         3369
        .size:           1
        .value_kind:     by_value
      - .offset:         3376
        .size:           4
        .value_kind:     hidden_block_count_x
      - .offset:         3380
        .size:           4
        .value_kind:     hidden_block_count_y
      - .offset:         3384
        .size:           4
        .value_kind:     hidden_block_count_z
      - .offset:         3388
        .size:           2
        .value_kind:     hidden_group_size_x
      - .offset:         3390
        .size:           2
        .value_kind:     hidden_group_size_y
      - .offset:         3392
        .size:           2
        .value_kind:     hidden_group_size_z
      - .offset:         3394
        .size:           2
        .value_kind:     hidden_remainder_x
      - .offset:         3396
        .size:           2
        .value_kind:     hidden_remainder_y
      - .offset:         3398
        .size:           2
        .value_kind:     hidden_remainder_z
      - .offset:         3416
        .size:           8
        .value_kind:     hidden_global_offset_x
      - .offset:         3424
        .size:           8
        .value_kind:     hidden_global_offset_y
      - .offset:         3432
        .size:           8
        .value_kind:     hidden_global_offset_z
      - .offset:         3440
        .size:           2
        .value_kind:     hidden_grid_dims
    .group_segment_fixed_size: 0
    .kernarg_segment_align: 8
    .kernarg_segment_size: 3632
    .language:       OpenCL C
    .language_version:
      - 2
      - 0
    .max_flat_workgroup_size: 512
    .name:           _ZN2at6native12_GLOBAL__N_125multi_tensor_apply_kernelINS1_18TensorListMetadataILi1EEENS1_14UnaryOpFunctorIdLi1ELi1ELi0EEEJNS0_3ExpIdEEEEEvT_T0_DpT1_
    .private_segment_fixed_size: 0
    .sgpr_count:     63
    .sgpr_spill_count: 0
    .symbol:         _ZN2at6native12_GLOBAL__N_125multi_tensor_apply_kernelINS1_18TensorListMetadataILi1EEENS1_14UnaryOpFunctorIdLi1ELi1ELi0EEEJNS0_3ExpIdEEEEEvT_T0_DpT1_.kd
    .uniform_work_group_size: 1
    .uses_dynamic_stack: false
    .vgpr_count:     28
    .vgpr_spill_count: 0
    .wavefront_size: 64
  - .args:
      - .offset:         0
        .size:           3368
        .value_kind:     by_value
      - .offset:         3368
        .size:           1
        .value_kind:     by_value
      - .offset:         3369
        .size:           1
        .value_kind:     by_value
      - .offset:         3376
        .size:           4
        .value_kind:     hidden_block_count_x
      - .offset:         3380
        .size:           4
        .value_kind:     hidden_block_count_y
      - .offset:         3384
        .size:           4
        .value_kind:     hidden_block_count_z
      - .offset:         3388
        .size:           2
        .value_kind:     hidden_group_size_x
      - .offset:         3390
        .size:           2
        .value_kind:     hidden_group_size_y
      - .offset:         3392
        .size:           2
        .value_kind:     hidden_group_size_z
      - .offset:         3394
        .size:           2
        .value_kind:     hidden_remainder_x
      - .offset:         3396
        .size:           2
        .value_kind:     hidden_remainder_y
      - .offset:         3398
        .size:           2
        .value_kind:     hidden_remainder_z
      - .offset:         3416
        .size:           8
        .value_kind:     hidden_global_offset_x
      - .offset:         3424
        .size:           8
        .value_kind:     hidden_global_offset_y
      - .offset:         3432
        .size:           8
        .value_kind:     hidden_global_offset_z
      - .offset:         3440
        .size:           2
        .value_kind:     hidden_grid_dims
    .group_segment_fixed_size: 0
    .kernarg_segment_align: 8
    .kernarg_segment_size: 3632
    .language:       OpenCL C
    .language_version:
      - 2
      - 0
    .max_flat_workgroup_size: 512
    .name:           _ZN2at6native12_GLOBAL__N_125multi_tensor_apply_kernelINS1_18TensorListMetadataILi1EEENS1_14UnaryOpFunctorIfLi1ELi1ELi0EEEJNS0_3ExpIfEEEEEvT_T0_DpT1_
    .private_segment_fixed_size: 0
    .sgpr_count:     35
    .sgpr_spill_count: 0
    .symbol:         _ZN2at6native12_GLOBAL__N_125multi_tensor_apply_kernelINS1_18TensorListMetadataILi1EEENS1_14UnaryOpFunctorIfLi1ELi1ELi0EEEJNS0_3ExpIfEEEEEvT_T0_DpT1_.kd
    .uniform_work_group_size: 1
    .uses_dynamic_stack: false
    .vgpr_count:     20
    .vgpr_spill_count: 0
    .wavefront_size: 64
  - .args:
      - .offset:         0
        .size:           3368
        .value_kind:     by_value
      - .offset:         3368
        .size:           1
        .value_kind:     by_value
      - .offset:         3369
        .size:           1
        .value_kind:     by_value
      - .offset:         3376
        .size:           4
        .value_kind:     hidden_block_count_x
      - .offset:         3380
        .size:           4
        .value_kind:     hidden_block_count_y
      - .offset:         3384
        .size:           4
        .value_kind:     hidden_block_count_z
      - .offset:         3388
        .size:           2
        .value_kind:     hidden_group_size_x
      - .offset:         3390
        .size:           2
        .value_kind:     hidden_group_size_y
      - .offset:         3392
        .size:           2
        .value_kind:     hidden_group_size_z
      - .offset:         3394
        .size:           2
        .value_kind:     hidden_remainder_x
      - .offset:         3396
        .size:           2
        .value_kind:     hidden_remainder_y
      - .offset:         3398
        .size:           2
        .value_kind:     hidden_remainder_z
      - .offset:         3416
        .size:           8
        .value_kind:     hidden_global_offset_x
      - .offset:         3424
        .size:           8
        .value_kind:     hidden_global_offset_y
      - .offset:         3432
        .size:           8
        .value_kind:     hidden_global_offset_z
      - .offset:         3440
        .size:           2
        .value_kind:     hidden_grid_dims
    .group_segment_fixed_size: 0
    .kernarg_segment_align: 8
    .kernarg_segment_size: 3632
    .language:       OpenCL C
    .language_version:
      - 2
      - 0
    .max_flat_workgroup_size: 512
    .name:           _ZN2at6native12_GLOBAL__N_125multi_tensor_apply_kernelINS1_18TensorListMetadataILi1EEENS1_14UnaryOpFunctorIN3c107complexIdEELi1ELi1ELi0EEEJNS0_3ExpIS8_EEEEEvT_T0_DpT1_
    .private_segment_fixed_size: 0
    .sgpr_count:     100
    .sgpr_spill_count: 8
    .symbol:         _ZN2at6native12_GLOBAL__N_125multi_tensor_apply_kernelINS1_18TensorListMetadataILi1EEENS1_14UnaryOpFunctorIN3c107complexIdEELi1ELi1ELi0EEEJNS0_3ExpIS8_EEEEEvT_T0_DpT1_.kd
    .uniform_work_group_size: 1
    .uses_dynamic_stack: false
    .vgpr_count:     78
    .vgpr_spill_count: 0
    .wavefront_size: 64
  - .args:
      - .offset:         0
        .size:           3368
        .value_kind:     by_value
      - .offset:         3368
        .size:           1
        .value_kind:     by_value
      - .offset:         3369
        .size:           1
        .value_kind:     by_value
      - .offset:         3376
        .size:           4
        .value_kind:     hidden_block_count_x
      - .offset:         3380
        .size:           4
        .value_kind:     hidden_block_count_y
      - .offset:         3384
        .size:           4
        .value_kind:     hidden_block_count_z
      - .offset:         3388
        .size:           2
        .value_kind:     hidden_group_size_x
      - .offset:         3390
        .size:           2
        .value_kind:     hidden_group_size_y
      - .offset:         3392
        .size:           2
        .value_kind:     hidden_group_size_z
      - .offset:         3394
        .size:           2
        .value_kind:     hidden_remainder_x
      - .offset:         3396
        .size:           2
        .value_kind:     hidden_remainder_y
      - .offset:         3398
        .size:           2
        .value_kind:     hidden_remainder_z
      - .offset:         3416
        .size:           8
        .value_kind:     hidden_global_offset_x
      - .offset:         3424
        .size:           8
        .value_kind:     hidden_global_offset_y
      - .offset:         3432
        .size:           8
        .value_kind:     hidden_global_offset_z
      - .offset:         3440
        .size:           2
        .value_kind:     hidden_grid_dims
    .group_segment_fixed_size: 0
    .kernarg_segment_align: 8
    .kernarg_segment_size: 3632
    .language:       OpenCL C
    .language_version:
      - 2
      - 0
    .max_flat_workgroup_size: 512
    .name:           _ZN2at6native12_GLOBAL__N_125multi_tensor_apply_kernelINS1_18TensorListMetadataILi1EEENS1_14UnaryOpFunctorIN3c107complexIfEELi1ELi1ELi0EEEJNS0_3ExpIS8_EEEEEvT_T0_DpT1_
    .private_segment_fixed_size: 0
    .sgpr_count:     67
    .sgpr_spill_count: 0
    .symbol:         _ZN2at6native12_GLOBAL__N_125multi_tensor_apply_kernelINS1_18TensorListMetadataILi1EEENS1_14UnaryOpFunctorIN3c107complexIfEELi1ELi1ELi0EEEJNS0_3ExpIS8_EEEEEvT_T0_DpT1_.kd
    .uniform_work_group_size: 1
    .uses_dynamic_stack: false
    .vgpr_count:     44
    .vgpr_spill_count: 0
    .wavefront_size: 64
  - .args:
      - .offset:         0
        .size:           3368
        .value_kind:     by_value
      - .offset:         3368
        .size:           1
        .value_kind:     by_value
      - .offset:         3369
        .size:           1
        .value_kind:     by_value
      - .offset:         3376
        .size:           4
        .value_kind:     hidden_block_count_x
      - .offset:         3380
        .size:           4
        .value_kind:     hidden_block_count_y
      - .offset:         3384
        .size:           4
        .value_kind:     hidden_block_count_z
      - .offset:         3388
        .size:           2
        .value_kind:     hidden_group_size_x
      - .offset:         3390
        .size:           2
        .value_kind:     hidden_group_size_y
      - .offset:         3392
        .size:           2
        .value_kind:     hidden_group_size_z
      - .offset:         3394
        .size:           2
        .value_kind:     hidden_remainder_x
      - .offset:         3396
        .size:           2
        .value_kind:     hidden_remainder_y
      - .offset:         3398
        .size:           2
        .value_kind:     hidden_remainder_z
      - .offset:         3416
        .size:           8
        .value_kind:     hidden_global_offset_x
      - .offset:         3424
        .size:           8
        .value_kind:     hidden_global_offset_y
      - .offset:         3432
        .size:           8
        .value_kind:     hidden_global_offset_z
      - .offset:         3440
        .size:           2
        .value_kind:     hidden_grid_dims
    .group_segment_fixed_size: 0
    .kernarg_segment_align: 8
    .kernarg_segment_size: 3632
    .language:       OpenCL C
    .language_version:
      - 2
      - 0
    .max_flat_workgroup_size: 512
    .name:           _ZN2at6native12_GLOBAL__N_125multi_tensor_apply_kernelINS1_18TensorListMetadataILi1EEENS1_14UnaryOpFunctorIN3c104HalfELi1ELi1ELi0EEEJNS0_3ExpIfEEEEEvT_T0_DpT1_
    .private_segment_fixed_size: 0
    .sgpr_count:     35
    .sgpr_spill_count: 0
    .symbol:         _ZN2at6native12_GLOBAL__N_125multi_tensor_apply_kernelINS1_18TensorListMetadataILi1EEENS1_14UnaryOpFunctorIN3c104HalfELi1ELi1ELi0EEEJNS0_3ExpIfEEEEEvT_T0_DpT1_.kd
    .uniform_work_group_size: 1
    .uses_dynamic_stack: false
    .vgpr_count:     20
    .vgpr_spill_count: 0
    .wavefront_size: 64
  - .args:
      - .offset:         0
        .size:           3368
        .value_kind:     by_value
      - .offset:         3368
        .size:           1
        .value_kind:     by_value
      - .offset:         3369
        .size:           1
        .value_kind:     by_value
      - .offset:         3376
        .size:           4
        .value_kind:     hidden_block_count_x
      - .offset:         3380
        .size:           4
        .value_kind:     hidden_block_count_y
      - .offset:         3384
        .size:           4
        .value_kind:     hidden_block_count_z
      - .offset:         3388
        .size:           2
        .value_kind:     hidden_group_size_x
      - .offset:         3390
        .size:           2
        .value_kind:     hidden_group_size_y
      - .offset:         3392
        .size:           2
        .value_kind:     hidden_group_size_z
      - .offset:         3394
        .size:           2
        .value_kind:     hidden_remainder_x
      - .offset:         3396
        .size:           2
        .value_kind:     hidden_remainder_y
      - .offset:         3398
        .size:           2
        .value_kind:     hidden_remainder_z
      - .offset:         3416
        .size:           8
        .value_kind:     hidden_global_offset_x
      - .offset:         3424
        .size:           8
        .value_kind:     hidden_global_offset_y
      - .offset:         3432
        .size:           8
        .value_kind:     hidden_global_offset_z
      - .offset:         3440
        .size:           2
        .value_kind:     hidden_grid_dims
    .group_segment_fixed_size: 0
    .kernarg_segment_align: 8
    .kernarg_segment_size: 3632
    .language:       OpenCL C
    .language_version:
      - 2
      - 0
    .max_flat_workgroup_size: 512
    .name:           _ZN2at6native12_GLOBAL__N_125multi_tensor_apply_kernelINS1_18TensorListMetadataILi1EEENS1_14UnaryOpFunctorIN3c108BFloat16ELi1ELi1ELi0EEEJNS0_3ExpIfEEEEEvT_T0_DpT1_
    .private_segment_fixed_size: 0
    .sgpr_count:     35
    .sgpr_spill_count: 0
    .symbol:         _ZN2at6native12_GLOBAL__N_125multi_tensor_apply_kernelINS1_18TensorListMetadataILi1EEENS1_14UnaryOpFunctorIN3c108BFloat16ELi1ELi1ELi0EEEJNS0_3ExpIfEEEEEvT_T0_DpT1_.kd
    .uniform_work_group_size: 1
    .uses_dynamic_stack: false
    .vgpr_count:     20
    .vgpr_spill_count: 0
    .wavefront_size: 64
  - .args:
      - .offset:         0
        .size:           3144
        .value_kind:     by_value
      - .offset:         3144
        .size:           1
        .value_kind:     by_value
      - .offset:         3145
        .size:           1
        .value_kind:     by_value
      - .offset:         3152
        .size:           4
        .value_kind:     hidden_block_count_x
      - .offset:         3156
        .size:           4
        .value_kind:     hidden_block_count_y
      - .offset:         3160
        .size:           4
        .value_kind:     hidden_block_count_z
      - .offset:         3164
        .size:           2
        .value_kind:     hidden_group_size_x
      - .offset:         3166
        .size:           2
        .value_kind:     hidden_group_size_y
      - .offset:         3168
        .size:           2
        .value_kind:     hidden_group_size_z
      - .offset:         3170
        .size:           2
        .value_kind:     hidden_remainder_x
      - .offset:         3172
        .size:           2
        .value_kind:     hidden_remainder_y
      - .offset:         3174
        .size:           2
        .value_kind:     hidden_remainder_z
      - .offset:         3192
        .size:           8
        .value_kind:     hidden_global_offset_x
      - .offset:         3200
        .size:           8
        .value_kind:     hidden_global_offset_y
      - .offset:         3208
        .size:           8
        .value_kind:     hidden_global_offset_z
      - .offset:         3216
        .size:           2
        .value_kind:     hidden_grid_dims
    .group_segment_fixed_size: 0
    .kernarg_segment_align: 8
    .kernarg_segment_size: 3408
    .language:       OpenCL C
    .language_version:
      - 2
      - 0
    .max_flat_workgroup_size: 512
    .name:           _ZN2at6native12_GLOBAL__N_125multi_tensor_apply_kernelINS1_18TensorListMetadataILi2EEENS1_14UnaryOpFunctorIdLi2ELi1ELi1EEEJNS0_5Expm1IdEEEEEvT_T0_DpT1_
    .private_segment_fixed_size: 0
    .sgpr_count:     69
    .sgpr_spill_count: 0
    .symbol:         _ZN2at6native12_GLOBAL__N_125multi_tensor_apply_kernelINS1_18TensorListMetadataILi2EEENS1_14UnaryOpFunctorIdLi2ELi1ELi1EEEJNS0_5Expm1IdEEEEEvT_T0_DpT1_.kd
    .uniform_work_group_size: 1
    .uses_dynamic_stack: false
    .vgpr_count:     46
    .vgpr_spill_count: 0
    .wavefront_size: 64
  - .args:
      - .offset:         0
        .size:           3144
        .value_kind:     by_value
      - .offset:         3144
        .size:           1
        .value_kind:     by_value
      - .offset:         3145
        .size:           1
        .value_kind:     by_value
      - .offset:         3152
        .size:           4
        .value_kind:     hidden_block_count_x
      - .offset:         3156
        .size:           4
        .value_kind:     hidden_block_count_y
      - .offset:         3160
        .size:           4
        .value_kind:     hidden_block_count_z
      - .offset:         3164
        .size:           2
        .value_kind:     hidden_group_size_x
      - .offset:         3166
        .size:           2
        .value_kind:     hidden_group_size_y
      - .offset:         3168
        .size:           2
        .value_kind:     hidden_group_size_z
      - .offset:         3170
        .size:           2
        .value_kind:     hidden_remainder_x
      - .offset:         3172
        .size:           2
        .value_kind:     hidden_remainder_y
      - .offset:         3174
        .size:           2
        .value_kind:     hidden_remainder_z
      - .offset:         3192
        .size:           8
        .value_kind:     hidden_global_offset_x
      - .offset:         3200
        .size:           8
        .value_kind:     hidden_global_offset_y
      - .offset:         3208
        .size:           8
        .value_kind:     hidden_global_offset_z
      - .offset:         3216
        .size:           2
        .value_kind:     hidden_grid_dims
    .group_segment_fixed_size: 0
    .kernarg_segment_align: 8
    .kernarg_segment_size: 3408
    .language:       OpenCL C
    .language_version:
      - 2
      - 0
    .max_flat_workgroup_size: 512
    .name:           _ZN2at6native12_GLOBAL__N_125multi_tensor_apply_kernelINS1_18TensorListMetadataILi2EEENS1_14UnaryOpFunctorIfLi2ELi1ELi1EEEJNS0_5Expm1IfEEEEEvT_T0_DpT1_
    .private_segment_fixed_size: 0
    .sgpr_count:     31
    .sgpr_spill_count: 0
    .symbol:         _ZN2at6native12_GLOBAL__N_125multi_tensor_apply_kernelINS1_18TensorListMetadataILi2EEENS1_14UnaryOpFunctorIfLi2ELi1ELi1EEEJNS0_5Expm1IfEEEEEvT_T0_DpT1_.kd
    .uniform_work_group_size: 1
    .uses_dynamic_stack: false
    .vgpr_count:     35
    .vgpr_spill_count: 0
    .wavefront_size: 64
  - .args:
      - .offset:         0
        .size:           3144
        .value_kind:     by_value
      - .offset:         3144
        .size:           1
        .value_kind:     by_value
      - .offset:         3145
        .size:           1
        .value_kind:     by_value
      - .offset:         3152
        .size:           4
        .value_kind:     hidden_block_count_x
      - .offset:         3156
        .size:           4
        .value_kind:     hidden_block_count_y
      - .offset:         3160
        .size:           4
        .value_kind:     hidden_block_count_z
      - .offset:         3164
        .size:           2
        .value_kind:     hidden_group_size_x
      - .offset:         3166
        .size:           2
        .value_kind:     hidden_group_size_y
      - .offset:         3168
        .size:           2
        .value_kind:     hidden_group_size_z
      - .offset:         3170
        .size:           2
        .value_kind:     hidden_remainder_x
      - .offset:         3172
        .size:           2
        .value_kind:     hidden_remainder_y
      - .offset:         3174
        .size:           2
        .value_kind:     hidden_remainder_z
      - .offset:         3192
        .size:           8
        .value_kind:     hidden_global_offset_x
      - .offset:         3200
        .size:           8
        .value_kind:     hidden_global_offset_y
      - .offset:         3208
        .size:           8
        .value_kind:     hidden_global_offset_z
      - .offset:         3216
        .size:           2
        .value_kind:     hidden_grid_dims
    .group_segment_fixed_size: 0
    .kernarg_segment_align: 8
    .kernarg_segment_size: 3408
    .language:       OpenCL C
    .language_version:
      - 2
      - 0
    .max_flat_workgroup_size: 512
    .name:           _ZN2at6native12_GLOBAL__N_125multi_tensor_apply_kernelINS1_18TensorListMetadataILi2EEENS1_14UnaryOpFunctorIN3c107complexIdEELi2ELi1ELi1EEEJNS0_5Expm1IS8_EEEEEvT_T0_DpT1_
    .private_segment_fixed_size: 0
    .sgpr_count:     100
    .sgpr_spill_count: 15
    .symbol:         _ZN2at6native12_GLOBAL__N_125multi_tensor_apply_kernelINS1_18TensorListMetadataILi2EEENS1_14UnaryOpFunctorIN3c107complexIdEELi2ELi1ELi1EEEJNS0_5Expm1IS8_EEEEEvT_T0_DpT1_.kd
    .uniform_work_group_size: 1
    .uses_dynamic_stack: false
    .vgpr_count:     126
    .vgpr_spill_count: 0
    .wavefront_size: 64
  - .args:
      - .offset:         0
        .size:           3144
        .value_kind:     by_value
      - .offset:         3144
        .size:           1
        .value_kind:     by_value
      - .offset:         3145
        .size:           1
        .value_kind:     by_value
      - .offset:         3152
        .size:           4
        .value_kind:     hidden_block_count_x
      - .offset:         3156
        .size:           4
        .value_kind:     hidden_block_count_y
      - .offset:         3160
        .size:           4
        .value_kind:     hidden_block_count_z
      - .offset:         3164
        .size:           2
        .value_kind:     hidden_group_size_x
      - .offset:         3166
        .size:           2
        .value_kind:     hidden_group_size_y
      - .offset:         3168
        .size:           2
        .value_kind:     hidden_group_size_z
      - .offset:         3170
        .size:           2
        .value_kind:     hidden_remainder_x
      - .offset:         3172
        .size:           2
        .value_kind:     hidden_remainder_y
      - .offset:         3174
        .size:           2
        .value_kind:     hidden_remainder_z
      - .offset:         3192
        .size:           8
        .value_kind:     hidden_global_offset_x
      - .offset:         3200
        .size:           8
        .value_kind:     hidden_global_offset_y
      - .offset:         3208
        .size:           8
        .value_kind:     hidden_global_offset_z
      - .offset:         3216
        .size:           2
        .value_kind:     hidden_grid_dims
    .group_segment_fixed_size: 0
    .kernarg_segment_align: 8
    .kernarg_segment_size: 3408
    .language:       OpenCL C
    .language_version:
      - 2
      - 0
    .max_flat_workgroup_size: 512
    .name:           _ZN2at6native12_GLOBAL__N_125multi_tensor_apply_kernelINS1_18TensorListMetadataILi2EEENS1_14UnaryOpFunctorIN3c107complexIfEELi2ELi1ELi1EEEJNS0_5Expm1IS8_EEEEEvT_T0_DpT1_
    .private_segment_fixed_size: 0
    .sgpr_count:     55
    .sgpr_spill_count: 0
    .symbol:         _ZN2at6native12_GLOBAL__N_125multi_tensor_apply_kernelINS1_18TensorListMetadataILi2EEENS1_14UnaryOpFunctorIN3c107complexIfEELi2ELi1ELi1EEEJNS0_5Expm1IS8_EEEEEvT_T0_DpT1_.kd
    .uniform_work_group_size: 1
    .uses_dynamic_stack: false
    .vgpr_count:     75
    .vgpr_spill_count: 0
    .wavefront_size: 64
  - .args:
      - .offset:         0
        .size:           3144
        .value_kind:     by_value
      - .offset:         3144
        .size:           1
        .value_kind:     by_value
      - .offset:         3145
        .size:           1
        .value_kind:     by_value
      - .offset:         3152
        .size:           4
        .value_kind:     hidden_block_count_x
      - .offset:         3156
        .size:           4
        .value_kind:     hidden_block_count_y
      - .offset:         3160
        .size:           4
        .value_kind:     hidden_block_count_z
      - .offset:         3164
        .size:           2
        .value_kind:     hidden_group_size_x
      - .offset:         3166
        .size:           2
        .value_kind:     hidden_group_size_y
      - .offset:         3168
        .size:           2
        .value_kind:     hidden_group_size_z
      - .offset:         3170
        .size:           2
        .value_kind:     hidden_remainder_x
      - .offset:         3172
        .size:           2
        .value_kind:     hidden_remainder_y
      - .offset:         3174
        .size:           2
        .value_kind:     hidden_remainder_z
      - .offset:         3192
        .size:           8
        .value_kind:     hidden_global_offset_x
      - .offset:         3200
        .size:           8
        .value_kind:     hidden_global_offset_y
      - .offset:         3208
        .size:           8
        .value_kind:     hidden_global_offset_z
      - .offset:         3216
        .size:           2
        .value_kind:     hidden_grid_dims
    .group_segment_fixed_size: 0
    .kernarg_segment_align: 8
    .kernarg_segment_size: 3408
    .language:       OpenCL C
    .language_version:
      - 2
      - 0
    .max_flat_workgroup_size: 512
    .name:           _ZN2at6native12_GLOBAL__N_125multi_tensor_apply_kernelINS1_18TensorListMetadataILi2EEENS1_14UnaryOpFunctorIN3c104HalfELi2ELi1ELi1EEEJNS0_5Expm1IfEEEEEvT_T0_DpT1_
    .private_segment_fixed_size: 0
    .sgpr_count:     32
    .sgpr_spill_count: 0
    .symbol:         _ZN2at6native12_GLOBAL__N_125multi_tensor_apply_kernelINS1_18TensorListMetadataILi2EEENS1_14UnaryOpFunctorIN3c104HalfELi2ELi1ELi1EEEJNS0_5Expm1IfEEEEEvT_T0_DpT1_.kd
    .uniform_work_group_size: 1
    .uses_dynamic_stack: false
    .vgpr_count:     38
    .vgpr_spill_count: 0
    .wavefront_size: 64
  - .args:
      - .offset:         0
        .size:           3144
        .value_kind:     by_value
      - .offset:         3144
        .size:           1
        .value_kind:     by_value
      - .offset:         3145
        .size:           1
        .value_kind:     by_value
      - .offset:         3152
        .size:           4
        .value_kind:     hidden_block_count_x
      - .offset:         3156
        .size:           4
        .value_kind:     hidden_block_count_y
      - .offset:         3160
        .size:           4
        .value_kind:     hidden_block_count_z
      - .offset:         3164
        .size:           2
        .value_kind:     hidden_group_size_x
      - .offset:         3166
        .size:           2
        .value_kind:     hidden_group_size_y
      - .offset:         3168
        .size:           2
        .value_kind:     hidden_group_size_z
      - .offset:         3170
        .size:           2
        .value_kind:     hidden_remainder_x
      - .offset:         3172
        .size:           2
        .value_kind:     hidden_remainder_y
      - .offset:         3174
        .size:           2
        .value_kind:     hidden_remainder_z
      - .offset:         3192
        .size:           8
        .value_kind:     hidden_global_offset_x
      - .offset:         3200
        .size:           8
        .value_kind:     hidden_global_offset_y
      - .offset:         3208
        .size:           8
        .value_kind:     hidden_global_offset_z
      - .offset:         3216
        .size:           2
        .value_kind:     hidden_grid_dims
    .group_segment_fixed_size: 0
    .kernarg_segment_align: 8
    .kernarg_segment_size: 3408
    .language:       OpenCL C
    .language_version:
      - 2
      - 0
    .max_flat_workgroup_size: 512
    .name:           _ZN2at6native12_GLOBAL__N_125multi_tensor_apply_kernelINS1_18TensorListMetadataILi2EEENS1_14UnaryOpFunctorIN3c108BFloat16ELi2ELi1ELi1EEEJNS0_5Expm1IfEEEEEvT_T0_DpT1_
    .private_segment_fixed_size: 0
    .sgpr_count:     32
    .sgpr_spill_count: 0
    .symbol:         _ZN2at6native12_GLOBAL__N_125multi_tensor_apply_kernelINS1_18TensorListMetadataILi2EEENS1_14UnaryOpFunctorIN3c108BFloat16ELi2ELi1ELi1EEEJNS0_5Expm1IfEEEEEvT_T0_DpT1_.kd
    .uniform_work_group_size: 1
    .uses_dynamic_stack: false
    .vgpr_count:     36
    .vgpr_spill_count: 0
    .wavefront_size: 64
  - .args:
      - .offset:         0
        .size:           3368
        .value_kind:     by_value
      - .offset:         3368
        .size:           1
        .value_kind:     by_value
      - .offset:         3369
        .size:           1
        .value_kind:     by_value
      - .offset:         3376
        .size:           4
        .value_kind:     hidden_block_count_x
      - .offset:         3380
        .size:           4
        .value_kind:     hidden_block_count_y
      - .offset:         3384
        .size:           4
        .value_kind:     hidden_block_count_z
      - .offset:         3388
        .size:           2
        .value_kind:     hidden_group_size_x
      - .offset:         3390
        .size:           2
        .value_kind:     hidden_group_size_y
      - .offset:         3392
        .size:           2
        .value_kind:     hidden_group_size_z
      - .offset:         3394
        .size:           2
        .value_kind:     hidden_remainder_x
      - .offset:         3396
        .size:           2
        .value_kind:     hidden_remainder_y
      - .offset:         3398
        .size:           2
        .value_kind:     hidden_remainder_z
      - .offset:         3416
        .size:           8
        .value_kind:     hidden_global_offset_x
      - .offset:         3424
        .size:           8
        .value_kind:     hidden_global_offset_y
      - .offset:         3432
        .size:           8
        .value_kind:     hidden_global_offset_z
      - .offset:         3440
        .size:           2
        .value_kind:     hidden_grid_dims
    .group_segment_fixed_size: 0
    .kernarg_segment_align: 8
    .kernarg_segment_size: 3632
    .language:       OpenCL C
    .language_version:
      - 2
      - 0
    .max_flat_workgroup_size: 512
    .name:           _ZN2at6native12_GLOBAL__N_125multi_tensor_apply_kernelINS1_18TensorListMetadataILi1EEENS1_14UnaryOpFunctorIdLi1ELi1ELi0EEEJNS0_5Expm1IdEEEEEvT_T0_DpT1_
    .private_segment_fixed_size: 0
    .sgpr_count:     63
    .sgpr_spill_count: 0
    .symbol:         _ZN2at6native12_GLOBAL__N_125multi_tensor_apply_kernelINS1_18TensorListMetadataILi1EEENS1_14UnaryOpFunctorIdLi1ELi1ELi0EEEJNS0_5Expm1IdEEEEEvT_T0_DpT1_.kd
    .uniform_work_group_size: 1
    .uses_dynamic_stack: false
    .vgpr_count:     30
    .vgpr_spill_count: 0
    .wavefront_size: 64
  - .args:
      - .offset:         0
        .size:           3368
        .value_kind:     by_value
      - .offset:         3368
        .size:           1
        .value_kind:     by_value
      - .offset:         3369
        .size:           1
        .value_kind:     by_value
      - .offset:         3376
        .size:           4
        .value_kind:     hidden_block_count_x
      - .offset:         3380
        .size:           4
        .value_kind:     hidden_block_count_y
      - .offset:         3384
        .size:           4
        .value_kind:     hidden_block_count_z
      - .offset:         3388
        .size:           2
        .value_kind:     hidden_group_size_x
      - .offset:         3390
        .size:           2
        .value_kind:     hidden_group_size_y
      - .offset:         3392
        .size:           2
        .value_kind:     hidden_group_size_z
      - .offset:         3394
        .size:           2
        .value_kind:     hidden_remainder_x
      - .offset:         3396
        .size:           2
        .value_kind:     hidden_remainder_y
      - .offset:         3398
        .size:           2
        .value_kind:     hidden_remainder_z
      - .offset:         3416
        .size:           8
        .value_kind:     hidden_global_offset_x
      - .offset:         3424
        .size:           8
        .value_kind:     hidden_global_offset_y
      - .offset:         3432
        .size:           8
        .value_kind:     hidden_global_offset_z
      - .offset:         3440
        .size:           2
        .value_kind:     hidden_grid_dims
    .group_segment_fixed_size: 0
    .kernarg_segment_align: 8
    .kernarg_segment_size: 3632
    .language:       OpenCL C
    .language_version:
      - 2
      - 0
    .max_flat_workgroup_size: 512
    .name:           _ZN2at6native12_GLOBAL__N_125multi_tensor_apply_kernelINS1_18TensorListMetadataILi1EEENS1_14UnaryOpFunctorIfLi1ELi1ELi0EEEJNS0_5Expm1IfEEEEEvT_T0_DpT1_
    .private_segment_fixed_size: 0
    .sgpr_count:     35
    .sgpr_spill_count: 0
    .symbol:         _ZN2at6native12_GLOBAL__N_125multi_tensor_apply_kernelINS1_18TensorListMetadataILi1EEENS1_14UnaryOpFunctorIfLi1ELi1ELi0EEEJNS0_5Expm1IfEEEEEvT_T0_DpT1_.kd
    .uniform_work_group_size: 1
    .uses_dynamic_stack: false
    .vgpr_count:     23
    .vgpr_spill_count: 0
    .wavefront_size: 64
  - .args:
      - .offset:         0
        .size:           3368
        .value_kind:     by_value
      - .offset:         3368
        .size:           1
        .value_kind:     by_value
      - .offset:         3369
        .size:           1
        .value_kind:     by_value
      - .offset:         3376
        .size:           4
        .value_kind:     hidden_block_count_x
      - .offset:         3380
        .size:           4
        .value_kind:     hidden_block_count_y
      - .offset:         3384
        .size:           4
        .value_kind:     hidden_block_count_z
      - .offset:         3388
        .size:           2
        .value_kind:     hidden_group_size_x
      - .offset:         3390
        .size:           2
        .value_kind:     hidden_group_size_y
      - .offset:         3392
        .size:           2
        .value_kind:     hidden_group_size_z
      - .offset:         3394
        .size:           2
        .value_kind:     hidden_remainder_x
      - .offset:         3396
        .size:           2
        .value_kind:     hidden_remainder_y
      - .offset:         3398
        .size:           2
        .value_kind:     hidden_remainder_z
      - .offset:         3416
        .size:           8
        .value_kind:     hidden_global_offset_x
      - .offset:         3424
        .size:           8
        .value_kind:     hidden_global_offset_y
      - .offset:         3432
        .size:           8
        .value_kind:     hidden_global_offset_z
      - .offset:         3440
        .size:           2
        .value_kind:     hidden_grid_dims
    .group_segment_fixed_size: 0
    .kernarg_segment_align: 8
    .kernarg_segment_size: 3632
    .language:       OpenCL C
    .language_version:
      - 2
      - 0
    .max_flat_workgroup_size: 512
    .name:           _ZN2at6native12_GLOBAL__N_125multi_tensor_apply_kernelINS1_18TensorListMetadataILi1EEENS1_14UnaryOpFunctorIN3c107complexIdEELi1ELi1ELi0EEEJNS0_5Expm1IS8_EEEEEvT_T0_DpT1_
    .private_segment_fixed_size: 8
    .sgpr_count:     104
    .sgpr_spill_count: 12
    .symbol:         _ZN2at6native12_GLOBAL__N_125multi_tensor_apply_kernelINS1_18TensorListMetadataILi1EEENS1_14UnaryOpFunctorIN3c107complexIdEELi1ELi1ELi0EEEJNS0_5Expm1IS8_EEEEEvT_T0_DpT1_.kd
    .uniform_work_group_size: 1
    .uses_dynamic_stack: false
    .vgpr_count:     128
    .vgpr_spill_count: 1
    .wavefront_size: 64
  - .args:
      - .offset:         0
        .size:           3368
        .value_kind:     by_value
      - .offset:         3368
        .size:           1
        .value_kind:     by_value
      - .offset:         3369
        .size:           1
        .value_kind:     by_value
      - .offset:         3376
        .size:           4
        .value_kind:     hidden_block_count_x
      - .offset:         3380
        .size:           4
        .value_kind:     hidden_block_count_y
      - .offset:         3384
        .size:           4
        .value_kind:     hidden_block_count_z
      - .offset:         3388
        .size:           2
        .value_kind:     hidden_group_size_x
      - .offset:         3390
        .size:           2
        .value_kind:     hidden_group_size_y
      - .offset:         3392
        .size:           2
        .value_kind:     hidden_group_size_z
      - .offset:         3394
        .size:           2
        .value_kind:     hidden_remainder_x
      - .offset:         3396
        .size:           2
        .value_kind:     hidden_remainder_y
      - .offset:         3398
        .size:           2
        .value_kind:     hidden_remainder_z
      - .offset:         3416
        .size:           8
        .value_kind:     hidden_global_offset_x
      - .offset:         3424
        .size:           8
        .value_kind:     hidden_global_offset_y
      - .offset:         3432
        .size:           8
        .value_kind:     hidden_global_offset_z
      - .offset:         3440
        .size:           2
        .value_kind:     hidden_grid_dims
    .group_segment_fixed_size: 0
    .kernarg_segment_align: 8
    .kernarg_segment_size: 3632
    .language:       OpenCL C
    .language_version:
      - 2
      - 0
    .max_flat_workgroup_size: 512
    .name:           _ZN2at6native12_GLOBAL__N_125multi_tensor_apply_kernelINS1_18TensorListMetadataILi1EEENS1_14UnaryOpFunctorIN3c107complexIfEELi1ELi1ELi0EEEJNS0_5Expm1IS8_EEEEEvT_T0_DpT1_
    .private_segment_fixed_size: 0
    .sgpr_count:     59
    .sgpr_spill_count: 0
    .symbol:         _ZN2at6native12_GLOBAL__N_125multi_tensor_apply_kernelINS1_18TensorListMetadataILi1EEENS1_14UnaryOpFunctorIN3c107complexIfEELi1ELi1ELi0EEEJNS0_5Expm1IS8_EEEEEvT_T0_DpT1_.kd
    .uniform_work_group_size: 1
    .uses_dynamic_stack: false
    .vgpr_count:     79
    .vgpr_spill_count: 0
    .wavefront_size: 64
  - .args:
      - .offset:         0
        .size:           3368
        .value_kind:     by_value
      - .offset:         3368
        .size:           1
        .value_kind:     by_value
      - .offset:         3369
        .size:           1
        .value_kind:     by_value
      - .offset:         3376
        .size:           4
        .value_kind:     hidden_block_count_x
      - .offset:         3380
        .size:           4
        .value_kind:     hidden_block_count_y
      - .offset:         3384
        .size:           4
        .value_kind:     hidden_block_count_z
      - .offset:         3388
        .size:           2
        .value_kind:     hidden_group_size_x
      - .offset:         3390
        .size:           2
        .value_kind:     hidden_group_size_y
      - .offset:         3392
        .size:           2
        .value_kind:     hidden_group_size_z
      - .offset:         3394
        .size:           2
        .value_kind:     hidden_remainder_x
      - .offset:         3396
        .size:           2
        .value_kind:     hidden_remainder_y
      - .offset:         3398
        .size:           2
        .value_kind:     hidden_remainder_z
      - .offset:         3416
        .size:           8
        .value_kind:     hidden_global_offset_x
      - .offset:         3424
        .size:           8
        .value_kind:     hidden_global_offset_y
      - .offset:         3432
        .size:           8
        .value_kind:     hidden_global_offset_z
      - .offset:         3440
        .size:           2
        .value_kind:     hidden_grid_dims
    .group_segment_fixed_size: 0
    .kernarg_segment_align: 8
    .kernarg_segment_size: 3632
    .language:       OpenCL C
    .language_version:
      - 2
      - 0
    .max_flat_workgroup_size: 512
    .name:           _ZN2at6native12_GLOBAL__N_125multi_tensor_apply_kernelINS1_18TensorListMetadataILi1EEENS1_14UnaryOpFunctorIN3c104HalfELi1ELi1ELi0EEEJNS0_5Expm1IfEEEEEvT_T0_DpT1_
    .private_segment_fixed_size: 0
    .sgpr_count:     35
    .sgpr_spill_count: 0
    .symbol:         _ZN2at6native12_GLOBAL__N_125multi_tensor_apply_kernelINS1_18TensorListMetadataILi1EEENS1_14UnaryOpFunctorIN3c104HalfELi1ELi1ELi0EEEJNS0_5Expm1IfEEEEEvT_T0_DpT1_.kd
    .uniform_work_group_size: 1
    .uses_dynamic_stack: false
    .vgpr_count:     26
    .vgpr_spill_count: 0
    .wavefront_size: 64
  - .args:
      - .offset:         0
        .size:           3368
        .value_kind:     by_value
      - .offset:         3368
        .size:           1
        .value_kind:     by_value
      - .offset:         3369
        .size:           1
        .value_kind:     by_value
      - .offset:         3376
        .size:           4
        .value_kind:     hidden_block_count_x
      - .offset:         3380
        .size:           4
        .value_kind:     hidden_block_count_y
      - .offset:         3384
        .size:           4
        .value_kind:     hidden_block_count_z
      - .offset:         3388
        .size:           2
        .value_kind:     hidden_group_size_x
      - .offset:         3390
        .size:           2
        .value_kind:     hidden_group_size_y
      - .offset:         3392
        .size:           2
        .value_kind:     hidden_group_size_z
      - .offset:         3394
        .size:           2
        .value_kind:     hidden_remainder_x
      - .offset:         3396
        .size:           2
        .value_kind:     hidden_remainder_y
      - .offset:         3398
        .size:           2
        .value_kind:     hidden_remainder_z
      - .offset:         3416
        .size:           8
        .value_kind:     hidden_global_offset_x
      - .offset:         3424
        .size:           8
        .value_kind:     hidden_global_offset_y
      - .offset:         3432
        .size:           8
        .value_kind:     hidden_global_offset_z
      - .offset:         3440
        .size:           2
        .value_kind:     hidden_grid_dims
    .group_segment_fixed_size: 0
    .kernarg_segment_align: 8
    .kernarg_segment_size: 3632
    .language:       OpenCL C
    .language_version:
      - 2
      - 0
    .max_flat_workgroup_size: 512
    .name:           _ZN2at6native12_GLOBAL__N_125multi_tensor_apply_kernelINS1_18TensorListMetadataILi1EEENS1_14UnaryOpFunctorIN3c108BFloat16ELi1ELi1ELi0EEEJNS0_5Expm1IfEEEEEvT_T0_DpT1_
    .private_segment_fixed_size: 0
    .sgpr_count:     35
    .sgpr_spill_count: 0
    .symbol:         _ZN2at6native12_GLOBAL__N_125multi_tensor_apply_kernelINS1_18TensorListMetadataILi1EEENS1_14UnaryOpFunctorIN3c108BFloat16ELi1ELi1ELi0EEEJNS0_5Expm1IfEEEEEvT_T0_DpT1_.kd
    .uniform_work_group_size: 1
    .uses_dynamic_stack: false
    .vgpr_count:     24
    .vgpr_spill_count: 0
    .wavefront_size: 64
  - .args:
      - .offset:         0
        .size:           3144
        .value_kind:     by_value
      - .offset:         3144
        .size:           1
        .value_kind:     by_value
      - .offset:         3145
        .size:           1
        .value_kind:     by_value
      - .offset:         3152
        .size:           4
        .value_kind:     hidden_block_count_x
      - .offset:         3156
        .size:           4
        .value_kind:     hidden_block_count_y
      - .offset:         3160
        .size:           4
        .value_kind:     hidden_block_count_z
      - .offset:         3164
        .size:           2
        .value_kind:     hidden_group_size_x
      - .offset:         3166
        .size:           2
        .value_kind:     hidden_group_size_y
      - .offset:         3168
        .size:           2
        .value_kind:     hidden_group_size_z
      - .offset:         3170
        .size:           2
        .value_kind:     hidden_remainder_x
      - .offset:         3172
        .size:           2
        .value_kind:     hidden_remainder_y
      - .offset:         3174
        .size:           2
        .value_kind:     hidden_remainder_z
      - .offset:         3192
        .size:           8
        .value_kind:     hidden_global_offset_x
      - .offset:         3200
        .size:           8
        .value_kind:     hidden_global_offset_y
      - .offset:         3208
        .size:           8
        .value_kind:     hidden_global_offset_z
      - .offset:         3216
        .size:           2
        .value_kind:     hidden_grid_dims
    .group_segment_fixed_size: 0
    .kernarg_segment_align: 8
    .kernarg_segment_size: 3408
    .language:       OpenCL C
    .language_version:
      - 2
      - 0
    .max_flat_workgroup_size: 512
    .name:           _ZN2at6native12_GLOBAL__N_125multi_tensor_apply_kernelINS1_18TensorListMetadataILi2EEENS1_14UnaryOpFunctorIdLi2ELi1ELi1EEEJNS0_4TanhIdEEEEEvT_T0_DpT1_
    .private_segment_fixed_size: 0
    .sgpr_count:     58
    .sgpr_spill_count: 0
    .symbol:         _ZN2at6native12_GLOBAL__N_125multi_tensor_apply_kernelINS1_18TensorListMetadataILi2EEENS1_14UnaryOpFunctorIdLi2ELi1ELi1EEEJNS0_4TanhIdEEEEEvT_T0_DpT1_.kd
    .uniform_work_group_size: 1
    .uses_dynamic_stack: false
    .vgpr_count:     56
    .vgpr_spill_count: 0
    .wavefront_size: 64
  - .args:
      - .offset:         0
        .size:           3144
        .value_kind:     by_value
      - .offset:         3144
        .size:           1
        .value_kind:     by_value
      - .offset:         3145
        .size:           1
        .value_kind:     by_value
      - .offset:         3152
        .size:           4
        .value_kind:     hidden_block_count_x
      - .offset:         3156
        .size:           4
        .value_kind:     hidden_block_count_y
      - .offset:         3160
        .size:           4
        .value_kind:     hidden_block_count_z
      - .offset:         3164
        .size:           2
        .value_kind:     hidden_group_size_x
      - .offset:         3166
        .size:           2
        .value_kind:     hidden_group_size_y
      - .offset:         3168
        .size:           2
        .value_kind:     hidden_group_size_z
      - .offset:         3170
        .size:           2
        .value_kind:     hidden_remainder_x
      - .offset:         3172
        .size:           2
        .value_kind:     hidden_remainder_y
      - .offset:         3174
        .size:           2
        .value_kind:     hidden_remainder_z
      - .offset:         3192
        .size:           8
        .value_kind:     hidden_global_offset_x
      - .offset:         3200
        .size:           8
        .value_kind:     hidden_global_offset_y
      - .offset:         3208
        .size:           8
        .value_kind:     hidden_global_offset_z
      - .offset:         3216
        .size:           2
        .value_kind:     hidden_grid_dims
    .group_segment_fixed_size: 0
    .kernarg_segment_align: 8
    .kernarg_segment_size: 3408
    .language:       OpenCL C
    .language_version:
      - 2
      - 0
    .max_flat_workgroup_size: 512
    .name:           _ZN2at6native12_GLOBAL__N_125multi_tensor_apply_kernelINS1_18TensorListMetadataILi2EEENS1_14UnaryOpFunctorIfLi2ELi1ELi1EEEJNS0_4TanhIfEEEEEvT_T0_DpT1_
    .private_segment_fixed_size: 0
    .sgpr_count:     32
    .sgpr_spill_count: 0
    .symbol:         _ZN2at6native12_GLOBAL__N_125multi_tensor_apply_kernelINS1_18TensorListMetadataILi2EEENS1_14UnaryOpFunctorIfLi2ELi1ELi1EEEJNS0_4TanhIfEEEEEvT_T0_DpT1_.kd
    .uniform_work_group_size: 1
    .uses_dynamic_stack: false
    .vgpr_count:     38
    .vgpr_spill_count: 0
    .wavefront_size: 64
  - .args:
      - .offset:         0
        .size:           3144
        .value_kind:     by_value
      - .offset:         3144
        .size:           1
        .value_kind:     by_value
      - .offset:         3145
        .size:           1
        .value_kind:     by_value
      - .offset:         3152
        .size:           4
        .value_kind:     hidden_block_count_x
      - .offset:         3156
        .size:           4
        .value_kind:     hidden_block_count_y
      - .offset:         3160
        .size:           4
        .value_kind:     hidden_block_count_z
      - .offset:         3164
        .size:           2
        .value_kind:     hidden_group_size_x
      - .offset:         3166
        .size:           2
        .value_kind:     hidden_group_size_y
      - .offset:         3168
        .size:           2
        .value_kind:     hidden_group_size_z
      - .offset:         3170
        .size:           2
        .value_kind:     hidden_remainder_x
      - .offset:         3172
        .size:           2
        .value_kind:     hidden_remainder_y
      - .offset:         3174
        .size:           2
        .value_kind:     hidden_remainder_z
      - .offset:         3192
        .size:           8
        .value_kind:     hidden_global_offset_x
      - .offset:         3200
        .size:           8
        .value_kind:     hidden_global_offset_y
      - .offset:         3208
        .size:           8
        .value_kind:     hidden_global_offset_z
      - .offset:         3216
        .size:           2
        .value_kind:     hidden_grid_dims
    .group_segment_fixed_size: 0
    .kernarg_segment_align: 8
    .kernarg_segment_size: 3408
    .language:       OpenCL C
    .language_version:
      - 2
      - 0
    .max_flat_workgroup_size: 512
    .name:           _ZN2at6native12_GLOBAL__N_125multi_tensor_apply_kernelINS1_18TensorListMetadataILi2EEENS1_14UnaryOpFunctorIN3c107complexIdEELi2ELi1ELi1EEEJNS0_4TanhIS8_EEEEEvT_T0_DpT1_
    .private_segment_fixed_size: 0
    .sgpr_count:     100
    .sgpr_spill_count: 2
    .symbol:         _ZN2at6native12_GLOBAL__N_125multi_tensor_apply_kernelINS1_18TensorListMetadataILi2EEENS1_14UnaryOpFunctorIN3c107complexIdEELi2ELi1ELi1EEEJNS0_4TanhIS8_EEEEEvT_T0_DpT1_.kd
    .uniform_work_group_size: 1
    .uses_dynamic_stack: false
    .vgpr_count:     82
    .vgpr_spill_count: 0
    .wavefront_size: 64
  - .args:
      - .offset:         0
        .size:           3144
        .value_kind:     by_value
      - .offset:         3144
        .size:           1
        .value_kind:     by_value
      - .offset:         3145
        .size:           1
        .value_kind:     by_value
      - .offset:         3152
        .size:           4
        .value_kind:     hidden_block_count_x
      - .offset:         3156
        .size:           4
        .value_kind:     hidden_block_count_y
      - .offset:         3160
        .size:           4
        .value_kind:     hidden_block_count_z
      - .offset:         3164
        .size:           2
        .value_kind:     hidden_group_size_x
      - .offset:         3166
        .size:           2
        .value_kind:     hidden_group_size_y
      - .offset:         3168
        .size:           2
        .value_kind:     hidden_group_size_z
      - .offset:         3170
        .size:           2
        .value_kind:     hidden_remainder_x
      - .offset:         3172
        .size:           2
        .value_kind:     hidden_remainder_y
      - .offset:         3174
        .size:           2
        .value_kind:     hidden_remainder_z
      - .offset:         3192
        .size:           8
        .value_kind:     hidden_global_offset_x
      - .offset:         3200
        .size:           8
        .value_kind:     hidden_global_offset_y
      - .offset:         3208
        .size:           8
        .value_kind:     hidden_global_offset_z
      - .offset:         3216
        .size:           2
        .value_kind:     hidden_grid_dims
    .group_segment_fixed_size: 0
    .kernarg_segment_align: 8
    .kernarg_segment_size: 3408
    .language:       OpenCL C
    .language_version:
      - 2
      - 0
    .max_flat_workgroup_size: 512
    .name:           _ZN2at6native12_GLOBAL__N_125multi_tensor_apply_kernelINS1_18TensorListMetadataILi2EEENS1_14UnaryOpFunctorIN3c107complexIfEELi2ELi1ELi1EEEJNS0_4TanhIS8_EEEEEvT_T0_DpT1_
    .private_segment_fixed_size: 0
    .sgpr_count:     66
    .sgpr_spill_count: 0
    .symbol:         _ZN2at6native12_GLOBAL__N_125multi_tensor_apply_kernelINS1_18TensorListMetadataILi2EEENS1_14UnaryOpFunctorIN3c107complexIfEELi2ELi1ELi1EEEJNS0_4TanhIS8_EEEEEvT_T0_DpT1_.kd
    .uniform_work_group_size: 1
    .uses_dynamic_stack: false
    .vgpr_count:     45
    .vgpr_spill_count: 0
    .wavefront_size: 64
  - .args:
      - .offset:         0
        .size:           3144
        .value_kind:     by_value
      - .offset:         3144
        .size:           1
        .value_kind:     by_value
      - .offset:         3145
        .size:           1
        .value_kind:     by_value
      - .offset:         3152
        .size:           4
        .value_kind:     hidden_block_count_x
      - .offset:         3156
        .size:           4
        .value_kind:     hidden_block_count_y
      - .offset:         3160
        .size:           4
        .value_kind:     hidden_block_count_z
      - .offset:         3164
        .size:           2
        .value_kind:     hidden_group_size_x
      - .offset:         3166
        .size:           2
        .value_kind:     hidden_group_size_y
      - .offset:         3168
        .size:           2
        .value_kind:     hidden_group_size_z
      - .offset:         3170
        .size:           2
        .value_kind:     hidden_remainder_x
      - .offset:         3172
        .size:           2
        .value_kind:     hidden_remainder_y
      - .offset:         3174
        .size:           2
        .value_kind:     hidden_remainder_z
      - .offset:         3192
        .size:           8
        .value_kind:     hidden_global_offset_x
      - .offset:         3200
        .size:           8
        .value_kind:     hidden_global_offset_y
      - .offset:         3208
        .size:           8
        .value_kind:     hidden_global_offset_z
      - .offset:         3216
        .size:           2
        .value_kind:     hidden_grid_dims
    .group_segment_fixed_size: 0
    .kernarg_segment_align: 8
    .kernarg_segment_size: 3408
    .language:       OpenCL C
    .language_version:
      - 2
      - 0
    .max_flat_workgroup_size: 512
    .name:           _ZN2at6native12_GLOBAL__N_125multi_tensor_apply_kernelINS1_18TensorListMetadataILi2EEENS1_14UnaryOpFunctorIN3c104HalfELi2ELi1ELi1EEEJNS0_4TanhIfEEEEEvT_T0_DpT1_
    .private_segment_fixed_size: 0
    .sgpr_count:     32
    .sgpr_spill_count: 0
    .symbol:         _ZN2at6native12_GLOBAL__N_125multi_tensor_apply_kernelINS1_18TensorListMetadataILi2EEENS1_14UnaryOpFunctorIN3c104HalfELi2ELi1ELi1EEEJNS0_4TanhIfEEEEEvT_T0_DpT1_.kd
    .uniform_work_group_size: 1
    .uses_dynamic_stack: false
    .vgpr_count:     38
    .vgpr_spill_count: 0
    .wavefront_size: 64
  - .args:
      - .offset:         0
        .size:           3144
        .value_kind:     by_value
      - .offset:         3144
        .size:           1
        .value_kind:     by_value
      - .offset:         3145
        .size:           1
        .value_kind:     by_value
      - .offset:         3152
        .size:           4
        .value_kind:     hidden_block_count_x
      - .offset:         3156
        .size:           4
        .value_kind:     hidden_block_count_y
      - .offset:         3160
        .size:           4
        .value_kind:     hidden_block_count_z
      - .offset:         3164
        .size:           2
        .value_kind:     hidden_group_size_x
      - .offset:         3166
        .size:           2
        .value_kind:     hidden_group_size_y
      - .offset:         3168
        .size:           2
        .value_kind:     hidden_group_size_z
      - .offset:         3170
        .size:           2
        .value_kind:     hidden_remainder_x
      - .offset:         3172
        .size:           2
        .value_kind:     hidden_remainder_y
      - .offset:         3174
        .size:           2
        .value_kind:     hidden_remainder_z
      - .offset:         3192
        .size:           8
        .value_kind:     hidden_global_offset_x
      - .offset:         3200
        .size:           8
        .value_kind:     hidden_global_offset_y
      - .offset:         3208
        .size:           8
        .value_kind:     hidden_global_offset_z
      - .offset:         3216
        .size:           2
        .value_kind:     hidden_grid_dims
    .group_segment_fixed_size: 0
    .kernarg_segment_align: 8
    .kernarg_segment_size: 3408
    .language:       OpenCL C
    .language_version:
      - 2
      - 0
    .max_flat_workgroup_size: 512
    .name:           _ZN2at6native12_GLOBAL__N_125multi_tensor_apply_kernelINS1_18TensorListMetadataILi2EEENS1_14UnaryOpFunctorIN3c108BFloat16ELi2ELi1ELi1EEEJNS0_4TanhIfEEEEEvT_T0_DpT1_
    .private_segment_fixed_size: 0
    .sgpr_count:     32
    .sgpr_spill_count: 0
    .symbol:         _ZN2at6native12_GLOBAL__N_125multi_tensor_apply_kernelINS1_18TensorListMetadataILi2EEENS1_14UnaryOpFunctorIN3c108BFloat16ELi2ELi1ELi1EEEJNS0_4TanhIfEEEEEvT_T0_DpT1_.kd
    .uniform_work_group_size: 1
    .uses_dynamic_stack: false
    .vgpr_count:     39
    .vgpr_spill_count: 0
    .wavefront_size: 64
  - .args:
      - .offset:         0
        .size:           3368
        .value_kind:     by_value
      - .offset:         3368
        .size:           1
        .value_kind:     by_value
      - .offset:         3369
        .size:           1
        .value_kind:     by_value
      - .offset:         3376
        .size:           4
        .value_kind:     hidden_block_count_x
      - .offset:         3380
        .size:           4
        .value_kind:     hidden_block_count_y
      - .offset:         3384
        .size:           4
        .value_kind:     hidden_block_count_z
      - .offset:         3388
        .size:           2
        .value_kind:     hidden_group_size_x
      - .offset:         3390
        .size:           2
        .value_kind:     hidden_group_size_y
      - .offset:         3392
        .size:           2
        .value_kind:     hidden_group_size_z
      - .offset:         3394
        .size:           2
        .value_kind:     hidden_remainder_x
      - .offset:         3396
        .size:           2
        .value_kind:     hidden_remainder_y
      - .offset:         3398
        .size:           2
        .value_kind:     hidden_remainder_z
      - .offset:         3416
        .size:           8
        .value_kind:     hidden_global_offset_x
      - .offset:         3424
        .size:           8
        .value_kind:     hidden_global_offset_y
      - .offset:         3432
        .size:           8
        .value_kind:     hidden_global_offset_z
      - .offset:         3440
        .size:           2
        .value_kind:     hidden_grid_dims
    .group_segment_fixed_size: 0
    .kernarg_segment_align: 8
    .kernarg_segment_size: 3632
    .language:       OpenCL C
    .language_version:
      - 2
      - 0
    .max_flat_workgroup_size: 512
    .name:           _ZN2at6native12_GLOBAL__N_125multi_tensor_apply_kernelINS1_18TensorListMetadataILi1EEENS1_14UnaryOpFunctorIdLi1ELi1ELi0EEEJNS0_4TanhIdEEEEEvT_T0_DpT1_
    .private_segment_fixed_size: 0
    .sgpr_count:     64
    .sgpr_spill_count: 0
    .symbol:         _ZN2at6native12_GLOBAL__N_125multi_tensor_apply_kernelINS1_18TensorListMetadataILi1EEENS1_14UnaryOpFunctorIdLi1ELi1ELi0EEEJNS0_4TanhIdEEEEEvT_T0_DpT1_.kd
    .uniform_work_group_size: 1
    .uses_dynamic_stack: false
    .vgpr_count:     44
    .vgpr_spill_count: 0
    .wavefront_size: 64
  - .args:
      - .offset:         0
        .size:           3368
        .value_kind:     by_value
      - .offset:         3368
        .size:           1
        .value_kind:     by_value
      - .offset:         3369
        .size:           1
        .value_kind:     by_value
      - .offset:         3376
        .size:           4
        .value_kind:     hidden_block_count_x
      - .offset:         3380
        .size:           4
        .value_kind:     hidden_block_count_y
      - .offset:         3384
        .size:           4
        .value_kind:     hidden_block_count_z
      - .offset:         3388
        .size:           2
        .value_kind:     hidden_group_size_x
      - .offset:         3390
        .size:           2
        .value_kind:     hidden_group_size_y
      - .offset:         3392
        .size:           2
        .value_kind:     hidden_group_size_z
      - .offset:         3394
        .size:           2
        .value_kind:     hidden_remainder_x
      - .offset:         3396
        .size:           2
        .value_kind:     hidden_remainder_y
      - .offset:         3398
        .size:           2
        .value_kind:     hidden_remainder_z
      - .offset:         3416
        .size:           8
        .value_kind:     hidden_global_offset_x
      - .offset:         3424
        .size:           8
        .value_kind:     hidden_global_offset_y
      - .offset:         3432
        .size:           8
        .value_kind:     hidden_global_offset_z
      - .offset:         3440
        .size:           2
        .value_kind:     hidden_grid_dims
    .group_segment_fixed_size: 0
    .kernarg_segment_align: 8
    .kernarg_segment_size: 3632
    .language:       OpenCL C
    .language_version:
      - 2
      - 0
    .max_flat_workgroup_size: 512
    .name:           _ZN2at6native12_GLOBAL__N_125multi_tensor_apply_kernelINS1_18TensorListMetadataILi1EEENS1_14UnaryOpFunctorIfLi1ELi1ELi0EEEJNS0_4TanhIfEEEEEvT_T0_DpT1_
    .private_segment_fixed_size: 0
    .sgpr_count:     38
    .sgpr_spill_count: 0
    .symbol:         _ZN2at6native12_GLOBAL__N_125multi_tensor_apply_kernelINS1_18TensorListMetadataILi1EEENS1_14UnaryOpFunctorIfLi1ELi1ELi0EEEJNS0_4TanhIfEEEEEvT_T0_DpT1_.kd
    .uniform_work_group_size: 1
    .uses_dynamic_stack: false
    .vgpr_count:     26
    .vgpr_spill_count: 0
    .wavefront_size: 64
  - .args:
      - .offset:         0
        .size:           3368
        .value_kind:     by_value
      - .offset:         3368
        .size:           1
        .value_kind:     by_value
      - .offset:         3369
        .size:           1
        .value_kind:     by_value
      - .offset:         3376
        .size:           4
        .value_kind:     hidden_block_count_x
      - .offset:         3380
        .size:           4
        .value_kind:     hidden_block_count_y
      - .offset:         3384
        .size:           4
        .value_kind:     hidden_block_count_z
      - .offset:         3388
        .size:           2
        .value_kind:     hidden_group_size_x
      - .offset:         3390
        .size:           2
        .value_kind:     hidden_group_size_y
      - .offset:         3392
        .size:           2
        .value_kind:     hidden_group_size_z
      - .offset:         3394
        .size:           2
        .value_kind:     hidden_remainder_x
      - .offset:         3396
        .size:           2
        .value_kind:     hidden_remainder_y
      - .offset:         3398
        .size:           2
        .value_kind:     hidden_remainder_z
      - .offset:         3416
        .size:           8
        .value_kind:     hidden_global_offset_x
      - .offset:         3424
        .size:           8
        .value_kind:     hidden_global_offset_y
      - .offset:         3432
        .size:           8
        .value_kind:     hidden_global_offset_z
      - .offset:         3440
        .size:           2
        .value_kind:     hidden_grid_dims
    .group_segment_fixed_size: 0
    .kernarg_segment_align: 8
    .kernarg_segment_size: 3632
    .language:       OpenCL C
    .language_version:
      - 2
      - 0
    .max_flat_workgroup_size: 512
    .name:           _ZN2at6native12_GLOBAL__N_125multi_tensor_apply_kernelINS1_18TensorListMetadataILi1EEENS1_14UnaryOpFunctorIN3c107complexIdEELi1ELi1ELi0EEEJNS0_4TanhIS8_EEEEEvT_T0_DpT1_
    .private_segment_fixed_size: 0
    .sgpr_count:     100
    .sgpr_spill_count: 4
    .symbol:         _ZN2at6native12_GLOBAL__N_125multi_tensor_apply_kernelINS1_18TensorListMetadataILi1EEENS1_14UnaryOpFunctorIN3c107complexIdEELi1ELi1ELi0EEEJNS0_4TanhIS8_EEEEEvT_T0_DpT1_.kd
    .uniform_work_group_size: 1
    .uses_dynamic_stack: false
    .vgpr_count:     82
    .vgpr_spill_count: 0
    .wavefront_size: 64
  - .args:
      - .offset:         0
        .size:           3368
        .value_kind:     by_value
      - .offset:         3368
        .size:           1
        .value_kind:     by_value
      - .offset:         3369
        .size:           1
        .value_kind:     by_value
      - .offset:         3376
        .size:           4
        .value_kind:     hidden_block_count_x
      - .offset:         3380
        .size:           4
        .value_kind:     hidden_block_count_y
      - .offset:         3384
        .size:           4
        .value_kind:     hidden_block_count_z
      - .offset:         3388
        .size:           2
        .value_kind:     hidden_group_size_x
      - .offset:         3390
        .size:           2
        .value_kind:     hidden_group_size_y
      - .offset:         3392
        .size:           2
        .value_kind:     hidden_group_size_z
      - .offset:         3394
        .size:           2
        .value_kind:     hidden_remainder_x
      - .offset:         3396
        .size:           2
        .value_kind:     hidden_remainder_y
      - .offset:         3398
        .size:           2
        .value_kind:     hidden_remainder_z
      - .offset:         3416
        .size:           8
        .value_kind:     hidden_global_offset_x
      - .offset:         3424
        .size:           8
        .value_kind:     hidden_global_offset_y
      - .offset:         3432
        .size:           8
        .value_kind:     hidden_global_offset_z
      - .offset:         3440
        .size:           2
        .value_kind:     hidden_grid_dims
    .group_segment_fixed_size: 0
    .kernarg_segment_align: 8
    .kernarg_segment_size: 3632
    .language:       OpenCL C
    .language_version:
      - 2
      - 0
    .max_flat_workgroup_size: 512
    .name:           _ZN2at6native12_GLOBAL__N_125multi_tensor_apply_kernelINS1_18TensorListMetadataILi1EEENS1_14UnaryOpFunctorIN3c107complexIfEELi1ELi1ELi0EEEJNS0_4TanhIS8_EEEEEvT_T0_DpT1_
    .private_segment_fixed_size: 0
    .sgpr_count:     70
    .sgpr_spill_count: 0
    .symbol:         _ZN2at6native12_GLOBAL__N_125multi_tensor_apply_kernelINS1_18TensorListMetadataILi1EEENS1_14UnaryOpFunctorIN3c107complexIfEELi1ELi1ELi0EEEJNS0_4TanhIS8_EEEEEvT_T0_DpT1_.kd
    .uniform_work_group_size: 1
    .uses_dynamic_stack: false
    .vgpr_count:     49
    .vgpr_spill_count: 0
    .wavefront_size: 64
  - .args:
      - .offset:         0
        .size:           3368
        .value_kind:     by_value
      - .offset:         3368
        .size:           1
        .value_kind:     by_value
      - .offset:         3369
        .size:           1
        .value_kind:     by_value
      - .offset:         3376
        .size:           4
        .value_kind:     hidden_block_count_x
      - .offset:         3380
        .size:           4
        .value_kind:     hidden_block_count_y
      - .offset:         3384
        .size:           4
        .value_kind:     hidden_block_count_z
      - .offset:         3388
        .size:           2
        .value_kind:     hidden_group_size_x
      - .offset:         3390
        .size:           2
        .value_kind:     hidden_group_size_y
      - .offset:         3392
        .size:           2
        .value_kind:     hidden_group_size_z
      - .offset:         3394
        .size:           2
        .value_kind:     hidden_remainder_x
      - .offset:         3396
        .size:           2
        .value_kind:     hidden_remainder_y
      - .offset:         3398
        .size:           2
        .value_kind:     hidden_remainder_z
      - .offset:         3416
        .size:           8
        .value_kind:     hidden_global_offset_x
      - .offset:         3424
        .size:           8
        .value_kind:     hidden_global_offset_y
      - .offset:         3432
        .size:           8
        .value_kind:     hidden_global_offset_z
      - .offset:         3440
        .size:           2
        .value_kind:     hidden_grid_dims
    .group_segment_fixed_size: 0
    .kernarg_segment_align: 8
    .kernarg_segment_size: 3632
    .language:       OpenCL C
    .language_version:
      - 2
      - 0
    .max_flat_workgroup_size: 512
    .name:           _ZN2at6native12_GLOBAL__N_125multi_tensor_apply_kernelINS1_18TensorListMetadataILi1EEENS1_14UnaryOpFunctorIN3c104HalfELi1ELi1ELi0EEEJNS0_4TanhIfEEEEEvT_T0_DpT1_
    .private_segment_fixed_size: 0
    .sgpr_count:     36
    .sgpr_spill_count: 0
    .symbol:         _ZN2at6native12_GLOBAL__N_125multi_tensor_apply_kernelINS1_18TensorListMetadataILi1EEENS1_14UnaryOpFunctorIN3c104HalfELi1ELi1ELi0EEEJNS0_4TanhIfEEEEEvT_T0_DpT1_.kd
    .uniform_work_group_size: 1
    .uses_dynamic_stack: false
    .vgpr_count:     26
    .vgpr_spill_count: 0
    .wavefront_size: 64
  - .args:
      - .offset:         0
        .size:           3368
        .value_kind:     by_value
      - .offset:         3368
        .size:           1
        .value_kind:     by_value
      - .offset:         3369
        .size:           1
        .value_kind:     by_value
      - .offset:         3376
        .size:           4
        .value_kind:     hidden_block_count_x
      - .offset:         3380
        .size:           4
        .value_kind:     hidden_block_count_y
      - .offset:         3384
        .size:           4
        .value_kind:     hidden_block_count_z
      - .offset:         3388
        .size:           2
        .value_kind:     hidden_group_size_x
      - .offset:         3390
        .size:           2
        .value_kind:     hidden_group_size_y
      - .offset:         3392
        .size:           2
        .value_kind:     hidden_group_size_z
      - .offset:         3394
        .size:           2
        .value_kind:     hidden_remainder_x
      - .offset:         3396
        .size:           2
        .value_kind:     hidden_remainder_y
      - .offset:         3398
        .size:           2
        .value_kind:     hidden_remainder_z
      - .offset:         3416
        .size:           8
        .value_kind:     hidden_global_offset_x
      - .offset:         3424
        .size:           8
        .value_kind:     hidden_global_offset_y
      - .offset:         3432
        .size:           8
        .value_kind:     hidden_global_offset_z
      - .offset:         3440
        .size:           2
        .value_kind:     hidden_grid_dims
    .group_segment_fixed_size: 0
    .kernarg_segment_align: 8
    .kernarg_segment_size: 3632
    .language:       OpenCL C
    .language_version:
      - 2
      - 0
    .max_flat_workgroup_size: 512
    .name:           _ZN2at6native12_GLOBAL__N_125multi_tensor_apply_kernelINS1_18TensorListMetadataILi1EEENS1_14UnaryOpFunctorIN3c108BFloat16ELi1ELi1ELi0EEEJNS0_4TanhIfEEEEEvT_T0_DpT1_
    .private_segment_fixed_size: 0
    .sgpr_count:     38
    .sgpr_spill_count: 0
    .symbol:         _ZN2at6native12_GLOBAL__N_125multi_tensor_apply_kernelINS1_18TensorListMetadataILi1EEENS1_14UnaryOpFunctorIN3c108BFloat16ELi1ELi1ELi0EEEJNS0_4TanhIfEEEEEvT_T0_DpT1_.kd
    .uniform_work_group_size: 1
    .uses_dynamic_stack: false
    .vgpr_count:     27
    .vgpr_spill_count: 0
    .wavefront_size: 64
  - .args:
      - .offset:         0
        .size:           3144
        .value_kind:     by_value
      - .offset:         3144
        .size:           1
        .value_kind:     by_value
      - .offset:         3145
        .size:           1
        .value_kind:     by_value
      - .offset:         3152
        .size:           4
        .value_kind:     hidden_block_count_x
      - .offset:         3156
        .size:           4
        .value_kind:     hidden_block_count_y
      - .offset:         3160
        .size:           4
        .value_kind:     hidden_block_count_z
      - .offset:         3164
        .size:           2
        .value_kind:     hidden_group_size_x
      - .offset:         3166
        .size:           2
        .value_kind:     hidden_group_size_y
      - .offset:         3168
        .size:           2
        .value_kind:     hidden_group_size_z
      - .offset:         3170
        .size:           2
        .value_kind:     hidden_remainder_x
      - .offset:         3172
        .size:           2
        .value_kind:     hidden_remainder_y
      - .offset:         3174
        .size:           2
        .value_kind:     hidden_remainder_z
      - .offset:         3192
        .size:           8
        .value_kind:     hidden_global_offset_x
      - .offset:         3200
        .size:           8
        .value_kind:     hidden_global_offset_y
      - .offset:         3208
        .size:           8
        .value_kind:     hidden_global_offset_z
      - .offset:         3216
        .size:           2
        .value_kind:     hidden_grid_dims
    .group_segment_fixed_size: 0
    .kernarg_segment_align: 8
    .kernarg_segment_size: 3408
    .language:       OpenCL C
    .language_version:
      - 2
      - 0
    .max_flat_workgroup_size: 512
    .name:           _ZN2at6native12_GLOBAL__N_125multi_tensor_apply_kernelINS1_18TensorListMetadataILi2EEENS1_14UnaryOpFunctorIdLi2ELi1ELi1EEEJNS0_3LogIdEEEEEvT_T0_DpT1_
    .private_segment_fixed_size: 0
    .sgpr_count:     50
    .sgpr_spill_count: 0
    .symbol:         _ZN2at6native12_GLOBAL__N_125multi_tensor_apply_kernelINS1_18TensorListMetadataILi2EEENS1_14UnaryOpFunctorIdLi2ELi1ELi1EEEJNS0_3LogIdEEEEEvT_T0_DpT1_.kd
    .uniform_work_group_size: 1
    .uses_dynamic_stack: false
    .vgpr_count:     53
    .vgpr_spill_count: 0
    .wavefront_size: 64
  - .args:
      - .offset:         0
        .size:           3144
        .value_kind:     by_value
      - .offset:         3144
        .size:           1
        .value_kind:     by_value
      - .offset:         3145
        .size:           1
        .value_kind:     by_value
      - .offset:         3152
        .size:           4
        .value_kind:     hidden_block_count_x
      - .offset:         3156
        .size:           4
        .value_kind:     hidden_block_count_y
      - .offset:         3160
        .size:           4
        .value_kind:     hidden_block_count_z
      - .offset:         3164
        .size:           2
        .value_kind:     hidden_group_size_x
      - .offset:         3166
        .size:           2
        .value_kind:     hidden_group_size_y
      - .offset:         3168
        .size:           2
        .value_kind:     hidden_group_size_z
      - .offset:         3170
        .size:           2
        .value_kind:     hidden_remainder_x
      - .offset:         3172
        .size:           2
        .value_kind:     hidden_remainder_y
      - .offset:         3174
        .size:           2
        .value_kind:     hidden_remainder_z
      - .offset:         3192
        .size:           8
        .value_kind:     hidden_global_offset_x
      - .offset:         3200
        .size:           8
        .value_kind:     hidden_global_offset_y
      - .offset:         3208
        .size:           8
        .value_kind:     hidden_global_offset_z
      - .offset:         3216
        .size:           2
        .value_kind:     hidden_grid_dims
    .group_segment_fixed_size: 0
    .kernarg_segment_align: 8
    .kernarg_segment_size: 3408
    .language:       OpenCL C
    .language_version:
      - 2
      - 0
    .max_flat_workgroup_size: 512
    .name:           _ZN2at6native12_GLOBAL__N_125multi_tensor_apply_kernelINS1_18TensorListMetadataILi2EEENS1_14UnaryOpFunctorIfLi2ELi1ELi1EEEJNS0_3LogIfEEEEEvT_T0_DpT1_
    .private_segment_fixed_size: 0
    .sgpr_count:     31
    .sgpr_spill_count: 0
    .symbol:         _ZN2at6native12_GLOBAL__N_125multi_tensor_apply_kernelINS1_18TensorListMetadataILi2EEENS1_14UnaryOpFunctorIfLi2ELi1ELi1EEEJNS0_3LogIfEEEEEvT_T0_DpT1_.kd
    .uniform_work_group_size: 1
    .uses_dynamic_stack: false
    .vgpr_count:     31
    .vgpr_spill_count: 0
    .wavefront_size: 64
  - .args:
      - .offset:         0
        .size:           3144
        .value_kind:     by_value
      - .offset:         3144
        .size:           1
        .value_kind:     by_value
      - .offset:         3145
        .size:           1
        .value_kind:     by_value
      - .offset:         3152
        .size:           4
        .value_kind:     hidden_block_count_x
      - .offset:         3156
        .size:           4
        .value_kind:     hidden_block_count_y
      - .offset:         3160
        .size:           4
        .value_kind:     hidden_block_count_z
      - .offset:         3164
        .size:           2
        .value_kind:     hidden_group_size_x
      - .offset:         3166
        .size:           2
        .value_kind:     hidden_group_size_y
      - .offset:         3168
        .size:           2
        .value_kind:     hidden_group_size_z
      - .offset:         3170
        .size:           2
        .value_kind:     hidden_remainder_x
      - .offset:         3172
        .size:           2
        .value_kind:     hidden_remainder_y
      - .offset:         3174
        .size:           2
        .value_kind:     hidden_remainder_z
      - .offset:         3192
        .size:           8
        .value_kind:     hidden_global_offset_x
      - .offset:         3200
        .size:           8
        .value_kind:     hidden_global_offset_y
      - .offset:         3208
        .size:           8
        .value_kind:     hidden_global_offset_z
      - .offset:         3216
        .size:           2
        .value_kind:     hidden_grid_dims
    .group_segment_fixed_size: 0
    .kernarg_segment_align: 8
    .kernarg_segment_size: 3408
    .language:       OpenCL C
    .language_version:
      - 2
      - 0
    .max_flat_workgroup_size: 512
    .name:           _ZN2at6native12_GLOBAL__N_125multi_tensor_apply_kernelINS1_18TensorListMetadataILi2EEENS1_14UnaryOpFunctorIN3c107complexIdEELi2ELi1ELi1EEEJNS0_3LogIS8_EEEEEvT_T0_DpT1_
    .private_segment_fixed_size: 0
    .sgpr_count:     100
    .sgpr_spill_count: 6
    .symbol:         _ZN2at6native12_GLOBAL__N_125multi_tensor_apply_kernelINS1_18TensorListMetadataILi2EEENS1_14UnaryOpFunctorIN3c107complexIdEELi2ELi1ELi1EEEJNS0_3LogIS8_EEEEEvT_T0_DpT1_.kd
    .uniform_work_group_size: 1
    .uses_dynamic_stack: false
    .vgpr_count:     79
    .vgpr_spill_count: 0
    .wavefront_size: 64
  - .args:
      - .offset:         0
        .size:           3144
        .value_kind:     by_value
      - .offset:         3144
        .size:           1
        .value_kind:     by_value
      - .offset:         3145
        .size:           1
        .value_kind:     by_value
      - .offset:         3152
        .size:           4
        .value_kind:     hidden_block_count_x
      - .offset:         3156
        .size:           4
        .value_kind:     hidden_block_count_y
      - .offset:         3160
        .size:           4
        .value_kind:     hidden_block_count_z
      - .offset:         3164
        .size:           2
        .value_kind:     hidden_group_size_x
      - .offset:         3166
        .size:           2
        .value_kind:     hidden_group_size_y
      - .offset:         3168
        .size:           2
        .value_kind:     hidden_group_size_z
      - .offset:         3170
        .size:           2
        .value_kind:     hidden_remainder_x
      - .offset:         3172
        .size:           2
        .value_kind:     hidden_remainder_y
      - .offset:         3174
        .size:           2
        .value_kind:     hidden_remainder_z
      - .offset:         3192
        .size:           8
        .value_kind:     hidden_global_offset_x
      - .offset:         3200
        .size:           8
        .value_kind:     hidden_global_offset_y
      - .offset:         3208
        .size:           8
        .value_kind:     hidden_global_offset_z
      - .offset:         3216
        .size:           2
        .value_kind:     hidden_grid_dims
    .group_segment_fixed_size: 0
    .kernarg_segment_align: 8
    .kernarg_segment_size: 3408
    .language:       OpenCL C
    .language_version:
      - 2
      - 0
    .max_flat_workgroup_size: 512
    .name:           _ZN2at6native12_GLOBAL__N_125multi_tensor_apply_kernelINS1_18TensorListMetadataILi2EEENS1_14UnaryOpFunctorIN3c107complexIfEELi2ELi1ELi1EEEJNS0_3LogIS8_EEEEEvT_T0_DpT1_
    .private_segment_fixed_size: 0
    .sgpr_count:     64
    .sgpr_spill_count: 0
    .symbol:         _ZN2at6native12_GLOBAL__N_125multi_tensor_apply_kernelINS1_18TensorListMetadataILi2EEENS1_14UnaryOpFunctorIN3c107complexIfEELi2ELi1ELi1EEEJNS0_3LogIS8_EEEEEvT_T0_DpT1_.kd
    .uniform_work_group_size: 1
    .uses_dynamic_stack: false
    .vgpr_count:     48
    .vgpr_spill_count: 0
    .wavefront_size: 64
  - .args:
      - .offset:         0
        .size:           3144
        .value_kind:     by_value
      - .offset:         3144
        .size:           1
        .value_kind:     by_value
      - .offset:         3145
        .size:           1
        .value_kind:     by_value
      - .offset:         3152
        .size:           4
        .value_kind:     hidden_block_count_x
      - .offset:         3156
        .size:           4
        .value_kind:     hidden_block_count_y
      - .offset:         3160
        .size:           4
        .value_kind:     hidden_block_count_z
      - .offset:         3164
        .size:           2
        .value_kind:     hidden_group_size_x
      - .offset:         3166
        .size:           2
        .value_kind:     hidden_group_size_y
      - .offset:         3168
        .size:           2
        .value_kind:     hidden_group_size_z
      - .offset:         3170
        .size:           2
        .value_kind:     hidden_remainder_x
      - .offset:         3172
        .size:           2
        .value_kind:     hidden_remainder_y
      - .offset:         3174
        .size:           2
        .value_kind:     hidden_remainder_z
      - .offset:         3192
        .size:           8
        .value_kind:     hidden_global_offset_x
      - .offset:         3200
        .size:           8
        .value_kind:     hidden_global_offset_y
      - .offset:         3208
        .size:           8
        .value_kind:     hidden_global_offset_z
      - .offset:         3216
        .size:           2
        .value_kind:     hidden_grid_dims
    .group_segment_fixed_size: 0
    .kernarg_segment_align: 8
    .kernarg_segment_size: 3408
    .language:       OpenCL C
    .language_version:
      - 2
      - 0
    .max_flat_workgroup_size: 512
    .name:           _ZN2at6native12_GLOBAL__N_125multi_tensor_apply_kernelINS1_18TensorListMetadataILi2EEENS1_14UnaryOpFunctorIN3c104HalfELi2ELi1ELi1EEEJNS0_3LogIfEEEEEvT_T0_DpT1_
    .private_segment_fixed_size: 0
    .sgpr_count:     30
    .sgpr_spill_count: 0
    .symbol:         _ZN2at6native12_GLOBAL__N_125multi_tensor_apply_kernelINS1_18TensorListMetadataILi2EEENS1_14UnaryOpFunctorIN3c104HalfELi2ELi1ELi1EEEJNS0_3LogIfEEEEEvT_T0_DpT1_.kd
    .uniform_work_group_size: 1
    .uses_dynamic_stack: false
    .vgpr_count:     30
    .vgpr_spill_count: 0
    .wavefront_size: 64
  - .args:
      - .offset:         0
        .size:           3144
        .value_kind:     by_value
      - .offset:         3144
        .size:           1
        .value_kind:     by_value
      - .offset:         3145
        .size:           1
        .value_kind:     by_value
      - .offset:         3152
        .size:           4
        .value_kind:     hidden_block_count_x
      - .offset:         3156
        .size:           4
        .value_kind:     hidden_block_count_y
      - .offset:         3160
        .size:           4
        .value_kind:     hidden_block_count_z
      - .offset:         3164
        .size:           2
        .value_kind:     hidden_group_size_x
      - .offset:         3166
        .size:           2
        .value_kind:     hidden_group_size_y
      - .offset:         3168
        .size:           2
        .value_kind:     hidden_group_size_z
      - .offset:         3170
        .size:           2
        .value_kind:     hidden_remainder_x
      - .offset:         3172
        .size:           2
        .value_kind:     hidden_remainder_y
      - .offset:         3174
        .size:           2
        .value_kind:     hidden_remainder_z
      - .offset:         3192
        .size:           8
        .value_kind:     hidden_global_offset_x
      - .offset:         3200
        .size:           8
        .value_kind:     hidden_global_offset_y
      - .offset:         3208
        .size:           8
        .value_kind:     hidden_global_offset_z
      - .offset:         3216
        .size:           2
        .value_kind:     hidden_grid_dims
    .group_segment_fixed_size: 0
    .kernarg_segment_align: 8
    .kernarg_segment_size: 3408
    .language:       OpenCL C
    .language_version:
      - 2
      - 0
    .max_flat_workgroup_size: 512
    .name:           _ZN2at6native12_GLOBAL__N_125multi_tensor_apply_kernelINS1_18TensorListMetadataILi2EEENS1_14UnaryOpFunctorIN3c108BFloat16ELi2ELi1ELi1EEEJNS0_3LogIfEEEEEvT_T0_DpT1_
    .private_segment_fixed_size: 0
    .sgpr_count:     30
    .sgpr_spill_count: 0
    .symbol:         _ZN2at6native12_GLOBAL__N_125multi_tensor_apply_kernelINS1_18TensorListMetadataILi2EEENS1_14UnaryOpFunctorIN3c108BFloat16ELi2ELi1ELi1EEEJNS0_3LogIfEEEEEvT_T0_DpT1_.kd
    .uniform_work_group_size: 1
    .uses_dynamic_stack: false
    .vgpr_count:     31
    .vgpr_spill_count: 0
    .wavefront_size: 64
  - .args:
      - .offset:         0
        .size:           3368
        .value_kind:     by_value
      - .offset:         3368
        .size:           1
        .value_kind:     by_value
      - .offset:         3369
        .size:           1
        .value_kind:     by_value
      - .offset:         3376
        .size:           4
        .value_kind:     hidden_block_count_x
      - .offset:         3380
        .size:           4
        .value_kind:     hidden_block_count_y
      - .offset:         3384
        .size:           4
        .value_kind:     hidden_block_count_z
      - .offset:         3388
        .size:           2
        .value_kind:     hidden_group_size_x
      - .offset:         3390
        .size:           2
        .value_kind:     hidden_group_size_y
      - .offset:         3392
        .size:           2
        .value_kind:     hidden_group_size_z
      - .offset:         3394
        .size:           2
        .value_kind:     hidden_remainder_x
      - .offset:         3396
        .size:           2
        .value_kind:     hidden_remainder_y
      - .offset:         3398
        .size:           2
        .value_kind:     hidden_remainder_z
      - .offset:         3416
        .size:           8
        .value_kind:     hidden_global_offset_x
      - .offset:         3424
        .size:           8
        .value_kind:     hidden_global_offset_y
      - .offset:         3432
        .size:           8
        .value_kind:     hidden_global_offset_z
      - .offset:         3440
        .size:           2
        .value_kind:     hidden_grid_dims
    .group_segment_fixed_size: 0
    .kernarg_segment_align: 8
    .kernarg_segment_size: 3632
    .language:       OpenCL C
    .language_version:
      - 2
      - 0
    .max_flat_workgroup_size: 512
    .name:           _ZN2at6native12_GLOBAL__N_125multi_tensor_apply_kernelINS1_18TensorListMetadataILi1EEENS1_14UnaryOpFunctorIdLi1ELi1ELi0EEEJNS0_3LogIdEEEEEvT_T0_DpT1_
    .private_segment_fixed_size: 0
    .sgpr_count:     56
    .sgpr_spill_count: 0
    .symbol:         _ZN2at6native12_GLOBAL__N_125multi_tensor_apply_kernelINS1_18TensorListMetadataILi1EEENS1_14UnaryOpFunctorIdLi1ELi1ELi0EEEJNS0_3LogIdEEEEEvT_T0_DpT1_.kd
    .uniform_work_group_size: 1
    .uses_dynamic_stack: false
    .vgpr_count:     41
    .vgpr_spill_count: 0
    .wavefront_size: 64
  - .args:
      - .offset:         0
        .size:           3368
        .value_kind:     by_value
      - .offset:         3368
        .size:           1
        .value_kind:     by_value
      - .offset:         3369
        .size:           1
        .value_kind:     by_value
      - .offset:         3376
        .size:           4
        .value_kind:     hidden_block_count_x
      - .offset:         3380
        .size:           4
        .value_kind:     hidden_block_count_y
      - .offset:         3384
        .size:           4
        .value_kind:     hidden_block_count_z
      - .offset:         3388
        .size:           2
        .value_kind:     hidden_group_size_x
      - .offset:         3390
        .size:           2
        .value_kind:     hidden_group_size_y
      - .offset:         3392
        .size:           2
        .value_kind:     hidden_group_size_z
      - .offset:         3394
        .size:           2
        .value_kind:     hidden_remainder_x
      - .offset:         3396
        .size:           2
        .value_kind:     hidden_remainder_y
      - .offset:         3398
        .size:           2
        .value_kind:     hidden_remainder_z
      - .offset:         3416
        .size:           8
        .value_kind:     hidden_global_offset_x
      - .offset:         3424
        .size:           8
        .value_kind:     hidden_global_offset_y
      - .offset:         3432
        .size:           8
        .value_kind:     hidden_global_offset_z
      - .offset:         3440
        .size:           2
        .value_kind:     hidden_grid_dims
    .group_segment_fixed_size: 0
    .kernarg_segment_align: 8
    .kernarg_segment_size: 3632
    .language:       OpenCL C
    .language_version:
      - 2
      - 0
    .max_flat_workgroup_size: 512
    .name:           _ZN2at6native12_GLOBAL__N_125multi_tensor_apply_kernelINS1_18TensorListMetadataILi1EEENS1_14UnaryOpFunctorIfLi1ELi1ELi0EEEJNS0_3LogIfEEEEEvT_T0_DpT1_
    .private_segment_fixed_size: 0
    .sgpr_count:     35
    .sgpr_spill_count: 0
    .symbol:         _ZN2at6native12_GLOBAL__N_125multi_tensor_apply_kernelINS1_18TensorListMetadataILi1EEENS1_14UnaryOpFunctorIfLi1ELi1ELi0EEEJNS0_3LogIfEEEEEvT_T0_DpT1_.kd
    .uniform_work_group_size: 1
    .uses_dynamic_stack: false
    .vgpr_count:     18
    .vgpr_spill_count: 0
    .wavefront_size: 64
  - .args:
      - .offset:         0
        .size:           3368
        .value_kind:     by_value
      - .offset:         3368
        .size:           1
        .value_kind:     by_value
      - .offset:         3369
        .size:           1
        .value_kind:     by_value
      - .offset:         3376
        .size:           4
        .value_kind:     hidden_block_count_x
      - .offset:         3380
        .size:           4
        .value_kind:     hidden_block_count_y
      - .offset:         3384
        .size:           4
        .value_kind:     hidden_block_count_z
      - .offset:         3388
        .size:           2
        .value_kind:     hidden_group_size_x
      - .offset:         3390
        .size:           2
        .value_kind:     hidden_group_size_y
      - .offset:         3392
        .size:           2
        .value_kind:     hidden_group_size_z
      - .offset:         3394
        .size:           2
        .value_kind:     hidden_remainder_x
      - .offset:         3396
        .size:           2
        .value_kind:     hidden_remainder_y
      - .offset:         3398
        .size:           2
        .value_kind:     hidden_remainder_z
      - .offset:         3416
        .size:           8
        .value_kind:     hidden_global_offset_x
      - .offset:         3424
        .size:           8
        .value_kind:     hidden_global_offset_y
      - .offset:         3432
        .size:           8
        .value_kind:     hidden_global_offset_z
      - .offset:         3440
        .size:           2
        .value_kind:     hidden_grid_dims
    .group_segment_fixed_size: 0
    .kernarg_segment_align: 8
    .kernarg_segment_size: 3632
    .language:       OpenCL C
    .language_version:
      - 2
      - 0
    .max_flat_workgroup_size: 512
    .name:           _ZN2at6native12_GLOBAL__N_125multi_tensor_apply_kernelINS1_18TensorListMetadataILi1EEENS1_14UnaryOpFunctorIN3c107complexIdEELi1ELi1ELi0EEEJNS0_3LogIS8_EEEEEvT_T0_DpT1_
    .private_segment_fixed_size: 0
    .sgpr_count:     100
    .sgpr_spill_count: 4
    .symbol:         _ZN2at6native12_GLOBAL__N_125multi_tensor_apply_kernelINS1_18TensorListMetadataILi1EEENS1_14UnaryOpFunctorIN3c107complexIdEELi1ELi1ELi0EEEJNS0_3LogIS8_EEEEEvT_T0_DpT1_.kd
    .uniform_work_group_size: 1
    .uses_dynamic_stack: false
    .vgpr_count:     79
    .vgpr_spill_count: 0
    .wavefront_size: 64
  - .args:
      - .offset:         0
        .size:           3368
        .value_kind:     by_value
      - .offset:         3368
        .size:           1
        .value_kind:     by_value
      - .offset:         3369
        .size:           1
        .value_kind:     by_value
      - .offset:         3376
        .size:           4
        .value_kind:     hidden_block_count_x
      - .offset:         3380
        .size:           4
        .value_kind:     hidden_block_count_y
      - .offset:         3384
        .size:           4
        .value_kind:     hidden_block_count_z
      - .offset:         3388
        .size:           2
        .value_kind:     hidden_group_size_x
      - .offset:         3390
        .size:           2
        .value_kind:     hidden_group_size_y
      - .offset:         3392
        .size:           2
        .value_kind:     hidden_group_size_z
      - .offset:         3394
        .size:           2
        .value_kind:     hidden_remainder_x
      - .offset:         3396
        .size:           2
        .value_kind:     hidden_remainder_y
      - .offset:         3398
        .size:           2
        .value_kind:     hidden_remainder_z
      - .offset:         3416
        .size:           8
        .value_kind:     hidden_global_offset_x
      - .offset:         3424
        .size:           8
        .value_kind:     hidden_global_offset_y
      - .offset:         3432
        .size:           8
        .value_kind:     hidden_global_offset_z
      - .offset:         3440
        .size:           2
        .value_kind:     hidden_grid_dims
    .group_segment_fixed_size: 0
    .kernarg_segment_align: 8
    .kernarg_segment_size: 3632
    .language:       OpenCL C
    .language_version:
      - 2
      - 0
    .max_flat_workgroup_size: 512
    .name:           _ZN2at6native12_GLOBAL__N_125multi_tensor_apply_kernelINS1_18TensorListMetadataILi1EEENS1_14UnaryOpFunctorIN3c107complexIfEELi1ELi1ELi0EEEJNS0_3LogIS8_EEEEEvT_T0_DpT1_
    .private_segment_fixed_size: 0
    .sgpr_count:     66
    .sgpr_spill_count: 0
    .symbol:         _ZN2at6native12_GLOBAL__N_125multi_tensor_apply_kernelINS1_18TensorListMetadataILi1EEENS1_14UnaryOpFunctorIN3c107complexIfEELi1ELi1ELi0EEEJNS0_3LogIS8_EEEEEvT_T0_DpT1_.kd
    .uniform_work_group_size: 1
    .uses_dynamic_stack: false
    .vgpr_count:     48
    .vgpr_spill_count: 0
    .wavefront_size: 64
  - .args:
      - .offset:         0
        .size:           3368
        .value_kind:     by_value
      - .offset:         3368
        .size:           1
        .value_kind:     by_value
      - .offset:         3369
        .size:           1
        .value_kind:     by_value
      - .offset:         3376
        .size:           4
        .value_kind:     hidden_block_count_x
      - .offset:         3380
        .size:           4
        .value_kind:     hidden_block_count_y
      - .offset:         3384
        .size:           4
        .value_kind:     hidden_block_count_z
      - .offset:         3388
        .size:           2
        .value_kind:     hidden_group_size_x
      - .offset:         3390
        .size:           2
        .value_kind:     hidden_group_size_y
      - .offset:         3392
        .size:           2
        .value_kind:     hidden_group_size_z
      - .offset:         3394
        .size:           2
        .value_kind:     hidden_remainder_x
      - .offset:         3396
        .size:           2
        .value_kind:     hidden_remainder_y
      - .offset:         3398
        .size:           2
        .value_kind:     hidden_remainder_z
      - .offset:         3416
        .size:           8
        .value_kind:     hidden_global_offset_x
      - .offset:         3424
        .size:           8
        .value_kind:     hidden_global_offset_y
      - .offset:         3432
        .size:           8
        .value_kind:     hidden_global_offset_z
      - .offset:         3440
        .size:           2
        .value_kind:     hidden_grid_dims
    .group_segment_fixed_size: 0
    .kernarg_segment_align: 8
    .kernarg_segment_size: 3632
    .language:       OpenCL C
    .language_version:
      - 2
      - 0
    .max_flat_workgroup_size: 512
    .name:           _ZN2at6native12_GLOBAL__N_125multi_tensor_apply_kernelINS1_18TensorListMetadataILi1EEENS1_14UnaryOpFunctorIN3c104HalfELi1ELi1ELi0EEEJNS0_3LogIfEEEEEvT_T0_DpT1_
    .private_segment_fixed_size: 0
    .sgpr_count:     34
    .sgpr_spill_count: 0
    .symbol:         _ZN2at6native12_GLOBAL__N_125multi_tensor_apply_kernelINS1_18TensorListMetadataILi1EEENS1_14UnaryOpFunctorIN3c104HalfELi1ELi1ELi0EEEJNS0_3LogIfEEEEEvT_T0_DpT1_.kd
    .uniform_work_group_size: 1
    .uses_dynamic_stack: false
    .vgpr_count:     18
    .vgpr_spill_count: 0
    .wavefront_size: 64
  - .args:
      - .offset:         0
        .size:           3368
        .value_kind:     by_value
      - .offset:         3368
        .size:           1
        .value_kind:     by_value
      - .offset:         3369
        .size:           1
        .value_kind:     by_value
      - .offset:         3376
        .size:           4
        .value_kind:     hidden_block_count_x
      - .offset:         3380
        .size:           4
        .value_kind:     hidden_block_count_y
      - .offset:         3384
        .size:           4
        .value_kind:     hidden_block_count_z
      - .offset:         3388
        .size:           2
        .value_kind:     hidden_group_size_x
      - .offset:         3390
        .size:           2
        .value_kind:     hidden_group_size_y
      - .offset:         3392
        .size:           2
        .value_kind:     hidden_group_size_z
      - .offset:         3394
        .size:           2
        .value_kind:     hidden_remainder_x
      - .offset:         3396
        .size:           2
        .value_kind:     hidden_remainder_y
      - .offset:         3398
        .size:           2
        .value_kind:     hidden_remainder_z
      - .offset:         3416
        .size:           8
        .value_kind:     hidden_global_offset_x
      - .offset:         3424
        .size:           8
        .value_kind:     hidden_global_offset_y
      - .offset:         3432
        .size:           8
        .value_kind:     hidden_global_offset_z
      - .offset:         3440
        .size:           2
        .value_kind:     hidden_grid_dims
    .group_segment_fixed_size: 0
    .kernarg_segment_align: 8
    .kernarg_segment_size: 3632
    .language:       OpenCL C
    .language_version:
      - 2
      - 0
    .max_flat_workgroup_size: 512
    .name:           _ZN2at6native12_GLOBAL__N_125multi_tensor_apply_kernelINS1_18TensorListMetadataILi1EEENS1_14UnaryOpFunctorIN3c108BFloat16ELi1ELi1ELi0EEEJNS0_3LogIfEEEEEvT_T0_DpT1_
    .private_segment_fixed_size: 0
    .sgpr_count:     35
    .sgpr_spill_count: 0
    .symbol:         _ZN2at6native12_GLOBAL__N_125multi_tensor_apply_kernelINS1_18TensorListMetadataILi1EEENS1_14UnaryOpFunctorIN3c108BFloat16ELi1ELi1ELi0EEEJNS0_3LogIfEEEEEvT_T0_DpT1_.kd
    .uniform_work_group_size: 1
    .uses_dynamic_stack: false
    .vgpr_count:     19
    .vgpr_spill_count: 0
    .wavefront_size: 64
  - .args:
      - .offset:         0
        .size:           3144
        .value_kind:     by_value
      - .offset:         3144
        .size:           1
        .value_kind:     by_value
      - .offset:         3145
        .size:           1
        .value_kind:     by_value
      - .offset:         3152
        .size:           4
        .value_kind:     hidden_block_count_x
      - .offset:         3156
        .size:           4
        .value_kind:     hidden_block_count_y
      - .offset:         3160
        .size:           4
        .value_kind:     hidden_block_count_z
      - .offset:         3164
        .size:           2
        .value_kind:     hidden_group_size_x
      - .offset:         3166
        .size:           2
        .value_kind:     hidden_group_size_y
      - .offset:         3168
        .size:           2
        .value_kind:     hidden_group_size_z
      - .offset:         3170
        .size:           2
        .value_kind:     hidden_remainder_x
      - .offset:         3172
        .size:           2
        .value_kind:     hidden_remainder_y
      - .offset:         3174
        .size:           2
        .value_kind:     hidden_remainder_z
      - .offset:         3192
        .size:           8
        .value_kind:     hidden_global_offset_x
      - .offset:         3200
        .size:           8
        .value_kind:     hidden_global_offset_y
      - .offset:         3208
        .size:           8
        .value_kind:     hidden_global_offset_z
      - .offset:         3216
        .size:           2
        .value_kind:     hidden_grid_dims
    .group_segment_fixed_size: 0
    .kernarg_segment_align: 8
    .kernarg_segment_size: 3408
    .language:       OpenCL C
    .language_version:
      - 2
      - 0
    .max_flat_workgroup_size: 512
    .name:           _ZN2at6native12_GLOBAL__N_125multi_tensor_apply_kernelINS1_18TensorListMetadataILi2EEENS1_14UnaryOpFunctorIdLi2ELi1ELi1EEEJNS0_5Log10IdEEEEEvT_T0_DpT1_
    .private_segment_fixed_size: 0
    .sgpr_count:     54
    .sgpr_spill_count: 0
    .symbol:         _ZN2at6native12_GLOBAL__N_125multi_tensor_apply_kernelINS1_18TensorListMetadataILi2EEENS1_14UnaryOpFunctorIdLi2ELi1ELi1EEEJNS0_5Log10IdEEEEEvT_T0_DpT1_.kd
    .uniform_work_group_size: 1
    .uses_dynamic_stack: false
    .vgpr_count:     53
    .vgpr_spill_count: 0
    .wavefront_size: 64
  - .args:
      - .offset:         0
        .size:           3144
        .value_kind:     by_value
      - .offset:         3144
        .size:           1
        .value_kind:     by_value
      - .offset:         3145
        .size:           1
        .value_kind:     by_value
      - .offset:         3152
        .size:           4
        .value_kind:     hidden_block_count_x
      - .offset:         3156
        .size:           4
        .value_kind:     hidden_block_count_y
      - .offset:         3160
        .size:           4
        .value_kind:     hidden_block_count_z
      - .offset:         3164
        .size:           2
        .value_kind:     hidden_group_size_x
      - .offset:         3166
        .size:           2
        .value_kind:     hidden_group_size_y
      - .offset:         3168
        .size:           2
        .value_kind:     hidden_group_size_z
      - .offset:         3170
        .size:           2
        .value_kind:     hidden_remainder_x
      - .offset:         3172
        .size:           2
        .value_kind:     hidden_remainder_y
      - .offset:         3174
        .size:           2
        .value_kind:     hidden_remainder_z
      - .offset:         3192
        .size:           8
        .value_kind:     hidden_global_offset_x
      - .offset:         3200
        .size:           8
        .value_kind:     hidden_global_offset_y
      - .offset:         3208
        .size:           8
        .value_kind:     hidden_global_offset_z
      - .offset:         3216
        .size:           2
        .value_kind:     hidden_grid_dims
    .group_segment_fixed_size: 0
    .kernarg_segment_align: 8
    .kernarg_segment_size: 3408
    .language:       OpenCL C
    .language_version:
      - 2
      - 0
    .max_flat_workgroup_size: 512
    .name:           _ZN2at6native12_GLOBAL__N_125multi_tensor_apply_kernelINS1_18TensorListMetadataILi2EEENS1_14UnaryOpFunctorIfLi2ELi1ELi1EEEJNS0_5Log10IfEEEEEvT_T0_DpT1_
    .private_segment_fixed_size: 0
    .sgpr_count:     31
    .sgpr_spill_count: 0
    .symbol:         _ZN2at6native12_GLOBAL__N_125multi_tensor_apply_kernelINS1_18TensorListMetadataILi2EEENS1_14UnaryOpFunctorIfLi2ELi1ELi1EEEJNS0_5Log10IfEEEEEvT_T0_DpT1_.kd
    .uniform_work_group_size: 1
    .uses_dynamic_stack: false
    .vgpr_count:     31
    .vgpr_spill_count: 0
    .wavefront_size: 64
  - .args:
      - .offset:         0
        .size:           3144
        .value_kind:     by_value
      - .offset:         3144
        .size:           1
        .value_kind:     by_value
      - .offset:         3145
        .size:           1
        .value_kind:     by_value
      - .offset:         3152
        .size:           4
        .value_kind:     hidden_block_count_x
      - .offset:         3156
        .size:           4
        .value_kind:     hidden_block_count_y
      - .offset:         3160
        .size:           4
        .value_kind:     hidden_block_count_z
      - .offset:         3164
        .size:           2
        .value_kind:     hidden_group_size_x
      - .offset:         3166
        .size:           2
        .value_kind:     hidden_group_size_y
      - .offset:         3168
        .size:           2
        .value_kind:     hidden_group_size_z
      - .offset:         3170
        .size:           2
        .value_kind:     hidden_remainder_x
      - .offset:         3172
        .size:           2
        .value_kind:     hidden_remainder_y
      - .offset:         3174
        .size:           2
        .value_kind:     hidden_remainder_z
      - .offset:         3192
        .size:           8
        .value_kind:     hidden_global_offset_x
      - .offset:         3200
        .size:           8
        .value_kind:     hidden_global_offset_y
      - .offset:         3208
        .size:           8
        .value_kind:     hidden_global_offset_z
      - .offset:         3216
        .size:           2
        .value_kind:     hidden_grid_dims
    .group_segment_fixed_size: 0
    .kernarg_segment_align: 8
    .kernarg_segment_size: 3408
    .language:       OpenCL C
    .language_version:
      - 2
      - 0
    .max_flat_workgroup_size: 512
    .name:           _ZN2at6native12_GLOBAL__N_125multi_tensor_apply_kernelINS1_18TensorListMetadataILi2EEENS1_14UnaryOpFunctorIN3c107complexIdEELi2ELi1ELi1EEEJNS0_5Log10IS8_EEEEEvT_T0_DpT1_
    .private_segment_fixed_size: 0
    .sgpr_count:     100
    .sgpr_spill_count: 6
    .symbol:         _ZN2at6native12_GLOBAL__N_125multi_tensor_apply_kernelINS1_18TensorListMetadataILi2EEENS1_14UnaryOpFunctorIN3c107complexIdEELi2ELi1ELi1EEEJNS0_5Log10IS8_EEEEEvT_T0_DpT1_.kd
    .uniform_work_group_size: 1
    .uses_dynamic_stack: false
    .vgpr_count:     81
    .vgpr_spill_count: 0
    .wavefront_size: 64
  - .args:
      - .offset:         0
        .size:           3144
        .value_kind:     by_value
      - .offset:         3144
        .size:           1
        .value_kind:     by_value
      - .offset:         3145
        .size:           1
        .value_kind:     by_value
      - .offset:         3152
        .size:           4
        .value_kind:     hidden_block_count_x
      - .offset:         3156
        .size:           4
        .value_kind:     hidden_block_count_y
      - .offset:         3160
        .size:           4
        .value_kind:     hidden_block_count_z
      - .offset:         3164
        .size:           2
        .value_kind:     hidden_group_size_x
      - .offset:         3166
        .size:           2
        .value_kind:     hidden_group_size_y
      - .offset:         3168
        .size:           2
        .value_kind:     hidden_group_size_z
      - .offset:         3170
        .size:           2
        .value_kind:     hidden_remainder_x
      - .offset:         3172
        .size:           2
        .value_kind:     hidden_remainder_y
      - .offset:         3174
        .size:           2
        .value_kind:     hidden_remainder_z
      - .offset:         3192
        .size:           8
        .value_kind:     hidden_global_offset_x
      - .offset:         3200
        .size:           8
        .value_kind:     hidden_global_offset_y
      - .offset:         3208
        .size:           8
        .value_kind:     hidden_global_offset_z
      - .offset:         3216
        .size:           2
        .value_kind:     hidden_grid_dims
    .group_segment_fixed_size: 0
    .kernarg_segment_align: 8
    .kernarg_segment_size: 3408
    .language:       OpenCL C
    .language_version:
      - 2
      - 0
    .max_flat_workgroup_size: 512
    .name:           _ZN2at6native12_GLOBAL__N_125multi_tensor_apply_kernelINS1_18TensorListMetadataILi2EEENS1_14UnaryOpFunctorIN3c107complexIfEELi2ELi1ELi1EEEJNS0_5Log10IS8_EEEEEvT_T0_DpT1_
    .private_segment_fixed_size: 0
    .sgpr_count:     66
    .sgpr_spill_count: 0
    .symbol:         _ZN2at6native12_GLOBAL__N_125multi_tensor_apply_kernelINS1_18TensorListMetadataILi2EEENS1_14UnaryOpFunctorIN3c107complexIfEELi2ELi1ELi1EEEJNS0_5Log10IS8_EEEEEvT_T0_DpT1_.kd
    .uniform_work_group_size: 1
    .uses_dynamic_stack: false
    .vgpr_count:     48
    .vgpr_spill_count: 0
    .wavefront_size: 64
  - .args:
      - .offset:         0
        .size:           3144
        .value_kind:     by_value
      - .offset:         3144
        .size:           1
        .value_kind:     by_value
      - .offset:         3145
        .size:           1
        .value_kind:     by_value
      - .offset:         3152
        .size:           4
        .value_kind:     hidden_block_count_x
      - .offset:         3156
        .size:           4
        .value_kind:     hidden_block_count_y
      - .offset:         3160
        .size:           4
        .value_kind:     hidden_block_count_z
      - .offset:         3164
        .size:           2
        .value_kind:     hidden_group_size_x
      - .offset:         3166
        .size:           2
        .value_kind:     hidden_group_size_y
      - .offset:         3168
        .size:           2
        .value_kind:     hidden_group_size_z
      - .offset:         3170
        .size:           2
        .value_kind:     hidden_remainder_x
      - .offset:         3172
        .size:           2
        .value_kind:     hidden_remainder_y
      - .offset:         3174
        .size:           2
        .value_kind:     hidden_remainder_z
      - .offset:         3192
        .size:           8
        .value_kind:     hidden_global_offset_x
      - .offset:         3200
        .size:           8
        .value_kind:     hidden_global_offset_y
      - .offset:         3208
        .size:           8
        .value_kind:     hidden_global_offset_z
      - .offset:         3216
        .size:           2
        .value_kind:     hidden_grid_dims
    .group_segment_fixed_size: 0
    .kernarg_segment_align: 8
    .kernarg_segment_size: 3408
    .language:       OpenCL C
    .language_version:
      - 2
      - 0
    .max_flat_workgroup_size: 512
    .name:           _ZN2at6native12_GLOBAL__N_125multi_tensor_apply_kernelINS1_18TensorListMetadataILi2EEENS1_14UnaryOpFunctorIN3c104HalfELi2ELi1ELi1EEEJNS0_5Log10IfEEEEEvT_T0_DpT1_
    .private_segment_fixed_size: 0
    .sgpr_count:     30
    .sgpr_spill_count: 0
    .symbol:         _ZN2at6native12_GLOBAL__N_125multi_tensor_apply_kernelINS1_18TensorListMetadataILi2EEENS1_14UnaryOpFunctorIN3c104HalfELi2ELi1ELi1EEEJNS0_5Log10IfEEEEEvT_T0_DpT1_.kd
    .uniform_work_group_size: 1
    .uses_dynamic_stack: false
    .vgpr_count:     30
    .vgpr_spill_count: 0
    .wavefront_size: 64
  - .args:
      - .offset:         0
        .size:           3144
        .value_kind:     by_value
      - .offset:         3144
        .size:           1
        .value_kind:     by_value
      - .offset:         3145
        .size:           1
        .value_kind:     by_value
      - .offset:         3152
        .size:           4
        .value_kind:     hidden_block_count_x
      - .offset:         3156
        .size:           4
        .value_kind:     hidden_block_count_y
      - .offset:         3160
        .size:           4
        .value_kind:     hidden_block_count_z
      - .offset:         3164
        .size:           2
        .value_kind:     hidden_group_size_x
      - .offset:         3166
        .size:           2
        .value_kind:     hidden_group_size_y
      - .offset:         3168
        .size:           2
        .value_kind:     hidden_group_size_z
      - .offset:         3170
        .size:           2
        .value_kind:     hidden_remainder_x
      - .offset:         3172
        .size:           2
        .value_kind:     hidden_remainder_y
      - .offset:         3174
        .size:           2
        .value_kind:     hidden_remainder_z
      - .offset:         3192
        .size:           8
        .value_kind:     hidden_global_offset_x
      - .offset:         3200
        .size:           8
        .value_kind:     hidden_global_offset_y
      - .offset:         3208
        .size:           8
        .value_kind:     hidden_global_offset_z
      - .offset:         3216
        .size:           2
        .value_kind:     hidden_grid_dims
    .group_segment_fixed_size: 0
    .kernarg_segment_align: 8
    .kernarg_segment_size: 3408
    .language:       OpenCL C
    .language_version:
      - 2
      - 0
    .max_flat_workgroup_size: 512
    .name:           _ZN2at6native12_GLOBAL__N_125multi_tensor_apply_kernelINS1_18TensorListMetadataILi2EEENS1_14UnaryOpFunctorIN3c108BFloat16ELi2ELi1ELi1EEEJNS0_5Log10IfEEEEEvT_T0_DpT1_
    .private_segment_fixed_size: 0
    .sgpr_count:     30
    .sgpr_spill_count: 0
    .symbol:         _ZN2at6native12_GLOBAL__N_125multi_tensor_apply_kernelINS1_18TensorListMetadataILi2EEENS1_14UnaryOpFunctorIN3c108BFloat16ELi2ELi1ELi1EEEJNS0_5Log10IfEEEEEvT_T0_DpT1_.kd
    .uniform_work_group_size: 1
    .uses_dynamic_stack: false
    .vgpr_count:     31
    .vgpr_spill_count: 0
    .wavefront_size: 64
  - .args:
      - .offset:         0
        .size:           3368
        .value_kind:     by_value
      - .offset:         3368
        .size:           1
        .value_kind:     by_value
      - .offset:         3369
        .size:           1
        .value_kind:     by_value
      - .offset:         3376
        .size:           4
        .value_kind:     hidden_block_count_x
      - .offset:         3380
        .size:           4
        .value_kind:     hidden_block_count_y
      - .offset:         3384
        .size:           4
        .value_kind:     hidden_block_count_z
      - .offset:         3388
        .size:           2
        .value_kind:     hidden_group_size_x
      - .offset:         3390
        .size:           2
        .value_kind:     hidden_group_size_y
      - .offset:         3392
        .size:           2
        .value_kind:     hidden_group_size_z
      - .offset:         3394
        .size:           2
        .value_kind:     hidden_remainder_x
      - .offset:         3396
        .size:           2
        .value_kind:     hidden_remainder_y
      - .offset:         3398
        .size:           2
        .value_kind:     hidden_remainder_z
      - .offset:         3416
        .size:           8
        .value_kind:     hidden_global_offset_x
      - .offset:         3424
        .size:           8
        .value_kind:     hidden_global_offset_y
      - .offset:         3432
        .size:           8
        .value_kind:     hidden_global_offset_z
      - .offset:         3440
        .size:           2
        .value_kind:     hidden_grid_dims
    .group_segment_fixed_size: 0
    .kernarg_segment_align: 8
    .kernarg_segment_size: 3632
    .language:       OpenCL C
    .language_version:
      - 2
      - 0
    .max_flat_workgroup_size: 512
    .name:           _ZN2at6native12_GLOBAL__N_125multi_tensor_apply_kernelINS1_18TensorListMetadataILi1EEENS1_14UnaryOpFunctorIdLi1ELi1ELi0EEEJNS0_5Log10IdEEEEEvT_T0_DpT1_
    .private_segment_fixed_size: 0
    .sgpr_count:     60
    .sgpr_spill_count: 0
    .symbol:         _ZN2at6native12_GLOBAL__N_125multi_tensor_apply_kernelINS1_18TensorListMetadataILi1EEENS1_14UnaryOpFunctorIdLi1ELi1ELi0EEEJNS0_5Log10IdEEEEEvT_T0_DpT1_.kd
    .uniform_work_group_size: 1
    .uses_dynamic_stack: false
    .vgpr_count:     41
    .vgpr_spill_count: 0
    .wavefront_size: 64
  - .args:
      - .offset:         0
        .size:           3368
        .value_kind:     by_value
      - .offset:         3368
        .size:           1
        .value_kind:     by_value
      - .offset:         3369
        .size:           1
        .value_kind:     by_value
      - .offset:         3376
        .size:           4
        .value_kind:     hidden_block_count_x
      - .offset:         3380
        .size:           4
        .value_kind:     hidden_block_count_y
      - .offset:         3384
        .size:           4
        .value_kind:     hidden_block_count_z
      - .offset:         3388
        .size:           2
        .value_kind:     hidden_group_size_x
      - .offset:         3390
        .size:           2
        .value_kind:     hidden_group_size_y
      - .offset:         3392
        .size:           2
        .value_kind:     hidden_group_size_z
      - .offset:         3394
        .size:           2
        .value_kind:     hidden_remainder_x
      - .offset:         3396
        .size:           2
        .value_kind:     hidden_remainder_y
      - .offset:         3398
        .size:           2
        .value_kind:     hidden_remainder_z
      - .offset:         3416
        .size:           8
        .value_kind:     hidden_global_offset_x
      - .offset:         3424
        .size:           8
        .value_kind:     hidden_global_offset_y
      - .offset:         3432
        .size:           8
        .value_kind:     hidden_global_offset_z
      - .offset:         3440
        .size:           2
        .value_kind:     hidden_grid_dims
    .group_segment_fixed_size: 0
    .kernarg_segment_align: 8
    .kernarg_segment_size: 3632
    .language:       OpenCL C
    .language_version:
      - 2
      - 0
    .max_flat_workgroup_size: 512
    .name:           _ZN2at6native12_GLOBAL__N_125multi_tensor_apply_kernelINS1_18TensorListMetadataILi1EEENS1_14UnaryOpFunctorIfLi1ELi1ELi0EEEJNS0_5Log10IfEEEEEvT_T0_DpT1_
    .private_segment_fixed_size: 0
    .sgpr_count:     35
    .sgpr_spill_count: 0
    .symbol:         _ZN2at6native12_GLOBAL__N_125multi_tensor_apply_kernelINS1_18TensorListMetadataILi1EEENS1_14UnaryOpFunctorIfLi1ELi1ELi0EEEJNS0_5Log10IfEEEEEvT_T0_DpT1_.kd
    .uniform_work_group_size: 1
    .uses_dynamic_stack: false
    .vgpr_count:     18
    .vgpr_spill_count: 0
    .wavefront_size: 64
  - .args:
      - .offset:         0
        .size:           3368
        .value_kind:     by_value
      - .offset:         3368
        .size:           1
        .value_kind:     by_value
      - .offset:         3369
        .size:           1
        .value_kind:     by_value
      - .offset:         3376
        .size:           4
        .value_kind:     hidden_block_count_x
      - .offset:         3380
        .size:           4
        .value_kind:     hidden_block_count_y
      - .offset:         3384
        .size:           4
        .value_kind:     hidden_block_count_z
      - .offset:         3388
        .size:           2
        .value_kind:     hidden_group_size_x
      - .offset:         3390
        .size:           2
        .value_kind:     hidden_group_size_y
      - .offset:         3392
        .size:           2
        .value_kind:     hidden_group_size_z
      - .offset:         3394
        .size:           2
        .value_kind:     hidden_remainder_x
      - .offset:         3396
        .size:           2
        .value_kind:     hidden_remainder_y
      - .offset:         3398
        .size:           2
        .value_kind:     hidden_remainder_z
      - .offset:         3416
        .size:           8
        .value_kind:     hidden_global_offset_x
      - .offset:         3424
        .size:           8
        .value_kind:     hidden_global_offset_y
      - .offset:         3432
        .size:           8
        .value_kind:     hidden_global_offset_z
      - .offset:         3440
        .size:           2
        .value_kind:     hidden_grid_dims
    .group_segment_fixed_size: 0
    .kernarg_segment_align: 8
    .kernarg_segment_size: 3632
    .language:       OpenCL C
    .language_version:
      - 2
      - 0
    .max_flat_workgroup_size: 512
    .name:           _ZN2at6native12_GLOBAL__N_125multi_tensor_apply_kernelINS1_18TensorListMetadataILi1EEENS1_14UnaryOpFunctorIN3c107complexIdEELi1ELi1ELi0EEEJNS0_5Log10IS8_EEEEEvT_T0_DpT1_
    .private_segment_fixed_size: 0
    .sgpr_count:     100
    .sgpr_spill_count: 4
    .symbol:         _ZN2at6native12_GLOBAL__N_125multi_tensor_apply_kernelINS1_18TensorListMetadataILi1EEENS1_14UnaryOpFunctorIN3c107complexIdEELi1ELi1ELi0EEEJNS0_5Log10IS8_EEEEEvT_T0_DpT1_.kd
    .uniform_work_group_size: 1
    .uses_dynamic_stack: false
    .vgpr_count:     81
    .vgpr_spill_count: 0
    .wavefront_size: 64
  - .args:
      - .offset:         0
        .size:           3368
        .value_kind:     by_value
      - .offset:         3368
        .size:           1
        .value_kind:     by_value
      - .offset:         3369
        .size:           1
        .value_kind:     by_value
      - .offset:         3376
        .size:           4
        .value_kind:     hidden_block_count_x
      - .offset:         3380
        .size:           4
        .value_kind:     hidden_block_count_y
      - .offset:         3384
        .size:           4
        .value_kind:     hidden_block_count_z
      - .offset:         3388
        .size:           2
        .value_kind:     hidden_group_size_x
      - .offset:         3390
        .size:           2
        .value_kind:     hidden_group_size_y
      - .offset:         3392
        .size:           2
        .value_kind:     hidden_group_size_z
      - .offset:         3394
        .size:           2
        .value_kind:     hidden_remainder_x
      - .offset:         3396
        .size:           2
        .value_kind:     hidden_remainder_y
      - .offset:         3398
        .size:           2
        .value_kind:     hidden_remainder_z
      - .offset:         3416
        .size:           8
        .value_kind:     hidden_global_offset_x
      - .offset:         3424
        .size:           8
        .value_kind:     hidden_global_offset_y
      - .offset:         3432
        .size:           8
        .value_kind:     hidden_global_offset_z
      - .offset:         3440
        .size:           2
        .value_kind:     hidden_grid_dims
    .group_segment_fixed_size: 0
    .kernarg_segment_align: 8
    .kernarg_segment_size: 3632
    .language:       OpenCL C
    .language_version:
      - 2
      - 0
    .max_flat_workgroup_size: 512
    .name:           _ZN2at6native12_GLOBAL__N_125multi_tensor_apply_kernelINS1_18TensorListMetadataILi1EEENS1_14UnaryOpFunctorIN3c107complexIfEELi1ELi1ELi0EEEJNS0_5Log10IS8_EEEEEvT_T0_DpT1_
    .private_segment_fixed_size: 0
    .sgpr_count:     68
    .sgpr_spill_count: 0
    .symbol:         _ZN2at6native12_GLOBAL__N_125multi_tensor_apply_kernelINS1_18TensorListMetadataILi1EEENS1_14UnaryOpFunctorIN3c107complexIfEELi1ELi1ELi0EEEJNS0_5Log10IS8_EEEEEvT_T0_DpT1_.kd
    .uniform_work_group_size: 1
    .uses_dynamic_stack: false
    .vgpr_count:     48
    .vgpr_spill_count: 0
    .wavefront_size: 64
  - .args:
      - .offset:         0
        .size:           3368
        .value_kind:     by_value
      - .offset:         3368
        .size:           1
        .value_kind:     by_value
      - .offset:         3369
        .size:           1
        .value_kind:     by_value
      - .offset:         3376
        .size:           4
        .value_kind:     hidden_block_count_x
      - .offset:         3380
        .size:           4
        .value_kind:     hidden_block_count_y
      - .offset:         3384
        .size:           4
        .value_kind:     hidden_block_count_z
      - .offset:         3388
        .size:           2
        .value_kind:     hidden_group_size_x
      - .offset:         3390
        .size:           2
        .value_kind:     hidden_group_size_y
      - .offset:         3392
        .size:           2
        .value_kind:     hidden_group_size_z
      - .offset:         3394
        .size:           2
        .value_kind:     hidden_remainder_x
      - .offset:         3396
        .size:           2
        .value_kind:     hidden_remainder_y
      - .offset:         3398
        .size:           2
        .value_kind:     hidden_remainder_z
      - .offset:         3416
        .size:           8
        .value_kind:     hidden_global_offset_x
      - .offset:         3424
        .size:           8
        .value_kind:     hidden_global_offset_y
      - .offset:         3432
        .size:           8
        .value_kind:     hidden_global_offset_z
      - .offset:         3440
        .size:           2
        .value_kind:     hidden_grid_dims
    .group_segment_fixed_size: 0
    .kernarg_segment_align: 8
    .kernarg_segment_size: 3632
    .language:       OpenCL C
    .language_version:
      - 2
      - 0
    .max_flat_workgroup_size: 512
    .name:           _ZN2at6native12_GLOBAL__N_125multi_tensor_apply_kernelINS1_18TensorListMetadataILi1EEENS1_14UnaryOpFunctorIN3c104HalfELi1ELi1ELi0EEEJNS0_5Log10IfEEEEEvT_T0_DpT1_
    .private_segment_fixed_size: 0
    .sgpr_count:     34
    .sgpr_spill_count: 0
    .symbol:         _ZN2at6native12_GLOBAL__N_125multi_tensor_apply_kernelINS1_18TensorListMetadataILi1EEENS1_14UnaryOpFunctorIN3c104HalfELi1ELi1ELi0EEEJNS0_5Log10IfEEEEEvT_T0_DpT1_.kd
    .uniform_work_group_size: 1
    .uses_dynamic_stack: false
    .vgpr_count:     18
    .vgpr_spill_count: 0
    .wavefront_size: 64
  - .args:
      - .offset:         0
        .size:           3368
        .value_kind:     by_value
      - .offset:         3368
        .size:           1
        .value_kind:     by_value
      - .offset:         3369
        .size:           1
        .value_kind:     by_value
      - .offset:         3376
        .size:           4
        .value_kind:     hidden_block_count_x
      - .offset:         3380
        .size:           4
        .value_kind:     hidden_block_count_y
      - .offset:         3384
        .size:           4
        .value_kind:     hidden_block_count_z
      - .offset:         3388
        .size:           2
        .value_kind:     hidden_group_size_x
      - .offset:         3390
        .size:           2
        .value_kind:     hidden_group_size_y
      - .offset:         3392
        .size:           2
        .value_kind:     hidden_group_size_z
      - .offset:         3394
        .size:           2
        .value_kind:     hidden_remainder_x
      - .offset:         3396
        .size:           2
        .value_kind:     hidden_remainder_y
      - .offset:         3398
        .size:           2
        .value_kind:     hidden_remainder_z
      - .offset:         3416
        .size:           8
        .value_kind:     hidden_global_offset_x
      - .offset:         3424
        .size:           8
        .value_kind:     hidden_global_offset_y
      - .offset:         3432
        .size:           8
        .value_kind:     hidden_global_offset_z
      - .offset:         3440
        .size:           2
        .value_kind:     hidden_grid_dims
    .group_segment_fixed_size: 0
    .kernarg_segment_align: 8
    .kernarg_segment_size: 3632
    .language:       OpenCL C
    .language_version:
      - 2
      - 0
    .max_flat_workgroup_size: 512
    .name:           _ZN2at6native12_GLOBAL__N_125multi_tensor_apply_kernelINS1_18TensorListMetadataILi1EEENS1_14UnaryOpFunctorIN3c108BFloat16ELi1ELi1ELi0EEEJNS0_5Log10IfEEEEEvT_T0_DpT1_
    .private_segment_fixed_size: 0
    .sgpr_count:     35
    .sgpr_spill_count: 0
    .symbol:         _ZN2at6native12_GLOBAL__N_125multi_tensor_apply_kernelINS1_18TensorListMetadataILi1EEENS1_14UnaryOpFunctorIN3c108BFloat16ELi1ELi1ELi0EEEJNS0_5Log10IfEEEEEvT_T0_DpT1_.kd
    .uniform_work_group_size: 1
    .uses_dynamic_stack: false
    .vgpr_count:     19
    .vgpr_spill_count: 0
    .wavefront_size: 64
  - .args:
      - .offset:         0
        .size:           3144
        .value_kind:     by_value
      - .offset:         3144
        .size:           1
        .value_kind:     by_value
      - .offset:         3145
        .size:           1
        .value_kind:     by_value
      - .offset:         3152
        .size:           4
        .value_kind:     hidden_block_count_x
      - .offset:         3156
        .size:           4
        .value_kind:     hidden_block_count_y
      - .offset:         3160
        .size:           4
        .value_kind:     hidden_block_count_z
      - .offset:         3164
        .size:           2
        .value_kind:     hidden_group_size_x
      - .offset:         3166
        .size:           2
        .value_kind:     hidden_group_size_y
      - .offset:         3168
        .size:           2
        .value_kind:     hidden_group_size_z
      - .offset:         3170
        .size:           2
        .value_kind:     hidden_remainder_x
      - .offset:         3172
        .size:           2
        .value_kind:     hidden_remainder_y
      - .offset:         3174
        .size:           2
        .value_kind:     hidden_remainder_z
      - .offset:         3192
        .size:           8
        .value_kind:     hidden_global_offset_x
      - .offset:         3200
        .size:           8
        .value_kind:     hidden_global_offset_y
      - .offset:         3208
        .size:           8
        .value_kind:     hidden_global_offset_z
      - .offset:         3216
        .size:           2
        .value_kind:     hidden_grid_dims
    .group_segment_fixed_size: 0
    .kernarg_segment_align: 8
    .kernarg_segment_size: 3408
    .language:       OpenCL C
    .language_version:
      - 2
      - 0
    .max_flat_workgroup_size: 512
    .name:           _ZN2at6native12_GLOBAL__N_125multi_tensor_apply_kernelINS1_18TensorListMetadataILi2EEENS1_14UnaryOpFunctorIdLi2ELi1ELi1EEEJNS0_4Log2IdEEEEEvT_T0_DpT1_
    .private_segment_fixed_size: 0
    .sgpr_count:     56
    .sgpr_spill_count: 0
    .symbol:         _ZN2at6native12_GLOBAL__N_125multi_tensor_apply_kernelINS1_18TensorListMetadataILi2EEENS1_14UnaryOpFunctorIdLi2ELi1ELi1EEEJNS0_4Log2IdEEEEEvT_T0_DpT1_.kd
    .uniform_work_group_size: 1
    .uses_dynamic_stack: false
    .vgpr_count:     67
    .vgpr_spill_count: 0
    .wavefront_size: 64
  - .args:
      - .offset:         0
        .size:           3144
        .value_kind:     by_value
      - .offset:         3144
        .size:           1
        .value_kind:     by_value
      - .offset:         3145
        .size:           1
        .value_kind:     by_value
      - .offset:         3152
        .size:           4
        .value_kind:     hidden_block_count_x
      - .offset:         3156
        .size:           4
        .value_kind:     hidden_block_count_y
      - .offset:         3160
        .size:           4
        .value_kind:     hidden_block_count_z
      - .offset:         3164
        .size:           2
        .value_kind:     hidden_group_size_x
      - .offset:         3166
        .size:           2
        .value_kind:     hidden_group_size_y
      - .offset:         3168
        .size:           2
        .value_kind:     hidden_group_size_z
      - .offset:         3170
        .size:           2
        .value_kind:     hidden_remainder_x
      - .offset:         3172
        .size:           2
        .value_kind:     hidden_remainder_y
      - .offset:         3174
        .size:           2
        .value_kind:     hidden_remainder_z
      - .offset:         3192
        .size:           8
        .value_kind:     hidden_global_offset_x
      - .offset:         3200
        .size:           8
        .value_kind:     hidden_global_offset_y
      - .offset:         3208
        .size:           8
        .value_kind:     hidden_global_offset_z
      - .offset:         3216
        .size:           2
        .value_kind:     hidden_grid_dims
    .group_segment_fixed_size: 0
    .kernarg_segment_align: 8
    .kernarg_segment_size: 3408
    .language:       OpenCL C
    .language_version:
      - 2
      - 0
    .max_flat_workgroup_size: 512
    .name:           _ZN2at6native12_GLOBAL__N_125multi_tensor_apply_kernelINS1_18TensorListMetadataILi2EEENS1_14UnaryOpFunctorIfLi2ELi1ELi1EEEJNS0_4Log2IfEEEEEvT_T0_DpT1_
    .private_segment_fixed_size: 0
    .sgpr_count:     29
    .sgpr_spill_count: 0
    .symbol:         _ZN2at6native12_GLOBAL__N_125multi_tensor_apply_kernelINS1_18TensorListMetadataILi2EEENS1_14UnaryOpFunctorIfLi2ELi1ELi1EEEJNS0_4Log2IfEEEEEvT_T0_DpT1_.kd
    .uniform_work_group_size: 1
    .uses_dynamic_stack: false
    .vgpr_count:     31
    .vgpr_spill_count: 0
    .wavefront_size: 64
  - .args:
      - .offset:         0
        .size:           3144
        .value_kind:     by_value
      - .offset:         3144
        .size:           1
        .value_kind:     by_value
      - .offset:         3145
        .size:           1
        .value_kind:     by_value
      - .offset:         3152
        .size:           4
        .value_kind:     hidden_block_count_x
      - .offset:         3156
        .size:           4
        .value_kind:     hidden_block_count_y
      - .offset:         3160
        .size:           4
        .value_kind:     hidden_block_count_z
      - .offset:         3164
        .size:           2
        .value_kind:     hidden_group_size_x
      - .offset:         3166
        .size:           2
        .value_kind:     hidden_group_size_y
      - .offset:         3168
        .size:           2
        .value_kind:     hidden_group_size_z
      - .offset:         3170
        .size:           2
        .value_kind:     hidden_remainder_x
      - .offset:         3172
        .size:           2
        .value_kind:     hidden_remainder_y
      - .offset:         3174
        .size:           2
        .value_kind:     hidden_remainder_z
      - .offset:         3192
        .size:           8
        .value_kind:     hidden_global_offset_x
      - .offset:         3200
        .size:           8
        .value_kind:     hidden_global_offset_y
      - .offset:         3208
        .size:           8
        .value_kind:     hidden_global_offset_z
      - .offset:         3216
        .size:           2
        .value_kind:     hidden_grid_dims
    .group_segment_fixed_size: 0
    .kernarg_segment_align: 8
    .kernarg_segment_size: 3408
    .language:       OpenCL C
    .language_version:
      - 2
      - 0
    .max_flat_workgroup_size: 512
    .name:           _ZN2at6native12_GLOBAL__N_125multi_tensor_apply_kernelINS1_18TensorListMetadataILi2EEENS1_14UnaryOpFunctorIN3c107complexIdEELi2ELi1ELi1EEEJNS0_4Log2IS8_EEEEEvT_T0_DpT1_
    .private_segment_fixed_size: 0
    .sgpr_count:     100
    .sgpr_spill_count: 6
    .symbol:         _ZN2at6native12_GLOBAL__N_125multi_tensor_apply_kernelINS1_18TensorListMetadataILi2EEENS1_14UnaryOpFunctorIN3c107complexIdEELi2ELi1ELi1EEEJNS0_4Log2IS8_EEEEEvT_T0_DpT1_.kd
    .uniform_work_group_size: 1
    .uses_dynamic_stack: false
    .vgpr_count:     79
    .vgpr_spill_count: 0
    .wavefront_size: 64
  - .args:
      - .offset:         0
        .size:           3144
        .value_kind:     by_value
      - .offset:         3144
        .size:           1
        .value_kind:     by_value
      - .offset:         3145
        .size:           1
        .value_kind:     by_value
      - .offset:         3152
        .size:           4
        .value_kind:     hidden_block_count_x
      - .offset:         3156
        .size:           4
        .value_kind:     hidden_block_count_y
      - .offset:         3160
        .size:           4
        .value_kind:     hidden_block_count_z
      - .offset:         3164
        .size:           2
        .value_kind:     hidden_group_size_x
      - .offset:         3166
        .size:           2
        .value_kind:     hidden_group_size_y
      - .offset:         3168
        .size:           2
        .value_kind:     hidden_group_size_z
      - .offset:         3170
        .size:           2
        .value_kind:     hidden_remainder_x
      - .offset:         3172
        .size:           2
        .value_kind:     hidden_remainder_y
      - .offset:         3174
        .size:           2
        .value_kind:     hidden_remainder_z
      - .offset:         3192
        .size:           8
        .value_kind:     hidden_global_offset_x
      - .offset:         3200
        .size:           8
        .value_kind:     hidden_global_offset_y
      - .offset:         3208
        .size:           8
        .value_kind:     hidden_global_offset_z
      - .offset:         3216
        .size:           2
        .value_kind:     hidden_grid_dims
    .group_segment_fixed_size: 0
    .kernarg_segment_align: 8
    .kernarg_segment_size: 3408
    .language:       OpenCL C
    .language_version:
      - 2
      - 0
    .max_flat_workgroup_size: 512
    .name:           _ZN2at6native12_GLOBAL__N_125multi_tensor_apply_kernelINS1_18TensorListMetadataILi2EEENS1_14UnaryOpFunctorIN3c107complexIfEELi2ELi1ELi1EEEJNS0_4Log2IS8_EEEEEvT_T0_DpT1_
    .private_segment_fixed_size: 0
    .sgpr_count:     64
    .sgpr_spill_count: 0
    .symbol:         _ZN2at6native12_GLOBAL__N_125multi_tensor_apply_kernelINS1_18TensorListMetadataILi2EEENS1_14UnaryOpFunctorIN3c107complexIfEELi2ELi1ELi1EEEJNS0_4Log2IS8_EEEEEvT_T0_DpT1_.kd
    .uniform_work_group_size: 1
    .uses_dynamic_stack: false
    .vgpr_count:     48
    .vgpr_spill_count: 0
    .wavefront_size: 64
  - .args:
      - .offset:         0
        .size:           3144
        .value_kind:     by_value
      - .offset:         3144
        .size:           1
        .value_kind:     by_value
      - .offset:         3145
        .size:           1
        .value_kind:     by_value
      - .offset:         3152
        .size:           4
        .value_kind:     hidden_block_count_x
      - .offset:         3156
        .size:           4
        .value_kind:     hidden_block_count_y
      - .offset:         3160
        .size:           4
        .value_kind:     hidden_block_count_z
      - .offset:         3164
        .size:           2
        .value_kind:     hidden_group_size_x
      - .offset:         3166
        .size:           2
        .value_kind:     hidden_group_size_y
      - .offset:         3168
        .size:           2
        .value_kind:     hidden_group_size_z
      - .offset:         3170
        .size:           2
        .value_kind:     hidden_remainder_x
      - .offset:         3172
        .size:           2
        .value_kind:     hidden_remainder_y
      - .offset:         3174
        .size:           2
        .value_kind:     hidden_remainder_z
      - .offset:         3192
        .size:           8
        .value_kind:     hidden_global_offset_x
      - .offset:         3200
        .size:           8
        .value_kind:     hidden_global_offset_y
      - .offset:         3208
        .size:           8
        .value_kind:     hidden_global_offset_z
      - .offset:         3216
        .size:           2
        .value_kind:     hidden_grid_dims
    .group_segment_fixed_size: 0
    .kernarg_segment_align: 8
    .kernarg_segment_size: 3408
    .language:       OpenCL C
    .language_version:
      - 2
      - 0
    .max_flat_workgroup_size: 512
    .name:           _ZN2at6native12_GLOBAL__N_125multi_tensor_apply_kernelINS1_18TensorListMetadataILi2EEENS1_14UnaryOpFunctorIN3c104HalfELi2ELi1ELi1EEEJNS0_4Log2IfEEEEEvT_T0_DpT1_
    .private_segment_fixed_size: 0
    .sgpr_count:     25
    .sgpr_spill_count: 0
    .symbol:         _ZN2at6native12_GLOBAL__N_125multi_tensor_apply_kernelINS1_18TensorListMetadataILi2EEENS1_14UnaryOpFunctorIN3c104HalfELi2ELi1ELi1EEEJNS0_4Log2IfEEEEEvT_T0_DpT1_.kd
    .uniform_work_group_size: 1
    .uses_dynamic_stack: false
    .vgpr_count:     30
    .vgpr_spill_count: 0
    .wavefront_size: 64
  - .args:
      - .offset:         0
        .size:           3144
        .value_kind:     by_value
      - .offset:         3144
        .size:           1
        .value_kind:     by_value
      - .offset:         3145
        .size:           1
        .value_kind:     by_value
      - .offset:         3152
        .size:           4
        .value_kind:     hidden_block_count_x
      - .offset:         3156
        .size:           4
        .value_kind:     hidden_block_count_y
      - .offset:         3160
        .size:           4
        .value_kind:     hidden_block_count_z
      - .offset:         3164
        .size:           2
        .value_kind:     hidden_group_size_x
      - .offset:         3166
        .size:           2
        .value_kind:     hidden_group_size_y
      - .offset:         3168
        .size:           2
        .value_kind:     hidden_group_size_z
      - .offset:         3170
        .size:           2
        .value_kind:     hidden_remainder_x
      - .offset:         3172
        .size:           2
        .value_kind:     hidden_remainder_y
      - .offset:         3174
        .size:           2
        .value_kind:     hidden_remainder_z
      - .offset:         3192
        .size:           8
        .value_kind:     hidden_global_offset_x
      - .offset:         3200
        .size:           8
        .value_kind:     hidden_global_offset_y
      - .offset:         3208
        .size:           8
        .value_kind:     hidden_global_offset_z
      - .offset:         3216
        .size:           2
        .value_kind:     hidden_grid_dims
    .group_segment_fixed_size: 0
    .kernarg_segment_align: 8
    .kernarg_segment_size: 3408
    .language:       OpenCL C
    .language_version:
      - 2
      - 0
    .max_flat_workgroup_size: 512
    .name:           _ZN2at6native12_GLOBAL__N_125multi_tensor_apply_kernelINS1_18TensorListMetadataILi2EEENS1_14UnaryOpFunctorIN3c108BFloat16ELi2ELi1ELi1EEEJNS0_4Log2IfEEEEEvT_T0_DpT1_
    .private_segment_fixed_size: 0
    .sgpr_count:     28
    .sgpr_spill_count: 0
    .symbol:         _ZN2at6native12_GLOBAL__N_125multi_tensor_apply_kernelINS1_18TensorListMetadataILi2EEENS1_14UnaryOpFunctorIN3c108BFloat16ELi2ELi1ELi1EEEJNS0_4Log2IfEEEEEvT_T0_DpT1_.kd
    .uniform_work_group_size: 1
    .uses_dynamic_stack: false
    .vgpr_count:     31
    .vgpr_spill_count: 0
    .wavefront_size: 64
  - .args:
      - .offset:         0
        .size:           3368
        .value_kind:     by_value
      - .offset:         3368
        .size:           1
        .value_kind:     by_value
      - .offset:         3369
        .size:           1
        .value_kind:     by_value
      - .offset:         3376
        .size:           4
        .value_kind:     hidden_block_count_x
      - .offset:         3380
        .size:           4
        .value_kind:     hidden_block_count_y
      - .offset:         3384
        .size:           4
        .value_kind:     hidden_block_count_z
      - .offset:         3388
        .size:           2
        .value_kind:     hidden_group_size_x
      - .offset:         3390
        .size:           2
        .value_kind:     hidden_group_size_y
      - .offset:         3392
        .size:           2
        .value_kind:     hidden_group_size_z
      - .offset:         3394
        .size:           2
        .value_kind:     hidden_remainder_x
      - .offset:         3396
        .size:           2
        .value_kind:     hidden_remainder_y
      - .offset:         3398
        .size:           2
        .value_kind:     hidden_remainder_z
      - .offset:         3416
        .size:           8
        .value_kind:     hidden_global_offset_x
      - .offset:         3424
        .size:           8
        .value_kind:     hidden_global_offset_y
      - .offset:         3432
        .size:           8
        .value_kind:     hidden_global_offset_z
      - .offset:         3440
        .size:           2
        .value_kind:     hidden_grid_dims
    .group_segment_fixed_size: 0
    .kernarg_segment_align: 8
    .kernarg_segment_size: 3632
    .language:       OpenCL C
    .language_version:
      - 2
      - 0
    .max_flat_workgroup_size: 512
    .name:           _ZN2at6native12_GLOBAL__N_125multi_tensor_apply_kernelINS1_18TensorListMetadataILi1EEENS1_14UnaryOpFunctorIdLi1ELi1ELi0EEEJNS0_4Log2IdEEEEEvT_T0_DpT1_
    .private_segment_fixed_size: 0
    .sgpr_count:     56
    .sgpr_spill_count: 0
    .symbol:         _ZN2at6native12_GLOBAL__N_125multi_tensor_apply_kernelINS1_18TensorListMetadataILi1EEENS1_14UnaryOpFunctorIdLi1ELi1ELi0EEEJNS0_4Log2IdEEEEEvT_T0_DpT1_.kd
    .uniform_work_group_size: 1
    .uses_dynamic_stack: false
    .vgpr_count:     37
    .vgpr_spill_count: 0
    .wavefront_size: 64
  - .args:
      - .offset:         0
        .size:           3368
        .value_kind:     by_value
      - .offset:         3368
        .size:           1
        .value_kind:     by_value
      - .offset:         3369
        .size:           1
        .value_kind:     by_value
      - .offset:         3376
        .size:           4
        .value_kind:     hidden_block_count_x
      - .offset:         3380
        .size:           4
        .value_kind:     hidden_block_count_y
      - .offset:         3384
        .size:           4
        .value_kind:     hidden_block_count_z
      - .offset:         3388
        .size:           2
        .value_kind:     hidden_group_size_x
      - .offset:         3390
        .size:           2
        .value_kind:     hidden_group_size_y
      - .offset:         3392
        .size:           2
        .value_kind:     hidden_group_size_z
      - .offset:         3394
        .size:           2
        .value_kind:     hidden_remainder_x
      - .offset:         3396
        .size:           2
        .value_kind:     hidden_remainder_y
      - .offset:         3398
        .size:           2
        .value_kind:     hidden_remainder_z
      - .offset:         3416
        .size:           8
        .value_kind:     hidden_global_offset_x
      - .offset:         3424
        .size:           8
        .value_kind:     hidden_global_offset_y
      - .offset:         3432
        .size:           8
        .value_kind:     hidden_global_offset_z
      - .offset:         3440
        .size:           2
        .value_kind:     hidden_grid_dims
    .group_segment_fixed_size: 0
    .kernarg_segment_align: 8
    .kernarg_segment_size: 3632
    .language:       OpenCL C
    .language_version:
      - 2
      - 0
    .max_flat_workgroup_size: 512
    .name:           _ZN2at6native12_GLOBAL__N_125multi_tensor_apply_kernelINS1_18TensorListMetadataILi1EEENS1_14UnaryOpFunctorIfLi1ELi1ELi0EEEJNS0_4Log2IfEEEEEvT_T0_DpT1_
    .private_segment_fixed_size: 0
    .sgpr_count:     33
    .sgpr_spill_count: 0
    .symbol:         _ZN2at6native12_GLOBAL__N_125multi_tensor_apply_kernelINS1_18TensorListMetadataILi1EEENS1_14UnaryOpFunctorIfLi1ELi1ELi0EEEJNS0_4Log2IfEEEEEvT_T0_DpT1_.kd
    .uniform_work_group_size: 1
    .uses_dynamic_stack: false
    .vgpr_count:     18
    .vgpr_spill_count: 0
    .wavefront_size: 64
  - .args:
      - .offset:         0
        .size:           3368
        .value_kind:     by_value
      - .offset:         3368
        .size:           1
        .value_kind:     by_value
      - .offset:         3369
        .size:           1
        .value_kind:     by_value
      - .offset:         3376
        .size:           4
        .value_kind:     hidden_block_count_x
      - .offset:         3380
        .size:           4
        .value_kind:     hidden_block_count_y
      - .offset:         3384
        .size:           4
        .value_kind:     hidden_block_count_z
      - .offset:         3388
        .size:           2
        .value_kind:     hidden_group_size_x
      - .offset:         3390
        .size:           2
        .value_kind:     hidden_group_size_y
      - .offset:         3392
        .size:           2
        .value_kind:     hidden_group_size_z
      - .offset:         3394
        .size:           2
        .value_kind:     hidden_remainder_x
      - .offset:         3396
        .size:           2
        .value_kind:     hidden_remainder_y
      - .offset:         3398
        .size:           2
        .value_kind:     hidden_remainder_z
      - .offset:         3416
        .size:           8
        .value_kind:     hidden_global_offset_x
      - .offset:         3424
        .size:           8
        .value_kind:     hidden_global_offset_y
      - .offset:         3432
        .size:           8
        .value_kind:     hidden_global_offset_z
      - .offset:         3440
        .size:           2
        .value_kind:     hidden_grid_dims
    .group_segment_fixed_size: 0
    .kernarg_segment_align: 8
    .kernarg_segment_size: 3632
    .language:       OpenCL C
    .language_version:
      - 2
      - 0
    .max_flat_workgroup_size: 512
    .name:           _ZN2at6native12_GLOBAL__N_125multi_tensor_apply_kernelINS1_18TensorListMetadataILi1EEENS1_14UnaryOpFunctorIN3c107complexIdEELi1ELi1ELi0EEEJNS0_4Log2IS8_EEEEEvT_T0_DpT1_
    .private_segment_fixed_size: 0
    .sgpr_count:     100
    .sgpr_spill_count: 4
    .symbol:         _ZN2at6native12_GLOBAL__N_125multi_tensor_apply_kernelINS1_18TensorListMetadataILi1EEENS1_14UnaryOpFunctorIN3c107complexIdEELi1ELi1ELi0EEEJNS0_4Log2IS8_EEEEEvT_T0_DpT1_.kd
    .uniform_work_group_size: 1
    .uses_dynamic_stack: false
    .vgpr_count:     79
    .vgpr_spill_count: 0
    .wavefront_size: 64
  - .args:
      - .offset:         0
        .size:           3368
        .value_kind:     by_value
      - .offset:         3368
        .size:           1
        .value_kind:     by_value
      - .offset:         3369
        .size:           1
        .value_kind:     by_value
      - .offset:         3376
        .size:           4
        .value_kind:     hidden_block_count_x
      - .offset:         3380
        .size:           4
        .value_kind:     hidden_block_count_y
      - .offset:         3384
        .size:           4
        .value_kind:     hidden_block_count_z
      - .offset:         3388
        .size:           2
        .value_kind:     hidden_group_size_x
      - .offset:         3390
        .size:           2
        .value_kind:     hidden_group_size_y
      - .offset:         3392
        .size:           2
        .value_kind:     hidden_group_size_z
      - .offset:         3394
        .size:           2
        .value_kind:     hidden_remainder_x
      - .offset:         3396
        .size:           2
        .value_kind:     hidden_remainder_y
      - .offset:         3398
        .size:           2
        .value_kind:     hidden_remainder_z
      - .offset:         3416
        .size:           8
        .value_kind:     hidden_global_offset_x
      - .offset:         3424
        .size:           8
        .value_kind:     hidden_global_offset_y
      - .offset:         3432
        .size:           8
        .value_kind:     hidden_global_offset_z
      - .offset:         3440
        .size:           2
        .value_kind:     hidden_grid_dims
    .group_segment_fixed_size: 0
    .kernarg_segment_align: 8
    .kernarg_segment_size: 3632
    .language:       OpenCL C
    .language_version:
      - 2
      - 0
    .max_flat_workgroup_size: 512
    .name:           _ZN2at6native12_GLOBAL__N_125multi_tensor_apply_kernelINS1_18TensorListMetadataILi1EEENS1_14UnaryOpFunctorIN3c107complexIfEELi1ELi1ELi0EEEJNS0_4Log2IS8_EEEEEvT_T0_DpT1_
    .private_segment_fixed_size: 0
    .sgpr_count:     66
    .sgpr_spill_count: 0
    .symbol:         _ZN2at6native12_GLOBAL__N_125multi_tensor_apply_kernelINS1_18TensorListMetadataILi1EEENS1_14UnaryOpFunctorIN3c107complexIfEELi1ELi1ELi0EEEJNS0_4Log2IS8_EEEEEvT_T0_DpT1_.kd
    .uniform_work_group_size: 1
    .uses_dynamic_stack: false
    .vgpr_count:     48
    .vgpr_spill_count: 0
    .wavefront_size: 64
  - .args:
      - .offset:         0
        .size:           3368
        .value_kind:     by_value
      - .offset:         3368
        .size:           1
        .value_kind:     by_value
      - .offset:         3369
        .size:           1
        .value_kind:     by_value
      - .offset:         3376
        .size:           4
        .value_kind:     hidden_block_count_x
      - .offset:         3380
        .size:           4
        .value_kind:     hidden_block_count_y
      - .offset:         3384
        .size:           4
        .value_kind:     hidden_block_count_z
      - .offset:         3388
        .size:           2
        .value_kind:     hidden_group_size_x
      - .offset:         3390
        .size:           2
        .value_kind:     hidden_group_size_y
      - .offset:         3392
        .size:           2
        .value_kind:     hidden_group_size_z
      - .offset:         3394
        .size:           2
        .value_kind:     hidden_remainder_x
      - .offset:         3396
        .size:           2
        .value_kind:     hidden_remainder_y
      - .offset:         3398
        .size:           2
        .value_kind:     hidden_remainder_z
      - .offset:         3416
        .size:           8
        .value_kind:     hidden_global_offset_x
      - .offset:         3424
        .size:           8
        .value_kind:     hidden_global_offset_y
      - .offset:         3432
        .size:           8
        .value_kind:     hidden_global_offset_z
      - .offset:         3440
        .size:           2
        .value_kind:     hidden_grid_dims
    .group_segment_fixed_size: 0
    .kernarg_segment_align: 8
    .kernarg_segment_size: 3632
    .language:       OpenCL C
    .language_version:
      - 2
      - 0
    .max_flat_workgroup_size: 512
    .name:           _ZN2at6native12_GLOBAL__N_125multi_tensor_apply_kernelINS1_18TensorListMetadataILi1EEENS1_14UnaryOpFunctorIN3c104HalfELi1ELi1ELi0EEEJNS0_4Log2IfEEEEEvT_T0_DpT1_
    .private_segment_fixed_size: 0
    .sgpr_count:     32
    .sgpr_spill_count: 0
    .symbol:         _ZN2at6native12_GLOBAL__N_125multi_tensor_apply_kernelINS1_18TensorListMetadataILi1EEENS1_14UnaryOpFunctorIN3c104HalfELi1ELi1ELi0EEEJNS0_4Log2IfEEEEEvT_T0_DpT1_.kd
    .uniform_work_group_size: 1
    .uses_dynamic_stack: false
    .vgpr_count:     18
    .vgpr_spill_count: 0
    .wavefront_size: 64
  - .args:
      - .offset:         0
        .size:           3368
        .value_kind:     by_value
      - .offset:         3368
        .size:           1
        .value_kind:     by_value
      - .offset:         3369
        .size:           1
        .value_kind:     by_value
      - .offset:         3376
        .size:           4
        .value_kind:     hidden_block_count_x
      - .offset:         3380
        .size:           4
        .value_kind:     hidden_block_count_y
      - .offset:         3384
        .size:           4
        .value_kind:     hidden_block_count_z
      - .offset:         3388
        .size:           2
        .value_kind:     hidden_group_size_x
      - .offset:         3390
        .size:           2
        .value_kind:     hidden_group_size_y
      - .offset:         3392
        .size:           2
        .value_kind:     hidden_group_size_z
      - .offset:         3394
        .size:           2
        .value_kind:     hidden_remainder_x
      - .offset:         3396
        .size:           2
        .value_kind:     hidden_remainder_y
      - .offset:         3398
        .size:           2
        .value_kind:     hidden_remainder_z
      - .offset:         3416
        .size:           8
        .value_kind:     hidden_global_offset_x
      - .offset:         3424
        .size:           8
        .value_kind:     hidden_global_offset_y
      - .offset:         3432
        .size:           8
        .value_kind:     hidden_global_offset_z
      - .offset:         3440
        .size:           2
        .value_kind:     hidden_grid_dims
    .group_segment_fixed_size: 0
    .kernarg_segment_align: 8
    .kernarg_segment_size: 3632
    .language:       OpenCL C
    .language_version:
      - 2
      - 0
    .max_flat_workgroup_size: 512
    .name:           _ZN2at6native12_GLOBAL__N_125multi_tensor_apply_kernelINS1_18TensorListMetadataILi1EEENS1_14UnaryOpFunctorIN3c108BFloat16ELi1ELi1ELi0EEEJNS0_4Log2IfEEEEEvT_T0_DpT1_
    .private_segment_fixed_size: 0
    .sgpr_count:     33
    .sgpr_spill_count: 0
    .symbol:         _ZN2at6native12_GLOBAL__N_125multi_tensor_apply_kernelINS1_18TensorListMetadataILi1EEENS1_14UnaryOpFunctorIN3c108BFloat16ELi1ELi1ELi0EEEJNS0_4Log2IfEEEEEvT_T0_DpT1_.kd
    .uniform_work_group_size: 1
    .uses_dynamic_stack: false
    .vgpr_count:     19
    .vgpr_spill_count: 0
    .wavefront_size: 64
  - .args:
      - .offset:         0
        .size:           3144
        .value_kind:     by_value
      - .offset:         3144
        .size:           1
        .value_kind:     by_value
      - .offset:         3145
        .size:           1
        .value_kind:     by_value
      - .offset:         3152
        .size:           4
        .value_kind:     hidden_block_count_x
      - .offset:         3156
        .size:           4
        .value_kind:     hidden_block_count_y
      - .offset:         3160
        .size:           4
        .value_kind:     hidden_block_count_z
      - .offset:         3164
        .size:           2
        .value_kind:     hidden_group_size_x
      - .offset:         3166
        .size:           2
        .value_kind:     hidden_group_size_y
      - .offset:         3168
        .size:           2
        .value_kind:     hidden_group_size_z
      - .offset:         3170
        .size:           2
        .value_kind:     hidden_remainder_x
      - .offset:         3172
        .size:           2
        .value_kind:     hidden_remainder_y
      - .offset:         3174
        .size:           2
        .value_kind:     hidden_remainder_z
      - .offset:         3192
        .size:           8
        .value_kind:     hidden_global_offset_x
      - .offset:         3200
        .size:           8
        .value_kind:     hidden_global_offset_y
      - .offset:         3208
        .size:           8
        .value_kind:     hidden_global_offset_z
      - .offset:         3216
        .size:           2
        .value_kind:     hidden_grid_dims
    .group_segment_fixed_size: 0
    .kernarg_segment_align: 8
    .kernarg_segment_size: 3408
    .language:       OpenCL C
    .language_version:
      - 2
      - 0
    .max_flat_workgroup_size: 512
    .name:           _ZN2at6native12_GLOBAL__N_125multi_tensor_apply_kernelINS1_18TensorListMetadataILi2EEENS1_14UnaryOpFunctorIdLi2ELi1ELi1EEEJNS0_5Log1pIdEEEEEvT_T0_DpT1_
    .private_segment_fixed_size: 0
    .sgpr_count:     51
    .sgpr_spill_count: 0
    .symbol:         _ZN2at6native12_GLOBAL__N_125multi_tensor_apply_kernelINS1_18TensorListMetadataILi2EEENS1_14UnaryOpFunctorIdLi2ELi1ELi1EEEJNS0_5Log1pIdEEEEEvT_T0_DpT1_.kd
    .uniform_work_group_size: 1
    .uses_dynamic_stack: false
    .vgpr_count:     59
    .vgpr_spill_count: 0
    .wavefront_size: 64
  - .args:
      - .offset:         0
        .size:           3144
        .value_kind:     by_value
      - .offset:         3144
        .size:           1
        .value_kind:     by_value
      - .offset:         3145
        .size:           1
        .value_kind:     by_value
      - .offset:         3152
        .size:           4
        .value_kind:     hidden_block_count_x
      - .offset:         3156
        .size:           4
        .value_kind:     hidden_block_count_y
      - .offset:         3160
        .size:           4
        .value_kind:     hidden_block_count_z
      - .offset:         3164
        .size:           2
        .value_kind:     hidden_group_size_x
      - .offset:         3166
        .size:           2
        .value_kind:     hidden_group_size_y
      - .offset:         3168
        .size:           2
        .value_kind:     hidden_group_size_z
      - .offset:         3170
        .size:           2
        .value_kind:     hidden_remainder_x
      - .offset:         3172
        .size:           2
        .value_kind:     hidden_remainder_y
      - .offset:         3174
        .size:           2
        .value_kind:     hidden_remainder_z
      - .offset:         3192
        .size:           8
        .value_kind:     hidden_global_offset_x
      - .offset:         3200
        .size:           8
        .value_kind:     hidden_global_offset_y
      - .offset:         3208
        .size:           8
        .value_kind:     hidden_global_offset_z
      - .offset:         3216
        .size:           2
        .value_kind:     hidden_grid_dims
    .group_segment_fixed_size: 0
    .kernarg_segment_align: 8
    .kernarg_segment_size: 3408
    .language:       OpenCL C
    .language_version:
      - 2
      - 0
    .max_flat_workgroup_size: 512
    .name:           _ZN2at6native12_GLOBAL__N_125multi_tensor_apply_kernelINS1_18TensorListMetadataILi2EEENS1_14UnaryOpFunctorIfLi2ELi1ELi1EEEJNS0_5Log1pIfEEEEEvT_T0_DpT1_
    .private_segment_fixed_size: 0
    .sgpr_count:     28
    .sgpr_spill_count: 0
    .symbol:         _ZN2at6native12_GLOBAL__N_125multi_tensor_apply_kernelINS1_18TensorListMetadataILi2EEENS1_14UnaryOpFunctorIfLi2ELi1ELi1EEEJNS0_5Log1pIfEEEEEvT_T0_DpT1_.kd
    .uniform_work_group_size: 1
    .uses_dynamic_stack: false
    .vgpr_count:     45
    .vgpr_spill_count: 0
    .wavefront_size: 64
  - .args:
      - .offset:         0
        .size:           3144
        .value_kind:     by_value
      - .offset:         3144
        .size:           1
        .value_kind:     by_value
      - .offset:         3145
        .size:           1
        .value_kind:     by_value
      - .offset:         3152
        .size:           4
        .value_kind:     hidden_block_count_x
      - .offset:         3156
        .size:           4
        .value_kind:     hidden_block_count_y
      - .offset:         3160
        .size:           4
        .value_kind:     hidden_block_count_z
      - .offset:         3164
        .size:           2
        .value_kind:     hidden_group_size_x
      - .offset:         3166
        .size:           2
        .value_kind:     hidden_group_size_y
      - .offset:         3168
        .size:           2
        .value_kind:     hidden_group_size_z
      - .offset:         3170
        .size:           2
        .value_kind:     hidden_remainder_x
      - .offset:         3172
        .size:           2
        .value_kind:     hidden_remainder_y
      - .offset:         3174
        .size:           2
        .value_kind:     hidden_remainder_z
      - .offset:         3192
        .size:           8
        .value_kind:     hidden_global_offset_x
      - .offset:         3200
        .size:           8
        .value_kind:     hidden_global_offset_y
      - .offset:         3208
        .size:           8
        .value_kind:     hidden_global_offset_z
      - .offset:         3216
        .size:           2
        .value_kind:     hidden_grid_dims
    .group_segment_fixed_size: 0
    .kernarg_segment_align: 8
    .kernarg_segment_size: 3408
    .language:       OpenCL C
    .language_version:
      - 2
      - 0
    .max_flat_workgroup_size: 512
    .name:           _ZN2at6native12_GLOBAL__N_125multi_tensor_apply_kernelINS1_18TensorListMetadataILi2EEENS1_14UnaryOpFunctorIN3c107complexIdEELi2ELi1ELi1EEEJNS0_5Log1pIS8_EEEEEvT_T0_DpT1_
    .private_segment_fixed_size: 0
    .sgpr_count:     100
    .sgpr_spill_count: 9
    .symbol:         _ZN2at6native12_GLOBAL__N_125multi_tensor_apply_kernelINS1_18TensorListMetadataILi2EEENS1_14UnaryOpFunctorIN3c107complexIdEELi2ELi1ELi1EEEJNS0_5Log1pIS8_EEEEEvT_T0_DpT1_.kd
    .uniform_work_group_size: 1
    .uses_dynamic_stack: false
    .vgpr_count:     82
    .vgpr_spill_count: 0
    .wavefront_size: 64
  - .args:
      - .offset:         0
        .size:           3144
        .value_kind:     by_value
      - .offset:         3144
        .size:           1
        .value_kind:     by_value
      - .offset:         3145
        .size:           1
        .value_kind:     by_value
      - .offset:         3152
        .size:           4
        .value_kind:     hidden_block_count_x
      - .offset:         3156
        .size:           4
        .value_kind:     hidden_block_count_y
      - .offset:         3160
        .size:           4
        .value_kind:     hidden_block_count_z
      - .offset:         3164
        .size:           2
        .value_kind:     hidden_group_size_x
      - .offset:         3166
        .size:           2
        .value_kind:     hidden_group_size_y
      - .offset:         3168
        .size:           2
        .value_kind:     hidden_group_size_z
      - .offset:         3170
        .size:           2
        .value_kind:     hidden_remainder_x
      - .offset:         3172
        .size:           2
        .value_kind:     hidden_remainder_y
      - .offset:         3174
        .size:           2
        .value_kind:     hidden_remainder_z
      - .offset:         3192
        .size:           8
        .value_kind:     hidden_global_offset_x
      - .offset:         3200
        .size:           8
        .value_kind:     hidden_global_offset_y
      - .offset:         3208
        .size:           8
        .value_kind:     hidden_global_offset_z
      - .offset:         3216
        .size:           2
        .value_kind:     hidden_grid_dims
    .group_segment_fixed_size: 0
    .kernarg_segment_align: 8
    .kernarg_segment_size: 3408
    .language:       OpenCL C
    .language_version:
      - 2
      - 0
    .max_flat_workgroup_size: 512
    .name:           _ZN2at6native12_GLOBAL__N_125multi_tensor_apply_kernelINS1_18TensorListMetadataILi2EEENS1_14UnaryOpFunctorIN3c107complexIfEELi2ELi1ELi1EEEJNS0_5Log1pIS8_EEEEEvT_T0_DpT1_
    .private_segment_fixed_size: 0
    .sgpr_count:     42
    .sgpr_spill_count: 0
    .symbol:         _ZN2at6native12_GLOBAL__N_125multi_tensor_apply_kernelINS1_18TensorListMetadataILi2EEENS1_14UnaryOpFunctorIN3c107complexIfEELi2ELi1ELi1EEEJNS0_5Log1pIS8_EEEEEvT_T0_DpT1_.kd
    .uniform_work_group_size: 1
    .uses_dynamic_stack: false
    .vgpr_count:     54
    .vgpr_spill_count: 0
    .wavefront_size: 64
  - .args:
      - .offset:         0
        .size:           3144
        .value_kind:     by_value
      - .offset:         3144
        .size:           1
        .value_kind:     by_value
      - .offset:         3145
        .size:           1
        .value_kind:     by_value
      - .offset:         3152
        .size:           4
        .value_kind:     hidden_block_count_x
      - .offset:         3156
        .size:           4
        .value_kind:     hidden_block_count_y
      - .offset:         3160
        .size:           4
        .value_kind:     hidden_block_count_z
      - .offset:         3164
        .size:           2
        .value_kind:     hidden_group_size_x
      - .offset:         3166
        .size:           2
        .value_kind:     hidden_group_size_y
      - .offset:         3168
        .size:           2
        .value_kind:     hidden_group_size_z
      - .offset:         3170
        .size:           2
        .value_kind:     hidden_remainder_x
      - .offset:         3172
        .size:           2
        .value_kind:     hidden_remainder_y
      - .offset:         3174
        .size:           2
        .value_kind:     hidden_remainder_z
      - .offset:         3192
        .size:           8
        .value_kind:     hidden_global_offset_x
      - .offset:         3200
        .size:           8
        .value_kind:     hidden_global_offset_y
      - .offset:         3208
        .size:           8
        .value_kind:     hidden_global_offset_z
      - .offset:         3216
        .size:           2
        .value_kind:     hidden_grid_dims
    .group_segment_fixed_size: 0
    .kernarg_segment_align: 8
    .kernarg_segment_size: 3408
    .language:       OpenCL C
    .language_version:
      - 2
      - 0
    .max_flat_workgroup_size: 512
    .name:           _ZN2at6native12_GLOBAL__N_125multi_tensor_apply_kernelINS1_18TensorListMetadataILi2EEENS1_14UnaryOpFunctorIN3c104HalfELi2ELi1ELi1EEEJNS0_5Log1pIfEEEEEvT_T0_DpT1_
    .private_segment_fixed_size: 0
    .sgpr_count:     29
    .sgpr_spill_count: 0
    .symbol:         _ZN2at6native12_GLOBAL__N_125multi_tensor_apply_kernelINS1_18TensorListMetadataILi2EEENS1_14UnaryOpFunctorIN3c104HalfELi2ELi1ELi1EEEJNS0_5Log1pIfEEEEEvT_T0_DpT1_.kd
    .uniform_work_group_size: 1
    .uses_dynamic_stack: false
    .vgpr_count:     46
    .vgpr_spill_count: 0
    .wavefront_size: 64
  - .args:
      - .offset:         0
        .size:           3144
        .value_kind:     by_value
      - .offset:         3144
        .size:           1
        .value_kind:     by_value
      - .offset:         3145
        .size:           1
        .value_kind:     by_value
      - .offset:         3152
        .size:           4
        .value_kind:     hidden_block_count_x
      - .offset:         3156
        .size:           4
        .value_kind:     hidden_block_count_y
      - .offset:         3160
        .size:           4
        .value_kind:     hidden_block_count_z
      - .offset:         3164
        .size:           2
        .value_kind:     hidden_group_size_x
      - .offset:         3166
        .size:           2
        .value_kind:     hidden_group_size_y
      - .offset:         3168
        .size:           2
        .value_kind:     hidden_group_size_z
      - .offset:         3170
        .size:           2
        .value_kind:     hidden_remainder_x
      - .offset:         3172
        .size:           2
        .value_kind:     hidden_remainder_y
      - .offset:         3174
        .size:           2
        .value_kind:     hidden_remainder_z
      - .offset:         3192
        .size:           8
        .value_kind:     hidden_global_offset_x
      - .offset:         3200
        .size:           8
        .value_kind:     hidden_global_offset_y
      - .offset:         3208
        .size:           8
        .value_kind:     hidden_global_offset_z
      - .offset:         3216
        .size:           2
        .value_kind:     hidden_grid_dims
    .group_segment_fixed_size: 0
    .kernarg_segment_align: 8
    .kernarg_segment_size: 3408
    .language:       OpenCL C
    .language_version:
      - 2
      - 0
    .max_flat_workgroup_size: 512
    .name:           _ZN2at6native12_GLOBAL__N_125multi_tensor_apply_kernelINS1_18TensorListMetadataILi2EEENS1_14UnaryOpFunctorIN3c108BFloat16ELi2ELi1ELi1EEEJNS0_5Log1pIfEEEEEvT_T0_DpT1_
    .private_segment_fixed_size: 0
    .sgpr_count:     29
    .sgpr_spill_count: 0
    .symbol:         _ZN2at6native12_GLOBAL__N_125multi_tensor_apply_kernelINS1_18TensorListMetadataILi2EEENS1_14UnaryOpFunctorIN3c108BFloat16ELi2ELi1ELi1EEEJNS0_5Log1pIfEEEEEvT_T0_DpT1_.kd
    .uniform_work_group_size: 1
    .uses_dynamic_stack: false
    .vgpr_count:     46
    .vgpr_spill_count: 0
    .wavefront_size: 64
  - .args:
      - .offset:         0
        .size:           3368
        .value_kind:     by_value
      - .offset:         3368
        .size:           1
        .value_kind:     by_value
      - .offset:         3369
        .size:           1
        .value_kind:     by_value
      - .offset:         3376
        .size:           4
        .value_kind:     hidden_block_count_x
      - .offset:         3380
        .size:           4
        .value_kind:     hidden_block_count_y
      - .offset:         3384
        .size:           4
        .value_kind:     hidden_block_count_z
      - .offset:         3388
        .size:           2
        .value_kind:     hidden_group_size_x
      - .offset:         3390
        .size:           2
        .value_kind:     hidden_group_size_y
      - .offset:         3392
        .size:           2
        .value_kind:     hidden_group_size_z
      - .offset:         3394
        .size:           2
        .value_kind:     hidden_remainder_x
      - .offset:         3396
        .size:           2
        .value_kind:     hidden_remainder_y
      - .offset:         3398
        .size:           2
        .value_kind:     hidden_remainder_z
      - .offset:         3416
        .size:           8
        .value_kind:     hidden_global_offset_x
      - .offset:         3424
        .size:           8
        .value_kind:     hidden_global_offset_y
      - .offset:         3432
        .size:           8
        .value_kind:     hidden_global_offset_z
      - .offset:         3440
        .size:           2
        .value_kind:     hidden_grid_dims
    .group_segment_fixed_size: 0
    .kernarg_segment_align: 8
    .kernarg_segment_size: 3632
    .language:       OpenCL C
    .language_version:
      - 2
      - 0
    .max_flat_workgroup_size: 512
    .name:           _ZN2at6native12_GLOBAL__N_125multi_tensor_apply_kernelINS1_18TensorListMetadataILi1EEENS1_14UnaryOpFunctorIdLi1ELi1ELi0EEEJNS0_5Log1pIdEEEEEvT_T0_DpT1_
    .private_segment_fixed_size: 0
    .sgpr_count:     57
    .sgpr_spill_count: 0
    .symbol:         _ZN2at6native12_GLOBAL__N_125multi_tensor_apply_kernelINS1_18TensorListMetadataILi1EEENS1_14UnaryOpFunctorIdLi1ELi1ELi0EEEJNS0_5Log1pIdEEEEEvT_T0_DpT1_.kd
    .uniform_work_group_size: 1
    .uses_dynamic_stack: false
    .vgpr_count:     47
    .vgpr_spill_count: 0
    .wavefront_size: 64
  - .args:
      - .offset:         0
        .size:           3368
        .value_kind:     by_value
      - .offset:         3368
        .size:           1
        .value_kind:     by_value
      - .offset:         3369
        .size:           1
        .value_kind:     by_value
      - .offset:         3376
        .size:           4
        .value_kind:     hidden_block_count_x
      - .offset:         3380
        .size:           4
        .value_kind:     hidden_block_count_y
      - .offset:         3384
        .size:           4
        .value_kind:     hidden_block_count_z
      - .offset:         3388
        .size:           2
        .value_kind:     hidden_group_size_x
      - .offset:         3390
        .size:           2
        .value_kind:     hidden_group_size_y
      - .offset:         3392
        .size:           2
        .value_kind:     hidden_group_size_z
      - .offset:         3394
        .size:           2
        .value_kind:     hidden_remainder_x
      - .offset:         3396
        .size:           2
        .value_kind:     hidden_remainder_y
      - .offset:         3398
        .size:           2
        .value_kind:     hidden_remainder_z
      - .offset:         3416
        .size:           8
        .value_kind:     hidden_global_offset_x
      - .offset:         3424
        .size:           8
        .value_kind:     hidden_global_offset_y
      - .offset:         3432
        .size:           8
        .value_kind:     hidden_global_offset_z
      - .offset:         3440
        .size:           2
        .value_kind:     hidden_grid_dims
    .group_segment_fixed_size: 0
    .kernarg_segment_align: 8
    .kernarg_segment_size: 3632
    .language:       OpenCL C
    .language_version:
      - 2
      - 0
    .max_flat_workgroup_size: 512
    .name:           _ZN2at6native12_GLOBAL__N_125multi_tensor_apply_kernelINS1_18TensorListMetadataILi1EEENS1_14UnaryOpFunctorIfLi1ELi1ELi0EEEJNS0_5Log1pIfEEEEEvT_T0_DpT1_
    .private_segment_fixed_size: 0
    .sgpr_count:     36
    .sgpr_spill_count: 0
    .symbol:         _ZN2at6native12_GLOBAL__N_125multi_tensor_apply_kernelINS1_18TensorListMetadataILi1EEENS1_14UnaryOpFunctorIfLi1ELi1ELi0EEEJNS0_5Log1pIfEEEEEvT_T0_DpT1_.kd
    .uniform_work_group_size: 1
    .uses_dynamic_stack: false
    .vgpr_count:     33
    .vgpr_spill_count: 0
    .wavefront_size: 64
  - .args:
      - .offset:         0
        .size:           3368
        .value_kind:     by_value
      - .offset:         3368
        .size:           1
        .value_kind:     by_value
      - .offset:         3369
        .size:           1
        .value_kind:     by_value
      - .offset:         3376
        .size:           4
        .value_kind:     hidden_block_count_x
      - .offset:         3380
        .size:           4
        .value_kind:     hidden_block_count_y
      - .offset:         3384
        .size:           4
        .value_kind:     hidden_block_count_z
      - .offset:         3388
        .size:           2
        .value_kind:     hidden_group_size_x
      - .offset:         3390
        .size:           2
        .value_kind:     hidden_group_size_y
      - .offset:         3392
        .size:           2
        .value_kind:     hidden_group_size_z
      - .offset:         3394
        .size:           2
        .value_kind:     hidden_remainder_x
      - .offset:         3396
        .size:           2
        .value_kind:     hidden_remainder_y
      - .offset:         3398
        .size:           2
        .value_kind:     hidden_remainder_z
      - .offset:         3416
        .size:           8
        .value_kind:     hidden_global_offset_x
      - .offset:         3424
        .size:           8
        .value_kind:     hidden_global_offset_y
      - .offset:         3432
        .size:           8
        .value_kind:     hidden_global_offset_z
      - .offset:         3440
        .size:           2
        .value_kind:     hidden_grid_dims
    .group_segment_fixed_size: 0
    .kernarg_segment_align: 8
    .kernarg_segment_size: 3632
    .language:       OpenCL C
    .language_version:
      - 2
      - 0
    .max_flat_workgroup_size: 512
    .name:           _ZN2at6native12_GLOBAL__N_125multi_tensor_apply_kernelINS1_18TensorListMetadataILi1EEENS1_14UnaryOpFunctorIN3c107complexIdEELi1ELi1ELi0EEEJNS0_5Log1pIS8_EEEEEvT_T0_DpT1_
    .private_segment_fixed_size: 0
    .sgpr_count:     100
    .sgpr_spill_count: 11
    .symbol:         _ZN2at6native12_GLOBAL__N_125multi_tensor_apply_kernelINS1_18TensorListMetadataILi1EEENS1_14UnaryOpFunctorIN3c107complexIdEELi1ELi1ELi0EEEJNS0_5Log1pIS8_EEEEEvT_T0_DpT1_.kd
    .uniform_work_group_size: 1
    .uses_dynamic_stack: false
    .vgpr_count:     86
    .vgpr_spill_count: 0
    .wavefront_size: 64
  - .args:
      - .offset:         0
        .size:           3368
        .value_kind:     by_value
      - .offset:         3368
        .size:           1
        .value_kind:     by_value
      - .offset:         3369
        .size:           1
        .value_kind:     by_value
      - .offset:         3376
        .size:           4
        .value_kind:     hidden_block_count_x
      - .offset:         3380
        .size:           4
        .value_kind:     hidden_block_count_y
      - .offset:         3384
        .size:           4
        .value_kind:     hidden_block_count_z
      - .offset:         3388
        .size:           2
        .value_kind:     hidden_group_size_x
      - .offset:         3390
        .size:           2
        .value_kind:     hidden_group_size_y
      - .offset:         3392
        .size:           2
        .value_kind:     hidden_group_size_z
      - .offset:         3394
        .size:           2
        .value_kind:     hidden_remainder_x
      - .offset:         3396
        .size:           2
        .value_kind:     hidden_remainder_y
      - .offset:         3398
        .size:           2
        .value_kind:     hidden_remainder_z
      - .offset:         3416
        .size:           8
        .value_kind:     hidden_global_offset_x
      - .offset:         3424
        .size:           8
        .value_kind:     hidden_global_offset_y
      - .offset:         3432
        .size:           8
        .value_kind:     hidden_global_offset_z
      - .offset:         3440
        .size:           2
        .value_kind:     hidden_grid_dims
    .group_segment_fixed_size: 0
    .kernarg_segment_align: 8
    .kernarg_segment_size: 3632
    .language:       OpenCL C
    .language_version:
      - 2
      - 0
    .max_flat_workgroup_size: 512
    .name:           _ZN2at6native12_GLOBAL__N_125multi_tensor_apply_kernelINS1_18TensorListMetadataILi1EEENS1_14UnaryOpFunctorIN3c107complexIfEELi1ELi1ELi0EEEJNS0_5Log1pIS8_EEEEEvT_T0_DpT1_
    .private_segment_fixed_size: 0
    .sgpr_count:     46
    .sgpr_spill_count: 0
    .symbol:         _ZN2at6native12_GLOBAL__N_125multi_tensor_apply_kernelINS1_18TensorListMetadataILi1EEENS1_14UnaryOpFunctorIN3c107complexIfEELi1ELi1ELi0EEEJNS0_5Log1pIS8_EEEEEvT_T0_DpT1_.kd
    .uniform_work_group_size: 1
    .uses_dynamic_stack: false
    .vgpr_count:     58
    .vgpr_spill_count: 0
    .wavefront_size: 64
  - .args:
      - .offset:         0
        .size:           3368
        .value_kind:     by_value
      - .offset:         3368
        .size:           1
        .value_kind:     by_value
      - .offset:         3369
        .size:           1
        .value_kind:     by_value
      - .offset:         3376
        .size:           4
        .value_kind:     hidden_block_count_x
      - .offset:         3380
        .size:           4
        .value_kind:     hidden_block_count_y
      - .offset:         3384
        .size:           4
        .value_kind:     hidden_block_count_z
      - .offset:         3388
        .size:           2
        .value_kind:     hidden_group_size_x
      - .offset:         3390
        .size:           2
        .value_kind:     hidden_group_size_y
      - .offset:         3392
        .size:           2
        .value_kind:     hidden_group_size_z
      - .offset:         3394
        .size:           2
        .value_kind:     hidden_remainder_x
      - .offset:         3396
        .size:           2
        .value_kind:     hidden_remainder_y
      - .offset:         3398
        .size:           2
        .value_kind:     hidden_remainder_z
      - .offset:         3416
        .size:           8
        .value_kind:     hidden_global_offset_x
      - .offset:         3424
        .size:           8
        .value_kind:     hidden_global_offset_y
      - .offset:         3432
        .size:           8
        .value_kind:     hidden_global_offset_z
      - .offset:         3440
        .size:           2
        .value_kind:     hidden_grid_dims
    .group_segment_fixed_size: 0
    .kernarg_segment_align: 8
    .kernarg_segment_size: 3632
    .language:       OpenCL C
    .language_version:
      - 2
      - 0
    .max_flat_workgroup_size: 512
    .name:           _ZN2at6native12_GLOBAL__N_125multi_tensor_apply_kernelINS1_18TensorListMetadataILi1EEENS1_14UnaryOpFunctorIN3c104HalfELi1ELi1ELi0EEEJNS0_5Log1pIfEEEEEvT_T0_DpT1_
    .private_segment_fixed_size: 0
    .sgpr_count:     35
    .sgpr_spill_count: 0
    .symbol:         _ZN2at6native12_GLOBAL__N_125multi_tensor_apply_kernelINS1_18TensorListMetadataILi1EEENS1_14UnaryOpFunctorIN3c104HalfELi1ELi1ELi0EEEJNS0_5Log1pIfEEEEEvT_T0_DpT1_.kd
    .uniform_work_group_size: 1
    .uses_dynamic_stack: false
    .vgpr_count:     33
    .vgpr_spill_count: 0
    .wavefront_size: 64
  - .args:
      - .offset:         0
        .size:           3368
        .value_kind:     by_value
      - .offset:         3368
        .size:           1
        .value_kind:     by_value
      - .offset:         3369
        .size:           1
        .value_kind:     by_value
      - .offset:         3376
        .size:           4
        .value_kind:     hidden_block_count_x
      - .offset:         3380
        .size:           4
        .value_kind:     hidden_block_count_y
      - .offset:         3384
        .size:           4
        .value_kind:     hidden_block_count_z
      - .offset:         3388
        .size:           2
        .value_kind:     hidden_group_size_x
      - .offset:         3390
        .size:           2
        .value_kind:     hidden_group_size_y
      - .offset:         3392
        .size:           2
        .value_kind:     hidden_group_size_z
      - .offset:         3394
        .size:           2
        .value_kind:     hidden_remainder_x
      - .offset:         3396
        .size:           2
        .value_kind:     hidden_remainder_y
      - .offset:         3398
        .size:           2
        .value_kind:     hidden_remainder_z
      - .offset:         3416
        .size:           8
        .value_kind:     hidden_global_offset_x
      - .offset:         3424
        .size:           8
        .value_kind:     hidden_global_offset_y
      - .offset:         3432
        .size:           8
        .value_kind:     hidden_global_offset_z
      - .offset:         3440
        .size:           2
        .value_kind:     hidden_grid_dims
    .group_segment_fixed_size: 0
    .kernarg_segment_align: 8
    .kernarg_segment_size: 3632
    .language:       OpenCL C
    .language_version:
      - 2
      - 0
    .max_flat_workgroup_size: 512
    .name:           _ZN2at6native12_GLOBAL__N_125multi_tensor_apply_kernelINS1_18TensorListMetadataILi1EEENS1_14UnaryOpFunctorIN3c108BFloat16ELi1ELi1ELi0EEEJNS0_5Log1pIfEEEEEvT_T0_DpT1_
    .private_segment_fixed_size: 0
    .sgpr_count:     36
    .sgpr_spill_count: 0
    .symbol:         _ZN2at6native12_GLOBAL__N_125multi_tensor_apply_kernelINS1_18TensorListMetadataILi1EEENS1_14UnaryOpFunctorIN3c108BFloat16ELi1ELi1ELi0EEEJNS0_5Log1pIfEEEEEvT_T0_DpT1_.kd
    .uniform_work_group_size: 1
    .uses_dynamic_stack: false
    .vgpr_count:     33
    .vgpr_spill_count: 0
    .wavefront_size: 64
  - .args:
      - .offset:         0
        .size:           3144
        .value_kind:     by_value
      - .offset:         3144
        .size:           1
        .value_kind:     by_value
      - .offset:         3145
        .size:           1
        .value_kind:     by_value
      - .offset:         3152
        .size:           4
        .value_kind:     hidden_block_count_x
      - .offset:         3156
        .size:           4
        .value_kind:     hidden_block_count_y
      - .offset:         3160
        .size:           4
        .value_kind:     hidden_block_count_z
      - .offset:         3164
        .size:           2
        .value_kind:     hidden_group_size_x
      - .offset:         3166
        .size:           2
        .value_kind:     hidden_group_size_y
      - .offset:         3168
        .size:           2
        .value_kind:     hidden_group_size_z
      - .offset:         3170
        .size:           2
        .value_kind:     hidden_remainder_x
      - .offset:         3172
        .size:           2
        .value_kind:     hidden_remainder_y
      - .offset:         3174
        .size:           2
        .value_kind:     hidden_remainder_z
      - .offset:         3192
        .size:           8
        .value_kind:     hidden_global_offset_x
      - .offset:         3200
        .size:           8
        .value_kind:     hidden_global_offset_y
      - .offset:         3208
        .size:           8
        .value_kind:     hidden_global_offset_z
      - .offset:         3216
        .size:           2
        .value_kind:     hidden_grid_dims
    .group_segment_fixed_size: 0
    .kernarg_segment_align: 8
    .kernarg_segment_size: 3408
    .language:       OpenCL C
    .language_version:
      - 2
      - 0
    .max_flat_workgroup_size: 512
    .name:           _ZN2at6native12_GLOBAL__N_125multi_tensor_apply_kernelINS1_18TensorListMetadataILi2EEENS1_14UnaryOpFunctorIdLi2ELi1ELi1EEEJNS0_3CosIdEEEEEvT_T0_DpT1_
    .private_segment_fixed_size: 0
    .sgpr_count:     73
    .sgpr_spill_count: 0
    .symbol:         _ZN2at6native12_GLOBAL__N_125multi_tensor_apply_kernelINS1_18TensorListMetadataILi2EEENS1_14UnaryOpFunctorIdLi2ELi1ELi1EEEJNS0_3CosIdEEEEEvT_T0_DpT1_.kd
    .uniform_work_group_size: 1
    .uses_dynamic_stack: false
    .vgpr_count:     80
    .vgpr_spill_count: 0
    .wavefront_size: 64
  - .args:
      - .offset:         0
        .size:           3144
        .value_kind:     by_value
      - .offset:         3144
        .size:           1
        .value_kind:     by_value
      - .offset:         3145
        .size:           1
        .value_kind:     by_value
      - .offset:         3152
        .size:           4
        .value_kind:     hidden_block_count_x
      - .offset:         3156
        .size:           4
        .value_kind:     hidden_block_count_y
      - .offset:         3160
        .size:           4
        .value_kind:     hidden_block_count_z
      - .offset:         3164
        .size:           2
        .value_kind:     hidden_group_size_x
      - .offset:         3166
        .size:           2
        .value_kind:     hidden_group_size_y
      - .offset:         3168
        .size:           2
        .value_kind:     hidden_group_size_z
      - .offset:         3170
        .size:           2
        .value_kind:     hidden_remainder_x
      - .offset:         3172
        .size:           2
        .value_kind:     hidden_remainder_y
      - .offset:         3174
        .size:           2
        .value_kind:     hidden_remainder_z
      - .offset:         3192
        .size:           8
        .value_kind:     hidden_global_offset_x
      - .offset:         3200
        .size:           8
        .value_kind:     hidden_global_offset_y
      - .offset:         3208
        .size:           8
        .value_kind:     hidden_global_offset_z
      - .offset:         3216
        .size:           2
        .value_kind:     hidden_grid_dims
    .group_segment_fixed_size: 0
    .kernarg_segment_align: 8
    .kernarg_segment_size: 3408
    .language:       OpenCL C
    .language_version:
      - 2
      - 0
    .max_flat_workgroup_size: 512
    .name:           _ZN2at6native12_GLOBAL__N_125multi_tensor_apply_kernelINS1_18TensorListMetadataILi2EEENS1_14UnaryOpFunctorIfLi2ELi1ELi1EEEJNS0_3CosIfEEEEEvT_T0_DpT1_
    .private_segment_fixed_size: 0
    .sgpr_count:     43
    .sgpr_spill_count: 0
    .symbol:         _ZN2at6native12_GLOBAL__N_125multi_tensor_apply_kernelINS1_18TensorListMetadataILi2EEENS1_14UnaryOpFunctorIfLi2ELi1ELi1EEEJNS0_3CosIfEEEEEvT_T0_DpT1_.kd
    .uniform_work_group_size: 1
    .uses_dynamic_stack: false
    .vgpr_count:     52
    .vgpr_spill_count: 0
    .wavefront_size: 64
  - .args:
      - .offset:         0
        .size:           3144
        .value_kind:     by_value
      - .offset:         3144
        .size:           1
        .value_kind:     by_value
      - .offset:         3145
        .size:           1
        .value_kind:     by_value
      - .offset:         3152
        .size:           4
        .value_kind:     hidden_block_count_x
      - .offset:         3156
        .size:           4
        .value_kind:     hidden_block_count_y
      - .offset:         3160
        .size:           4
        .value_kind:     hidden_block_count_z
      - .offset:         3164
        .size:           2
        .value_kind:     hidden_group_size_x
      - .offset:         3166
        .size:           2
        .value_kind:     hidden_group_size_y
      - .offset:         3168
        .size:           2
        .value_kind:     hidden_group_size_z
      - .offset:         3170
        .size:           2
        .value_kind:     hidden_remainder_x
      - .offset:         3172
        .size:           2
        .value_kind:     hidden_remainder_y
      - .offset:         3174
        .size:           2
        .value_kind:     hidden_remainder_z
      - .offset:         3192
        .size:           8
        .value_kind:     hidden_global_offset_x
      - .offset:         3200
        .size:           8
        .value_kind:     hidden_global_offset_y
      - .offset:         3208
        .size:           8
        .value_kind:     hidden_global_offset_z
      - .offset:         3216
        .size:           2
        .value_kind:     hidden_grid_dims
    .group_segment_fixed_size: 0
    .kernarg_segment_align: 8
    .kernarg_segment_size: 3408
    .language:       OpenCL C
    .language_version:
      - 2
      - 0
    .max_flat_workgroup_size: 512
    .name:           _ZN2at6native12_GLOBAL__N_125multi_tensor_apply_kernelINS1_18TensorListMetadataILi2EEENS1_14UnaryOpFunctorIN3c107complexIdEELi2ELi1ELi1EEEJNS0_3CosIS8_EEEEEvT_T0_DpT1_
    .private_segment_fixed_size: 0
    .sgpr_count:     68
    .sgpr_spill_count: 0
    .symbol:         _ZN2at6native12_GLOBAL__N_125multi_tensor_apply_kernelINS1_18TensorListMetadataILi2EEENS1_14UnaryOpFunctorIN3c107complexIdEELi2ELi1ELi1EEEJNS0_3CosIS8_EEEEEvT_T0_DpT1_.kd
    .uniform_work_group_size: 1
    .uses_dynamic_stack: false
    .vgpr_count:     67
    .vgpr_spill_count: 0
    .wavefront_size: 64
  - .args:
      - .offset:         0
        .size:           3144
        .value_kind:     by_value
      - .offset:         3144
        .size:           1
        .value_kind:     by_value
      - .offset:         3145
        .size:           1
        .value_kind:     by_value
      - .offset:         3152
        .size:           4
        .value_kind:     hidden_block_count_x
      - .offset:         3156
        .size:           4
        .value_kind:     hidden_block_count_y
      - .offset:         3160
        .size:           4
        .value_kind:     hidden_block_count_z
      - .offset:         3164
        .size:           2
        .value_kind:     hidden_group_size_x
      - .offset:         3166
        .size:           2
        .value_kind:     hidden_group_size_y
      - .offset:         3168
        .size:           2
        .value_kind:     hidden_group_size_z
      - .offset:         3170
        .size:           2
        .value_kind:     hidden_remainder_x
      - .offset:         3172
        .size:           2
        .value_kind:     hidden_remainder_y
      - .offset:         3174
        .size:           2
        .value_kind:     hidden_remainder_z
      - .offset:         3192
        .size:           8
        .value_kind:     hidden_global_offset_x
      - .offset:         3200
        .size:           8
        .value_kind:     hidden_global_offset_y
      - .offset:         3208
        .size:           8
        .value_kind:     hidden_global_offset_z
      - .offset:         3216
        .size:           2
        .value_kind:     hidden_grid_dims
    .group_segment_fixed_size: 0
    .kernarg_segment_align: 8
    .kernarg_segment_size: 3408
    .language:       OpenCL C
    .language_version:
      - 2
      - 0
    .max_flat_workgroup_size: 512
    .name:           _ZN2at6native12_GLOBAL__N_125multi_tensor_apply_kernelINS1_18TensorListMetadataILi2EEENS1_14UnaryOpFunctorIN3c107complexIfEELi2ELi1ELi1EEEJNS0_3CosIS8_EEEEEvT_T0_DpT1_
    .private_segment_fixed_size: 0
    .sgpr_count:     56
    .sgpr_spill_count: 0
    .symbol:         _ZN2at6native12_GLOBAL__N_125multi_tensor_apply_kernelINS1_18TensorListMetadataILi2EEENS1_14UnaryOpFunctorIN3c107complexIfEELi2ELi1ELi1EEEJNS0_3CosIS8_EEEEEvT_T0_DpT1_.kd
    .uniform_work_group_size: 1
    .uses_dynamic_stack: false
    .vgpr_count:     35
    .vgpr_spill_count: 0
    .wavefront_size: 64
  - .args:
      - .offset:         0
        .size:           3144
        .value_kind:     by_value
      - .offset:         3144
        .size:           1
        .value_kind:     by_value
      - .offset:         3145
        .size:           1
        .value_kind:     by_value
      - .offset:         3152
        .size:           4
        .value_kind:     hidden_block_count_x
      - .offset:         3156
        .size:           4
        .value_kind:     hidden_block_count_y
      - .offset:         3160
        .size:           4
        .value_kind:     hidden_block_count_z
      - .offset:         3164
        .size:           2
        .value_kind:     hidden_group_size_x
      - .offset:         3166
        .size:           2
        .value_kind:     hidden_group_size_y
      - .offset:         3168
        .size:           2
        .value_kind:     hidden_group_size_z
      - .offset:         3170
        .size:           2
        .value_kind:     hidden_remainder_x
      - .offset:         3172
        .size:           2
        .value_kind:     hidden_remainder_y
      - .offset:         3174
        .size:           2
        .value_kind:     hidden_remainder_z
      - .offset:         3192
        .size:           8
        .value_kind:     hidden_global_offset_x
      - .offset:         3200
        .size:           8
        .value_kind:     hidden_global_offset_y
      - .offset:         3208
        .size:           8
        .value_kind:     hidden_global_offset_z
      - .offset:         3216
        .size:           2
        .value_kind:     hidden_grid_dims
    .group_segment_fixed_size: 0
    .kernarg_segment_align: 8
    .kernarg_segment_size: 3408
    .language:       OpenCL C
    .language_version:
      - 2
      - 0
    .max_flat_workgroup_size: 512
    .name:           _ZN2at6native12_GLOBAL__N_125multi_tensor_apply_kernelINS1_18TensorListMetadataILi2EEENS1_14UnaryOpFunctorIN3c104HalfELi2ELi1ELi1EEEJNS0_3CosIfEEEEEvT_T0_DpT1_
    .private_segment_fixed_size: 0
    .sgpr_count:     41
    .sgpr_spill_count: 0
    .symbol:         _ZN2at6native12_GLOBAL__N_125multi_tensor_apply_kernelINS1_18TensorListMetadataILi2EEENS1_14UnaryOpFunctorIN3c104HalfELi2ELi1ELi1EEEJNS0_3CosIfEEEEEvT_T0_DpT1_.kd
    .uniform_work_group_size: 1
    .uses_dynamic_stack: false
    .vgpr_count:     52
    .vgpr_spill_count: 0
    .wavefront_size: 64
  - .args:
      - .offset:         0
        .size:           3144
        .value_kind:     by_value
      - .offset:         3144
        .size:           1
        .value_kind:     by_value
      - .offset:         3145
        .size:           1
        .value_kind:     by_value
      - .offset:         3152
        .size:           4
        .value_kind:     hidden_block_count_x
      - .offset:         3156
        .size:           4
        .value_kind:     hidden_block_count_y
      - .offset:         3160
        .size:           4
        .value_kind:     hidden_block_count_z
      - .offset:         3164
        .size:           2
        .value_kind:     hidden_group_size_x
      - .offset:         3166
        .size:           2
        .value_kind:     hidden_group_size_y
      - .offset:         3168
        .size:           2
        .value_kind:     hidden_group_size_z
      - .offset:         3170
        .size:           2
        .value_kind:     hidden_remainder_x
      - .offset:         3172
        .size:           2
        .value_kind:     hidden_remainder_y
      - .offset:         3174
        .size:           2
        .value_kind:     hidden_remainder_z
      - .offset:         3192
        .size:           8
        .value_kind:     hidden_global_offset_x
      - .offset:         3200
        .size:           8
        .value_kind:     hidden_global_offset_y
      - .offset:         3208
        .size:           8
        .value_kind:     hidden_global_offset_z
      - .offset:         3216
        .size:           2
        .value_kind:     hidden_grid_dims
    .group_segment_fixed_size: 0
    .kernarg_segment_align: 8
    .kernarg_segment_size: 3408
    .language:       OpenCL C
    .language_version:
      - 2
      - 0
    .max_flat_workgroup_size: 512
    .name:           _ZN2at6native12_GLOBAL__N_125multi_tensor_apply_kernelINS1_18TensorListMetadataILi2EEENS1_14UnaryOpFunctorIN3c108BFloat16ELi2ELi1ELi1EEEJNS0_3CosIfEEEEEvT_T0_DpT1_
    .private_segment_fixed_size: 0
    .sgpr_count:     44
    .sgpr_spill_count: 0
    .symbol:         _ZN2at6native12_GLOBAL__N_125multi_tensor_apply_kernelINS1_18TensorListMetadataILi2EEENS1_14UnaryOpFunctorIN3c108BFloat16ELi2ELi1ELi1EEEJNS0_3CosIfEEEEEvT_T0_DpT1_.kd
    .uniform_work_group_size: 1
    .uses_dynamic_stack: false
    .vgpr_count:     53
    .vgpr_spill_count: 0
    .wavefront_size: 64
  - .args:
      - .offset:         0
        .size:           3368
        .value_kind:     by_value
      - .offset:         3368
        .size:           1
        .value_kind:     by_value
      - .offset:         3369
        .size:           1
        .value_kind:     by_value
      - .offset:         3376
        .size:           4
        .value_kind:     hidden_block_count_x
      - .offset:         3380
        .size:           4
        .value_kind:     hidden_block_count_y
      - .offset:         3384
        .size:           4
        .value_kind:     hidden_block_count_z
      - .offset:         3388
        .size:           2
        .value_kind:     hidden_group_size_x
      - .offset:         3390
        .size:           2
        .value_kind:     hidden_group_size_y
      - .offset:         3392
        .size:           2
        .value_kind:     hidden_group_size_z
      - .offset:         3394
        .size:           2
        .value_kind:     hidden_remainder_x
      - .offset:         3396
        .size:           2
        .value_kind:     hidden_remainder_y
      - .offset:         3398
        .size:           2
        .value_kind:     hidden_remainder_z
      - .offset:         3416
        .size:           8
        .value_kind:     hidden_global_offset_x
      - .offset:         3424
        .size:           8
        .value_kind:     hidden_global_offset_y
      - .offset:         3432
        .size:           8
        .value_kind:     hidden_global_offset_z
      - .offset:         3440
        .size:           2
        .value_kind:     hidden_grid_dims
    .group_segment_fixed_size: 0
    .kernarg_segment_align: 8
    .kernarg_segment_size: 3632
    .language:       OpenCL C
    .language_version:
      - 2
      - 0
    .max_flat_workgroup_size: 512
    .name:           _ZN2at6native12_GLOBAL__N_125multi_tensor_apply_kernelINS1_18TensorListMetadataILi1EEENS1_14UnaryOpFunctorIdLi1ELi1ELi0EEEJNS0_3CosIdEEEEEvT_T0_DpT1_
    .private_segment_fixed_size: 0
    .sgpr_count:     76
    .sgpr_spill_count: 0
    .symbol:         _ZN2at6native12_GLOBAL__N_125multi_tensor_apply_kernelINS1_18TensorListMetadataILi1EEENS1_14UnaryOpFunctorIdLi1ELi1ELi0EEEJNS0_3CosIdEEEEEvT_T0_DpT1_.kd
    .uniform_work_group_size: 1
    .uses_dynamic_stack: false
    .vgpr_count:     73
    .vgpr_spill_count: 0
    .wavefront_size: 64
  - .args:
      - .offset:         0
        .size:           3368
        .value_kind:     by_value
      - .offset:         3368
        .size:           1
        .value_kind:     by_value
      - .offset:         3369
        .size:           1
        .value_kind:     by_value
      - .offset:         3376
        .size:           4
        .value_kind:     hidden_block_count_x
      - .offset:         3380
        .size:           4
        .value_kind:     hidden_block_count_y
      - .offset:         3384
        .size:           4
        .value_kind:     hidden_block_count_z
      - .offset:         3388
        .size:           2
        .value_kind:     hidden_group_size_x
      - .offset:         3390
        .size:           2
        .value_kind:     hidden_group_size_y
      - .offset:         3392
        .size:           2
        .value_kind:     hidden_group_size_z
      - .offset:         3394
        .size:           2
        .value_kind:     hidden_remainder_x
      - .offset:         3396
        .size:           2
        .value_kind:     hidden_remainder_y
      - .offset:         3398
        .size:           2
        .value_kind:     hidden_remainder_z
      - .offset:         3416
        .size:           8
        .value_kind:     hidden_global_offset_x
      - .offset:         3424
        .size:           8
        .value_kind:     hidden_global_offset_y
      - .offset:         3432
        .size:           8
        .value_kind:     hidden_global_offset_z
      - .offset:         3440
        .size:           2
        .value_kind:     hidden_grid_dims
    .group_segment_fixed_size: 0
    .kernarg_segment_align: 8
    .kernarg_segment_size: 3632
    .language:       OpenCL C
    .language_version:
      - 2
      - 0
    .max_flat_workgroup_size: 512
    .name:           _ZN2at6native12_GLOBAL__N_125multi_tensor_apply_kernelINS1_18TensorListMetadataILi1EEENS1_14UnaryOpFunctorIfLi1ELi1ELi0EEEJNS0_3CosIfEEEEEvT_T0_DpT1_
    .private_segment_fixed_size: 0
    .sgpr_count:     49
    .sgpr_spill_count: 0
    .symbol:         _ZN2at6native12_GLOBAL__N_125multi_tensor_apply_kernelINS1_18TensorListMetadataILi1EEENS1_14UnaryOpFunctorIfLi1ELi1ELi0EEEJNS0_3CosIfEEEEEvT_T0_DpT1_.kd
    .uniform_work_group_size: 1
    .uses_dynamic_stack: false
    .vgpr_count:     40
    .vgpr_spill_count: 0
    .wavefront_size: 64
  - .args:
      - .offset:         0
        .size:           3368
        .value_kind:     by_value
      - .offset:         3368
        .size:           1
        .value_kind:     by_value
      - .offset:         3369
        .size:           1
        .value_kind:     by_value
      - .offset:         3376
        .size:           4
        .value_kind:     hidden_block_count_x
      - .offset:         3380
        .size:           4
        .value_kind:     hidden_block_count_y
      - .offset:         3384
        .size:           4
        .value_kind:     hidden_block_count_z
      - .offset:         3388
        .size:           2
        .value_kind:     hidden_group_size_x
      - .offset:         3390
        .size:           2
        .value_kind:     hidden_group_size_y
      - .offset:         3392
        .size:           2
        .value_kind:     hidden_group_size_z
      - .offset:         3394
        .size:           2
        .value_kind:     hidden_remainder_x
      - .offset:         3396
        .size:           2
        .value_kind:     hidden_remainder_y
      - .offset:         3398
        .size:           2
        .value_kind:     hidden_remainder_z
      - .offset:         3416
        .size:           8
        .value_kind:     hidden_global_offset_x
      - .offset:         3424
        .size:           8
        .value_kind:     hidden_global_offset_y
      - .offset:         3432
        .size:           8
        .value_kind:     hidden_global_offset_z
      - .offset:         3440
        .size:           2
        .value_kind:     hidden_grid_dims
    .group_segment_fixed_size: 0
    .kernarg_segment_align: 8
    .kernarg_segment_size: 3632
    .language:       OpenCL C
    .language_version:
      - 2
      - 0
    .max_flat_workgroup_size: 512
    .name:           _ZN2at6native12_GLOBAL__N_125multi_tensor_apply_kernelINS1_18TensorListMetadataILi1EEENS1_14UnaryOpFunctorIN3c107complexIdEELi1ELi1ELi0EEEJNS0_3CosIS8_EEEEEvT_T0_DpT1_
    .private_segment_fixed_size: 0
    .sgpr_count:     71
    .sgpr_spill_count: 0
    .symbol:         _ZN2at6native12_GLOBAL__N_125multi_tensor_apply_kernelINS1_18TensorListMetadataILi1EEENS1_14UnaryOpFunctorIN3c107complexIdEELi1ELi1ELi0EEEJNS0_3CosIS8_EEEEEvT_T0_DpT1_.kd
    .uniform_work_group_size: 1
    .uses_dynamic_stack: false
    .vgpr_count:     71
    .vgpr_spill_count: 0
    .wavefront_size: 64
  - .args:
      - .offset:         0
        .size:           3368
        .value_kind:     by_value
      - .offset:         3368
        .size:           1
        .value_kind:     by_value
      - .offset:         3369
        .size:           1
        .value_kind:     by_value
      - .offset:         3376
        .size:           4
        .value_kind:     hidden_block_count_x
      - .offset:         3380
        .size:           4
        .value_kind:     hidden_block_count_y
      - .offset:         3384
        .size:           4
        .value_kind:     hidden_block_count_z
      - .offset:         3388
        .size:           2
        .value_kind:     hidden_group_size_x
      - .offset:         3390
        .size:           2
        .value_kind:     hidden_group_size_y
      - .offset:         3392
        .size:           2
        .value_kind:     hidden_group_size_z
      - .offset:         3394
        .size:           2
        .value_kind:     hidden_remainder_x
      - .offset:         3396
        .size:           2
        .value_kind:     hidden_remainder_y
      - .offset:         3398
        .size:           2
        .value_kind:     hidden_remainder_z
      - .offset:         3416
        .size:           8
        .value_kind:     hidden_global_offset_x
      - .offset:         3424
        .size:           8
        .value_kind:     hidden_global_offset_y
      - .offset:         3432
        .size:           8
        .value_kind:     hidden_global_offset_z
      - .offset:         3440
        .size:           2
        .value_kind:     hidden_grid_dims
    .group_segment_fixed_size: 0
    .kernarg_segment_align: 8
    .kernarg_segment_size: 3632
    .language:       OpenCL C
    .language_version:
      - 2
      - 0
    .max_flat_workgroup_size: 512
    .name:           _ZN2at6native12_GLOBAL__N_125multi_tensor_apply_kernelINS1_18TensorListMetadataILi1EEENS1_14UnaryOpFunctorIN3c107complexIfEELi1ELi1ELi0EEEJNS0_3CosIS8_EEEEEvT_T0_DpT1_
    .private_segment_fixed_size: 0
    .sgpr_count:     59
    .sgpr_spill_count: 0
    .symbol:         _ZN2at6native12_GLOBAL__N_125multi_tensor_apply_kernelINS1_18TensorListMetadataILi1EEENS1_14UnaryOpFunctorIN3c107complexIfEELi1ELi1ELi0EEEJNS0_3CosIS8_EEEEEvT_T0_DpT1_.kd
    .uniform_work_group_size: 1
    .uses_dynamic_stack: false
    .vgpr_count:     39
    .vgpr_spill_count: 0
    .wavefront_size: 64
  - .args:
      - .offset:         0
        .size:           3368
        .value_kind:     by_value
      - .offset:         3368
        .size:           1
        .value_kind:     by_value
      - .offset:         3369
        .size:           1
        .value_kind:     by_value
      - .offset:         3376
        .size:           4
        .value_kind:     hidden_block_count_x
      - .offset:         3380
        .size:           4
        .value_kind:     hidden_block_count_y
      - .offset:         3384
        .size:           4
        .value_kind:     hidden_block_count_z
      - .offset:         3388
        .size:           2
        .value_kind:     hidden_group_size_x
      - .offset:         3390
        .size:           2
        .value_kind:     hidden_group_size_y
      - .offset:         3392
        .size:           2
        .value_kind:     hidden_group_size_z
      - .offset:         3394
        .size:           2
        .value_kind:     hidden_remainder_x
      - .offset:         3396
        .size:           2
        .value_kind:     hidden_remainder_y
      - .offset:         3398
        .size:           2
        .value_kind:     hidden_remainder_z
      - .offset:         3416
        .size:           8
        .value_kind:     hidden_global_offset_x
      - .offset:         3424
        .size:           8
        .value_kind:     hidden_global_offset_y
      - .offset:         3432
        .size:           8
        .value_kind:     hidden_global_offset_z
      - .offset:         3440
        .size:           2
        .value_kind:     hidden_grid_dims
    .group_segment_fixed_size: 0
    .kernarg_segment_align: 8
    .kernarg_segment_size: 3632
    .language:       OpenCL C
    .language_version:
      - 2
      - 0
    .max_flat_workgroup_size: 512
    .name:           _ZN2at6native12_GLOBAL__N_125multi_tensor_apply_kernelINS1_18TensorListMetadataILi1EEENS1_14UnaryOpFunctorIN3c104HalfELi1ELi1ELi0EEEJNS0_3CosIfEEEEEvT_T0_DpT1_
    .private_segment_fixed_size: 0
    .sgpr_count:     48
    .sgpr_spill_count: 0
    .symbol:         _ZN2at6native12_GLOBAL__N_125multi_tensor_apply_kernelINS1_18TensorListMetadataILi1EEENS1_14UnaryOpFunctorIN3c104HalfELi1ELi1ELi0EEEJNS0_3CosIfEEEEEvT_T0_DpT1_.kd
    .uniform_work_group_size: 1
    .uses_dynamic_stack: false
    .vgpr_count:     40
    .vgpr_spill_count: 0
    .wavefront_size: 64
  - .args:
      - .offset:         0
        .size:           3368
        .value_kind:     by_value
      - .offset:         3368
        .size:           1
        .value_kind:     by_value
      - .offset:         3369
        .size:           1
        .value_kind:     by_value
      - .offset:         3376
        .size:           4
        .value_kind:     hidden_block_count_x
      - .offset:         3380
        .size:           4
        .value_kind:     hidden_block_count_y
      - .offset:         3384
        .size:           4
        .value_kind:     hidden_block_count_z
      - .offset:         3388
        .size:           2
        .value_kind:     hidden_group_size_x
      - .offset:         3390
        .size:           2
        .value_kind:     hidden_group_size_y
      - .offset:         3392
        .size:           2
        .value_kind:     hidden_group_size_z
      - .offset:         3394
        .size:           2
        .value_kind:     hidden_remainder_x
      - .offset:         3396
        .size:           2
        .value_kind:     hidden_remainder_y
      - .offset:         3398
        .size:           2
        .value_kind:     hidden_remainder_z
      - .offset:         3416
        .size:           8
        .value_kind:     hidden_global_offset_x
      - .offset:         3424
        .size:           8
        .value_kind:     hidden_global_offset_y
      - .offset:         3432
        .size:           8
        .value_kind:     hidden_global_offset_z
      - .offset:         3440
        .size:           2
        .value_kind:     hidden_grid_dims
    .group_segment_fixed_size: 0
    .kernarg_segment_align: 8
    .kernarg_segment_size: 3632
    .language:       OpenCL C
    .language_version:
      - 2
      - 0
    .max_flat_workgroup_size: 512
    .name:           _ZN2at6native12_GLOBAL__N_125multi_tensor_apply_kernelINS1_18TensorListMetadataILi1EEENS1_14UnaryOpFunctorIN3c108BFloat16ELi1ELi1ELi0EEEJNS0_3CosIfEEEEEvT_T0_DpT1_
    .private_segment_fixed_size: 0
    .sgpr_count:     49
    .sgpr_spill_count: 0
    .symbol:         _ZN2at6native12_GLOBAL__N_125multi_tensor_apply_kernelINS1_18TensorListMetadataILi1EEENS1_14UnaryOpFunctorIN3c108BFloat16ELi1ELi1ELi0EEEJNS0_3CosIfEEEEEvT_T0_DpT1_.kd
    .uniform_work_group_size: 1
    .uses_dynamic_stack: false
    .vgpr_count:     41
    .vgpr_spill_count: 0
    .wavefront_size: 64
  - .args:
      - .offset:         0
        .size:           3144
        .value_kind:     by_value
      - .offset:         3144
        .size:           1
        .value_kind:     by_value
      - .offset:         3145
        .size:           1
        .value_kind:     by_value
      - .offset:         3152
        .size:           4
        .value_kind:     hidden_block_count_x
      - .offset:         3156
        .size:           4
        .value_kind:     hidden_block_count_y
      - .offset:         3160
        .size:           4
        .value_kind:     hidden_block_count_z
      - .offset:         3164
        .size:           2
        .value_kind:     hidden_group_size_x
      - .offset:         3166
        .size:           2
        .value_kind:     hidden_group_size_y
      - .offset:         3168
        .size:           2
        .value_kind:     hidden_group_size_z
      - .offset:         3170
        .size:           2
        .value_kind:     hidden_remainder_x
      - .offset:         3172
        .size:           2
        .value_kind:     hidden_remainder_y
      - .offset:         3174
        .size:           2
        .value_kind:     hidden_remainder_z
      - .offset:         3192
        .size:           8
        .value_kind:     hidden_global_offset_x
      - .offset:         3200
        .size:           8
        .value_kind:     hidden_global_offset_y
      - .offset:         3208
        .size:           8
        .value_kind:     hidden_global_offset_z
      - .offset:         3216
        .size:           2
        .value_kind:     hidden_grid_dims
    .group_segment_fixed_size: 0
    .kernarg_segment_align: 8
    .kernarg_segment_size: 3408
    .language:       OpenCL C
    .language_version:
      - 2
      - 0
    .max_flat_workgroup_size: 512
    .name:           _ZN2at6native12_GLOBAL__N_125multi_tensor_apply_kernelINS1_18TensorListMetadataILi2EEENS1_14UnaryOpFunctorIdLi2ELi1ELi1EEEJNS0_4SqrtIdEEEEEvT_T0_DpT1_
    .private_segment_fixed_size: 0
    .sgpr_count:     30
    .sgpr_spill_count: 0
    .symbol:         _ZN2at6native12_GLOBAL__N_125multi_tensor_apply_kernelINS1_18TensorListMetadataILi2EEENS1_14UnaryOpFunctorIdLi2ELi1ELi1EEEJNS0_4SqrtIdEEEEEvT_T0_DpT1_.kd
    .uniform_work_group_size: 1
    .uses_dynamic_stack: false
    .vgpr_count:     45
    .vgpr_spill_count: 0
    .wavefront_size: 64
  - .args:
      - .offset:         0
        .size:           3144
        .value_kind:     by_value
      - .offset:         3144
        .size:           1
        .value_kind:     by_value
      - .offset:         3145
        .size:           1
        .value_kind:     by_value
      - .offset:         3152
        .size:           4
        .value_kind:     hidden_block_count_x
      - .offset:         3156
        .size:           4
        .value_kind:     hidden_block_count_y
      - .offset:         3160
        .size:           4
        .value_kind:     hidden_block_count_z
      - .offset:         3164
        .size:           2
        .value_kind:     hidden_group_size_x
      - .offset:         3166
        .size:           2
        .value_kind:     hidden_group_size_y
      - .offset:         3168
        .size:           2
        .value_kind:     hidden_group_size_z
      - .offset:         3170
        .size:           2
        .value_kind:     hidden_remainder_x
      - .offset:         3172
        .size:           2
        .value_kind:     hidden_remainder_y
      - .offset:         3174
        .size:           2
        .value_kind:     hidden_remainder_z
      - .offset:         3192
        .size:           8
        .value_kind:     hidden_global_offset_x
      - .offset:         3200
        .size:           8
        .value_kind:     hidden_global_offset_y
      - .offset:         3208
        .size:           8
        .value_kind:     hidden_global_offset_z
      - .offset:         3216
        .size:           2
        .value_kind:     hidden_grid_dims
    .group_segment_fixed_size: 0
    .kernarg_segment_align: 8
    .kernarg_segment_size: 3408
    .language:       OpenCL C
    .language_version:
      - 2
      - 0
    .max_flat_workgroup_size: 512
    .name:           _ZN2at6native12_GLOBAL__N_125multi_tensor_apply_kernelINS1_18TensorListMetadataILi2EEENS1_14UnaryOpFunctorIfLi2ELi1ELi1EEEJNS0_4SqrtIfEEEEEvT_T0_DpT1_
    .private_segment_fixed_size: 0
    .sgpr_count:     38
    .sgpr_spill_count: 0
    .symbol:         _ZN2at6native12_GLOBAL__N_125multi_tensor_apply_kernelINS1_18TensorListMetadataILi2EEENS1_14UnaryOpFunctorIfLi2ELi1ELi1EEEJNS0_4SqrtIfEEEEEvT_T0_DpT1_.kd
    .uniform_work_group_size: 1
    .uses_dynamic_stack: false
    .vgpr_count:     32
    .vgpr_spill_count: 0
    .wavefront_size: 64
  - .args:
      - .offset:         0
        .size:           3144
        .value_kind:     by_value
      - .offset:         3144
        .size:           1
        .value_kind:     by_value
      - .offset:         3145
        .size:           1
        .value_kind:     by_value
      - .offset:         3152
        .size:           4
        .value_kind:     hidden_block_count_x
      - .offset:         3156
        .size:           4
        .value_kind:     hidden_block_count_y
      - .offset:         3160
        .size:           4
        .value_kind:     hidden_block_count_z
      - .offset:         3164
        .size:           2
        .value_kind:     hidden_group_size_x
      - .offset:         3166
        .size:           2
        .value_kind:     hidden_group_size_y
      - .offset:         3168
        .size:           2
        .value_kind:     hidden_group_size_z
      - .offset:         3170
        .size:           2
        .value_kind:     hidden_remainder_x
      - .offset:         3172
        .size:           2
        .value_kind:     hidden_remainder_y
      - .offset:         3174
        .size:           2
        .value_kind:     hidden_remainder_z
      - .offset:         3192
        .size:           8
        .value_kind:     hidden_global_offset_x
      - .offset:         3200
        .size:           8
        .value_kind:     hidden_global_offset_y
      - .offset:         3208
        .size:           8
        .value_kind:     hidden_global_offset_z
      - .offset:         3216
        .size:           2
        .value_kind:     hidden_grid_dims
    .group_segment_fixed_size: 0
    .kernarg_segment_align: 8
    .kernarg_segment_size: 3408
    .language:       OpenCL C
    .language_version:
      - 2
      - 0
    .max_flat_workgroup_size: 512
    .name:           _ZN2at6native12_GLOBAL__N_125multi_tensor_apply_kernelINS1_18TensorListMetadataILi2EEENS1_14UnaryOpFunctorIN3c107complexIdEELi2ELi1ELi1EEEJNS0_4SqrtIS8_EEEEEvT_T0_DpT1_
    .private_segment_fixed_size: 0
    .sgpr_count:     56
    .sgpr_spill_count: 0
    .symbol:         _ZN2at6native12_GLOBAL__N_125multi_tensor_apply_kernelINS1_18TensorListMetadataILi2EEENS1_14UnaryOpFunctorIN3c107complexIdEELi2ELi1ELi1EEEJNS0_4SqrtIS8_EEEEEvT_T0_DpT1_.kd
    .uniform_work_group_size: 1
    .uses_dynamic_stack: false
    .vgpr_count:     42
    .vgpr_spill_count: 0
    .wavefront_size: 64
  - .args:
      - .offset:         0
        .size:           3144
        .value_kind:     by_value
      - .offset:         3144
        .size:           1
        .value_kind:     by_value
      - .offset:         3145
        .size:           1
        .value_kind:     by_value
      - .offset:         3152
        .size:           4
        .value_kind:     hidden_block_count_x
      - .offset:         3156
        .size:           4
        .value_kind:     hidden_block_count_y
      - .offset:         3160
        .size:           4
        .value_kind:     hidden_block_count_z
      - .offset:         3164
        .size:           2
        .value_kind:     hidden_group_size_x
      - .offset:         3166
        .size:           2
        .value_kind:     hidden_group_size_y
      - .offset:         3168
        .size:           2
        .value_kind:     hidden_group_size_z
      - .offset:         3170
        .size:           2
        .value_kind:     hidden_remainder_x
      - .offset:         3172
        .size:           2
        .value_kind:     hidden_remainder_y
      - .offset:         3174
        .size:           2
        .value_kind:     hidden_remainder_z
      - .offset:         3192
        .size:           8
        .value_kind:     hidden_global_offset_x
      - .offset:         3200
        .size:           8
        .value_kind:     hidden_global_offset_y
      - .offset:         3208
        .size:           8
        .value_kind:     hidden_global_offset_z
      - .offset:         3216
        .size:           2
        .value_kind:     hidden_grid_dims
    .group_segment_fixed_size: 0
    .kernarg_segment_align: 8
    .kernarg_segment_size: 3408
    .language:       OpenCL C
    .language_version:
      - 2
      - 0
    .max_flat_workgroup_size: 512
    .name:           _ZN2at6native12_GLOBAL__N_125multi_tensor_apply_kernelINS1_18TensorListMetadataILi2EEENS1_14UnaryOpFunctorIN3c107complexIfEELi2ELi1ELi1EEEJNS0_4SqrtIS8_EEEEEvT_T0_DpT1_
    .private_segment_fixed_size: 0
    .sgpr_count:     50
    .sgpr_spill_count: 0
    .symbol:         _ZN2at6native12_GLOBAL__N_125multi_tensor_apply_kernelINS1_18TensorListMetadataILi2EEENS1_14UnaryOpFunctorIN3c107complexIfEELi2ELi1ELi1EEEJNS0_4SqrtIS8_EEEEEvT_T0_DpT1_.kd
    .uniform_work_group_size: 1
    .uses_dynamic_stack: false
    .vgpr_count:     26
    .vgpr_spill_count: 0
    .wavefront_size: 64
  - .args:
      - .offset:         0
        .size:           3144
        .value_kind:     by_value
      - .offset:         3144
        .size:           1
        .value_kind:     by_value
      - .offset:         3145
        .size:           1
        .value_kind:     by_value
      - .offset:         3152
        .size:           4
        .value_kind:     hidden_block_count_x
      - .offset:         3156
        .size:           4
        .value_kind:     hidden_block_count_y
      - .offset:         3160
        .size:           4
        .value_kind:     hidden_block_count_z
      - .offset:         3164
        .size:           2
        .value_kind:     hidden_group_size_x
      - .offset:         3166
        .size:           2
        .value_kind:     hidden_group_size_y
      - .offset:         3168
        .size:           2
        .value_kind:     hidden_group_size_z
      - .offset:         3170
        .size:           2
        .value_kind:     hidden_remainder_x
      - .offset:         3172
        .size:           2
        .value_kind:     hidden_remainder_y
      - .offset:         3174
        .size:           2
        .value_kind:     hidden_remainder_z
      - .offset:         3192
        .size:           8
        .value_kind:     hidden_global_offset_x
      - .offset:         3200
        .size:           8
        .value_kind:     hidden_global_offset_y
      - .offset:         3208
        .size:           8
        .value_kind:     hidden_global_offset_z
      - .offset:         3216
        .size:           2
        .value_kind:     hidden_grid_dims
    .group_segment_fixed_size: 0
    .kernarg_segment_align: 8
    .kernarg_segment_size: 3408
    .language:       OpenCL C
    .language_version:
      - 2
      - 0
    .max_flat_workgroup_size: 512
    .name:           _ZN2at6native12_GLOBAL__N_125multi_tensor_apply_kernelINS1_18TensorListMetadataILi2EEENS1_14UnaryOpFunctorIN3c104HalfELi2ELi1ELi1EEEJNS0_4SqrtIfEEEEEvT_T0_DpT1_
    .private_segment_fixed_size: 0
    .sgpr_count:     29
    .sgpr_spill_count: 0
    .symbol:         _ZN2at6native12_GLOBAL__N_125multi_tensor_apply_kernelINS1_18TensorListMetadataILi2EEENS1_14UnaryOpFunctorIN3c104HalfELi2ELi1ELi1EEEJNS0_4SqrtIfEEEEEvT_T0_DpT1_.kd
    .uniform_work_group_size: 1
    .uses_dynamic_stack: false
    .vgpr_count:     31
    .vgpr_spill_count: 0
    .wavefront_size: 64
  - .args:
      - .offset:         0
        .size:           3144
        .value_kind:     by_value
      - .offset:         3144
        .size:           1
        .value_kind:     by_value
      - .offset:         3145
        .size:           1
        .value_kind:     by_value
      - .offset:         3152
        .size:           4
        .value_kind:     hidden_block_count_x
      - .offset:         3156
        .size:           4
        .value_kind:     hidden_block_count_y
      - .offset:         3160
        .size:           4
        .value_kind:     hidden_block_count_z
      - .offset:         3164
        .size:           2
        .value_kind:     hidden_group_size_x
      - .offset:         3166
        .size:           2
        .value_kind:     hidden_group_size_y
      - .offset:         3168
        .size:           2
        .value_kind:     hidden_group_size_z
      - .offset:         3170
        .size:           2
        .value_kind:     hidden_remainder_x
      - .offset:         3172
        .size:           2
        .value_kind:     hidden_remainder_y
      - .offset:         3174
        .size:           2
        .value_kind:     hidden_remainder_z
      - .offset:         3192
        .size:           8
        .value_kind:     hidden_global_offset_x
      - .offset:         3200
        .size:           8
        .value_kind:     hidden_global_offset_y
      - .offset:         3208
        .size:           8
        .value_kind:     hidden_global_offset_z
      - .offset:         3216
        .size:           2
        .value_kind:     hidden_grid_dims
    .group_segment_fixed_size: 0
    .kernarg_segment_align: 8
    .kernarg_segment_size: 3408
    .language:       OpenCL C
    .language_version:
      - 2
      - 0
    .max_flat_workgroup_size: 512
    .name:           _ZN2at6native12_GLOBAL__N_125multi_tensor_apply_kernelINS1_18TensorListMetadataILi2EEENS1_14UnaryOpFunctorIN3c108BFloat16ELi2ELi1ELi1EEEJNS0_4SqrtIfEEEEEvT_T0_DpT1_
    .private_segment_fixed_size: 0
    .sgpr_count:     36
    .sgpr_spill_count: 0
    .symbol:         _ZN2at6native12_GLOBAL__N_125multi_tensor_apply_kernelINS1_18TensorListMetadataILi2EEENS1_14UnaryOpFunctorIN3c108BFloat16ELi2ELi1ELi1EEEJNS0_4SqrtIfEEEEEvT_T0_DpT1_.kd
    .uniform_work_group_size: 1
    .uses_dynamic_stack: false
    .vgpr_count:     35
    .vgpr_spill_count: 0
    .wavefront_size: 64
  - .args:
      - .offset:         0
        .size:           3368
        .value_kind:     by_value
      - .offset:         3368
        .size:           1
        .value_kind:     by_value
      - .offset:         3369
        .size:           1
        .value_kind:     by_value
      - .offset:         3376
        .size:           4
        .value_kind:     hidden_block_count_x
      - .offset:         3380
        .size:           4
        .value_kind:     hidden_block_count_y
      - .offset:         3384
        .size:           4
        .value_kind:     hidden_block_count_z
      - .offset:         3388
        .size:           2
        .value_kind:     hidden_group_size_x
      - .offset:         3390
        .size:           2
        .value_kind:     hidden_group_size_y
      - .offset:         3392
        .size:           2
        .value_kind:     hidden_group_size_z
      - .offset:         3394
        .size:           2
        .value_kind:     hidden_remainder_x
      - .offset:         3396
        .size:           2
        .value_kind:     hidden_remainder_y
      - .offset:         3398
        .size:           2
        .value_kind:     hidden_remainder_z
      - .offset:         3416
        .size:           8
        .value_kind:     hidden_global_offset_x
      - .offset:         3424
        .size:           8
        .value_kind:     hidden_global_offset_y
      - .offset:         3432
        .size:           8
        .value_kind:     hidden_global_offset_z
      - .offset:         3440
        .size:           2
        .value_kind:     hidden_grid_dims
    .group_segment_fixed_size: 0
    .kernarg_segment_align: 8
    .kernarg_segment_size: 3632
    .language:       OpenCL C
    .language_version:
      - 2
      - 0
    .max_flat_workgroup_size: 512
    .name:           _ZN2at6native12_GLOBAL__N_125multi_tensor_apply_kernelINS1_18TensorListMetadataILi1EEENS1_14UnaryOpFunctorIdLi1ELi1ELi0EEEJNS0_4SqrtIdEEEEEvT_T0_DpT1_
    .private_segment_fixed_size: 0
    .sgpr_count:     34
    .sgpr_spill_count: 0
    .symbol:         _ZN2at6native12_GLOBAL__N_125multi_tensor_apply_kernelINS1_18TensorListMetadataILi1EEENS1_14UnaryOpFunctorIdLi1ELi1ELi0EEEJNS0_4SqrtIdEEEEEvT_T0_DpT1_.kd
    .uniform_work_group_size: 1
    .uses_dynamic_stack: false
    .vgpr_count:     28
    .vgpr_spill_count: 0
    .wavefront_size: 64
  - .args:
      - .offset:         0
        .size:           3368
        .value_kind:     by_value
      - .offset:         3368
        .size:           1
        .value_kind:     by_value
      - .offset:         3369
        .size:           1
        .value_kind:     by_value
      - .offset:         3376
        .size:           4
        .value_kind:     hidden_block_count_x
      - .offset:         3380
        .size:           4
        .value_kind:     hidden_block_count_y
      - .offset:         3384
        .size:           4
        .value_kind:     hidden_block_count_z
      - .offset:         3388
        .size:           2
        .value_kind:     hidden_group_size_x
      - .offset:         3390
        .size:           2
        .value_kind:     hidden_group_size_y
      - .offset:         3392
        .size:           2
        .value_kind:     hidden_group_size_z
      - .offset:         3394
        .size:           2
        .value_kind:     hidden_remainder_x
      - .offset:         3396
        .size:           2
        .value_kind:     hidden_remainder_y
      - .offset:         3398
        .size:           2
        .value_kind:     hidden_remainder_z
      - .offset:         3416
        .size:           8
        .value_kind:     hidden_global_offset_x
      - .offset:         3424
        .size:           8
        .value_kind:     hidden_global_offset_y
      - .offset:         3432
        .size:           8
        .value_kind:     hidden_global_offset_z
      - .offset:         3440
        .size:           2
        .value_kind:     hidden_grid_dims
    .group_segment_fixed_size: 0
    .kernarg_segment_align: 8
    .kernarg_segment_size: 3632
    .language:       OpenCL C
    .language_version:
      - 2
      - 0
    .max_flat_workgroup_size: 512
    .name:           _ZN2at6native12_GLOBAL__N_125multi_tensor_apply_kernelINS1_18TensorListMetadataILi1EEENS1_14UnaryOpFunctorIfLi1ELi1ELi0EEEJNS0_4SqrtIfEEEEEvT_T0_DpT1_
    .private_segment_fixed_size: 0
    .sgpr_count:     35
    .sgpr_spill_count: 0
    .symbol:         _ZN2at6native12_GLOBAL__N_125multi_tensor_apply_kernelINS1_18TensorListMetadataILi1EEENS1_14UnaryOpFunctorIfLi1ELi1ELi0EEEJNS0_4SqrtIfEEEEEvT_T0_DpT1_.kd
    .uniform_work_group_size: 1
    .uses_dynamic_stack: false
    .vgpr_count:     21
    .vgpr_spill_count: 0
    .wavefront_size: 64
  - .args:
      - .offset:         0
        .size:           3368
        .value_kind:     by_value
      - .offset:         3368
        .size:           1
        .value_kind:     by_value
      - .offset:         3369
        .size:           1
        .value_kind:     by_value
      - .offset:         3376
        .size:           4
        .value_kind:     hidden_block_count_x
      - .offset:         3380
        .size:           4
        .value_kind:     hidden_block_count_y
      - .offset:         3384
        .size:           4
        .value_kind:     hidden_block_count_z
      - .offset:         3388
        .size:           2
        .value_kind:     hidden_group_size_x
      - .offset:         3390
        .size:           2
        .value_kind:     hidden_group_size_y
      - .offset:         3392
        .size:           2
        .value_kind:     hidden_group_size_z
      - .offset:         3394
        .size:           2
        .value_kind:     hidden_remainder_x
      - .offset:         3396
        .size:           2
        .value_kind:     hidden_remainder_y
      - .offset:         3398
        .size:           2
        .value_kind:     hidden_remainder_z
      - .offset:         3416
        .size:           8
        .value_kind:     hidden_global_offset_x
      - .offset:         3424
        .size:           8
        .value_kind:     hidden_global_offset_y
      - .offset:         3432
        .size:           8
        .value_kind:     hidden_global_offset_z
      - .offset:         3440
        .size:           2
        .value_kind:     hidden_grid_dims
    .group_segment_fixed_size: 0
    .kernarg_segment_align: 8
    .kernarg_segment_size: 3632
    .language:       OpenCL C
    .language_version:
      - 2
      - 0
    .max_flat_workgroup_size: 512
    .name:           _ZN2at6native12_GLOBAL__N_125multi_tensor_apply_kernelINS1_18TensorListMetadataILi1EEENS1_14UnaryOpFunctorIN3c107complexIdEELi1ELi1ELi0EEEJNS0_4SqrtIS8_EEEEEvT_T0_DpT1_
    .private_segment_fixed_size: 0
    .sgpr_count:     60
    .sgpr_spill_count: 0
    .symbol:         _ZN2at6native12_GLOBAL__N_125multi_tensor_apply_kernelINS1_18TensorListMetadataILi1EEENS1_14UnaryOpFunctorIN3c107complexIdEELi1ELi1ELi0EEEJNS0_4SqrtIS8_EEEEEvT_T0_DpT1_.kd
    .uniform_work_group_size: 1
    .uses_dynamic_stack: false
    .vgpr_count:     46
    .vgpr_spill_count: 0
    .wavefront_size: 64
  - .args:
      - .offset:         0
        .size:           3368
        .value_kind:     by_value
      - .offset:         3368
        .size:           1
        .value_kind:     by_value
      - .offset:         3369
        .size:           1
        .value_kind:     by_value
      - .offset:         3376
        .size:           4
        .value_kind:     hidden_block_count_x
      - .offset:         3380
        .size:           4
        .value_kind:     hidden_block_count_y
      - .offset:         3384
        .size:           4
        .value_kind:     hidden_block_count_z
      - .offset:         3388
        .size:           2
        .value_kind:     hidden_group_size_x
      - .offset:         3390
        .size:           2
        .value_kind:     hidden_group_size_y
      - .offset:         3392
        .size:           2
        .value_kind:     hidden_group_size_z
      - .offset:         3394
        .size:           2
        .value_kind:     hidden_remainder_x
      - .offset:         3396
        .size:           2
        .value_kind:     hidden_remainder_y
      - .offset:         3398
        .size:           2
        .value_kind:     hidden_remainder_z
      - .offset:         3416
        .size:           8
        .value_kind:     hidden_global_offset_x
      - .offset:         3424
        .size:           8
        .value_kind:     hidden_global_offset_y
      - .offset:         3432
        .size:           8
        .value_kind:     hidden_global_offset_z
      - .offset:         3440
        .size:           2
        .value_kind:     hidden_grid_dims
    .group_segment_fixed_size: 0
    .kernarg_segment_align: 8
    .kernarg_segment_size: 3632
    .language:       OpenCL C
    .language_version:
      - 2
      - 0
    .max_flat_workgroup_size: 512
    .name:           _ZN2at6native12_GLOBAL__N_125multi_tensor_apply_kernelINS1_18TensorListMetadataILi1EEENS1_14UnaryOpFunctorIN3c107complexIfEELi1ELi1ELi0EEEJNS0_4SqrtIS8_EEEEEvT_T0_DpT1_
    .private_segment_fixed_size: 0
    .sgpr_count:     54
    .sgpr_spill_count: 0
    .symbol:         _ZN2at6native12_GLOBAL__N_125multi_tensor_apply_kernelINS1_18TensorListMetadataILi1EEENS1_14UnaryOpFunctorIN3c107complexIfEELi1ELi1ELi0EEEJNS0_4SqrtIS8_EEEEEvT_T0_DpT1_.kd
    .uniform_work_group_size: 1
    .uses_dynamic_stack: false
    .vgpr_count:     30
    .vgpr_spill_count: 0
    .wavefront_size: 64
  - .args:
      - .offset:         0
        .size:           3368
        .value_kind:     by_value
      - .offset:         3368
        .size:           1
        .value_kind:     by_value
      - .offset:         3369
        .size:           1
        .value_kind:     by_value
      - .offset:         3376
        .size:           4
        .value_kind:     hidden_block_count_x
      - .offset:         3380
        .size:           4
        .value_kind:     hidden_block_count_y
      - .offset:         3384
        .size:           4
        .value_kind:     hidden_block_count_z
      - .offset:         3388
        .size:           2
        .value_kind:     hidden_group_size_x
      - .offset:         3390
        .size:           2
        .value_kind:     hidden_group_size_y
      - .offset:         3392
        .size:           2
        .value_kind:     hidden_group_size_z
      - .offset:         3394
        .size:           2
        .value_kind:     hidden_remainder_x
      - .offset:         3396
        .size:           2
        .value_kind:     hidden_remainder_y
      - .offset:         3398
        .size:           2
        .value_kind:     hidden_remainder_z
      - .offset:         3416
        .size:           8
        .value_kind:     hidden_global_offset_x
      - .offset:         3424
        .size:           8
        .value_kind:     hidden_global_offset_y
      - .offset:         3432
        .size:           8
        .value_kind:     hidden_global_offset_z
      - .offset:         3440
        .size:           2
        .value_kind:     hidden_grid_dims
    .group_segment_fixed_size: 0
    .kernarg_segment_align: 8
    .kernarg_segment_size: 3632
    .language:       OpenCL C
    .language_version:
      - 2
      - 0
    .max_flat_workgroup_size: 512
    .name:           _ZN2at6native12_GLOBAL__N_125multi_tensor_apply_kernelINS1_18TensorListMetadataILi1EEENS1_14UnaryOpFunctorIN3c104HalfELi1ELi1ELi0EEEJNS0_4SqrtIfEEEEEvT_T0_DpT1_
    .private_segment_fixed_size: 0
    .sgpr_count:     32
    .sgpr_spill_count: 0
    .symbol:         _ZN2at6native12_GLOBAL__N_125multi_tensor_apply_kernelINS1_18TensorListMetadataILi1EEENS1_14UnaryOpFunctorIN3c104HalfELi1ELi1ELi0EEEJNS0_4SqrtIfEEEEEvT_T0_DpT1_.kd
    .uniform_work_group_size: 1
    .uses_dynamic_stack: false
    .vgpr_count:     20
    .vgpr_spill_count: 0
    .wavefront_size: 64
  - .args:
      - .offset:         0
        .size:           3368
        .value_kind:     by_value
      - .offset:         3368
        .size:           1
        .value_kind:     by_value
      - .offset:         3369
        .size:           1
        .value_kind:     by_value
      - .offset:         3376
        .size:           4
        .value_kind:     hidden_block_count_x
      - .offset:         3380
        .size:           4
        .value_kind:     hidden_block_count_y
      - .offset:         3384
        .size:           4
        .value_kind:     hidden_block_count_z
      - .offset:         3388
        .size:           2
        .value_kind:     hidden_group_size_x
      - .offset:         3390
        .size:           2
        .value_kind:     hidden_group_size_y
      - .offset:         3392
        .size:           2
        .value_kind:     hidden_group_size_z
      - .offset:         3394
        .size:           2
        .value_kind:     hidden_remainder_x
      - .offset:         3396
        .size:           2
        .value_kind:     hidden_remainder_y
      - .offset:         3398
        .size:           2
        .value_kind:     hidden_remainder_z
      - .offset:         3416
        .size:           8
        .value_kind:     hidden_global_offset_x
      - .offset:         3424
        .size:           8
        .value_kind:     hidden_global_offset_y
      - .offset:         3432
        .size:           8
        .value_kind:     hidden_global_offset_z
      - .offset:         3440
        .size:           2
        .value_kind:     hidden_grid_dims
    .group_segment_fixed_size: 0
    .kernarg_segment_align: 8
    .kernarg_segment_size: 3632
    .language:       OpenCL C
    .language_version:
      - 2
      - 0
    .max_flat_workgroup_size: 512
    .name:           _ZN2at6native12_GLOBAL__N_125multi_tensor_apply_kernelINS1_18TensorListMetadataILi1EEENS1_14UnaryOpFunctorIN3c108BFloat16ELi1ELi1ELi0EEEJNS0_4SqrtIfEEEEEvT_T0_DpT1_
    .private_segment_fixed_size: 0
    .sgpr_count:     33
    .sgpr_spill_count: 0
    .symbol:         _ZN2at6native12_GLOBAL__N_125multi_tensor_apply_kernelINS1_18TensorListMetadataILi1EEENS1_14UnaryOpFunctorIN3c108BFloat16ELi1ELi1ELi0EEEJNS0_4SqrtIfEEEEEvT_T0_DpT1_.kd
    .uniform_work_group_size: 1
    .uses_dynamic_stack: false
    .vgpr_count:     22
    .vgpr_spill_count: 0
    .wavefront_size: 64
  - .args:
      - .offset:         0
        .size:           3144
        .value_kind:     by_value
      - .offset:         3144
        .size:           1
        .value_kind:     by_value
      - .offset:         3145
        .size:           1
        .value_kind:     by_value
      - .offset:         3152
        .size:           4
        .value_kind:     hidden_block_count_x
      - .offset:         3156
        .size:           4
        .value_kind:     hidden_block_count_y
      - .offset:         3160
        .size:           4
        .value_kind:     hidden_block_count_z
      - .offset:         3164
        .size:           2
        .value_kind:     hidden_group_size_x
      - .offset:         3166
        .size:           2
        .value_kind:     hidden_group_size_y
      - .offset:         3168
        .size:           2
        .value_kind:     hidden_group_size_z
      - .offset:         3170
        .size:           2
        .value_kind:     hidden_remainder_x
      - .offset:         3172
        .size:           2
        .value_kind:     hidden_remainder_y
      - .offset:         3174
        .size:           2
        .value_kind:     hidden_remainder_z
      - .offset:         3192
        .size:           8
        .value_kind:     hidden_global_offset_x
      - .offset:         3200
        .size:           8
        .value_kind:     hidden_global_offset_y
      - .offset:         3208
        .size:           8
        .value_kind:     hidden_global_offset_z
      - .offset:         3216
        .size:           2
        .value_kind:     hidden_grid_dims
    .group_segment_fixed_size: 0
    .kernarg_segment_align: 8
    .kernarg_segment_size: 3408
    .language:       OpenCL C
    .language_version:
      - 2
      - 0
    .max_flat_workgroup_size: 512
    .name:           _ZN2at6native12_GLOBAL__N_125multi_tensor_apply_kernelINS1_18TensorListMetadataILi2EEENS1_14UnaryOpFunctorIdLi2ELi1ELi1EEEJNS0_3ErfIdEEEEEvT_T0_DpT1_
    .private_segment_fixed_size: 0
    .sgpr_count:     100
    .sgpr_spill_count: 6
    .symbol:         _ZN2at6native12_GLOBAL__N_125multi_tensor_apply_kernelINS1_18TensorListMetadataILi2EEENS1_14UnaryOpFunctorIdLi2ELi1ELi1EEEJNS0_3ErfIdEEEEEvT_T0_DpT1_.kd
    .uniform_work_group_size: 1
    .uses_dynamic_stack: false
    .vgpr_count:     54
    .vgpr_spill_count: 0
    .wavefront_size: 64
  - .args:
      - .offset:         0
        .size:           3144
        .value_kind:     by_value
      - .offset:         3144
        .size:           1
        .value_kind:     by_value
      - .offset:         3145
        .size:           1
        .value_kind:     by_value
      - .offset:         3152
        .size:           4
        .value_kind:     hidden_block_count_x
      - .offset:         3156
        .size:           4
        .value_kind:     hidden_block_count_y
      - .offset:         3160
        .size:           4
        .value_kind:     hidden_block_count_z
      - .offset:         3164
        .size:           2
        .value_kind:     hidden_group_size_x
      - .offset:         3166
        .size:           2
        .value_kind:     hidden_group_size_y
      - .offset:         3168
        .size:           2
        .value_kind:     hidden_group_size_z
      - .offset:         3170
        .size:           2
        .value_kind:     hidden_remainder_x
      - .offset:         3172
        .size:           2
        .value_kind:     hidden_remainder_y
      - .offset:         3174
        .size:           2
        .value_kind:     hidden_remainder_z
      - .offset:         3192
        .size:           8
        .value_kind:     hidden_global_offset_x
      - .offset:         3200
        .size:           8
        .value_kind:     hidden_global_offset_y
      - .offset:         3208
        .size:           8
        .value_kind:     hidden_global_offset_z
      - .offset:         3216
        .size:           2
        .value_kind:     hidden_grid_dims
    .group_segment_fixed_size: 0
    .kernarg_segment_align: 8
    .kernarg_segment_size: 3408
    .language:       OpenCL C
    .language_version:
      - 2
      - 0
    .max_flat_workgroup_size: 512
    .name:           _ZN2at6native12_GLOBAL__N_125multi_tensor_apply_kernelINS1_18TensorListMetadataILi2EEENS1_14UnaryOpFunctorIfLi2ELi1ELi1EEEJNS0_3ErfIfEEEEEvT_T0_DpT1_
    .private_segment_fixed_size: 0
    .sgpr_count:     36
    .sgpr_spill_count: 0
    .symbol:         _ZN2at6native12_GLOBAL__N_125multi_tensor_apply_kernelINS1_18TensorListMetadataILi2EEENS1_14UnaryOpFunctorIfLi2ELi1ELi1EEEJNS0_3ErfIfEEEEEvT_T0_DpT1_.kd
    .uniform_work_group_size: 1
    .uses_dynamic_stack: false
    .vgpr_count:     40
    .vgpr_spill_count: 0
    .wavefront_size: 64
  - .args:
      - .offset:         0
        .size:           3144
        .value_kind:     by_value
      - .offset:         3144
        .size:           1
        .value_kind:     by_value
      - .offset:         3145
        .size:           1
        .value_kind:     by_value
      - .offset:         3152
        .size:           4
        .value_kind:     hidden_block_count_x
      - .offset:         3156
        .size:           4
        .value_kind:     hidden_block_count_y
      - .offset:         3160
        .size:           4
        .value_kind:     hidden_block_count_z
      - .offset:         3164
        .size:           2
        .value_kind:     hidden_group_size_x
      - .offset:         3166
        .size:           2
        .value_kind:     hidden_group_size_y
      - .offset:         3168
        .size:           2
        .value_kind:     hidden_group_size_z
      - .offset:         3170
        .size:           2
        .value_kind:     hidden_remainder_x
      - .offset:         3172
        .size:           2
        .value_kind:     hidden_remainder_y
      - .offset:         3174
        .size:           2
        .value_kind:     hidden_remainder_z
      - .offset:         3192
        .size:           8
        .value_kind:     hidden_global_offset_x
      - .offset:         3200
        .size:           8
        .value_kind:     hidden_global_offset_y
      - .offset:         3208
        .size:           8
        .value_kind:     hidden_global_offset_z
      - .offset:         3216
        .size:           2
        .value_kind:     hidden_grid_dims
    .group_segment_fixed_size: 0
    .kernarg_segment_align: 8
    .kernarg_segment_size: 3408
    .language:       OpenCL C
    .language_version:
      - 2
      - 0
    .max_flat_workgroup_size: 512
    .name:           _ZN2at6native12_GLOBAL__N_125multi_tensor_apply_kernelINS1_18TensorListMetadataILi2EEENS1_14UnaryOpFunctorIN3c104HalfELi2ELi1ELi1EEEJNS0_3ErfIfEEEEEvT_T0_DpT1_
    .private_segment_fixed_size: 0
    .sgpr_count:     36
    .sgpr_spill_count: 0
    .symbol:         _ZN2at6native12_GLOBAL__N_125multi_tensor_apply_kernelINS1_18TensorListMetadataILi2EEENS1_14UnaryOpFunctorIN3c104HalfELi2ELi1ELi1EEEJNS0_3ErfIfEEEEEvT_T0_DpT1_.kd
    .uniform_work_group_size: 1
    .uses_dynamic_stack: false
    .vgpr_count:     40
    .vgpr_spill_count: 0
    .wavefront_size: 64
  - .args:
      - .offset:         0
        .size:           3144
        .value_kind:     by_value
      - .offset:         3144
        .size:           1
        .value_kind:     by_value
      - .offset:         3145
        .size:           1
        .value_kind:     by_value
      - .offset:         3152
        .size:           4
        .value_kind:     hidden_block_count_x
      - .offset:         3156
        .size:           4
        .value_kind:     hidden_block_count_y
      - .offset:         3160
        .size:           4
        .value_kind:     hidden_block_count_z
      - .offset:         3164
        .size:           2
        .value_kind:     hidden_group_size_x
      - .offset:         3166
        .size:           2
        .value_kind:     hidden_group_size_y
      - .offset:         3168
        .size:           2
        .value_kind:     hidden_group_size_z
      - .offset:         3170
        .size:           2
        .value_kind:     hidden_remainder_x
      - .offset:         3172
        .size:           2
        .value_kind:     hidden_remainder_y
      - .offset:         3174
        .size:           2
        .value_kind:     hidden_remainder_z
      - .offset:         3192
        .size:           8
        .value_kind:     hidden_global_offset_x
      - .offset:         3200
        .size:           8
        .value_kind:     hidden_global_offset_y
      - .offset:         3208
        .size:           8
        .value_kind:     hidden_global_offset_z
      - .offset:         3216
        .size:           2
        .value_kind:     hidden_grid_dims
    .group_segment_fixed_size: 0
    .kernarg_segment_align: 8
    .kernarg_segment_size: 3408
    .language:       OpenCL C
    .language_version:
      - 2
      - 0
    .max_flat_workgroup_size: 512
    .name:           _ZN2at6native12_GLOBAL__N_125multi_tensor_apply_kernelINS1_18TensorListMetadataILi2EEENS1_14UnaryOpFunctorIN3c108BFloat16ELi2ELi1ELi1EEEJNS0_3ErfIfEEEEEvT_T0_DpT1_
    .private_segment_fixed_size: 0
    .sgpr_count:     40
    .sgpr_spill_count: 0
    .symbol:         _ZN2at6native12_GLOBAL__N_125multi_tensor_apply_kernelINS1_18TensorListMetadataILi2EEENS1_14UnaryOpFunctorIN3c108BFloat16ELi2ELi1ELi1EEEJNS0_3ErfIfEEEEEvT_T0_DpT1_.kd
    .uniform_work_group_size: 1
    .uses_dynamic_stack: false
    .vgpr_count:     41
    .vgpr_spill_count: 0
    .wavefront_size: 64
  - .args:
      - .offset:         0
        .size:           3368
        .value_kind:     by_value
      - .offset:         3368
        .size:           1
        .value_kind:     by_value
      - .offset:         3369
        .size:           1
        .value_kind:     by_value
      - .offset:         3376
        .size:           4
        .value_kind:     hidden_block_count_x
      - .offset:         3380
        .size:           4
        .value_kind:     hidden_block_count_y
      - .offset:         3384
        .size:           4
        .value_kind:     hidden_block_count_z
      - .offset:         3388
        .size:           2
        .value_kind:     hidden_group_size_x
      - .offset:         3390
        .size:           2
        .value_kind:     hidden_group_size_y
      - .offset:         3392
        .size:           2
        .value_kind:     hidden_group_size_z
      - .offset:         3394
        .size:           2
        .value_kind:     hidden_remainder_x
      - .offset:         3396
        .size:           2
        .value_kind:     hidden_remainder_y
      - .offset:         3398
        .size:           2
        .value_kind:     hidden_remainder_z
      - .offset:         3416
        .size:           8
        .value_kind:     hidden_global_offset_x
      - .offset:         3424
        .size:           8
        .value_kind:     hidden_global_offset_y
      - .offset:         3432
        .size:           8
        .value_kind:     hidden_global_offset_z
      - .offset:         3440
        .size:           2
        .value_kind:     hidden_grid_dims
    .group_segment_fixed_size: 0
    .kernarg_segment_align: 8
    .kernarg_segment_size: 3632
    .language:       OpenCL C
    .language_version:
      - 2
      - 0
    .max_flat_workgroup_size: 512
    .name:           _ZN2at6native12_GLOBAL__N_125multi_tensor_apply_kernelINS1_18TensorListMetadataILi1EEENS1_14UnaryOpFunctorIdLi1ELi1ELi0EEEJNS0_3ErfIdEEEEEvT_T0_DpT1_
    .private_segment_fixed_size: 0
    .sgpr_count:     100
    .sgpr_spill_count: 10
    .symbol:         _ZN2at6native12_GLOBAL__N_125multi_tensor_apply_kernelINS1_18TensorListMetadataILi1EEENS1_14UnaryOpFunctorIdLi1ELi1ELi0EEEJNS0_3ErfIdEEEEEvT_T0_DpT1_.kd
    .uniform_work_group_size: 1
    .uses_dynamic_stack: false
    .vgpr_count:     42
    .vgpr_spill_count: 0
    .wavefront_size: 64
  - .args:
      - .offset:         0
        .size:           3368
        .value_kind:     by_value
      - .offset:         3368
        .size:           1
        .value_kind:     by_value
      - .offset:         3369
        .size:           1
        .value_kind:     by_value
      - .offset:         3376
        .size:           4
        .value_kind:     hidden_block_count_x
      - .offset:         3380
        .size:           4
        .value_kind:     hidden_block_count_y
      - .offset:         3384
        .size:           4
        .value_kind:     hidden_block_count_z
      - .offset:         3388
        .size:           2
        .value_kind:     hidden_group_size_x
      - .offset:         3390
        .size:           2
        .value_kind:     hidden_group_size_y
      - .offset:         3392
        .size:           2
        .value_kind:     hidden_group_size_z
      - .offset:         3394
        .size:           2
        .value_kind:     hidden_remainder_x
      - .offset:         3396
        .size:           2
        .value_kind:     hidden_remainder_y
      - .offset:         3398
        .size:           2
        .value_kind:     hidden_remainder_z
      - .offset:         3416
        .size:           8
        .value_kind:     hidden_global_offset_x
      - .offset:         3424
        .size:           8
        .value_kind:     hidden_global_offset_y
      - .offset:         3432
        .size:           8
        .value_kind:     hidden_global_offset_z
      - .offset:         3440
        .size:           2
        .value_kind:     hidden_grid_dims
    .group_segment_fixed_size: 0
    .kernarg_segment_align: 8
    .kernarg_segment_size: 3632
    .language:       OpenCL C
    .language_version:
      - 2
      - 0
    .max_flat_workgroup_size: 512
    .name:           _ZN2at6native12_GLOBAL__N_125multi_tensor_apply_kernelINS1_18TensorListMetadataILi1EEENS1_14UnaryOpFunctorIfLi1ELi1ELi0EEEJNS0_3ErfIfEEEEEvT_T0_DpT1_
    .private_segment_fixed_size: 0
    .sgpr_count:     43
    .sgpr_spill_count: 0
    .symbol:         _ZN2at6native12_GLOBAL__N_125multi_tensor_apply_kernelINS1_18TensorListMetadataILi1EEENS1_14UnaryOpFunctorIfLi1ELi1ELi0EEEJNS0_3ErfIfEEEEEvT_T0_DpT1_.kd
    .uniform_work_group_size: 1
    .uses_dynamic_stack: false
    .vgpr_count:     28
    .vgpr_spill_count: 0
    .wavefront_size: 64
  - .args:
      - .offset:         0
        .size:           3368
        .value_kind:     by_value
      - .offset:         3368
        .size:           1
        .value_kind:     by_value
      - .offset:         3369
        .size:           1
        .value_kind:     by_value
      - .offset:         3376
        .size:           4
        .value_kind:     hidden_block_count_x
      - .offset:         3380
        .size:           4
        .value_kind:     hidden_block_count_y
      - .offset:         3384
        .size:           4
        .value_kind:     hidden_block_count_z
      - .offset:         3388
        .size:           2
        .value_kind:     hidden_group_size_x
      - .offset:         3390
        .size:           2
        .value_kind:     hidden_group_size_y
      - .offset:         3392
        .size:           2
        .value_kind:     hidden_group_size_z
      - .offset:         3394
        .size:           2
        .value_kind:     hidden_remainder_x
      - .offset:         3396
        .size:           2
        .value_kind:     hidden_remainder_y
      - .offset:         3398
        .size:           2
        .value_kind:     hidden_remainder_z
      - .offset:         3416
        .size:           8
        .value_kind:     hidden_global_offset_x
      - .offset:         3424
        .size:           8
        .value_kind:     hidden_global_offset_y
      - .offset:         3432
        .size:           8
        .value_kind:     hidden_global_offset_z
      - .offset:         3440
        .size:           2
        .value_kind:     hidden_grid_dims
    .group_segment_fixed_size: 0
    .kernarg_segment_align: 8
    .kernarg_segment_size: 3632
    .language:       OpenCL C
    .language_version:
      - 2
      - 0
    .max_flat_workgroup_size: 512
    .name:           _ZN2at6native12_GLOBAL__N_125multi_tensor_apply_kernelINS1_18TensorListMetadataILi1EEENS1_14UnaryOpFunctorIN3c104HalfELi1ELi1ELi0EEEJNS0_3ErfIfEEEEEvT_T0_DpT1_
    .private_segment_fixed_size: 0
    .sgpr_count:     42
    .sgpr_spill_count: 0
    .symbol:         _ZN2at6native12_GLOBAL__N_125multi_tensor_apply_kernelINS1_18TensorListMetadataILi1EEENS1_14UnaryOpFunctorIN3c104HalfELi1ELi1ELi0EEEJNS0_3ErfIfEEEEEvT_T0_DpT1_.kd
    .uniform_work_group_size: 1
    .uses_dynamic_stack: false
    .vgpr_count:     28
    .vgpr_spill_count: 0
    .wavefront_size: 64
  - .args:
      - .offset:         0
        .size:           3368
        .value_kind:     by_value
      - .offset:         3368
        .size:           1
        .value_kind:     by_value
      - .offset:         3369
        .size:           1
        .value_kind:     by_value
      - .offset:         3376
        .size:           4
        .value_kind:     hidden_block_count_x
      - .offset:         3380
        .size:           4
        .value_kind:     hidden_block_count_y
      - .offset:         3384
        .size:           4
        .value_kind:     hidden_block_count_z
      - .offset:         3388
        .size:           2
        .value_kind:     hidden_group_size_x
      - .offset:         3390
        .size:           2
        .value_kind:     hidden_group_size_y
      - .offset:         3392
        .size:           2
        .value_kind:     hidden_group_size_z
      - .offset:         3394
        .size:           2
        .value_kind:     hidden_remainder_x
      - .offset:         3396
        .size:           2
        .value_kind:     hidden_remainder_y
      - .offset:         3398
        .size:           2
        .value_kind:     hidden_remainder_z
      - .offset:         3416
        .size:           8
        .value_kind:     hidden_global_offset_x
      - .offset:         3424
        .size:           8
        .value_kind:     hidden_global_offset_y
      - .offset:         3432
        .size:           8
        .value_kind:     hidden_global_offset_z
      - .offset:         3440
        .size:           2
        .value_kind:     hidden_grid_dims
    .group_segment_fixed_size: 0
    .kernarg_segment_align: 8
    .kernarg_segment_size: 3632
    .language:       OpenCL C
    .language_version:
      - 2
      - 0
    .max_flat_workgroup_size: 512
    .name:           _ZN2at6native12_GLOBAL__N_125multi_tensor_apply_kernelINS1_18TensorListMetadataILi1EEENS1_14UnaryOpFunctorIN3c108BFloat16ELi1ELi1ELi0EEEJNS0_3ErfIfEEEEEvT_T0_DpT1_
    .private_segment_fixed_size: 0
    .sgpr_count:     43
    .sgpr_spill_count: 0
    .symbol:         _ZN2at6native12_GLOBAL__N_125multi_tensor_apply_kernelINS1_18TensorListMetadataILi1EEENS1_14UnaryOpFunctorIN3c108BFloat16ELi1ELi1ELi0EEEJNS0_3ErfIfEEEEEvT_T0_DpT1_.kd
    .uniform_work_group_size: 1
    .uses_dynamic_stack: false
    .vgpr_count:     29
    .vgpr_spill_count: 0
    .wavefront_size: 64
  - .args:
      - .offset:         0
        .size:           3144
        .value_kind:     by_value
      - .offset:         3144
        .size:           1
        .value_kind:     by_value
      - .offset:         3152
        .size:           8
        .value_kind:     by_value
      - .offset:         3160
        .size:           4
        .value_kind:     hidden_block_count_x
      - .offset:         3164
        .size:           4
        .value_kind:     hidden_block_count_y
      - .offset:         3168
        .size:           4
        .value_kind:     hidden_block_count_z
      - .offset:         3172
        .size:           2
        .value_kind:     hidden_group_size_x
      - .offset:         3174
        .size:           2
        .value_kind:     hidden_group_size_y
      - .offset:         3176
        .size:           2
        .value_kind:     hidden_group_size_z
      - .offset:         3178
        .size:           2
        .value_kind:     hidden_remainder_x
      - .offset:         3180
        .size:           2
        .value_kind:     hidden_remainder_y
      - .offset:         3182
        .size:           2
        .value_kind:     hidden_remainder_z
      - .offset:         3200
        .size:           8
        .value_kind:     hidden_global_offset_x
      - .offset:         3208
        .size:           8
        .value_kind:     hidden_global_offset_y
      - .offset:         3216
        .size:           8
        .value_kind:     hidden_global_offset_z
      - .offset:         3224
        .size:           2
        .value_kind:     hidden_grid_dims
    .group_segment_fixed_size: 0
    .kernarg_segment_align: 8
    .kernarg_segment_size: 3416
    .language:       OpenCL C
    .language_version:
      - 2
      - 0
    .max_flat_workgroup_size: 512
    .name:           _ZN2at6native12_GLOBAL__N_125multi_tensor_apply_kernelINS1_18TensorListMetadataILi2EEENS1_14UnaryOpFunctorIdLi2ELi1ELi1EEEJNS0_7SigmoidIdEEEEEvT_T0_DpT1_
    .private_segment_fixed_size: 0
    .sgpr_count:     67
    .sgpr_spill_count: 0
    .symbol:         _ZN2at6native12_GLOBAL__N_125multi_tensor_apply_kernelINS1_18TensorListMetadataILi2EEENS1_14UnaryOpFunctorIdLi2ELi1ELi1EEEJNS0_7SigmoidIdEEEEEvT_T0_DpT1_.kd
    .uniform_work_group_size: 1
    .uses_dynamic_stack: false
    .vgpr_count:     44
    .vgpr_spill_count: 0
    .wavefront_size: 64
  - .args:
      - .offset:         0
        .size:           3144
        .value_kind:     by_value
      - .offset:         3144
        .size:           1
        .value_kind:     by_value
      - .offset:         3148
        .size:           4
        .value_kind:     by_value
      - .offset:         3152
        .size:           4
        .value_kind:     hidden_block_count_x
      - .offset:         3156
        .size:           4
        .value_kind:     hidden_block_count_y
      - .offset:         3160
        .size:           4
        .value_kind:     hidden_block_count_z
      - .offset:         3164
        .size:           2
        .value_kind:     hidden_group_size_x
      - .offset:         3166
        .size:           2
        .value_kind:     hidden_group_size_y
      - .offset:         3168
        .size:           2
        .value_kind:     hidden_group_size_z
      - .offset:         3170
        .size:           2
        .value_kind:     hidden_remainder_x
      - .offset:         3172
        .size:           2
        .value_kind:     hidden_remainder_y
      - .offset:         3174
        .size:           2
        .value_kind:     hidden_remainder_z
      - .offset:         3192
        .size:           8
        .value_kind:     hidden_global_offset_x
      - .offset:         3200
        .size:           8
        .value_kind:     hidden_global_offset_y
      - .offset:         3208
        .size:           8
        .value_kind:     hidden_global_offset_z
      - .offset:         3216
        .size:           2
        .value_kind:     hidden_grid_dims
    .group_segment_fixed_size: 0
    .kernarg_segment_align: 8
    .kernarg_segment_size: 3408
    .language:       OpenCL C
    .language_version:
      - 2
      - 0
    .max_flat_workgroup_size: 512
    .name:           _ZN2at6native12_GLOBAL__N_125multi_tensor_apply_kernelINS1_18TensorListMetadataILi2EEENS1_14UnaryOpFunctorIfLi2ELi1ELi1EEEJNS0_7SigmoidIfEEEEEvT_T0_DpT1_
    .private_segment_fixed_size: 0
    .sgpr_count:     32
    .sgpr_spill_count: 0
    .symbol:         _ZN2at6native12_GLOBAL__N_125multi_tensor_apply_kernelINS1_18TensorListMetadataILi2EEENS1_14UnaryOpFunctorIfLi2ELi1ELi1EEEJNS0_7SigmoidIfEEEEEvT_T0_DpT1_.kd
    .uniform_work_group_size: 1
    .uses_dynamic_stack: false
    .vgpr_count:     33
    .vgpr_spill_count: 0
    .wavefront_size: 64
  - .args:
      - .offset:         0
        .size:           3144
        .value_kind:     by_value
      - .offset:         3144
        .size:           1
        .value_kind:     by_value
      - .offset:         3152
        .size:           16
        .value_kind:     by_value
      - .offset:         3168
        .size:           4
        .value_kind:     hidden_block_count_x
      - .offset:         3172
        .size:           4
        .value_kind:     hidden_block_count_y
      - .offset:         3176
        .size:           4
        .value_kind:     hidden_block_count_z
      - .offset:         3180
        .size:           2
        .value_kind:     hidden_group_size_x
      - .offset:         3182
        .size:           2
        .value_kind:     hidden_group_size_y
      - .offset:         3184
        .size:           2
        .value_kind:     hidden_group_size_z
      - .offset:         3186
        .size:           2
        .value_kind:     hidden_remainder_x
      - .offset:         3188
        .size:           2
        .value_kind:     hidden_remainder_y
      - .offset:         3190
        .size:           2
        .value_kind:     hidden_remainder_z
      - .offset:         3208
        .size:           8
        .value_kind:     hidden_global_offset_x
      - .offset:         3216
        .size:           8
        .value_kind:     hidden_global_offset_y
      - .offset:         3224
        .size:           8
        .value_kind:     hidden_global_offset_z
      - .offset:         3232
        .size:           2
        .value_kind:     hidden_grid_dims
    .group_segment_fixed_size: 0
    .kernarg_segment_align: 16
    .kernarg_segment_size: 3424
    .language:       OpenCL C
    .language_version:
      - 2
      - 0
    .max_flat_workgroup_size: 512
    .name:           _ZN2at6native12_GLOBAL__N_125multi_tensor_apply_kernelINS1_18TensorListMetadataILi2EEENS1_14UnaryOpFunctorIN3c107complexIdEELi2ELi1ELi1EEEJNS0_7SigmoidIS8_EEEEEvT_T0_DpT1_
    .private_segment_fixed_size: 0
    .sgpr_count:     100
    .sgpr_spill_count: 6
    .symbol:         _ZN2at6native12_GLOBAL__N_125multi_tensor_apply_kernelINS1_18TensorListMetadataILi2EEENS1_14UnaryOpFunctorIN3c107complexIdEELi2ELi1ELi1EEEJNS0_7SigmoidIS8_EEEEEvT_T0_DpT1_.kd
    .uniform_work_group_size: 1
    .uses_dynamic_stack: false
    .vgpr_count:     66
    .vgpr_spill_count: 0
    .wavefront_size: 64
  - .args:
      - .offset:         0
        .size:           3144
        .value_kind:     by_value
      - .offset:         3144
        .size:           1
        .value_kind:     by_value
      - .offset:         3152
        .size:           8
        .value_kind:     by_value
      - .offset:         3160
        .size:           4
        .value_kind:     hidden_block_count_x
      - .offset:         3164
        .size:           4
        .value_kind:     hidden_block_count_y
      - .offset:         3168
        .size:           4
        .value_kind:     hidden_block_count_z
      - .offset:         3172
        .size:           2
        .value_kind:     hidden_group_size_x
      - .offset:         3174
        .size:           2
        .value_kind:     hidden_group_size_y
      - .offset:         3176
        .size:           2
        .value_kind:     hidden_group_size_z
      - .offset:         3178
        .size:           2
        .value_kind:     hidden_remainder_x
      - .offset:         3180
        .size:           2
        .value_kind:     hidden_remainder_y
      - .offset:         3182
        .size:           2
        .value_kind:     hidden_remainder_z
      - .offset:         3200
        .size:           8
        .value_kind:     hidden_global_offset_x
      - .offset:         3208
        .size:           8
        .value_kind:     hidden_global_offset_y
      - .offset:         3216
        .size:           8
        .value_kind:     hidden_global_offset_z
      - .offset:         3224
        .size:           2
        .value_kind:     hidden_grid_dims
    .group_segment_fixed_size: 0
    .kernarg_segment_align: 8
    .kernarg_segment_size: 3416
    .language:       OpenCL C
    .language_version:
      - 2
      - 0
    .max_flat_workgroup_size: 512
    .name:           _ZN2at6native12_GLOBAL__N_125multi_tensor_apply_kernelINS1_18TensorListMetadataILi2EEENS1_14UnaryOpFunctorIN3c107complexIfEELi2ELi1ELi1EEEJNS0_7SigmoidIS8_EEEEEvT_T0_DpT1_
    .private_segment_fixed_size: 0
    .sgpr_count:     68
    .sgpr_spill_count: 0
    .symbol:         _ZN2at6native12_GLOBAL__N_125multi_tensor_apply_kernelINS1_18TensorListMetadataILi2EEENS1_14UnaryOpFunctorIN3c107complexIfEELi2ELi1ELi1EEEJNS0_7SigmoidIS8_EEEEEvT_T0_DpT1_.kd
    .uniform_work_group_size: 1
    .uses_dynamic_stack: false
    .vgpr_count:     41
    .vgpr_spill_count: 0
    .wavefront_size: 64
  - .args:
      - .offset:         0
        .size:           3144
        .value_kind:     by_value
      - .offset:         3144
        .size:           1
        .value_kind:     by_value
      - .offset:         3148
        .size:           4
        .value_kind:     by_value
      - .offset:         3152
        .size:           4
        .value_kind:     hidden_block_count_x
      - .offset:         3156
        .size:           4
        .value_kind:     hidden_block_count_y
      - .offset:         3160
        .size:           4
        .value_kind:     hidden_block_count_z
      - .offset:         3164
        .size:           2
        .value_kind:     hidden_group_size_x
      - .offset:         3166
        .size:           2
        .value_kind:     hidden_group_size_y
      - .offset:         3168
        .size:           2
        .value_kind:     hidden_group_size_z
      - .offset:         3170
        .size:           2
        .value_kind:     hidden_remainder_x
      - .offset:         3172
        .size:           2
        .value_kind:     hidden_remainder_y
      - .offset:         3174
        .size:           2
        .value_kind:     hidden_remainder_z
      - .offset:         3192
        .size:           8
        .value_kind:     hidden_global_offset_x
      - .offset:         3200
        .size:           8
        .value_kind:     hidden_global_offset_y
      - .offset:         3208
        .size:           8
        .value_kind:     hidden_global_offset_z
      - .offset:         3216
        .size:           2
        .value_kind:     hidden_grid_dims
    .group_segment_fixed_size: 0
    .kernarg_segment_align: 8
    .kernarg_segment_size: 3408
    .language:       OpenCL C
    .language_version:
      - 2
      - 0
    .max_flat_workgroup_size: 512
    .name:           _ZN2at6native12_GLOBAL__N_125multi_tensor_apply_kernelINS1_18TensorListMetadataILi2EEENS1_14UnaryOpFunctorIN3c104HalfELi2ELi1ELi1EEEJNS0_7SigmoidIfEEEEEvT_T0_DpT1_
    .private_segment_fixed_size: 0
    .sgpr_count:     33
    .sgpr_spill_count: 0
    .symbol:         _ZN2at6native12_GLOBAL__N_125multi_tensor_apply_kernelINS1_18TensorListMetadataILi2EEENS1_14UnaryOpFunctorIN3c104HalfELi2ELi1ELi1EEEJNS0_7SigmoidIfEEEEEvT_T0_DpT1_.kd
    .uniform_work_group_size: 1
    .uses_dynamic_stack: false
    .vgpr_count:     33
    .vgpr_spill_count: 0
    .wavefront_size: 64
  - .args:
      - .offset:         0
        .size:           3144
        .value_kind:     by_value
      - .offset:         3144
        .size:           1
        .value_kind:     by_value
      - .offset:         3148
        .size:           4
        .value_kind:     by_value
      - .offset:         3152
        .size:           4
        .value_kind:     hidden_block_count_x
      - .offset:         3156
        .size:           4
        .value_kind:     hidden_block_count_y
      - .offset:         3160
        .size:           4
        .value_kind:     hidden_block_count_z
      - .offset:         3164
        .size:           2
        .value_kind:     hidden_group_size_x
      - .offset:         3166
        .size:           2
        .value_kind:     hidden_group_size_y
      - .offset:         3168
        .size:           2
        .value_kind:     hidden_group_size_z
      - .offset:         3170
        .size:           2
        .value_kind:     hidden_remainder_x
      - .offset:         3172
        .size:           2
        .value_kind:     hidden_remainder_y
      - .offset:         3174
        .size:           2
        .value_kind:     hidden_remainder_z
      - .offset:         3192
        .size:           8
        .value_kind:     hidden_global_offset_x
      - .offset:         3200
        .size:           8
        .value_kind:     hidden_global_offset_y
      - .offset:         3208
        .size:           8
        .value_kind:     hidden_global_offset_z
      - .offset:         3216
        .size:           2
        .value_kind:     hidden_grid_dims
    .group_segment_fixed_size: 0
    .kernarg_segment_align: 8
    .kernarg_segment_size: 3408
    .language:       OpenCL C
    .language_version:
      - 2
      - 0
    .max_flat_workgroup_size: 512
    .name:           _ZN2at6native12_GLOBAL__N_125multi_tensor_apply_kernelINS1_18TensorListMetadataILi2EEENS1_14UnaryOpFunctorIN3c108BFloat16ELi2ELi1ELi1EEEJNS0_7SigmoidIfEEEEEvT_T0_DpT1_
    .private_segment_fixed_size: 0
    .sgpr_count:     33
    .sgpr_spill_count: 0
    .symbol:         _ZN2at6native12_GLOBAL__N_125multi_tensor_apply_kernelINS1_18TensorListMetadataILi2EEENS1_14UnaryOpFunctorIN3c108BFloat16ELi2ELi1ELi1EEEJNS0_7SigmoidIfEEEEEvT_T0_DpT1_.kd
    .uniform_work_group_size: 1
    .uses_dynamic_stack: false
    .vgpr_count:     34
    .vgpr_spill_count: 0
    .wavefront_size: 64
  - .args:
      - .offset:         0
        .size:           3368
        .value_kind:     by_value
      - .offset:         3368
        .size:           1
        .value_kind:     by_value
      - .offset:         3376
        .size:           8
        .value_kind:     by_value
      - .offset:         3384
        .size:           4
        .value_kind:     hidden_block_count_x
      - .offset:         3388
        .size:           4
        .value_kind:     hidden_block_count_y
      - .offset:         3392
        .size:           4
        .value_kind:     hidden_block_count_z
      - .offset:         3396
        .size:           2
        .value_kind:     hidden_group_size_x
      - .offset:         3398
        .size:           2
        .value_kind:     hidden_group_size_y
      - .offset:         3400
        .size:           2
        .value_kind:     hidden_group_size_z
      - .offset:         3402
        .size:           2
        .value_kind:     hidden_remainder_x
      - .offset:         3404
        .size:           2
        .value_kind:     hidden_remainder_y
      - .offset:         3406
        .size:           2
        .value_kind:     hidden_remainder_z
      - .offset:         3424
        .size:           8
        .value_kind:     hidden_global_offset_x
      - .offset:         3432
        .size:           8
        .value_kind:     hidden_global_offset_y
      - .offset:         3440
        .size:           8
        .value_kind:     hidden_global_offset_z
      - .offset:         3448
        .size:           2
        .value_kind:     hidden_grid_dims
    .group_segment_fixed_size: 0
    .kernarg_segment_align: 8
    .kernarg_segment_size: 3640
    .language:       OpenCL C
    .language_version:
      - 2
      - 0
    .max_flat_workgroup_size: 512
    .name:           _ZN2at6native12_GLOBAL__N_125multi_tensor_apply_kernelINS1_18TensorListMetadataILi1EEENS1_14UnaryOpFunctorIdLi1ELi1ELi0EEEJNS0_7SigmoidIdEEEEEvT_T0_DpT1_
    .private_segment_fixed_size: 0
    .sgpr_count:     65
    .sgpr_spill_count: 0
    .symbol:         _ZN2at6native12_GLOBAL__N_125multi_tensor_apply_kernelINS1_18TensorListMetadataILi1EEENS1_14UnaryOpFunctorIdLi1ELi1ELi0EEEJNS0_7SigmoidIdEEEEEvT_T0_DpT1_.kd
    .uniform_work_group_size: 1
    .uses_dynamic_stack: false
    .vgpr_count:     31
    .vgpr_spill_count: 0
    .wavefront_size: 64
  - .args:
      - .offset:         0
        .size:           3368
        .value_kind:     by_value
      - .offset:         3368
        .size:           1
        .value_kind:     by_value
      - .offset:         3372
        .size:           4
        .value_kind:     by_value
      - .offset:         3376
        .size:           4
        .value_kind:     hidden_block_count_x
      - .offset:         3380
        .size:           4
        .value_kind:     hidden_block_count_y
      - .offset:         3384
        .size:           4
        .value_kind:     hidden_block_count_z
      - .offset:         3388
        .size:           2
        .value_kind:     hidden_group_size_x
      - .offset:         3390
        .size:           2
        .value_kind:     hidden_group_size_y
      - .offset:         3392
        .size:           2
        .value_kind:     hidden_group_size_z
      - .offset:         3394
        .size:           2
        .value_kind:     hidden_remainder_x
      - .offset:         3396
        .size:           2
        .value_kind:     hidden_remainder_y
      - .offset:         3398
        .size:           2
        .value_kind:     hidden_remainder_z
      - .offset:         3416
        .size:           8
        .value_kind:     hidden_global_offset_x
      - .offset:         3424
        .size:           8
        .value_kind:     hidden_global_offset_y
      - .offset:         3432
        .size:           8
        .value_kind:     hidden_global_offset_z
      - .offset:         3440
        .size:           2
        .value_kind:     hidden_grid_dims
    .group_segment_fixed_size: 0
    .kernarg_segment_align: 8
    .kernarg_segment_size: 3632
    .language:       OpenCL C
    .language_version:
      - 2
      - 0
    .max_flat_workgroup_size: 512
    .name:           _ZN2at6native12_GLOBAL__N_125multi_tensor_apply_kernelINS1_18TensorListMetadataILi1EEENS1_14UnaryOpFunctorIfLi1ELi1ELi0EEEJNS0_7SigmoidIfEEEEEvT_T0_DpT1_
    .private_segment_fixed_size: 0
    .sgpr_count:     36
    .sgpr_spill_count: 0
    .symbol:         _ZN2at6native12_GLOBAL__N_125multi_tensor_apply_kernelINS1_18TensorListMetadataILi1EEENS1_14UnaryOpFunctorIfLi1ELi1ELi0EEEJNS0_7SigmoidIfEEEEEvT_T0_DpT1_.kd
    .uniform_work_group_size: 1
    .uses_dynamic_stack: false
    .vgpr_count:     23
    .vgpr_spill_count: 0
    .wavefront_size: 64
  - .args:
      - .offset:         0
        .size:           3368
        .value_kind:     by_value
      - .offset:         3368
        .size:           1
        .value_kind:     by_value
      - .offset:         3376
        .size:           16
        .value_kind:     by_value
      - .offset:         3392
        .size:           4
        .value_kind:     hidden_block_count_x
      - .offset:         3396
        .size:           4
        .value_kind:     hidden_block_count_y
      - .offset:         3400
        .size:           4
        .value_kind:     hidden_block_count_z
      - .offset:         3404
        .size:           2
        .value_kind:     hidden_group_size_x
      - .offset:         3406
        .size:           2
        .value_kind:     hidden_group_size_y
      - .offset:         3408
        .size:           2
        .value_kind:     hidden_group_size_z
      - .offset:         3410
        .size:           2
        .value_kind:     hidden_remainder_x
      - .offset:         3412
        .size:           2
        .value_kind:     hidden_remainder_y
      - .offset:         3414
        .size:           2
        .value_kind:     hidden_remainder_z
      - .offset:         3432
        .size:           8
        .value_kind:     hidden_global_offset_x
      - .offset:         3440
        .size:           8
        .value_kind:     hidden_global_offset_y
      - .offset:         3448
        .size:           8
        .value_kind:     hidden_global_offset_z
      - .offset:         3456
        .size:           2
        .value_kind:     hidden_grid_dims
    .group_segment_fixed_size: 0
    .kernarg_segment_align: 16
    .kernarg_segment_size: 3648
    .language:       OpenCL C
    .language_version:
      - 2
      - 0
    .max_flat_workgroup_size: 512
    .name:           _ZN2at6native12_GLOBAL__N_125multi_tensor_apply_kernelINS1_18TensorListMetadataILi1EEENS1_14UnaryOpFunctorIN3c107complexIdEELi1ELi1ELi0EEEJNS0_7SigmoidIS8_EEEEEvT_T0_DpT1_
    .private_segment_fixed_size: 0
    .sgpr_count:     100
    .sgpr_spill_count: 8
    .symbol:         _ZN2at6native12_GLOBAL__N_125multi_tensor_apply_kernelINS1_18TensorListMetadataILi1EEENS1_14UnaryOpFunctorIN3c107complexIdEELi1ELi1ELi0EEEJNS0_7SigmoidIS8_EEEEEvT_T0_DpT1_.kd
    .uniform_work_group_size: 1
    .uses_dynamic_stack: false
    .vgpr_count:     80
    .vgpr_spill_count: 0
    .wavefront_size: 64
  - .args:
      - .offset:         0
        .size:           3368
        .value_kind:     by_value
      - .offset:         3368
        .size:           1
        .value_kind:     by_value
      - .offset:         3376
        .size:           8
        .value_kind:     by_value
      - .offset:         3384
        .size:           4
        .value_kind:     hidden_block_count_x
      - .offset:         3388
        .size:           4
        .value_kind:     hidden_block_count_y
      - .offset:         3392
        .size:           4
        .value_kind:     hidden_block_count_z
      - .offset:         3396
        .size:           2
        .value_kind:     hidden_group_size_x
      - .offset:         3398
        .size:           2
        .value_kind:     hidden_group_size_y
      - .offset:         3400
        .size:           2
        .value_kind:     hidden_group_size_z
      - .offset:         3402
        .size:           2
        .value_kind:     hidden_remainder_x
      - .offset:         3404
        .size:           2
        .value_kind:     hidden_remainder_y
      - .offset:         3406
        .size:           2
        .value_kind:     hidden_remainder_z
      - .offset:         3424
        .size:           8
        .value_kind:     hidden_global_offset_x
      - .offset:         3432
        .size:           8
        .value_kind:     hidden_global_offset_y
      - .offset:         3440
        .size:           8
        .value_kind:     hidden_global_offset_z
      - .offset:         3448
        .size:           2
        .value_kind:     hidden_grid_dims
    .group_segment_fixed_size: 0
    .kernarg_segment_align: 8
    .kernarg_segment_size: 3640
    .language:       OpenCL C
    .language_version:
      - 2
      - 0
    .max_flat_workgroup_size: 512
    .name:           _ZN2at6native12_GLOBAL__N_125multi_tensor_apply_kernelINS1_18TensorListMetadataILi1EEENS1_14UnaryOpFunctorIN3c107complexIfEELi1ELi1ELi0EEEJNS0_7SigmoidIS8_EEEEEvT_T0_DpT1_
    .private_segment_fixed_size: 0
    .sgpr_count:     72
    .sgpr_spill_count: 0
    .symbol:         _ZN2at6native12_GLOBAL__N_125multi_tensor_apply_kernelINS1_18TensorListMetadataILi1EEENS1_14UnaryOpFunctorIN3c107complexIfEELi1ELi1ELi0EEEJNS0_7SigmoidIS8_EEEEEvT_T0_DpT1_.kd
    .uniform_work_group_size: 1
    .uses_dynamic_stack: false
    .vgpr_count:     45
    .vgpr_spill_count: 0
    .wavefront_size: 64
  - .args:
      - .offset:         0
        .size:           3368
        .value_kind:     by_value
      - .offset:         3368
        .size:           1
        .value_kind:     by_value
      - .offset:         3372
        .size:           4
        .value_kind:     by_value
      - .offset:         3376
        .size:           4
        .value_kind:     hidden_block_count_x
      - .offset:         3380
        .size:           4
        .value_kind:     hidden_block_count_y
      - .offset:         3384
        .size:           4
        .value_kind:     hidden_block_count_z
      - .offset:         3388
        .size:           2
        .value_kind:     hidden_group_size_x
      - .offset:         3390
        .size:           2
        .value_kind:     hidden_group_size_y
      - .offset:         3392
        .size:           2
        .value_kind:     hidden_group_size_z
      - .offset:         3394
        .size:           2
        .value_kind:     hidden_remainder_x
      - .offset:         3396
        .size:           2
        .value_kind:     hidden_remainder_y
      - .offset:         3398
        .size:           2
        .value_kind:     hidden_remainder_z
      - .offset:         3416
        .size:           8
        .value_kind:     hidden_global_offset_x
      - .offset:         3424
        .size:           8
        .value_kind:     hidden_global_offset_y
      - .offset:         3432
        .size:           8
        .value_kind:     hidden_global_offset_z
      - .offset:         3440
        .size:           2
        .value_kind:     hidden_grid_dims
    .group_segment_fixed_size: 0
    .kernarg_segment_align: 8
    .kernarg_segment_size: 3632
    .language:       OpenCL C
    .language_version:
      - 2
      - 0
    .max_flat_workgroup_size: 512
    .name:           _ZN2at6native12_GLOBAL__N_125multi_tensor_apply_kernelINS1_18TensorListMetadataILi1EEENS1_14UnaryOpFunctorIN3c104HalfELi1ELi1ELi0EEEJNS0_7SigmoidIfEEEEEvT_T0_DpT1_
    .private_segment_fixed_size: 0
    .sgpr_count:     35
    .sgpr_spill_count: 0
    .symbol:         _ZN2at6native12_GLOBAL__N_125multi_tensor_apply_kernelINS1_18TensorListMetadataILi1EEENS1_14UnaryOpFunctorIN3c104HalfELi1ELi1ELi0EEEJNS0_7SigmoidIfEEEEEvT_T0_DpT1_.kd
    .uniform_work_group_size: 1
    .uses_dynamic_stack: false
    .vgpr_count:     23
    .vgpr_spill_count: 0
    .wavefront_size: 64
  - .args:
      - .offset:         0
        .size:           3368
        .value_kind:     by_value
      - .offset:         3368
        .size:           1
        .value_kind:     by_value
      - .offset:         3372
        .size:           4
        .value_kind:     by_value
      - .offset:         3376
        .size:           4
        .value_kind:     hidden_block_count_x
      - .offset:         3380
        .size:           4
        .value_kind:     hidden_block_count_y
      - .offset:         3384
        .size:           4
        .value_kind:     hidden_block_count_z
      - .offset:         3388
        .size:           2
        .value_kind:     hidden_group_size_x
      - .offset:         3390
        .size:           2
        .value_kind:     hidden_group_size_y
      - .offset:         3392
        .size:           2
        .value_kind:     hidden_group_size_z
      - .offset:         3394
        .size:           2
        .value_kind:     hidden_remainder_x
      - .offset:         3396
        .size:           2
        .value_kind:     hidden_remainder_y
      - .offset:         3398
        .size:           2
        .value_kind:     hidden_remainder_z
      - .offset:         3416
        .size:           8
        .value_kind:     hidden_global_offset_x
      - .offset:         3424
        .size:           8
        .value_kind:     hidden_global_offset_y
      - .offset:         3432
        .size:           8
        .value_kind:     hidden_global_offset_z
      - .offset:         3440
        .size:           2
        .value_kind:     hidden_grid_dims
    .group_segment_fixed_size: 0
    .kernarg_segment_align: 8
    .kernarg_segment_size: 3632
    .language:       OpenCL C
    .language_version:
      - 2
      - 0
    .max_flat_workgroup_size: 512
    .name:           _ZN2at6native12_GLOBAL__N_125multi_tensor_apply_kernelINS1_18TensorListMetadataILi1EEENS1_14UnaryOpFunctorIN3c108BFloat16ELi1ELi1ELi0EEEJNS0_7SigmoidIfEEEEEvT_T0_DpT1_
    .private_segment_fixed_size: 0
    .sgpr_count:     36
    .sgpr_spill_count: 0
    .symbol:         _ZN2at6native12_GLOBAL__N_125multi_tensor_apply_kernelINS1_18TensorListMetadataILi1EEENS1_14UnaryOpFunctorIN3c108BFloat16ELi1ELi1ELi0EEEJNS0_7SigmoidIfEEEEEvT_T0_DpT1_.kd
    .uniform_work_group_size: 1
    .uses_dynamic_stack: false
    .vgpr_count:     22
    .vgpr_spill_count: 0
    .wavefront_size: 64
  - .args:
      - .offset:         0
        .size:           3144
        .value_kind:     by_value
      - .offset:         3144
        .size:           1
        .value_kind:     by_value
      - .offset:         3145
        .size:           1
        .value_kind:     by_value
      - .offset:         3152
        .size:           4
        .value_kind:     hidden_block_count_x
      - .offset:         3156
        .size:           4
        .value_kind:     hidden_block_count_y
      - .offset:         3160
        .size:           4
        .value_kind:     hidden_block_count_z
      - .offset:         3164
        .size:           2
        .value_kind:     hidden_group_size_x
      - .offset:         3166
        .size:           2
        .value_kind:     hidden_group_size_y
      - .offset:         3168
        .size:           2
        .value_kind:     hidden_group_size_z
      - .offset:         3170
        .size:           2
        .value_kind:     hidden_remainder_x
      - .offset:         3172
        .size:           2
        .value_kind:     hidden_remainder_y
      - .offset:         3174
        .size:           2
        .value_kind:     hidden_remainder_z
      - .offset:         3192
        .size:           8
        .value_kind:     hidden_global_offset_x
      - .offset:         3200
        .size:           8
        .value_kind:     hidden_global_offset_y
      - .offset:         3208
        .size:           8
        .value_kind:     hidden_global_offset_z
      - .offset:         3216
        .size:           2
        .value_kind:     hidden_grid_dims
    .group_segment_fixed_size: 0
    .kernarg_segment_align: 8
    .kernarg_segment_size: 3408
    .language:       OpenCL C
    .language_version:
      - 2
      - 0
    .max_flat_workgroup_size: 512
    .name:           _ZN2at6native12_GLOBAL__N_125multi_tensor_apply_kernelINS1_18TensorListMetadataILi2EEENS1_14UnaryOpFunctorIdLi2ELi1ELi1EEEJNS0_5RoundIdEEEEEvT_T0_DpT1_
    .private_segment_fixed_size: 0
    .sgpr_count:     24
    .sgpr_spill_count: 0
    .symbol:         _ZN2at6native12_GLOBAL__N_125multi_tensor_apply_kernelINS1_18TensorListMetadataILi2EEENS1_14UnaryOpFunctorIdLi2ELi1ELi1EEEJNS0_5RoundIdEEEEEvT_T0_DpT1_.kd
    .uniform_work_group_size: 1
    .uses_dynamic_stack: false
    .vgpr_count:     33
    .vgpr_spill_count: 0
    .wavefront_size: 64
  - .args:
      - .offset:         0
        .size:           3144
        .value_kind:     by_value
      - .offset:         3144
        .size:           1
        .value_kind:     by_value
      - .offset:         3145
        .size:           1
        .value_kind:     by_value
      - .offset:         3152
        .size:           4
        .value_kind:     hidden_block_count_x
      - .offset:         3156
        .size:           4
        .value_kind:     hidden_block_count_y
      - .offset:         3160
        .size:           4
        .value_kind:     hidden_block_count_z
      - .offset:         3164
        .size:           2
        .value_kind:     hidden_group_size_x
      - .offset:         3166
        .size:           2
        .value_kind:     hidden_group_size_y
      - .offset:         3168
        .size:           2
        .value_kind:     hidden_group_size_z
      - .offset:         3170
        .size:           2
        .value_kind:     hidden_remainder_x
      - .offset:         3172
        .size:           2
        .value_kind:     hidden_remainder_y
      - .offset:         3174
        .size:           2
        .value_kind:     hidden_remainder_z
      - .offset:         3192
        .size:           8
        .value_kind:     hidden_global_offset_x
      - .offset:         3200
        .size:           8
        .value_kind:     hidden_global_offset_y
      - .offset:         3208
        .size:           8
        .value_kind:     hidden_global_offset_z
      - .offset:         3216
        .size:           2
        .value_kind:     hidden_grid_dims
    .group_segment_fixed_size: 0
    .kernarg_segment_align: 8
    .kernarg_segment_size: 3408
    .language:       OpenCL C
    .language_version:
      - 2
      - 0
    .max_flat_workgroup_size: 512
    .name:           _ZN2at6native12_GLOBAL__N_125multi_tensor_apply_kernelINS1_18TensorListMetadataILi2EEENS1_14UnaryOpFunctorIfLi2ELi1ELi1EEEJNS0_5RoundIfEEEEEvT_T0_DpT1_
    .private_segment_fixed_size: 0
    .sgpr_count:     24
    .sgpr_spill_count: 0
    .symbol:         _ZN2at6native12_GLOBAL__N_125multi_tensor_apply_kernelINS1_18TensorListMetadataILi2EEENS1_14UnaryOpFunctorIfLi2ELi1ELi1EEEJNS0_5RoundIfEEEEEvT_T0_DpT1_.kd
    .uniform_work_group_size: 1
    .uses_dynamic_stack: false
    .vgpr_count:     29
    .vgpr_spill_count: 0
    .wavefront_size: 64
  - .args:
      - .offset:         0
        .size:           3144
        .value_kind:     by_value
      - .offset:         3144
        .size:           1
        .value_kind:     by_value
      - .offset:         3145
        .size:           1
        .value_kind:     by_value
      - .offset:         3152
        .size:           4
        .value_kind:     hidden_block_count_x
      - .offset:         3156
        .size:           4
        .value_kind:     hidden_block_count_y
      - .offset:         3160
        .size:           4
        .value_kind:     hidden_block_count_z
      - .offset:         3164
        .size:           2
        .value_kind:     hidden_group_size_x
      - .offset:         3166
        .size:           2
        .value_kind:     hidden_group_size_y
      - .offset:         3168
        .size:           2
        .value_kind:     hidden_group_size_z
      - .offset:         3170
        .size:           2
        .value_kind:     hidden_remainder_x
      - .offset:         3172
        .size:           2
        .value_kind:     hidden_remainder_y
      - .offset:         3174
        .size:           2
        .value_kind:     hidden_remainder_z
      - .offset:         3192
        .size:           8
        .value_kind:     hidden_global_offset_x
      - .offset:         3200
        .size:           8
        .value_kind:     hidden_global_offset_y
      - .offset:         3208
        .size:           8
        .value_kind:     hidden_global_offset_z
      - .offset:         3216
        .size:           2
        .value_kind:     hidden_grid_dims
    .group_segment_fixed_size: 0
    .kernarg_segment_align: 8
    .kernarg_segment_size: 3408
    .language:       OpenCL C
    .language_version:
      - 2
      - 0
    .max_flat_workgroup_size: 512
    .name:           _ZN2at6native12_GLOBAL__N_125multi_tensor_apply_kernelINS1_18TensorListMetadataILi2EEENS1_14UnaryOpFunctorIN3c104HalfELi2ELi1ELi1EEEJNS0_5RoundIfEEEEEvT_T0_DpT1_
    .private_segment_fixed_size: 0
    .sgpr_count:     24
    .sgpr_spill_count: 0
    .symbol:         _ZN2at6native12_GLOBAL__N_125multi_tensor_apply_kernelINS1_18TensorListMetadataILi2EEENS1_14UnaryOpFunctorIN3c104HalfELi2ELi1ELi1EEEJNS0_5RoundIfEEEEEvT_T0_DpT1_.kd
    .uniform_work_group_size: 1
    .uses_dynamic_stack: false
    .vgpr_count:     29
    .vgpr_spill_count: 0
    .wavefront_size: 64
  - .args:
      - .offset:         0
        .size:           3144
        .value_kind:     by_value
      - .offset:         3144
        .size:           1
        .value_kind:     by_value
      - .offset:         3145
        .size:           1
        .value_kind:     by_value
      - .offset:         3152
        .size:           4
        .value_kind:     hidden_block_count_x
      - .offset:         3156
        .size:           4
        .value_kind:     hidden_block_count_y
      - .offset:         3160
        .size:           4
        .value_kind:     hidden_block_count_z
      - .offset:         3164
        .size:           2
        .value_kind:     hidden_group_size_x
      - .offset:         3166
        .size:           2
        .value_kind:     hidden_group_size_y
      - .offset:         3168
        .size:           2
        .value_kind:     hidden_group_size_z
      - .offset:         3170
        .size:           2
        .value_kind:     hidden_remainder_x
      - .offset:         3172
        .size:           2
        .value_kind:     hidden_remainder_y
      - .offset:         3174
        .size:           2
        .value_kind:     hidden_remainder_z
      - .offset:         3192
        .size:           8
        .value_kind:     hidden_global_offset_x
      - .offset:         3200
        .size:           8
        .value_kind:     hidden_global_offset_y
      - .offset:         3208
        .size:           8
        .value_kind:     hidden_global_offset_z
      - .offset:         3216
        .size:           2
        .value_kind:     hidden_grid_dims
    .group_segment_fixed_size: 0
    .kernarg_segment_align: 8
    .kernarg_segment_size: 3408
    .language:       OpenCL C
    .language_version:
      - 2
      - 0
    .max_flat_workgroup_size: 512
    .name:           _ZN2at6native12_GLOBAL__N_125multi_tensor_apply_kernelINS1_18TensorListMetadataILi2EEENS1_14UnaryOpFunctorIN3c108BFloat16ELi2ELi1ELi1EEEJNS0_5RoundIfEEEEEvT_T0_DpT1_
    .private_segment_fixed_size: 0
    .sgpr_count:     27
    .sgpr_spill_count: 0
    .symbol:         _ZN2at6native12_GLOBAL__N_125multi_tensor_apply_kernelINS1_18TensorListMetadataILi2EEENS1_14UnaryOpFunctorIN3c108BFloat16ELi2ELi1ELi1EEEJNS0_5RoundIfEEEEEvT_T0_DpT1_.kd
    .uniform_work_group_size: 1
    .uses_dynamic_stack: false
    .vgpr_count:     30
    .vgpr_spill_count: 0
    .wavefront_size: 64
  - .args:
      - .offset:         0
        .size:           3368
        .value_kind:     by_value
      - .offset:         3368
        .size:           1
        .value_kind:     by_value
      - .offset:         3369
        .size:           1
        .value_kind:     by_value
      - .offset:         3376
        .size:           4
        .value_kind:     hidden_block_count_x
      - .offset:         3380
        .size:           4
        .value_kind:     hidden_block_count_y
      - .offset:         3384
        .size:           4
        .value_kind:     hidden_block_count_z
      - .offset:         3388
        .size:           2
        .value_kind:     hidden_group_size_x
      - .offset:         3390
        .size:           2
        .value_kind:     hidden_group_size_y
      - .offset:         3392
        .size:           2
        .value_kind:     hidden_group_size_z
      - .offset:         3394
        .size:           2
        .value_kind:     hidden_remainder_x
      - .offset:         3396
        .size:           2
        .value_kind:     hidden_remainder_y
      - .offset:         3398
        .size:           2
        .value_kind:     hidden_remainder_z
      - .offset:         3416
        .size:           8
        .value_kind:     hidden_global_offset_x
      - .offset:         3424
        .size:           8
        .value_kind:     hidden_global_offset_y
      - .offset:         3432
        .size:           8
        .value_kind:     hidden_global_offset_z
      - .offset:         3440
        .size:           2
        .value_kind:     hidden_grid_dims
    .group_segment_fixed_size: 0
    .kernarg_segment_align: 8
    .kernarg_segment_size: 3632
    .language:       OpenCL C
    .language_version:
      - 2
      - 0
    .max_flat_workgroup_size: 512
    .name:           _ZN2at6native12_GLOBAL__N_125multi_tensor_apply_kernelINS1_18TensorListMetadataILi1EEENS1_14UnaryOpFunctorIdLi1ELi1ELi0EEEJNS0_5RoundIdEEEEEvT_T0_DpT1_
    .private_segment_fixed_size: 0
    .sgpr_count:     32
    .sgpr_spill_count: 0
    .symbol:         _ZN2at6native12_GLOBAL__N_125multi_tensor_apply_kernelINS1_18TensorListMetadataILi1EEENS1_14UnaryOpFunctorIdLi1ELi1ELi0EEEJNS0_5RoundIdEEEEEvT_T0_DpT1_.kd
    .uniform_work_group_size: 1
    .uses_dynamic_stack: false
    .vgpr_count:     21
    .vgpr_spill_count: 0
    .wavefront_size: 64
  - .args:
      - .offset:         0
        .size:           3368
        .value_kind:     by_value
      - .offset:         3368
        .size:           1
        .value_kind:     by_value
      - .offset:         3369
        .size:           1
        .value_kind:     by_value
      - .offset:         3376
        .size:           4
        .value_kind:     hidden_block_count_x
      - .offset:         3380
        .size:           4
        .value_kind:     hidden_block_count_y
      - .offset:         3384
        .size:           4
        .value_kind:     hidden_block_count_z
      - .offset:         3388
        .size:           2
        .value_kind:     hidden_group_size_x
      - .offset:         3390
        .size:           2
        .value_kind:     hidden_group_size_y
      - .offset:         3392
        .size:           2
        .value_kind:     hidden_group_size_z
      - .offset:         3394
        .size:           2
        .value_kind:     hidden_remainder_x
      - .offset:         3396
        .size:           2
        .value_kind:     hidden_remainder_y
      - .offset:         3398
        .size:           2
        .value_kind:     hidden_remainder_z
      - .offset:         3416
        .size:           8
        .value_kind:     hidden_global_offset_x
      - .offset:         3424
        .size:           8
        .value_kind:     hidden_global_offset_y
      - .offset:         3432
        .size:           8
        .value_kind:     hidden_global_offset_z
      - .offset:         3440
        .size:           2
        .value_kind:     hidden_grid_dims
    .group_segment_fixed_size: 0
    .kernarg_segment_align: 8
    .kernarg_segment_size: 3632
    .language:       OpenCL C
    .language_version:
      - 2
      - 0
    .max_flat_workgroup_size: 512
    .name:           _ZN2at6native12_GLOBAL__N_125multi_tensor_apply_kernelINS1_18TensorListMetadataILi1EEENS1_14UnaryOpFunctorIfLi1ELi1ELi0EEEJNS0_5RoundIfEEEEEvT_T0_DpT1_
    .private_segment_fixed_size: 0
    .sgpr_count:     32
    .sgpr_spill_count: 0
    .symbol:         _ZN2at6native12_GLOBAL__N_125multi_tensor_apply_kernelINS1_18TensorListMetadataILi1EEENS1_14UnaryOpFunctorIfLi1ELi1ELi0EEEJNS0_5RoundIfEEEEEvT_T0_DpT1_.kd
    .uniform_work_group_size: 1
    .uses_dynamic_stack: false
    .vgpr_count:     17
    .vgpr_spill_count: 0
    .wavefront_size: 64
  - .args:
      - .offset:         0
        .size:           3368
        .value_kind:     by_value
      - .offset:         3368
        .size:           1
        .value_kind:     by_value
      - .offset:         3369
        .size:           1
        .value_kind:     by_value
      - .offset:         3376
        .size:           4
        .value_kind:     hidden_block_count_x
      - .offset:         3380
        .size:           4
        .value_kind:     hidden_block_count_y
      - .offset:         3384
        .size:           4
        .value_kind:     hidden_block_count_z
      - .offset:         3388
        .size:           2
        .value_kind:     hidden_group_size_x
      - .offset:         3390
        .size:           2
        .value_kind:     hidden_group_size_y
      - .offset:         3392
        .size:           2
        .value_kind:     hidden_group_size_z
      - .offset:         3394
        .size:           2
        .value_kind:     hidden_remainder_x
      - .offset:         3396
        .size:           2
        .value_kind:     hidden_remainder_y
      - .offset:         3398
        .size:           2
        .value_kind:     hidden_remainder_z
      - .offset:         3416
        .size:           8
        .value_kind:     hidden_global_offset_x
      - .offset:         3424
        .size:           8
        .value_kind:     hidden_global_offset_y
      - .offset:         3432
        .size:           8
        .value_kind:     hidden_global_offset_z
      - .offset:         3440
        .size:           2
        .value_kind:     hidden_grid_dims
    .group_segment_fixed_size: 0
    .kernarg_segment_align: 8
    .kernarg_segment_size: 3632
    .language:       OpenCL C
    .language_version:
      - 2
      - 0
    .max_flat_workgroup_size: 512
    .name:           _ZN2at6native12_GLOBAL__N_125multi_tensor_apply_kernelINS1_18TensorListMetadataILi1EEENS1_14UnaryOpFunctorIN3c104HalfELi1ELi1ELi0EEEJNS0_5RoundIfEEEEEvT_T0_DpT1_
    .private_segment_fixed_size: 0
    .sgpr_count:     31
    .sgpr_spill_count: 0
    .symbol:         _ZN2at6native12_GLOBAL__N_125multi_tensor_apply_kernelINS1_18TensorListMetadataILi1EEENS1_14UnaryOpFunctorIN3c104HalfELi1ELi1ELi0EEEJNS0_5RoundIfEEEEEvT_T0_DpT1_.kd
    .uniform_work_group_size: 1
    .uses_dynamic_stack: false
    .vgpr_count:     17
    .vgpr_spill_count: 0
    .wavefront_size: 64
  - .args:
      - .offset:         0
        .size:           3368
        .value_kind:     by_value
      - .offset:         3368
        .size:           1
        .value_kind:     by_value
      - .offset:         3369
        .size:           1
        .value_kind:     by_value
      - .offset:         3376
        .size:           4
        .value_kind:     hidden_block_count_x
      - .offset:         3380
        .size:           4
        .value_kind:     hidden_block_count_y
      - .offset:         3384
        .size:           4
        .value_kind:     hidden_block_count_z
      - .offset:         3388
        .size:           2
        .value_kind:     hidden_group_size_x
      - .offset:         3390
        .size:           2
        .value_kind:     hidden_group_size_y
      - .offset:         3392
        .size:           2
        .value_kind:     hidden_group_size_z
      - .offset:         3394
        .size:           2
        .value_kind:     hidden_remainder_x
      - .offset:         3396
        .size:           2
        .value_kind:     hidden_remainder_y
      - .offset:         3398
        .size:           2
        .value_kind:     hidden_remainder_z
      - .offset:         3416
        .size:           8
        .value_kind:     hidden_global_offset_x
      - .offset:         3424
        .size:           8
        .value_kind:     hidden_global_offset_y
      - .offset:         3432
        .size:           8
        .value_kind:     hidden_global_offset_z
      - .offset:         3440
        .size:           2
        .value_kind:     hidden_grid_dims
    .group_segment_fixed_size: 0
    .kernarg_segment_align: 8
    .kernarg_segment_size: 3632
    .language:       OpenCL C
    .language_version:
      - 2
      - 0
    .max_flat_workgroup_size: 512
    .name:           _ZN2at6native12_GLOBAL__N_125multi_tensor_apply_kernelINS1_18TensorListMetadataILi1EEENS1_14UnaryOpFunctorIN3c108BFloat16ELi1ELi1ELi0EEEJNS0_5RoundIfEEEEEvT_T0_DpT1_
    .private_segment_fixed_size: 0
    .sgpr_count:     32
    .sgpr_spill_count: 0
    .symbol:         _ZN2at6native12_GLOBAL__N_125multi_tensor_apply_kernelINS1_18TensorListMetadataILi1EEENS1_14UnaryOpFunctorIN3c108BFloat16ELi1ELi1ELi0EEEJNS0_5RoundIfEEEEEvT_T0_DpT1_.kd
    .uniform_work_group_size: 1
    .uses_dynamic_stack: false
    .vgpr_count:     17
    .vgpr_spill_count: 0
    .wavefront_size: 64
  - .args:
      - .offset:         0
        .size:           3144
        .value_kind:     by_value
      - .offset:         3144
        .size:           1
        .value_kind:     by_value
      - .offset:         3145
        .size:           1
        .value_kind:     by_value
      - .offset:         3152
        .size:           4
        .value_kind:     hidden_block_count_x
      - .offset:         3156
        .size:           4
        .value_kind:     hidden_block_count_y
      - .offset:         3160
        .size:           4
        .value_kind:     hidden_block_count_z
      - .offset:         3164
        .size:           2
        .value_kind:     hidden_group_size_x
      - .offset:         3166
        .size:           2
        .value_kind:     hidden_group_size_y
      - .offset:         3168
        .size:           2
        .value_kind:     hidden_group_size_z
      - .offset:         3170
        .size:           2
        .value_kind:     hidden_remainder_x
      - .offset:         3172
        .size:           2
        .value_kind:     hidden_remainder_y
      - .offset:         3174
        .size:           2
        .value_kind:     hidden_remainder_z
      - .offset:         3192
        .size:           8
        .value_kind:     hidden_global_offset_x
      - .offset:         3200
        .size:           8
        .value_kind:     hidden_global_offset_y
      - .offset:         3208
        .size:           8
        .value_kind:     hidden_global_offset_z
      - .offset:         3216
        .size:           2
        .value_kind:     hidden_grid_dims
    .group_segment_fixed_size: 0
    .kernarg_segment_align: 8
    .kernarg_segment_size: 3408
    .language:       OpenCL C
    .language_version:
      - 2
      - 0
    .max_flat_workgroup_size: 512
    .name:           _ZN2at6native12_GLOBAL__N_125multi_tensor_apply_kernelINS1_18TensorListMetadataILi2EEENS1_14UnaryOpFunctorIdLi2ELi1ELi1EEEJNS0_5TruncIdEEEEEvT_T0_DpT1_
    .private_segment_fixed_size: 0
    .sgpr_count:     24
    .sgpr_spill_count: 0
    .symbol:         _ZN2at6native12_GLOBAL__N_125multi_tensor_apply_kernelINS1_18TensorListMetadataILi2EEENS1_14UnaryOpFunctorIdLi2ELi1ELi1EEEJNS0_5TruncIdEEEEEvT_T0_DpT1_.kd
    .uniform_work_group_size: 1
    .uses_dynamic_stack: false
    .vgpr_count:     33
    .vgpr_spill_count: 0
    .wavefront_size: 64
  - .args:
      - .offset:         0
        .size:           3144
        .value_kind:     by_value
      - .offset:         3144
        .size:           1
        .value_kind:     by_value
      - .offset:         3145
        .size:           1
        .value_kind:     by_value
      - .offset:         3152
        .size:           4
        .value_kind:     hidden_block_count_x
      - .offset:         3156
        .size:           4
        .value_kind:     hidden_block_count_y
      - .offset:         3160
        .size:           4
        .value_kind:     hidden_block_count_z
      - .offset:         3164
        .size:           2
        .value_kind:     hidden_group_size_x
      - .offset:         3166
        .size:           2
        .value_kind:     hidden_group_size_y
      - .offset:         3168
        .size:           2
        .value_kind:     hidden_group_size_z
      - .offset:         3170
        .size:           2
        .value_kind:     hidden_remainder_x
      - .offset:         3172
        .size:           2
        .value_kind:     hidden_remainder_y
      - .offset:         3174
        .size:           2
        .value_kind:     hidden_remainder_z
      - .offset:         3192
        .size:           8
        .value_kind:     hidden_global_offset_x
      - .offset:         3200
        .size:           8
        .value_kind:     hidden_global_offset_y
      - .offset:         3208
        .size:           8
        .value_kind:     hidden_global_offset_z
      - .offset:         3216
        .size:           2
        .value_kind:     hidden_grid_dims
    .group_segment_fixed_size: 0
    .kernarg_segment_align: 8
    .kernarg_segment_size: 3408
    .language:       OpenCL C
    .language_version:
      - 2
      - 0
    .max_flat_workgroup_size: 512
    .name:           _ZN2at6native12_GLOBAL__N_125multi_tensor_apply_kernelINS1_18TensorListMetadataILi2EEENS1_14UnaryOpFunctorIfLi2ELi1ELi1EEEJNS0_5TruncIfEEEEEvT_T0_DpT1_
    .private_segment_fixed_size: 0
    .sgpr_count:     24
    .sgpr_spill_count: 0
    .symbol:         _ZN2at6native12_GLOBAL__N_125multi_tensor_apply_kernelINS1_18TensorListMetadataILi2EEENS1_14UnaryOpFunctorIfLi2ELi1ELi1EEEJNS0_5TruncIfEEEEEvT_T0_DpT1_.kd
    .uniform_work_group_size: 1
    .uses_dynamic_stack: false
    .vgpr_count:     30
    .vgpr_spill_count: 0
    .wavefront_size: 64
  - .args:
      - .offset:         0
        .size:           3144
        .value_kind:     by_value
      - .offset:         3144
        .size:           1
        .value_kind:     by_value
      - .offset:         3145
        .size:           1
        .value_kind:     by_value
      - .offset:         3152
        .size:           4
        .value_kind:     hidden_block_count_x
      - .offset:         3156
        .size:           4
        .value_kind:     hidden_block_count_y
      - .offset:         3160
        .size:           4
        .value_kind:     hidden_block_count_z
      - .offset:         3164
        .size:           2
        .value_kind:     hidden_group_size_x
      - .offset:         3166
        .size:           2
        .value_kind:     hidden_group_size_y
      - .offset:         3168
        .size:           2
        .value_kind:     hidden_group_size_z
      - .offset:         3170
        .size:           2
        .value_kind:     hidden_remainder_x
      - .offset:         3172
        .size:           2
        .value_kind:     hidden_remainder_y
      - .offset:         3174
        .size:           2
        .value_kind:     hidden_remainder_z
      - .offset:         3192
        .size:           8
        .value_kind:     hidden_global_offset_x
      - .offset:         3200
        .size:           8
        .value_kind:     hidden_global_offset_y
      - .offset:         3208
        .size:           8
        .value_kind:     hidden_global_offset_z
      - .offset:         3216
        .size:           2
        .value_kind:     hidden_grid_dims
    .group_segment_fixed_size: 0
    .kernarg_segment_align: 8
    .kernarg_segment_size: 3408
    .language:       OpenCL C
    .language_version:
      - 2
      - 0
    .max_flat_workgroup_size: 512
    .name:           _ZN2at6native12_GLOBAL__N_125multi_tensor_apply_kernelINS1_18TensorListMetadataILi2EEENS1_14UnaryOpFunctorIN3c104HalfELi2ELi1ELi1EEEJNS0_5TruncIfEEEEEvT_T0_DpT1_
    .private_segment_fixed_size: 0
    .sgpr_count:     24
    .sgpr_spill_count: 0
    .symbol:         _ZN2at6native12_GLOBAL__N_125multi_tensor_apply_kernelINS1_18TensorListMetadataILi2EEENS1_14UnaryOpFunctorIN3c104HalfELi2ELi1ELi1EEEJNS0_5TruncIfEEEEEvT_T0_DpT1_.kd
    .uniform_work_group_size: 1
    .uses_dynamic_stack: false
    .vgpr_count:     29
    .vgpr_spill_count: 0
    .wavefront_size: 64
  - .args:
      - .offset:         0
        .size:           3144
        .value_kind:     by_value
      - .offset:         3144
        .size:           1
        .value_kind:     by_value
      - .offset:         3145
        .size:           1
        .value_kind:     by_value
      - .offset:         3152
        .size:           4
        .value_kind:     hidden_block_count_x
      - .offset:         3156
        .size:           4
        .value_kind:     hidden_block_count_y
      - .offset:         3160
        .size:           4
        .value_kind:     hidden_block_count_z
      - .offset:         3164
        .size:           2
        .value_kind:     hidden_group_size_x
      - .offset:         3166
        .size:           2
        .value_kind:     hidden_group_size_y
      - .offset:         3168
        .size:           2
        .value_kind:     hidden_group_size_z
      - .offset:         3170
        .size:           2
        .value_kind:     hidden_remainder_x
      - .offset:         3172
        .size:           2
        .value_kind:     hidden_remainder_y
      - .offset:         3174
        .size:           2
        .value_kind:     hidden_remainder_z
      - .offset:         3192
        .size:           8
        .value_kind:     hidden_global_offset_x
      - .offset:         3200
        .size:           8
        .value_kind:     hidden_global_offset_y
      - .offset:         3208
        .size:           8
        .value_kind:     hidden_global_offset_z
      - .offset:         3216
        .size:           2
        .value_kind:     hidden_grid_dims
    .group_segment_fixed_size: 0
    .kernarg_segment_align: 8
    .kernarg_segment_size: 3408
    .language:       OpenCL C
    .language_version:
      - 2
      - 0
    .max_flat_workgroup_size: 512
    .name:           _ZN2at6native12_GLOBAL__N_125multi_tensor_apply_kernelINS1_18TensorListMetadataILi2EEENS1_14UnaryOpFunctorIN3c108BFloat16ELi2ELi1ELi1EEEJNS0_5TruncIfEEEEEvT_T0_DpT1_
    .private_segment_fixed_size: 0
    .sgpr_count:     27
    .sgpr_spill_count: 0
    .symbol:         _ZN2at6native12_GLOBAL__N_125multi_tensor_apply_kernelINS1_18TensorListMetadataILi2EEENS1_14UnaryOpFunctorIN3c108BFloat16ELi2ELi1ELi1EEEJNS0_5TruncIfEEEEEvT_T0_DpT1_.kd
    .uniform_work_group_size: 1
    .uses_dynamic_stack: false
    .vgpr_count:     30
    .vgpr_spill_count: 0
    .wavefront_size: 64
  - .args:
      - .offset:         0
        .size:           3368
        .value_kind:     by_value
      - .offset:         3368
        .size:           1
        .value_kind:     by_value
      - .offset:         3369
        .size:           1
        .value_kind:     by_value
      - .offset:         3376
        .size:           4
        .value_kind:     hidden_block_count_x
      - .offset:         3380
        .size:           4
        .value_kind:     hidden_block_count_y
      - .offset:         3384
        .size:           4
        .value_kind:     hidden_block_count_z
      - .offset:         3388
        .size:           2
        .value_kind:     hidden_group_size_x
      - .offset:         3390
        .size:           2
        .value_kind:     hidden_group_size_y
      - .offset:         3392
        .size:           2
        .value_kind:     hidden_group_size_z
      - .offset:         3394
        .size:           2
        .value_kind:     hidden_remainder_x
      - .offset:         3396
        .size:           2
        .value_kind:     hidden_remainder_y
      - .offset:         3398
        .size:           2
        .value_kind:     hidden_remainder_z
      - .offset:         3416
        .size:           8
        .value_kind:     hidden_global_offset_x
      - .offset:         3424
        .size:           8
        .value_kind:     hidden_global_offset_y
      - .offset:         3432
        .size:           8
        .value_kind:     hidden_global_offset_z
      - .offset:         3440
        .size:           2
        .value_kind:     hidden_grid_dims
    .group_segment_fixed_size: 0
    .kernarg_segment_align: 8
    .kernarg_segment_size: 3632
    .language:       OpenCL C
    .language_version:
      - 2
      - 0
    .max_flat_workgroup_size: 512
    .name:           _ZN2at6native12_GLOBAL__N_125multi_tensor_apply_kernelINS1_18TensorListMetadataILi1EEENS1_14UnaryOpFunctorIdLi1ELi1ELi0EEEJNS0_5TruncIdEEEEEvT_T0_DpT1_
    .private_segment_fixed_size: 0
    .sgpr_count:     32
    .sgpr_spill_count: 0
    .symbol:         _ZN2at6native12_GLOBAL__N_125multi_tensor_apply_kernelINS1_18TensorListMetadataILi1EEENS1_14UnaryOpFunctorIdLi1ELi1ELi0EEEJNS0_5TruncIdEEEEEvT_T0_DpT1_.kd
    .uniform_work_group_size: 1
    .uses_dynamic_stack: false
    .vgpr_count:     21
    .vgpr_spill_count: 0
    .wavefront_size: 64
  - .args:
      - .offset:         0
        .size:           3368
        .value_kind:     by_value
      - .offset:         3368
        .size:           1
        .value_kind:     by_value
      - .offset:         3369
        .size:           1
        .value_kind:     by_value
      - .offset:         3376
        .size:           4
        .value_kind:     hidden_block_count_x
      - .offset:         3380
        .size:           4
        .value_kind:     hidden_block_count_y
      - .offset:         3384
        .size:           4
        .value_kind:     hidden_block_count_z
      - .offset:         3388
        .size:           2
        .value_kind:     hidden_group_size_x
      - .offset:         3390
        .size:           2
        .value_kind:     hidden_group_size_y
      - .offset:         3392
        .size:           2
        .value_kind:     hidden_group_size_z
      - .offset:         3394
        .size:           2
        .value_kind:     hidden_remainder_x
      - .offset:         3396
        .size:           2
        .value_kind:     hidden_remainder_y
      - .offset:         3398
        .size:           2
        .value_kind:     hidden_remainder_z
      - .offset:         3416
        .size:           8
        .value_kind:     hidden_global_offset_x
      - .offset:         3424
        .size:           8
        .value_kind:     hidden_global_offset_y
      - .offset:         3432
        .size:           8
        .value_kind:     hidden_global_offset_z
      - .offset:         3440
        .size:           2
        .value_kind:     hidden_grid_dims
    .group_segment_fixed_size: 0
    .kernarg_segment_align: 8
    .kernarg_segment_size: 3632
    .language:       OpenCL C
    .language_version:
      - 2
      - 0
    .max_flat_workgroup_size: 512
    .name:           _ZN2at6native12_GLOBAL__N_125multi_tensor_apply_kernelINS1_18TensorListMetadataILi1EEENS1_14UnaryOpFunctorIfLi1ELi1ELi0EEEJNS0_5TruncIfEEEEEvT_T0_DpT1_
    .private_segment_fixed_size: 0
    .sgpr_count:     32
    .sgpr_spill_count: 0
    .symbol:         _ZN2at6native12_GLOBAL__N_125multi_tensor_apply_kernelINS1_18TensorListMetadataILi1EEENS1_14UnaryOpFunctorIfLi1ELi1ELi0EEEJNS0_5TruncIfEEEEEvT_T0_DpT1_.kd
    .uniform_work_group_size: 1
    .uses_dynamic_stack: false
    .vgpr_count:     16
    .vgpr_spill_count: 0
    .wavefront_size: 64
  - .args:
      - .offset:         0
        .size:           3368
        .value_kind:     by_value
      - .offset:         3368
        .size:           1
        .value_kind:     by_value
      - .offset:         3369
        .size:           1
        .value_kind:     by_value
      - .offset:         3376
        .size:           4
        .value_kind:     hidden_block_count_x
      - .offset:         3380
        .size:           4
        .value_kind:     hidden_block_count_y
      - .offset:         3384
        .size:           4
        .value_kind:     hidden_block_count_z
      - .offset:         3388
        .size:           2
        .value_kind:     hidden_group_size_x
      - .offset:         3390
        .size:           2
        .value_kind:     hidden_group_size_y
      - .offset:         3392
        .size:           2
        .value_kind:     hidden_group_size_z
      - .offset:         3394
        .size:           2
        .value_kind:     hidden_remainder_x
      - .offset:         3396
        .size:           2
        .value_kind:     hidden_remainder_y
      - .offset:         3398
        .size:           2
        .value_kind:     hidden_remainder_z
      - .offset:         3416
        .size:           8
        .value_kind:     hidden_global_offset_x
      - .offset:         3424
        .size:           8
        .value_kind:     hidden_global_offset_y
      - .offset:         3432
        .size:           8
        .value_kind:     hidden_global_offset_z
      - .offset:         3440
        .size:           2
        .value_kind:     hidden_grid_dims
    .group_segment_fixed_size: 0
    .kernarg_segment_align: 8
    .kernarg_segment_size: 3632
    .language:       OpenCL C
    .language_version:
      - 2
      - 0
    .max_flat_workgroup_size: 512
    .name:           _ZN2at6native12_GLOBAL__N_125multi_tensor_apply_kernelINS1_18TensorListMetadataILi1EEENS1_14UnaryOpFunctorIN3c104HalfELi1ELi1ELi0EEEJNS0_5TruncIfEEEEEvT_T0_DpT1_
    .private_segment_fixed_size: 0
    .sgpr_count:     31
    .sgpr_spill_count: 0
    .symbol:         _ZN2at6native12_GLOBAL__N_125multi_tensor_apply_kernelINS1_18TensorListMetadataILi1EEENS1_14UnaryOpFunctorIN3c104HalfELi1ELi1ELi0EEEJNS0_5TruncIfEEEEEvT_T0_DpT1_.kd
    .uniform_work_group_size: 1
    .uses_dynamic_stack: false
    .vgpr_count:     16
    .vgpr_spill_count: 0
    .wavefront_size: 64
  - .args:
      - .offset:         0
        .size:           3368
        .value_kind:     by_value
      - .offset:         3368
        .size:           1
        .value_kind:     by_value
      - .offset:         3369
        .size:           1
        .value_kind:     by_value
      - .offset:         3376
        .size:           4
        .value_kind:     hidden_block_count_x
      - .offset:         3380
        .size:           4
        .value_kind:     hidden_block_count_y
      - .offset:         3384
        .size:           4
        .value_kind:     hidden_block_count_z
      - .offset:         3388
        .size:           2
        .value_kind:     hidden_group_size_x
      - .offset:         3390
        .size:           2
        .value_kind:     hidden_group_size_y
      - .offset:         3392
        .size:           2
        .value_kind:     hidden_group_size_z
      - .offset:         3394
        .size:           2
        .value_kind:     hidden_remainder_x
      - .offset:         3396
        .size:           2
        .value_kind:     hidden_remainder_y
      - .offset:         3398
        .size:           2
        .value_kind:     hidden_remainder_z
      - .offset:         3416
        .size:           8
        .value_kind:     hidden_global_offset_x
      - .offset:         3424
        .size:           8
        .value_kind:     hidden_global_offset_y
      - .offset:         3432
        .size:           8
        .value_kind:     hidden_global_offset_z
      - .offset:         3440
        .size:           2
        .value_kind:     hidden_grid_dims
    .group_segment_fixed_size: 0
    .kernarg_segment_align: 8
    .kernarg_segment_size: 3632
    .language:       OpenCL C
    .language_version:
      - 2
      - 0
    .max_flat_workgroup_size: 512
    .name:           _ZN2at6native12_GLOBAL__N_125multi_tensor_apply_kernelINS1_18TensorListMetadataILi1EEENS1_14UnaryOpFunctorIN3c108BFloat16ELi1ELi1ELi0EEEJNS0_5TruncIfEEEEEvT_T0_DpT1_
    .private_segment_fixed_size: 0
    .sgpr_count:     32
    .sgpr_spill_count: 0
    .symbol:         _ZN2at6native12_GLOBAL__N_125multi_tensor_apply_kernelINS1_18TensorListMetadataILi1EEENS1_14UnaryOpFunctorIN3c108BFloat16ELi1ELi1ELi0EEEJNS0_5TruncIfEEEEEvT_T0_DpT1_.kd
    .uniform_work_group_size: 1
    .uses_dynamic_stack: false
    .vgpr_count:     17
    .vgpr_spill_count: 0
    .wavefront_size: 64
  - .args:
      - .offset:         0
        .size:           3144
        .value_kind:     by_value
      - .offset:         3144
        .size:           1
        .value_kind:     by_value
      - .offset:         3152
        .size:           8
        .value_kind:     by_value
      - .offset:         3160
        .size:           4
        .value_kind:     hidden_block_count_x
      - .offset:         3164
        .size:           4
        .value_kind:     hidden_block_count_y
      - .offset:         3168
        .size:           4
        .value_kind:     hidden_block_count_z
      - .offset:         3172
        .size:           2
        .value_kind:     hidden_group_size_x
      - .offset:         3174
        .size:           2
        .value_kind:     hidden_group_size_y
      - .offset:         3176
        .size:           2
        .value_kind:     hidden_group_size_z
      - .offset:         3178
        .size:           2
        .value_kind:     hidden_remainder_x
      - .offset:         3180
        .size:           2
        .value_kind:     hidden_remainder_y
      - .offset:         3182
        .size:           2
        .value_kind:     hidden_remainder_z
      - .offset:         3200
        .size:           8
        .value_kind:     hidden_global_offset_x
      - .offset:         3208
        .size:           8
        .value_kind:     hidden_global_offset_y
      - .offset:         3216
        .size:           8
        .value_kind:     hidden_global_offset_z
      - .offset:         3224
        .size:           2
        .value_kind:     hidden_grid_dims
    .group_segment_fixed_size: 0
    .kernarg_segment_align: 8
    .kernarg_segment_size: 3416
    .language:       OpenCL C
    .language_version:
      - 2
      - 0
    .max_flat_workgroup_size: 512
    .name:           _ZN2at6native12_GLOBAL__N_125multi_tensor_apply_kernelINS1_18TensorListMetadataILi2EEENS1_14UnaryOpFunctorIdLi2ELi1ELi1EEEJNS0_10ReciprocalIdEEEEEvT_T0_DpT1_
    .private_segment_fixed_size: 0
    .sgpr_count:     30
    .sgpr_spill_count: 0
    .symbol:         _ZN2at6native12_GLOBAL__N_125multi_tensor_apply_kernelINS1_18TensorListMetadataILi2EEENS1_14UnaryOpFunctorIdLi2ELi1ELi1EEEJNS0_10ReciprocalIdEEEEEvT_T0_DpT1_.kd
    .uniform_work_group_size: 1
    .uses_dynamic_stack: false
    .vgpr_count:     45
    .vgpr_spill_count: 0
    .wavefront_size: 64
  - .args:
      - .offset:         0
        .size:           3144
        .value_kind:     by_value
      - .offset:         3144
        .size:           1
        .value_kind:     by_value
      - .offset:         3148
        .size:           4
        .value_kind:     by_value
      - .offset:         3152
        .size:           4
        .value_kind:     hidden_block_count_x
      - .offset:         3156
        .size:           4
        .value_kind:     hidden_block_count_y
      - .offset:         3160
        .size:           4
        .value_kind:     hidden_block_count_z
      - .offset:         3164
        .size:           2
        .value_kind:     hidden_group_size_x
      - .offset:         3166
        .size:           2
        .value_kind:     hidden_group_size_y
      - .offset:         3168
        .size:           2
        .value_kind:     hidden_group_size_z
      - .offset:         3170
        .size:           2
        .value_kind:     hidden_remainder_x
      - .offset:         3172
        .size:           2
        .value_kind:     hidden_remainder_y
      - .offset:         3174
        .size:           2
        .value_kind:     hidden_remainder_z
      - .offset:         3192
        .size:           8
        .value_kind:     hidden_global_offset_x
      - .offset:         3200
        .size:           8
        .value_kind:     hidden_global_offset_y
      - .offset:         3208
        .size:           8
        .value_kind:     hidden_global_offset_z
      - .offset:         3216
        .size:           2
        .value_kind:     hidden_grid_dims
    .group_segment_fixed_size: 0
    .kernarg_segment_align: 8
    .kernarg_segment_size: 3408
    .language:       OpenCL C
    .language_version:
      - 2
      - 0
    .max_flat_workgroup_size: 512
    .name:           _ZN2at6native12_GLOBAL__N_125multi_tensor_apply_kernelINS1_18TensorListMetadataILi2EEENS1_14UnaryOpFunctorIfLi2ELi1ELi1EEEJNS0_10ReciprocalIfEEEEEvT_T0_DpT1_
    .private_segment_fixed_size: 0
    .sgpr_count:     31
    .sgpr_spill_count: 0
    .symbol:         _ZN2at6native12_GLOBAL__N_125multi_tensor_apply_kernelINS1_18TensorListMetadataILi2EEENS1_14UnaryOpFunctorIfLi2ELi1ELi1EEEJNS0_10ReciprocalIfEEEEEvT_T0_DpT1_.kd
    .uniform_work_group_size: 1
    .uses_dynamic_stack: false
    .vgpr_count:     32
    .vgpr_spill_count: 0
    .wavefront_size: 64
  - .args:
      - .offset:         0
        .size:           3144
        .value_kind:     by_value
      - .offset:         3144
        .size:           1
        .value_kind:     by_value
      - .offset:         3152
        .size:           16
        .value_kind:     by_value
      - .offset:         3168
        .size:           4
        .value_kind:     hidden_block_count_x
      - .offset:         3172
        .size:           4
        .value_kind:     hidden_block_count_y
      - .offset:         3176
        .size:           4
        .value_kind:     hidden_block_count_z
      - .offset:         3180
        .size:           2
        .value_kind:     hidden_group_size_x
      - .offset:         3182
        .size:           2
        .value_kind:     hidden_group_size_y
      - .offset:         3184
        .size:           2
        .value_kind:     hidden_group_size_z
      - .offset:         3186
        .size:           2
        .value_kind:     hidden_remainder_x
      - .offset:         3188
        .size:           2
        .value_kind:     hidden_remainder_y
      - .offset:         3190
        .size:           2
        .value_kind:     hidden_remainder_z
      - .offset:         3208
        .size:           8
        .value_kind:     hidden_global_offset_x
      - .offset:         3216
        .size:           8
        .value_kind:     hidden_global_offset_y
      - .offset:         3224
        .size:           8
        .value_kind:     hidden_global_offset_z
      - .offset:         3232
        .size:           2
        .value_kind:     hidden_grid_dims
    .group_segment_fixed_size: 0
    .kernarg_segment_align: 16
    .kernarg_segment_size: 3424
    .language:       OpenCL C
    .language_version:
      - 2
      - 0
    .max_flat_workgroup_size: 512
    .name:           _ZN2at6native12_GLOBAL__N_125multi_tensor_apply_kernelINS1_18TensorListMetadataILi2EEENS1_14UnaryOpFunctorIN3c107complexIdEELi2ELi1ELi1EEEJNS0_10ReciprocalIS8_EEEEEvT_T0_DpT1_
    .private_segment_fixed_size: 0
    .sgpr_count:     36
    .sgpr_spill_count: 0
    .symbol:         _ZN2at6native12_GLOBAL__N_125multi_tensor_apply_kernelINS1_18TensorListMetadataILi2EEENS1_14UnaryOpFunctorIN3c107complexIdEELi2ELi1ELi1EEEJNS0_10ReciprocalIS8_EEEEEvT_T0_DpT1_.kd
    .uniform_work_group_size: 1
    .uses_dynamic_stack: false
    .vgpr_count:     41
    .vgpr_spill_count: 0
    .wavefront_size: 64
  - .args:
      - .offset:         0
        .size:           3144
        .value_kind:     by_value
      - .offset:         3144
        .size:           1
        .value_kind:     by_value
      - .offset:         3152
        .size:           8
        .value_kind:     by_value
      - .offset:         3160
        .size:           4
        .value_kind:     hidden_block_count_x
      - .offset:         3164
        .size:           4
        .value_kind:     hidden_block_count_y
      - .offset:         3168
        .size:           4
        .value_kind:     hidden_block_count_z
      - .offset:         3172
        .size:           2
        .value_kind:     hidden_group_size_x
      - .offset:         3174
        .size:           2
        .value_kind:     hidden_group_size_y
      - .offset:         3176
        .size:           2
        .value_kind:     hidden_group_size_z
      - .offset:         3178
        .size:           2
        .value_kind:     hidden_remainder_x
      - .offset:         3180
        .size:           2
        .value_kind:     hidden_remainder_y
      - .offset:         3182
        .size:           2
        .value_kind:     hidden_remainder_z
      - .offset:         3200
        .size:           8
        .value_kind:     hidden_global_offset_x
      - .offset:         3208
        .size:           8
        .value_kind:     hidden_global_offset_y
      - .offset:         3216
        .size:           8
        .value_kind:     hidden_global_offset_z
      - .offset:         3224
        .size:           2
        .value_kind:     hidden_grid_dims
    .group_segment_fixed_size: 0
    .kernarg_segment_align: 8
    .kernarg_segment_size: 3416
    .language:       OpenCL C
    .language_version:
      - 2
      - 0
    .max_flat_workgroup_size: 512
    .name:           _ZN2at6native12_GLOBAL__N_125multi_tensor_apply_kernelINS1_18TensorListMetadataILi2EEENS1_14UnaryOpFunctorIN3c107complexIfEELi2ELi1ELi1EEEJNS0_10ReciprocalIS8_EEEEEvT_T0_DpT1_
    .private_segment_fixed_size: 0
    .sgpr_count:     34
    .sgpr_spill_count: 0
    .symbol:         _ZN2at6native12_GLOBAL__N_125multi_tensor_apply_kernelINS1_18TensorListMetadataILi2EEENS1_14UnaryOpFunctorIN3c107complexIfEELi2ELi1ELi1EEEJNS0_10ReciprocalIS8_EEEEEvT_T0_DpT1_.kd
    .uniform_work_group_size: 1
    .uses_dynamic_stack: false
    .vgpr_count:     24
    .vgpr_spill_count: 0
    .wavefront_size: 64
  - .args:
      - .offset:         0
        .size:           3144
        .value_kind:     by_value
      - .offset:         3144
        .size:           1
        .value_kind:     by_value
      - .offset:         3148
        .size:           4
        .value_kind:     by_value
      - .offset:         3152
        .size:           4
        .value_kind:     hidden_block_count_x
      - .offset:         3156
        .size:           4
        .value_kind:     hidden_block_count_y
      - .offset:         3160
        .size:           4
        .value_kind:     hidden_block_count_z
      - .offset:         3164
        .size:           2
        .value_kind:     hidden_group_size_x
      - .offset:         3166
        .size:           2
        .value_kind:     hidden_group_size_y
      - .offset:         3168
        .size:           2
        .value_kind:     hidden_group_size_z
      - .offset:         3170
        .size:           2
        .value_kind:     hidden_remainder_x
      - .offset:         3172
        .size:           2
        .value_kind:     hidden_remainder_y
      - .offset:         3174
        .size:           2
        .value_kind:     hidden_remainder_z
      - .offset:         3192
        .size:           8
        .value_kind:     hidden_global_offset_x
      - .offset:         3200
        .size:           8
        .value_kind:     hidden_global_offset_y
      - .offset:         3208
        .size:           8
        .value_kind:     hidden_global_offset_z
      - .offset:         3216
        .size:           2
        .value_kind:     hidden_grid_dims
    .group_segment_fixed_size: 0
    .kernarg_segment_align: 8
    .kernarg_segment_size: 3408
    .language:       OpenCL C
    .language_version:
      - 2
      - 0
    .max_flat_workgroup_size: 512
    .name:           _ZN2at6native12_GLOBAL__N_125multi_tensor_apply_kernelINS1_18TensorListMetadataILi2EEENS1_14UnaryOpFunctorIN3c104HalfELi2ELi1ELi1EEEJNS0_10ReciprocalIfEEEEEvT_T0_DpT1_
    .private_segment_fixed_size: 0
    .sgpr_count:     31
    .sgpr_spill_count: 0
    .symbol:         _ZN2at6native12_GLOBAL__N_125multi_tensor_apply_kernelINS1_18TensorListMetadataILi2EEENS1_14UnaryOpFunctorIN3c104HalfELi2ELi1ELi1EEEJNS0_10ReciprocalIfEEEEEvT_T0_DpT1_.kd
    .uniform_work_group_size: 1
    .uses_dynamic_stack: false
    .vgpr_count:     32
    .vgpr_spill_count: 0
    .wavefront_size: 64
  - .args:
      - .offset:         0
        .size:           3144
        .value_kind:     by_value
      - .offset:         3144
        .size:           1
        .value_kind:     by_value
      - .offset:         3148
        .size:           4
        .value_kind:     by_value
      - .offset:         3152
        .size:           4
        .value_kind:     hidden_block_count_x
      - .offset:         3156
        .size:           4
        .value_kind:     hidden_block_count_y
      - .offset:         3160
        .size:           4
        .value_kind:     hidden_block_count_z
      - .offset:         3164
        .size:           2
        .value_kind:     hidden_group_size_x
      - .offset:         3166
        .size:           2
        .value_kind:     hidden_group_size_y
      - .offset:         3168
        .size:           2
        .value_kind:     hidden_group_size_z
      - .offset:         3170
        .size:           2
        .value_kind:     hidden_remainder_x
      - .offset:         3172
        .size:           2
        .value_kind:     hidden_remainder_y
      - .offset:         3174
        .size:           2
        .value_kind:     hidden_remainder_z
      - .offset:         3192
        .size:           8
        .value_kind:     hidden_global_offset_x
      - .offset:         3200
        .size:           8
        .value_kind:     hidden_global_offset_y
      - .offset:         3208
        .size:           8
        .value_kind:     hidden_global_offset_z
      - .offset:         3216
        .size:           2
        .value_kind:     hidden_grid_dims
    .group_segment_fixed_size: 0
    .kernarg_segment_align: 8
    .kernarg_segment_size: 3408
    .language:       OpenCL C
    .language_version:
      - 2
      - 0
    .max_flat_workgroup_size: 512
    .name:           _ZN2at6native12_GLOBAL__N_125multi_tensor_apply_kernelINS1_18TensorListMetadataILi2EEENS1_14UnaryOpFunctorIN3c108BFloat16ELi2ELi1ELi1EEEJNS0_10ReciprocalIfEEEEEvT_T0_DpT1_
    .private_segment_fixed_size: 0
    .sgpr_count:     30
    .sgpr_spill_count: 0
    .symbol:         _ZN2at6native12_GLOBAL__N_125multi_tensor_apply_kernelINS1_18TensorListMetadataILi2EEENS1_14UnaryOpFunctorIN3c108BFloat16ELi2ELi1ELi1EEEJNS0_10ReciprocalIfEEEEEvT_T0_DpT1_.kd
    .uniform_work_group_size: 1
    .uses_dynamic_stack: false
    .vgpr_count:     33
    .vgpr_spill_count: 0
    .wavefront_size: 64
  - .args:
      - .offset:         0
        .size:           3368
        .value_kind:     by_value
      - .offset:         3368
        .size:           1
        .value_kind:     by_value
      - .offset:         3376
        .size:           8
        .value_kind:     by_value
      - .offset:         3384
        .size:           4
        .value_kind:     hidden_block_count_x
      - .offset:         3388
        .size:           4
        .value_kind:     hidden_block_count_y
      - .offset:         3392
        .size:           4
        .value_kind:     hidden_block_count_z
      - .offset:         3396
        .size:           2
        .value_kind:     hidden_group_size_x
      - .offset:         3398
        .size:           2
        .value_kind:     hidden_group_size_y
      - .offset:         3400
        .size:           2
        .value_kind:     hidden_group_size_z
      - .offset:         3402
        .size:           2
        .value_kind:     hidden_remainder_x
      - .offset:         3404
        .size:           2
        .value_kind:     hidden_remainder_y
      - .offset:         3406
        .size:           2
        .value_kind:     hidden_remainder_z
      - .offset:         3424
        .size:           8
        .value_kind:     hidden_global_offset_x
      - .offset:         3432
        .size:           8
        .value_kind:     hidden_global_offset_y
      - .offset:         3440
        .size:           8
        .value_kind:     hidden_global_offset_z
      - .offset:         3448
        .size:           2
        .value_kind:     hidden_grid_dims
    .group_segment_fixed_size: 0
    .kernarg_segment_align: 8
    .kernarg_segment_size: 3640
    .language:       OpenCL C
    .language_version:
      - 2
      - 0
    .max_flat_workgroup_size: 512
    .name:           _ZN2at6native12_GLOBAL__N_125multi_tensor_apply_kernelINS1_18TensorListMetadataILi1EEENS1_14UnaryOpFunctorIdLi1ELi1ELi0EEEJNS0_10ReciprocalIdEEEEEvT_T0_DpT1_
    .private_segment_fixed_size: 0
    .sgpr_count:     34
    .sgpr_spill_count: 0
    .symbol:         _ZN2at6native12_GLOBAL__N_125multi_tensor_apply_kernelINS1_18TensorListMetadataILi1EEENS1_14UnaryOpFunctorIdLi1ELi1ELi0EEEJNS0_10ReciprocalIdEEEEEvT_T0_DpT1_.kd
    .uniform_work_group_size: 1
    .uses_dynamic_stack: false
    .vgpr_count:     30
    .vgpr_spill_count: 0
    .wavefront_size: 64
  - .args:
      - .offset:         0
        .size:           3368
        .value_kind:     by_value
      - .offset:         3368
        .size:           1
        .value_kind:     by_value
      - .offset:         3372
        .size:           4
        .value_kind:     by_value
      - .offset:         3376
        .size:           4
        .value_kind:     hidden_block_count_x
      - .offset:         3380
        .size:           4
        .value_kind:     hidden_block_count_y
      - .offset:         3384
        .size:           4
        .value_kind:     hidden_block_count_z
      - .offset:         3388
        .size:           2
        .value_kind:     hidden_group_size_x
      - .offset:         3390
        .size:           2
        .value_kind:     hidden_group_size_y
      - .offset:         3392
        .size:           2
        .value_kind:     hidden_group_size_z
      - .offset:         3394
        .size:           2
        .value_kind:     hidden_remainder_x
      - .offset:         3396
        .size:           2
        .value_kind:     hidden_remainder_y
      - .offset:         3398
        .size:           2
        .value_kind:     hidden_remainder_z
      - .offset:         3416
        .size:           8
        .value_kind:     hidden_global_offset_x
      - .offset:         3424
        .size:           8
        .value_kind:     hidden_global_offset_y
      - .offset:         3432
        .size:           8
        .value_kind:     hidden_global_offset_z
      - .offset:         3440
        .size:           2
        .value_kind:     hidden_grid_dims
    .group_segment_fixed_size: 0
    .kernarg_segment_align: 8
    .kernarg_segment_size: 3632
    .language:       OpenCL C
    .language_version:
      - 2
      - 0
    .max_flat_workgroup_size: 512
    .name:           _ZN2at6native12_GLOBAL__N_125multi_tensor_apply_kernelINS1_18TensorListMetadataILi1EEENS1_14UnaryOpFunctorIfLi1ELi1ELi0EEEJNS0_10ReciprocalIfEEEEEvT_T0_DpT1_
    .private_segment_fixed_size: 0
    .sgpr_count:     33
    .sgpr_spill_count: 0
    .symbol:         _ZN2at6native12_GLOBAL__N_125multi_tensor_apply_kernelINS1_18TensorListMetadataILi1EEENS1_14UnaryOpFunctorIfLi1ELi1ELi0EEEJNS0_10ReciprocalIfEEEEEvT_T0_DpT1_.kd
    .uniform_work_group_size: 1
    .uses_dynamic_stack: false
    .vgpr_count:     20
    .vgpr_spill_count: 0
    .wavefront_size: 64
  - .args:
      - .offset:         0
        .size:           3368
        .value_kind:     by_value
      - .offset:         3368
        .size:           1
        .value_kind:     by_value
      - .offset:         3376
        .size:           16
        .value_kind:     by_value
      - .offset:         3392
        .size:           4
        .value_kind:     hidden_block_count_x
      - .offset:         3396
        .size:           4
        .value_kind:     hidden_block_count_y
      - .offset:         3400
        .size:           4
        .value_kind:     hidden_block_count_z
      - .offset:         3404
        .size:           2
        .value_kind:     hidden_group_size_x
      - .offset:         3406
        .size:           2
        .value_kind:     hidden_group_size_y
      - .offset:         3408
        .size:           2
        .value_kind:     hidden_group_size_z
      - .offset:         3410
        .size:           2
        .value_kind:     hidden_remainder_x
      - .offset:         3412
        .size:           2
        .value_kind:     hidden_remainder_y
      - .offset:         3414
        .size:           2
        .value_kind:     hidden_remainder_z
      - .offset:         3432
        .size:           8
        .value_kind:     hidden_global_offset_x
      - .offset:         3440
        .size:           8
        .value_kind:     hidden_global_offset_y
      - .offset:         3448
        .size:           8
        .value_kind:     hidden_global_offset_z
      - .offset:         3456
        .size:           2
        .value_kind:     hidden_grid_dims
    .group_segment_fixed_size: 0
    .kernarg_segment_align: 16
    .kernarg_segment_size: 3648
    .language:       OpenCL C
    .language_version:
      - 2
      - 0
    .max_flat_workgroup_size: 512
    .name:           _ZN2at6native12_GLOBAL__N_125multi_tensor_apply_kernelINS1_18TensorListMetadataILi1EEENS1_14UnaryOpFunctorIN3c107complexIdEELi1ELi1ELi0EEEJNS0_10ReciprocalIS8_EEEEEvT_T0_DpT1_
    .private_segment_fixed_size: 0
    .sgpr_count:     41
    .sgpr_spill_count: 0
    .symbol:         _ZN2at6native12_GLOBAL__N_125multi_tensor_apply_kernelINS1_18TensorListMetadataILi1EEENS1_14UnaryOpFunctorIN3c107complexIdEELi1ELi1ELi0EEEJNS0_10ReciprocalIS8_EEEEEvT_T0_DpT1_.kd
    .uniform_work_group_size: 1
    .uses_dynamic_stack: false
    .vgpr_count:     45
    .vgpr_spill_count: 0
    .wavefront_size: 64
  - .args:
      - .offset:         0
        .size:           3368
        .value_kind:     by_value
      - .offset:         3368
        .size:           1
        .value_kind:     by_value
      - .offset:         3376
        .size:           8
        .value_kind:     by_value
      - .offset:         3384
        .size:           4
        .value_kind:     hidden_block_count_x
      - .offset:         3388
        .size:           4
        .value_kind:     hidden_block_count_y
      - .offset:         3392
        .size:           4
        .value_kind:     hidden_block_count_z
      - .offset:         3396
        .size:           2
        .value_kind:     hidden_group_size_x
      - .offset:         3398
        .size:           2
        .value_kind:     hidden_group_size_y
      - .offset:         3400
        .size:           2
        .value_kind:     hidden_group_size_z
      - .offset:         3402
        .size:           2
        .value_kind:     hidden_remainder_x
      - .offset:         3404
        .size:           2
        .value_kind:     hidden_remainder_y
      - .offset:         3406
        .size:           2
        .value_kind:     hidden_remainder_z
      - .offset:         3424
        .size:           8
        .value_kind:     hidden_global_offset_x
      - .offset:         3432
        .size:           8
        .value_kind:     hidden_global_offset_y
      - .offset:         3440
        .size:           8
        .value_kind:     hidden_global_offset_z
      - .offset:         3448
        .size:           2
        .value_kind:     hidden_grid_dims
    .group_segment_fixed_size: 0
    .kernarg_segment_align: 8
    .kernarg_segment_size: 3640
    .language:       OpenCL C
    .language_version:
      - 2
      - 0
    .max_flat_workgroup_size: 512
    .name:           _ZN2at6native12_GLOBAL__N_125multi_tensor_apply_kernelINS1_18TensorListMetadataILi1EEENS1_14UnaryOpFunctorIN3c107complexIfEELi1ELi1ELi0EEEJNS0_10ReciprocalIS8_EEEEEvT_T0_DpT1_
    .private_segment_fixed_size: 0
    .sgpr_count:     40
    .sgpr_spill_count: 0
    .symbol:         _ZN2at6native12_GLOBAL__N_125multi_tensor_apply_kernelINS1_18TensorListMetadataILi1EEENS1_14UnaryOpFunctorIN3c107complexIfEELi1ELi1ELi0EEEJNS0_10ReciprocalIS8_EEEEEvT_T0_DpT1_.kd
    .uniform_work_group_size: 1
    .uses_dynamic_stack: false
    .vgpr_count:     26
    .vgpr_spill_count: 0
    .wavefront_size: 64
  - .args:
      - .offset:         0
        .size:           3368
        .value_kind:     by_value
      - .offset:         3368
        .size:           1
        .value_kind:     by_value
      - .offset:         3372
        .size:           4
        .value_kind:     by_value
      - .offset:         3376
        .size:           4
        .value_kind:     hidden_block_count_x
      - .offset:         3380
        .size:           4
        .value_kind:     hidden_block_count_y
      - .offset:         3384
        .size:           4
        .value_kind:     hidden_block_count_z
      - .offset:         3388
        .size:           2
        .value_kind:     hidden_group_size_x
      - .offset:         3390
        .size:           2
        .value_kind:     hidden_group_size_y
      - .offset:         3392
        .size:           2
        .value_kind:     hidden_group_size_z
      - .offset:         3394
        .size:           2
        .value_kind:     hidden_remainder_x
      - .offset:         3396
        .size:           2
        .value_kind:     hidden_remainder_y
      - .offset:         3398
        .size:           2
        .value_kind:     hidden_remainder_z
      - .offset:         3416
        .size:           8
        .value_kind:     hidden_global_offset_x
      - .offset:         3424
        .size:           8
        .value_kind:     hidden_global_offset_y
      - .offset:         3432
        .size:           8
        .value_kind:     hidden_global_offset_z
      - .offset:         3440
        .size:           2
        .value_kind:     hidden_grid_dims
    .group_segment_fixed_size: 0
    .kernarg_segment_align: 8
    .kernarg_segment_size: 3632
    .language:       OpenCL C
    .language_version:
      - 2
      - 0
    .max_flat_workgroup_size: 512
    .name:           _ZN2at6native12_GLOBAL__N_125multi_tensor_apply_kernelINS1_18TensorListMetadataILi1EEENS1_14UnaryOpFunctorIN3c104HalfELi1ELi1ELi0EEEJNS0_10ReciprocalIfEEEEEvT_T0_DpT1_
    .private_segment_fixed_size: 0
    .sgpr_count:     32
    .sgpr_spill_count: 0
    .symbol:         _ZN2at6native12_GLOBAL__N_125multi_tensor_apply_kernelINS1_18TensorListMetadataILi1EEENS1_14UnaryOpFunctorIN3c104HalfELi1ELi1ELi0EEEJNS0_10ReciprocalIfEEEEEvT_T0_DpT1_.kd
    .uniform_work_group_size: 1
    .uses_dynamic_stack: false
    .vgpr_count:     20
    .vgpr_spill_count: 0
    .wavefront_size: 64
  - .args:
      - .offset:         0
        .size:           3368
        .value_kind:     by_value
      - .offset:         3368
        .size:           1
        .value_kind:     by_value
      - .offset:         3372
        .size:           4
        .value_kind:     by_value
      - .offset:         3376
        .size:           4
        .value_kind:     hidden_block_count_x
      - .offset:         3380
        .size:           4
        .value_kind:     hidden_block_count_y
      - .offset:         3384
        .size:           4
        .value_kind:     hidden_block_count_z
      - .offset:         3388
        .size:           2
        .value_kind:     hidden_group_size_x
      - .offset:         3390
        .size:           2
        .value_kind:     hidden_group_size_y
      - .offset:         3392
        .size:           2
        .value_kind:     hidden_group_size_z
      - .offset:         3394
        .size:           2
        .value_kind:     hidden_remainder_x
      - .offset:         3396
        .size:           2
        .value_kind:     hidden_remainder_y
      - .offset:         3398
        .size:           2
        .value_kind:     hidden_remainder_z
      - .offset:         3416
        .size:           8
        .value_kind:     hidden_global_offset_x
      - .offset:         3424
        .size:           8
        .value_kind:     hidden_global_offset_y
      - .offset:         3432
        .size:           8
        .value_kind:     hidden_global_offset_z
      - .offset:         3440
        .size:           2
        .value_kind:     hidden_grid_dims
    .group_segment_fixed_size: 0
    .kernarg_segment_align: 8
    .kernarg_segment_size: 3632
    .language:       OpenCL C
    .language_version:
      - 2
      - 0
    .max_flat_workgroup_size: 512
    .name:           _ZN2at6native12_GLOBAL__N_125multi_tensor_apply_kernelINS1_18TensorListMetadataILi1EEENS1_14UnaryOpFunctorIN3c108BFloat16ELi1ELi1ELi0EEEJNS0_10ReciprocalIfEEEEEvT_T0_DpT1_
    .private_segment_fixed_size: 0
    .sgpr_count:     33
    .sgpr_spill_count: 0
    .symbol:         _ZN2at6native12_GLOBAL__N_125multi_tensor_apply_kernelINS1_18TensorListMetadataILi1EEENS1_14UnaryOpFunctorIN3c108BFloat16ELi1ELi1ELi0EEEJNS0_10ReciprocalIfEEEEEvT_T0_DpT1_.kd
    .uniform_work_group_size: 1
    .uses_dynamic_stack: false
    .vgpr_count:     23
    .vgpr_spill_count: 0
    .wavefront_size: 64
  - .args:
      - .offset:         0
        .size:           3144
        .value_kind:     by_value
      - .offset:         3144
        .size:           1
        .value_kind:     by_value
      - .offset:         3145
        .size:           1
        .value_kind:     by_value
      - .offset:         3152
        .size:           4
        .value_kind:     hidden_block_count_x
      - .offset:         3156
        .size:           4
        .value_kind:     hidden_block_count_y
      - .offset:         3160
        .size:           4
        .value_kind:     hidden_block_count_z
      - .offset:         3164
        .size:           2
        .value_kind:     hidden_group_size_x
      - .offset:         3166
        .size:           2
        .value_kind:     hidden_group_size_y
      - .offset:         3168
        .size:           2
        .value_kind:     hidden_group_size_z
      - .offset:         3170
        .size:           2
        .value_kind:     hidden_remainder_x
      - .offset:         3172
        .size:           2
        .value_kind:     hidden_remainder_y
      - .offset:         3174
        .size:           2
        .value_kind:     hidden_remainder_z
      - .offset:         3192
        .size:           8
        .value_kind:     hidden_global_offset_x
      - .offset:         3200
        .size:           8
        .value_kind:     hidden_global_offset_y
      - .offset:         3208
        .size:           8
        .value_kind:     hidden_global_offset_z
      - .offset:         3216
        .size:           2
        .value_kind:     hidden_grid_dims
    .group_segment_fixed_size: 0
    .kernarg_segment_align: 8
    .kernarg_segment_size: 3408
    .language:       OpenCL C
    .language_version:
      - 2
      - 0
    .max_flat_workgroup_size: 512
    .name:           _ZN2at6native12_GLOBAL__N_125multi_tensor_apply_kernelINS1_18TensorListMetadataILi2EEENS1_14UnaryOpFunctorIdLi2ELi1ELi1EEEJNS0_4SignIdEEEEEvT_T0_DpT1_
    .private_segment_fixed_size: 0
    .sgpr_count:     28
    .sgpr_spill_count: 0
    .symbol:         _ZN2at6native12_GLOBAL__N_125multi_tensor_apply_kernelINS1_18TensorListMetadataILi2EEENS1_14UnaryOpFunctorIdLi2ELi1ELi1EEEJNS0_4SignIdEEEEEvT_T0_DpT1_.kd
    .uniform_work_group_size: 1
    .uses_dynamic_stack: false
    .vgpr_count:     33
    .vgpr_spill_count: 0
    .wavefront_size: 64
  - .args:
      - .offset:         0
        .size:           3144
        .value_kind:     by_value
      - .offset:         3144
        .size:           1
        .value_kind:     by_value
      - .offset:         3145
        .size:           1
        .value_kind:     by_value
      - .offset:         3152
        .size:           4
        .value_kind:     hidden_block_count_x
      - .offset:         3156
        .size:           4
        .value_kind:     hidden_block_count_y
      - .offset:         3160
        .size:           4
        .value_kind:     hidden_block_count_z
      - .offset:         3164
        .size:           2
        .value_kind:     hidden_group_size_x
      - .offset:         3166
        .size:           2
        .value_kind:     hidden_group_size_y
      - .offset:         3168
        .size:           2
        .value_kind:     hidden_group_size_z
      - .offset:         3170
        .size:           2
        .value_kind:     hidden_remainder_x
      - .offset:         3172
        .size:           2
        .value_kind:     hidden_remainder_y
      - .offset:         3174
        .size:           2
        .value_kind:     hidden_remainder_z
      - .offset:         3192
        .size:           8
        .value_kind:     hidden_global_offset_x
      - .offset:         3200
        .size:           8
        .value_kind:     hidden_global_offset_y
      - .offset:         3208
        .size:           8
        .value_kind:     hidden_global_offset_z
      - .offset:         3216
        .size:           2
        .value_kind:     hidden_grid_dims
    .group_segment_fixed_size: 0
    .kernarg_segment_align: 8
    .kernarg_segment_size: 3408
    .language:       OpenCL C
    .language_version:
      - 2
      - 0
    .max_flat_workgroup_size: 512
    .name:           _ZN2at6native12_GLOBAL__N_125multi_tensor_apply_kernelINS1_18TensorListMetadataILi2EEENS1_14UnaryOpFunctorIfLi2ELi1ELi1EEEJNS0_4SignIfEEEEEvT_T0_DpT1_
    .private_segment_fixed_size: 0
    .sgpr_count:     32
    .sgpr_spill_count: 0
    .symbol:         _ZN2at6native12_GLOBAL__N_125multi_tensor_apply_kernelINS1_18TensorListMetadataILi2EEENS1_14UnaryOpFunctorIfLi2ELi1ELi1EEEJNS0_4SignIfEEEEEvT_T0_DpT1_.kd
    .uniform_work_group_size: 1
    .uses_dynamic_stack: false
    .vgpr_count:     29
    .vgpr_spill_count: 0
    .wavefront_size: 64
  - .args:
      - .offset:         0
        .size:           3144
        .value_kind:     by_value
      - .offset:         3144
        .size:           1
        .value_kind:     by_value
      - .offset:         3145
        .size:           1
        .value_kind:     by_value
      - .offset:         3152
        .size:           4
        .value_kind:     hidden_block_count_x
      - .offset:         3156
        .size:           4
        .value_kind:     hidden_block_count_y
      - .offset:         3160
        .size:           4
        .value_kind:     hidden_block_count_z
      - .offset:         3164
        .size:           2
        .value_kind:     hidden_group_size_x
      - .offset:         3166
        .size:           2
        .value_kind:     hidden_group_size_y
      - .offset:         3168
        .size:           2
        .value_kind:     hidden_group_size_z
      - .offset:         3170
        .size:           2
        .value_kind:     hidden_remainder_x
      - .offset:         3172
        .size:           2
        .value_kind:     hidden_remainder_y
      - .offset:         3174
        .size:           2
        .value_kind:     hidden_remainder_z
      - .offset:         3192
        .size:           8
        .value_kind:     hidden_global_offset_x
      - .offset:         3200
        .size:           8
        .value_kind:     hidden_global_offset_y
      - .offset:         3208
        .size:           8
        .value_kind:     hidden_global_offset_z
      - .offset:         3216
        .size:           2
        .value_kind:     hidden_grid_dims
    .group_segment_fixed_size: 0
    .kernarg_segment_align: 8
    .kernarg_segment_size: 3408
    .language:       OpenCL C
    .language_version:
      - 2
      - 0
    .max_flat_workgroup_size: 512
    .name:           _ZN2at6native12_GLOBAL__N_125multi_tensor_apply_kernelINS1_18TensorListMetadataILi2EEENS1_14UnaryOpFunctorIN3c104HalfELi2ELi1ELi1EEEJNS0_4SignIfEEEEEvT_T0_DpT1_
    .private_segment_fixed_size: 0
    .sgpr_count:     28
    .sgpr_spill_count: 0
    .symbol:         _ZN2at6native12_GLOBAL__N_125multi_tensor_apply_kernelINS1_18TensorListMetadataILi2EEENS1_14UnaryOpFunctorIN3c104HalfELi2ELi1ELi1EEEJNS0_4SignIfEEEEEvT_T0_DpT1_.kd
    .uniform_work_group_size: 1
    .uses_dynamic_stack: false
    .vgpr_count:     29
    .vgpr_spill_count: 0
    .wavefront_size: 64
  - .args:
      - .offset:         0
        .size:           3144
        .value_kind:     by_value
      - .offset:         3144
        .size:           1
        .value_kind:     by_value
      - .offset:         3145
        .size:           1
        .value_kind:     by_value
      - .offset:         3152
        .size:           4
        .value_kind:     hidden_block_count_x
      - .offset:         3156
        .size:           4
        .value_kind:     hidden_block_count_y
      - .offset:         3160
        .size:           4
        .value_kind:     hidden_block_count_z
      - .offset:         3164
        .size:           2
        .value_kind:     hidden_group_size_x
      - .offset:         3166
        .size:           2
        .value_kind:     hidden_group_size_y
      - .offset:         3168
        .size:           2
        .value_kind:     hidden_group_size_z
      - .offset:         3170
        .size:           2
        .value_kind:     hidden_remainder_x
      - .offset:         3172
        .size:           2
        .value_kind:     hidden_remainder_y
      - .offset:         3174
        .size:           2
        .value_kind:     hidden_remainder_z
      - .offset:         3192
        .size:           8
        .value_kind:     hidden_global_offset_x
      - .offset:         3200
        .size:           8
        .value_kind:     hidden_global_offset_y
      - .offset:         3208
        .size:           8
        .value_kind:     hidden_global_offset_z
      - .offset:         3216
        .size:           2
        .value_kind:     hidden_grid_dims
    .group_segment_fixed_size: 0
    .kernarg_segment_align: 8
    .kernarg_segment_size: 3408
    .language:       OpenCL C
    .language_version:
      - 2
      - 0
    .max_flat_workgroup_size: 512
    .name:           _ZN2at6native12_GLOBAL__N_125multi_tensor_apply_kernelINS1_18TensorListMetadataILi2EEENS1_14UnaryOpFunctorIN3c108BFloat16ELi2ELi1ELi1EEEJNS0_4SignIfEEEEEvT_T0_DpT1_
    .private_segment_fixed_size: 0
    .sgpr_count:     28
    .sgpr_spill_count: 0
    .symbol:         _ZN2at6native12_GLOBAL__N_125multi_tensor_apply_kernelINS1_18TensorListMetadataILi2EEENS1_14UnaryOpFunctorIN3c108BFloat16ELi2ELi1ELi1EEEJNS0_4SignIfEEEEEvT_T0_DpT1_.kd
    .uniform_work_group_size: 1
    .uses_dynamic_stack: false
    .vgpr_count:     29
    .vgpr_spill_count: 0
    .wavefront_size: 64
  - .args:
      - .offset:         0
        .size:           3368
        .value_kind:     by_value
      - .offset:         3368
        .size:           1
        .value_kind:     by_value
      - .offset:         3369
        .size:           1
        .value_kind:     by_value
      - .offset:         3376
        .size:           4
        .value_kind:     hidden_block_count_x
      - .offset:         3380
        .size:           4
        .value_kind:     hidden_block_count_y
      - .offset:         3384
        .size:           4
        .value_kind:     hidden_block_count_z
      - .offset:         3388
        .size:           2
        .value_kind:     hidden_group_size_x
      - .offset:         3390
        .size:           2
        .value_kind:     hidden_group_size_y
      - .offset:         3392
        .size:           2
        .value_kind:     hidden_group_size_z
      - .offset:         3394
        .size:           2
        .value_kind:     hidden_remainder_x
      - .offset:         3396
        .size:           2
        .value_kind:     hidden_remainder_y
      - .offset:         3398
        .size:           2
        .value_kind:     hidden_remainder_z
      - .offset:         3416
        .size:           8
        .value_kind:     hidden_global_offset_x
      - .offset:         3424
        .size:           8
        .value_kind:     hidden_global_offset_y
      - .offset:         3432
        .size:           8
        .value_kind:     hidden_global_offset_z
      - .offset:         3440
        .size:           2
        .value_kind:     hidden_grid_dims
    .group_segment_fixed_size: 0
    .kernarg_segment_align: 8
    .kernarg_segment_size: 3632
    .language:       OpenCL C
    .language_version:
      - 2
      - 0
    .max_flat_workgroup_size: 512
    .name:           _ZN2at6native12_GLOBAL__N_125multi_tensor_apply_kernelINS1_18TensorListMetadataILi1EEENS1_14UnaryOpFunctorIdLi1ELi1ELi0EEEJNS0_4SignIdEEEEEvT_T0_DpT1_
    .private_segment_fixed_size: 0
    .sgpr_count:     32
    .sgpr_spill_count: 0
    .symbol:         _ZN2at6native12_GLOBAL__N_125multi_tensor_apply_kernelINS1_18TensorListMetadataILi1EEENS1_14UnaryOpFunctorIdLi1ELi1ELi0EEEJNS0_4SignIdEEEEEvT_T0_DpT1_.kd
    .uniform_work_group_size: 1
    .uses_dynamic_stack: false
    .vgpr_count:     21
    .vgpr_spill_count: 0
    .wavefront_size: 64
  - .args:
      - .offset:         0
        .size:           3368
        .value_kind:     by_value
      - .offset:         3368
        .size:           1
        .value_kind:     by_value
      - .offset:         3369
        .size:           1
        .value_kind:     by_value
      - .offset:         3376
        .size:           4
        .value_kind:     hidden_block_count_x
      - .offset:         3380
        .size:           4
        .value_kind:     hidden_block_count_y
      - .offset:         3384
        .size:           4
        .value_kind:     hidden_block_count_z
      - .offset:         3388
        .size:           2
        .value_kind:     hidden_group_size_x
      - .offset:         3390
        .size:           2
        .value_kind:     hidden_group_size_y
      - .offset:         3392
        .size:           2
        .value_kind:     hidden_group_size_z
      - .offset:         3394
        .size:           2
        .value_kind:     hidden_remainder_x
      - .offset:         3396
        .size:           2
        .value_kind:     hidden_remainder_y
      - .offset:         3398
        .size:           2
        .value_kind:     hidden_remainder_z
      - .offset:         3416
        .size:           8
        .value_kind:     hidden_global_offset_x
      - .offset:         3424
        .size:           8
        .value_kind:     hidden_global_offset_y
      - .offset:         3432
        .size:           8
        .value_kind:     hidden_global_offset_z
      - .offset:         3440
        .size:           2
        .value_kind:     hidden_grid_dims
    .group_segment_fixed_size: 0
    .kernarg_segment_align: 8
    .kernarg_segment_size: 3632
    .language:       OpenCL C
    .language_version:
      - 2
      - 0
    .max_flat_workgroup_size: 512
    .name:           _ZN2at6native12_GLOBAL__N_125multi_tensor_apply_kernelINS1_18TensorListMetadataILi1EEENS1_14UnaryOpFunctorIfLi1ELi1ELi0EEEJNS0_4SignIfEEEEEvT_T0_DpT1_
    .private_segment_fixed_size: 0
    .sgpr_count:     32
    .sgpr_spill_count: 0
    .symbol:         _ZN2at6native12_GLOBAL__N_125multi_tensor_apply_kernelINS1_18TensorListMetadataILi1EEENS1_14UnaryOpFunctorIfLi1ELi1ELi0EEEJNS0_4SignIfEEEEEvT_T0_DpT1_.kd
    .uniform_work_group_size: 1
    .uses_dynamic_stack: false
    .vgpr_count:     16
    .vgpr_spill_count: 0
    .wavefront_size: 64
  - .args:
      - .offset:         0
        .size:           3368
        .value_kind:     by_value
      - .offset:         3368
        .size:           1
        .value_kind:     by_value
      - .offset:         3369
        .size:           1
        .value_kind:     by_value
      - .offset:         3376
        .size:           4
        .value_kind:     hidden_block_count_x
      - .offset:         3380
        .size:           4
        .value_kind:     hidden_block_count_y
      - .offset:         3384
        .size:           4
        .value_kind:     hidden_block_count_z
      - .offset:         3388
        .size:           2
        .value_kind:     hidden_group_size_x
      - .offset:         3390
        .size:           2
        .value_kind:     hidden_group_size_y
      - .offset:         3392
        .size:           2
        .value_kind:     hidden_group_size_z
      - .offset:         3394
        .size:           2
        .value_kind:     hidden_remainder_x
      - .offset:         3396
        .size:           2
        .value_kind:     hidden_remainder_y
      - .offset:         3398
        .size:           2
        .value_kind:     hidden_remainder_z
      - .offset:         3416
        .size:           8
        .value_kind:     hidden_global_offset_x
      - .offset:         3424
        .size:           8
        .value_kind:     hidden_global_offset_y
      - .offset:         3432
        .size:           8
        .value_kind:     hidden_global_offset_z
      - .offset:         3440
        .size:           2
        .value_kind:     hidden_grid_dims
    .group_segment_fixed_size: 0
    .kernarg_segment_align: 8
    .kernarg_segment_size: 3632
    .language:       OpenCL C
    .language_version:
      - 2
      - 0
    .max_flat_workgroup_size: 512
    .name:           _ZN2at6native12_GLOBAL__N_125multi_tensor_apply_kernelINS1_18TensorListMetadataILi1EEENS1_14UnaryOpFunctorIN3c104HalfELi1ELi1ELi0EEEJNS0_4SignIfEEEEEvT_T0_DpT1_
    .private_segment_fixed_size: 0
    .sgpr_count:     31
    .sgpr_spill_count: 0
    .symbol:         _ZN2at6native12_GLOBAL__N_125multi_tensor_apply_kernelINS1_18TensorListMetadataILi1EEENS1_14UnaryOpFunctorIN3c104HalfELi1ELi1ELi0EEEJNS0_4SignIfEEEEEvT_T0_DpT1_.kd
    .uniform_work_group_size: 1
    .uses_dynamic_stack: false
    .vgpr_count:     16
    .vgpr_spill_count: 0
    .wavefront_size: 64
  - .args:
      - .offset:         0
        .size:           3368
        .value_kind:     by_value
      - .offset:         3368
        .size:           1
        .value_kind:     by_value
      - .offset:         3369
        .size:           1
        .value_kind:     by_value
      - .offset:         3376
        .size:           4
        .value_kind:     hidden_block_count_x
      - .offset:         3380
        .size:           4
        .value_kind:     hidden_block_count_y
      - .offset:         3384
        .size:           4
        .value_kind:     hidden_block_count_z
      - .offset:         3388
        .size:           2
        .value_kind:     hidden_group_size_x
      - .offset:         3390
        .size:           2
        .value_kind:     hidden_group_size_y
      - .offset:         3392
        .size:           2
        .value_kind:     hidden_group_size_z
      - .offset:         3394
        .size:           2
        .value_kind:     hidden_remainder_x
      - .offset:         3396
        .size:           2
        .value_kind:     hidden_remainder_y
      - .offset:         3398
        .size:           2
        .value_kind:     hidden_remainder_z
      - .offset:         3416
        .size:           8
        .value_kind:     hidden_global_offset_x
      - .offset:         3424
        .size:           8
        .value_kind:     hidden_global_offset_y
      - .offset:         3432
        .size:           8
        .value_kind:     hidden_global_offset_z
      - .offset:         3440
        .size:           2
        .value_kind:     hidden_grid_dims
    .group_segment_fixed_size: 0
    .kernarg_segment_align: 8
    .kernarg_segment_size: 3632
    .language:       OpenCL C
    .language_version:
      - 2
      - 0
    .max_flat_workgroup_size: 512
    .name:           _ZN2at6native12_GLOBAL__N_125multi_tensor_apply_kernelINS1_18TensorListMetadataILi1EEENS1_14UnaryOpFunctorIN3c108BFloat16ELi1ELi1ELi0EEEJNS0_4SignIfEEEEEvT_T0_DpT1_
    .private_segment_fixed_size: 0
    .sgpr_count:     32
    .sgpr_spill_count: 0
    .symbol:         _ZN2at6native12_GLOBAL__N_125multi_tensor_apply_kernelINS1_18TensorListMetadataILi1EEENS1_14UnaryOpFunctorIN3c108BFloat16ELi1ELi1ELi0EEEJNS0_4SignIfEEEEEvT_T0_DpT1_.kd
    .uniform_work_group_size: 1
    .uses_dynamic_stack: false
    .vgpr_count:     16
    .vgpr_spill_count: 0
    .wavefront_size: 64
  - .args:
      - .offset:         0
        .size:           3144
        .value_kind:     by_value
      - .offset:         3144
        .size:           1
        .value_kind:     by_value
      - .offset:         3145
        .size:           1
        .value_kind:     by_value
      - .offset:         3152
        .size:           4
        .value_kind:     hidden_block_count_x
      - .offset:         3156
        .size:           4
        .value_kind:     hidden_block_count_y
      - .offset:         3160
        .size:           4
        .value_kind:     hidden_block_count_z
      - .offset:         3164
        .size:           2
        .value_kind:     hidden_group_size_x
      - .offset:         3166
        .size:           2
        .value_kind:     hidden_group_size_y
      - .offset:         3168
        .size:           2
        .value_kind:     hidden_group_size_z
      - .offset:         3170
        .size:           2
        .value_kind:     hidden_remainder_x
      - .offset:         3172
        .size:           2
        .value_kind:     hidden_remainder_y
      - .offset:         3174
        .size:           2
        .value_kind:     hidden_remainder_z
      - .offset:         3192
        .size:           8
        .value_kind:     hidden_global_offset_x
      - .offset:         3200
        .size:           8
        .value_kind:     hidden_global_offset_y
      - .offset:         3208
        .size:           8
        .value_kind:     hidden_global_offset_z
      - .offset:         3216
        .size:           2
        .value_kind:     hidden_grid_dims
    .group_segment_fixed_size: 0
    .kernarg_segment_align: 8
    .kernarg_segment_size: 3408
    .language:       OpenCL C
    .language_version:
      - 2
      - 0
    .max_flat_workgroup_size: 512
    .name:           _ZN2at6native12_GLOBAL__N_125multi_tensor_apply_kernelINS1_18TensorListMetadataILi2EEENS1_14UnaryOpFunctorIdLi2ELi1ELi1EEEJNS0_5RsqrtIdEEEEEvT_T0_DpT1_
    .private_segment_fixed_size: 0
    .sgpr_count:     30
    .sgpr_spill_count: 0
    .symbol:         _ZN2at6native12_GLOBAL__N_125multi_tensor_apply_kernelINS1_18TensorListMetadataILi2EEENS1_14UnaryOpFunctorIdLi2ELi1ELi1EEEJNS0_5RsqrtIdEEEEEvT_T0_DpT1_.kd
    .uniform_work_group_size: 1
    .uses_dynamic_stack: false
    .vgpr_count:     36
    .vgpr_spill_count: 0
    .wavefront_size: 64
  - .args:
      - .offset:         0
        .size:           3144
        .value_kind:     by_value
      - .offset:         3144
        .size:           1
        .value_kind:     by_value
      - .offset:         3145
        .size:           1
        .value_kind:     by_value
      - .offset:         3152
        .size:           4
        .value_kind:     hidden_block_count_x
      - .offset:         3156
        .size:           4
        .value_kind:     hidden_block_count_y
      - .offset:         3160
        .size:           4
        .value_kind:     hidden_block_count_z
      - .offset:         3164
        .size:           2
        .value_kind:     hidden_group_size_x
      - .offset:         3166
        .size:           2
        .value_kind:     hidden_group_size_y
      - .offset:         3168
        .size:           2
        .value_kind:     hidden_group_size_z
      - .offset:         3170
        .size:           2
        .value_kind:     hidden_remainder_x
      - .offset:         3172
        .size:           2
        .value_kind:     hidden_remainder_y
      - .offset:         3174
        .size:           2
        .value_kind:     hidden_remainder_z
      - .offset:         3192
        .size:           8
        .value_kind:     hidden_global_offset_x
      - .offset:         3200
        .size:           8
        .value_kind:     hidden_global_offset_y
      - .offset:         3208
        .size:           8
        .value_kind:     hidden_global_offset_z
      - .offset:         3216
        .size:           2
        .value_kind:     hidden_grid_dims
    .group_segment_fixed_size: 0
    .kernarg_segment_align: 8
    .kernarg_segment_size: 3408
    .language:       OpenCL C
    .language_version:
      - 2
      - 0
    .max_flat_workgroup_size: 512
    .name:           _ZN2at6native12_GLOBAL__N_125multi_tensor_apply_kernelINS1_18TensorListMetadataILi2EEENS1_14UnaryOpFunctorIfLi2ELi1ELi1EEEJNS0_5RsqrtIfEEEEEvT_T0_DpT1_
    .private_segment_fixed_size: 0
    .sgpr_count:     29
    .sgpr_spill_count: 0
    .symbol:         _ZN2at6native12_GLOBAL__N_125multi_tensor_apply_kernelINS1_18TensorListMetadataILi2EEENS1_14UnaryOpFunctorIfLi2ELi1ELi1EEEJNS0_5RsqrtIfEEEEEvT_T0_DpT1_.kd
    .uniform_work_group_size: 1
    .uses_dynamic_stack: false
    .vgpr_count:     30
    .vgpr_spill_count: 0
    .wavefront_size: 64
  - .args:
      - .offset:         0
        .size:           3144
        .value_kind:     by_value
      - .offset:         3144
        .size:           1
        .value_kind:     by_value
      - .offset:         3145
        .size:           1
        .value_kind:     by_value
      - .offset:         3152
        .size:           4
        .value_kind:     hidden_block_count_x
      - .offset:         3156
        .size:           4
        .value_kind:     hidden_block_count_y
      - .offset:         3160
        .size:           4
        .value_kind:     hidden_block_count_z
      - .offset:         3164
        .size:           2
        .value_kind:     hidden_group_size_x
      - .offset:         3166
        .size:           2
        .value_kind:     hidden_group_size_y
      - .offset:         3168
        .size:           2
        .value_kind:     hidden_group_size_z
      - .offset:         3170
        .size:           2
        .value_kind:     hidden_remainder_x
      - .offset:         3172
        .size:           2
        .value_kind:     hidden_remainder_y
      - .offset:         3174
        .size:           2
        .value_kind:     hidden_remainder_z
      - .offset:         3192
        .size:           8
        .value_kind:     hidden_global_offset_x
      - .offset:         3200
        .size:           8
        .value_kind:     hidden_global_offset_y
      - .offset:         3208
        .size:           8
        .value_kind:     hidden_global_offset_z
      - .offset:         3216
        .size:           2
        .value_kind:     hidden_grid_dims
    .group_segment_fixed_size: 0
    .kernarg_segment_align: 8
    .kernarg_segment_size: 3408
    .language:       OpenCL C
    .language_version:
      - 2
      - 0
    .max_flat_workgroup_size: 512
    .name:           _ZN2at6native12_GLOBAL__N_125multi_tensor_apply_kernelINS1_18TensorListMetadataILi2EEENS1_14UnaryOpFunctorIN3c107complexIdEELi2ELi1ELi1EEEJNS0_5RsqrtIS8_EEEEEvT_T0_DpT1_
    .private_segment_fixed_size: 0
    .sgpr_count:     56
    .sgpr_spill_count: 0
    .symbol:         _ZN2at6native12_GLOBAL__N_125multi_tensor_apply_kernelINS1_18TensorListMetadataILi2EEENS1_14UnaryOpFunctorIN3c107complexIdEELi2ELi1ELi1EEEJNS0_5RsqrtIS8_EEEEEvT_T0_DpT1_.kd
    .uniform_work_group_size: 1
    .uses_dynamic_stack: false
    .vgpr_count:     46
    .vgpr_spill_count: 0
    .wavefront_size: 64
  - .args:
      - .offset:         0
        .size:           3144
        .value_kind:     by_value
      - .offset:         3144
        .size:           1
        .value_kind:     by_value
      - .offset:         3145
        .size:           1
        .value_kind:     by_value
      - .offset:         3152
        .size:           4
        .value_kind:     hidden_block_count_x
      - .offset:         3156
        .size:           4
        .value_kind:     hidden_block_count_y
      - .offset:         3160
        .size:           4
        .value_kind:     hidden_block_count_z
      - .offset:         3164
        .size:           2
        .value_kind:     hidden_group_size_x
      - .offset:         3166
        .size:           2
        .value_kind:     hidden_group_size_y
      - .offset:         3168
        .size:           2
        .value_kind:     hidden_group_size_z
      - .offset:         3170
        .size:           2
        .value_kind:     hidden_remainder_x
      - .offset:         3172
        .size:           2
        .value_kind:     hidden_remainder_y
      - .offset:         3174
        .size:           2
        .value_kind:     hidden_remainder_z
      - .offset:         3192
        .size:           8
        .value_kind:     hidden_global_offset_x
      - .offset:         3200
        .size:           8
        .value_kind:     hidden_global_offset_y
      - .offset:         3208
        .size:           8
        .value_kind:     hidden_global_offset_z
      - .offset:         3216
        .size:           2
        .value_kind:     hidden_grid_dims
    .group_segment_fixed_size: 0
    .kernarg_segment_align: 8
    .kernarg_segment_size: 3408
    .language:       OpenCL C
    .language_version:
      - 2
      - 0
    .max_flat_workgroup_size: 512
    .name:           _ZN2at6native12_GLOBAL__N_125multi_tensor_apply_kernelINS1_18TensorListMetadataILi2EEENS1_14UnaryOpFunctorIN3c107complexIfEELi2ELi1ELi1EEEJNS0_5RsqrtIS8_EEEEEvT_T0_DpT1_
    .private_segment_fixed_size: 0
    .sgpr_count:     50
    .sgpr_spill_count: 0
    .symbol:         _ZN2at6native12_GLOBAL__N_125multi_tensor_apply_kernelINS1_18TensorListMetadataILi2EEENS1_14UnaryOpFunctorIN3c107complexIfEELi2ELi1ELi1EEEJNS0_5RsqrtIS8_EEEEEvT_T0_DpT1_.kd
    .uniform_work_group_size: 1
    .uses_dynamic_stack: false
    .vgpr_count:     25
    .vgpr_spill_count: 0
    .wavefront_size: 64
  - .args:
      - .offset:         0
        .size:           3144
        .value_kind:     by_value
      - .offset:         3144
        .size:           1
        .value_kind:     by_value
      - .offset:         3145
        .size:           1
        .value_kind:     by_value
      - .offset:         3152
        .size:           4
        .value_kind:     hidden_block_count_x
      - .offset:         3156
        .size:           4
        .value_kind:     hidden_block_count_y
      - .offset:         3160
        .size:           4
        .value_kind:     hidden_block_count_z
      - .offset:         3164
        .size:           2
        .value_kind:     hidden_group_size_x
      - .offset:         3166
        .size:           2
        .value_kind:     hidden_group_size_y
      - .offset:         3168
        .size:           2
        .value_kind:     hidden_group_size_z
      - .offset:         3170
        .size:           2
        .value_kind:     hidden_remainder_x
      - .offset:         3172
        .size:           2
        .value_kind:     hidden_remainder_y
      - .offset:         3174
        .size:           2
        .value_kind:     hidden_remainder_z
      - .offset:         3192
        .size:           8
        .value_kind:     hidden_global_offset_x
      - .offset:         3200
        .size:           8
        .value_kind:     hidden_global_offset_y
      - .offset:         3208
        .size:           8
        .value_kind:     hidden_global_offset_z
      - .offset:         3216
        .size:           2
        .value_kind:     hidden_grid_dims
    .group_segment_fixed_size: 0
    .kernarg_segment_align: 8
    .kernarg_segment_size: 3408
    .language:       OpenCL C
    .language_version:
      - 2
      - 0
    .max_flat_workgroup_size: 512
    .name:           _ZN2at6native12_GLOBAL__N_125multi_tensor_apply_kernelINS1_18TensorListMetadataILi2EEENS1_14UnaryOpFunctorIN3c104HalfELi2ELi1ELi1EEEJNS0_5RsqrtIfEEEEEvT_T0_DpT1_
    .private_segment_fixed_size: 0
    .sgpr_count:     29
    .sgpr_spill_count: 0
    .symbol:         _ZN2at6native12_GLOBAL__N_125multi_tensor_apply_kernelINS1_18TensorListMetadataILi2EEENS1_14UnaryOpFunctorIN3c104HalfELi2ELi1ELi1EEEJNS0_5RsqrtIfEEEEEvT_T0_DpT1_.kd
    .uniform_work_group_size: 1
    .uses_dynamic_stack: false
    .vgpr_count:     29
    .vgpr_spill_count: 0
    .wavefront_size: 64
  - .args:
      - .offset:         0
        .size:           3144
        .value_kind:     by_value
      - .offset:         3144
        .size:           1
        .value_kind:     by_value
      - .offset:         3145
        .size:           1
        .value_kind:     by_value
      - .offset:         3152
        .size:           4
        .value_kind:     hidden_block_count_x
      - .offset:         3156
        .size:           4
        .value_kind:     hidden_block_count_y
      - .offset:         3160
        .size:           4
        .value_kind:     hidden_block_count_z
      - .offset:         3164
        .size:           2
        .value_kind:     hidden_group_size_x
      - .offset:         3166
        .size:           2
        .value_kind:     hidden_group_size_y
      - .offset:         3168
        .size:           2
        .value_kind:     hidden_group_size_z
      - .offset:         3170
        .size:           2
        .value_kind:     hidden_remainder_x
      - .offset:         3172
        .size:           2
        .value_kind:     hidden_remainder_y
      - .offset:         3174
        .size:           2
        .value_kind:     hidden_remainder_z
      - .offset:         3192
        .size:           8
        .value_kind:     hidden_global_offset_x
      - .offset:         3200
        .size:           8
        .value_kind:     hidden_global_offset_y
      - .offset:         3208
        .size:           8
        .value_kind:     hidden_global_offset_z
      - .offset:         3216
        .size:           2
        .value_kind:     hidden_grid_dims
    .group_segment_fixed_size: 0
    .kernarg_segment_align: 8
    .kernarg_segment_size: 3408
    .language:       OpenCL C
    .language_version:
      - 2
      - 0
    .max_flat_workgroup_size: 512
    .name:           _ZN2at6native12_GLOBAL__N_125multi_tensor_apply_kernelINS1_18TensorListMetadataILi2EEENS1_14UnaryOpFunctorIN3c108BFloat16ELi2ELi1ELi1EEEJNS0_5RsqrtIfEEEEEvT_T0_DpT1_
    .private_segment_fixed_size: 0
    .sgpr_count:     30
    .sgpr_spill_count: 0
    .symbol:         _ZN2at6native12_GLOBAL__N_125multi_tensor_apply_kernelINS1_18TensorListMetadataILi2EEENS1_14UnaryOpFunctorIN3c108BFloat16ELi2ELi1ELi1EEEJNS0_5RsqrtIfEEEEEvT_T0_DpT1_.kd
    .uniform_work_group_size: 1
    .uses_dynamic_stack: false
    .vgpr_count:     30
    .vgpr_spill_count: 0
    .wavefront_size: 64
  - .args:
      - .offset:         0
        .size:           3368
        .value_kind:     by_value
      - .offset:         3368
        .size:           1
        .value_kind:     by_value
      - .offset:         3369
        .size:           1
        .value_kind:     by_value
      - .offset:         3376
        .size:           4
        .value_kind:     hidden_block_count_x
      - .offset:         3380
        .size:           4
        .value_kind:     hidden_block_count_y
      - .offset:         3384
        .size:           4
        .value_kind:     hidden_block_count_z
      - .offset:         3388
        .size:           2
        .value_kind:     hidden_group_size_x
      - .offset:         3390
        .size:           2
        .value_kind:     hidden_group_size_y
      - .offset:         3392
        .size:           2
        .value_kind:     hidden_group_size_z
      - .offset:         3394
        .size:           2
        .value_kind:     hidden_remainder_x
      - .offset:         3396
        .size:           2
        .value_kind:     hidden_remainder_y
      - .offset:         3398
        .size:           2
        .value_kind:     hidden_remainder_z
      - .offset:         3416
        .size:           8
        .value_kind:     hidden_global_offset_x
      - .offset:         3424
        .size:           8
        .value_kind:     hidden_global_offset_y
      - .offset:         3432
        .size:           8
        .value_kind:     hidden_global_offset_z
      - .offset:         3440
        .size:           2
        .value_kind:     hidden_grid_dims
    .group_segment_fixed_size: 0
    .kernarg_segment_align: 8
    .kernarg_segment_size: 3632
    .language:       OpenCL C
    .language_version:
      - 2
      - 0
    .max_flat_workgroup_size: 512
    .name:           _ZN2at6native12_GLOBAL__N_125multi_tensor_apply_kernelINS1_18TensorListMetadataILi1EEENS1_14UnaryOpFunctorIdLi1ELi1ELi0EEEJNS0_5RsqrtIdEEEEEvT_T0_DpT1_
    .private_segment_fixed_size: 0
    .sgpr_count:     34
    .sgpr_spill_count: 0
    .symbol:         _ZN2at6native12_GLOBAL__N_125multi_tensor_apply_kernelINS1_18TensorListMetadataILi1EEENS1_14UnaryOpFunctorIdLi1ELi1ELi0EEEJNS0_5RsqrtIdEEEEEvT_T0_DpT1_.kd
    .uniform_work_group_size: 1
    .uses_dynamic_stack: false
    .vgpr_count:     24
    .vgpr_spill_count: 0
    .wavefront_size: 64
  - .args:
      - .offset:         0
        .size:           3368
        .value_kind:     by_value
      - .offset:         3368
        .size:           1
        .value_kind:     by_value
      - .offset:         3369
        .size:           1
        .value_kind:     by_value
      - .offset:         3376
        .size:           4
        .value_kind:     hidden_block_count_x
      - .offset:         3380
        .size:           4
        .value_kind:     hidden_block_count_y
      - .offset:         3384
        .size:           4
        .value_kind:     hidden_block_count_z
      - .offset:         3388
        .size:           2
        .value_kind:     hidden_group_size_x
      - .offset:         3390
        .size:           2
        .value_kind:     hidden_group_size_y
      - .offset:         3392
        .size:           2
        .value_kind:     hidden_group_size_z
      - .offset:         3394
        .size:           2
        .value_kind:     hidden_remainder_x
      - .offset:         3396
        .size:           2
        .value_kind:     hidden_remainder_y
      - .offset:         3398
        .size:           2
        .value_kind:     hidden_remainder_z
      - .offset:         3416
        .size:           8
        .value_kind:     hidden_global_offset_x
      - .offset:         3424
        .size:           8
        .value_kind:     hidden_global_offset_y
      - .offset:         3432
        .size:           8
        .value_kind:     hidden_global_offset_z
      - .offset:         3440
        .size:           2
        .value_kind:     hidden_grid_dims
    .group_segment_fixed_size: 0
    .kernarg_segment_align: 8
    .kernarg_segment_size: 3632
    .language:       OpenCL C
    .language_version:
      - 2
      - 0
    .max_flat_workgroup_size: 512
    .name:           _ZN2at6native12_GLOBAL__N_125multi_tensor_apply_kernelINS1_18TensorListMetadataILi1EEENS1_14UnaryOpFunctorIfLi1ELi1ELi0EEEJNS0_5RsqrtIfEEEEEvT_T0_DpT1_
    .private_segment_fixed_size: 0
    .sgpr_count:     33
    .sgpr_spill_count: 0
    .symbol:         _ZN2at6native12_GLOBAL__N_125multi_tensor_apply_kernelINS1_18TensorListMetadataILi1EEENS1_14UnaryOpFunctorIfLi1ELi1ELi0EEEJNS0_5RsqrtIfEEEEEvT_T0_DpT1_.kd
    .uniform_work_group_size: 1
    .uses_dynamic_stack: false
    .vgpr_count:     16
    .vgpr_spill_count: 0
    .wavefront_size: 64
  - .args:
      - .offset:         0
        .size:           3368
        .value_kind:     by_value
      - .offset:         3368
        .size:           1
        .value_kind:     by_value
      - .offset:         3369
        .size:           1
        .value_kind:     by_value
      - .offset:         3376
        .size:           4
        .value_kind:     hidden_block_count_x
      - .offset:         3380
        .size:           4
        .value_kind:     hidden_block_count_y
      - .offset:         3384
        .size:           4
        .value_kind:     hidden_block_count_z
      - .offset:         3388
        .size:           2
        .value_kind:     hidden_group_size_x
      - .offset:         3390
        .size:           2
        .value_kind:     hidden_group_size_y
      - .offset:         3392
        .size:           2
        .value_kind:     hidden_group_size_z
      - .offset:         3394
        .size:           2
        .value_kind:     hidden_remainder_x
      - .offset:         3396
        .size:           2
        .value_kind:     hidden_remainder_y
      - .offset:         3398
        .size:           2
        .value_kind:     hidden_remainder_z
      - .offset:         3416
        .size:           8
        .value_kind:     hidden_global_offset_x
      - .offset:         3424
        .size:           8
        .value_kind:     hidden_global_offset_y
      - .offset:         3432
        .size:           8
        .value_kind:     hidden_global_offset_z
      - .offset:         3440
        .size:           2
        .value_kind:     hidden_grid_dims
    .group_segment_fixed_size: 0
    .kernarg_segment_align: 8
    .kernarg_segment_size: 3632
    .language:       OpenCL C
    .language_version:
      - 2
      - 0
    .max_flat_workgroup_size: 512
    .name:           _ZN2at6native12_GLOBAL__N_125multi_tensor_apply_kernelINS1_18TensorListMetadataILi1EEENS1_14UnaryOpFunctorIN3c107complexIdEELi1ELi1ELi0EEEJNS0_5RsqrtIS8_EEEEEvT_T0_DpT1_
    .private_segment_fixed_size: 0
    .sgpr_count:     60
    .sgpr_spill_count: 0
    .symbol:         _ZN2at6native12_GLOBAL__N_125multi_tensor_apply_kernelINS1_18TensorListMetadataILi1EEENS1_14UnaryOpFunctorIN3c107complexIdEELi1ELi1ELi0EEEJNS0_5RsqrtIS8_EEEEEvT_T0_DpT1_.kd
    .uniform_work_group_size: 1
    .uses_dynamic_stack: false
    .vgpr_count:     50
    .vgpr_spill_count: 0
    .wavefront_size: 64
  - .args:
      - .offset:         0
        .size:           3368
        .value_kind:     by_value
      - .offset:         3368
        .size:           1
        .value_kind:     by_value
      - .offset:         3369
        .size:           1
        .value_kind:     by_value
      - .offset:         3376
        .size:           4
        .value_kind:     hidden_block_count_x
      - .offset:         3380
        .size:           4
        .value_kind:     hidden_block_count_y
      - .offset:         3384
        .size:           4
        .value_kind:     hidden_block_count_z
      - .offset:         3388
        .size:           2
        .value_kind:     hidden_group_size_x
      - .offset:         3390
        .size:           2
        .value_kind:     hidden_group_size_y
      - .offset:         3392
        .size:           2
        .value_kind:     hidden_group_size_z
      - .offset:         3394
        .size:           2
        .value_kind:     hidden_remainder_x
      - .offset:         3396
        .size:           2
        .value_kind:     hidden_remainder_y
      - .offset:         3398
        .size:           2
        .value_kind:     hidden_remainder_z
      - .offset:         3416
        .size:           8
        .value_kind:     hidden_global_offset_x
      - .offset:         3424
        .size:           8
        .value_kind:     hidden_global_offset_y
      - .offset:         3432
        .size:           8
        .value_kind:     hidden_global_offset_z
      - .offset:         3440
        .size:           2
        .value_kind:     hidden_grid_dims
    .group_segment_fixed_size: 0
    .kernarg_segment_align: 8
    .kernarg_segment_size: 3632
    .language:       OpenCL C
    .language_version:
      - 2
      - 0
    .max_flat_workgroup_size: 512
    .name:           _ZN2at6native12_GLOBAL__N_125multi_tensor_apply_kernelINS1_18TensorListMetadataILi1EEENS1_14UnaryOpFunctorIN3c107complexIfEELi1ELi1ELi0EEEJNS0_5RsqrtIS8_EEEEEvT_T0_DpT1_
    .private_segment_fixed_size: 0
    .sgpr_count:     54
    .sgpr_spill_count: 0
    .symbol:         _ZN2at6native12_GLOBAL__N_125multi_tensor_apply_kernelINS1_18TensorListMetadataILi1EEENS1_14UnaryOpFunctorIN3c107complexIfEELi1ELi1ELi0EEEJNS0_5RsqrtIS8_EEEEEvT_T0_DpT1_.kd
    .uniform_work_group_size: 1
    .uses_dynamic_stack: false
    .vgpr_count:     33
    .vgpr_spill_count: 0
    .wavefront_size: 64
  - .args:
      - .offset:         0
        .size:           3368
        .value_kind:     by_value
      - .offset:         3368
        .size:           1
        .value_kind:     by_value
      - .offset:         3369
        .size:           1
        .value_kind:     by_value
      - .offset:         3376
        .size:           4
        .value_kind:     hidden_block_count_x
      - .offset:         3380
        .size:           4
        .value_kind:     hidden_block_count_y
      - .offset:         3384
        .size:           4
        .value_kind:     hidden_block_count_z
      - .offset:         3388
        .size:           2
        .value_kind:     hidden_group_size_x
      - .offset:         3390
        .size:           2
        .value_kind:     hidden_group_size_y
      - .offset:         3392
        .size:           2
        .value_kind:     hidden_group_size_z
      - .offset:         3394
        .size:           2
        .value_kind:     hidden_remainder_x
      - .offset:         3396
        .size:           2
        .value_kind:     hidden_remainder_y
      - .offset:         3398
        .size:           2
        .value_kind:     hidden_remainder_z
      - .offset:         3416
        .size:           8
        .value_kind:     hidden_global_offset_x
      - .offset:         3424
        .size:           8
        .value_kind:     hidden_global_offset_y
      - .offset:         3432
        .size:           8
        .value_kind:     hidden_global_offset_z
      - .offset:         3440
        .size:           2
        .value_kind:     hidden_grid_dims
    .group_segment_fixed_size: 0
    .kernarg_segment_align: 8
    .kernarg_segment_size: 3632
    .language:       OpenCL C
    .language_version:
      - 2
      - 0
    .max_flat_workgroup_size: 512
    .name:           _ZN2at6native12_GLOBAL__N_125multi_tensor_apply_kernelINS1_18TensorListMetadataILi1EEENS1_14UnaryOpFunctorIN3c104HalfELi1ELi1ELi0EEEJNS0_5RsqrtIfEEEEEvT_T0_DpT1_
    .private_segment_fixed_size: 0
    .sgpr_count:     32
    .sgpr_spill_count: 0
    .symbol:         _ZN2at6native12_GLOBAL__N_125multi_tensor_apply_kernelINS1_18TensorListMetadataILi1EEENS1_14UnaryOpFunctorIN3c104HalfELi1ELi1ELi0EEEJNS0_5RsqrtIfEEEEEvT_T0_DpT1_.kd
    .uniform_work_group_size: 1
    .uses_dynamic_stack: false
    .vgpr_count:     16
    .vgpr_spill_count: 0
    .wavefront_size: 64
  - .args:
      - .offset:         0
        .size:           3368
        .value_kind:     by_value
      - .offset:         3368
        .size:           1
        .value_kind:     by_value
      - .offset:         3369
        .size:           1
        .value_kind:     by_value
      - .offset:         3376
        .size:           4
        .value_kind:     hidden_block_count_x
      - .offset:         3380
        .size:           4
        .value_kind:     hidden_block_count_y
      - .offset:         3384
        .size:           4
        .value_kind:     hidden_block_count_z
      - .offset:         3388
        .size:           2
        .value_kind:     hidden_group_size_x
      - .offset:         3390
        .size:           2
        .value_kind:     hidden_group_size_y
      - .offset:         3392
        .size:           2
        .value_kind:     hidden_group_size_z
      - .offset:         3394
        .size:           2
        .value_kind:     hidden_remainder_x
      - .offset:         3396
        .size:           2
        .value_kind:     hidden_remainder_y
      - .offset:         3398
        .size:           2
        .value_kind:     hidden_remainder_z
      - .offset:         3416
        .size:           8
        .value_kind:     hidden_global_offset_x
      - .offset:         3424
        .size:           8
        .value_kind:     hidden_global_offset_y
      - .offset:         3432
        .size:           8
        .value_kind:     hidden_global_offset_z
      - .offset:         3440
        .size:           2
        .value_kind:     hidden_grid_dims
    .group_segment_fixed_size: 0
    .kernarg_segment_align: 8
    .kernarg_segment_size: 3632
    .language:       OpenCL C
    .language_version:
      - 2
      - 0
    .max_flat_workgroup_size: 512
    .name:           _ZN2at6native12_GLOBAL__N_125multi_tensor_apply_kernelINS1_18TensorListMetadataILi1EEENS1_14UnaryOpFunctorIN3c108BFloat16ELi1ELi1ELi0EEEJNS0_5RsqrtIfEEEEEvT_T0_DpT1_
    .private_segment_fixed_size: 0
    .sgpr_count:     33
    .sgpr_spill_count: 0
    .symbol:         _ZN2at6native12_GLOBAL__N_125multi_tensor_apply_kernelINS1_18TensorListMetadataILi1EEENS1_14UnaryOpFunctorIN3c108BFloat16ELi1ELi1ELi0EEEJNS0_5RsqrtIfEEEEEvT_T0_DpT1_.kd
    .uniform_work_group_size: 1
    .uses_dynamic_stack: false
    .vgpr_count:     18
    .vgpr_spill_count: 0
    .wavefront_size: 64
  - .args:
      - .offset:         0
        .size:           3144
        .value_kind:     by_value
      - .offset:         3144
        .size:           1
        .value_kind:     by_value
      - .offset:         3145
        .size:           1
        .value_kind:     by_value
      - .offset:         3152
        .size:           4
        .value_kind:     hidden_block_count_x
      - .offset:         3156
        .size:           4
        .value_kind:     hidden_block_count_y
      - .offset:         3160
        .size:           4
        .value_kind:     hidden_block_count_z
      - .offset:         3164
        .size:           2
        .value_kind:     hidden_group_size_x
      - .offset:         3166
        .size:           2
        .value_kind:     hidden_group_size_y
      - .offset:         3168
        .size:           2
        .value_kind:     hidden_group_size_z
      - .offset:         3170
        .size:           2
        .value_kind:     hidden_remainder_x
      - .offset:         3172
        .size:           2
        .value_kind:     hidden_remainder_y
      - .offset:         3174
        .size:           2
        .value_kind:     hidden_remainder_z
      - .offset:         3192
        .size:           8
        .value_kind:     hidden_global_offset_x
      - .offset:         3200
        .size:           8
        .value_kind:     hidden_global_offset_y
      - .offset:         3208
        .size:           8
        .value_kind:     hidden_global_offset_z
      - .offset:         3216
        .size:           2
        .value_kind:     hidden_grid_dims
    .group_segment_fixed_size: 0
    .kernarg_segment_align: 8
    .kernarg_segment_size: 3408
    .language:       OpenCL C
    .language_version:
      - 2
      - 0
    .max_flat_workgroup_size: 512
    .name:           _ZN2at6native12_GLOBAL__N_125multi_tensor_apply_kernelINS1_18TensorListMetadataILi2EEENS1_14UnaryOpFunctorIhLi2ELi1ELi1EEEJSt6negateIhEEEEvT_T0_DpT1_
    .private_segment_fixed_size: 0
    .sgpr_count:     23
    .sgpr_spill_count: 0
    .symbol:         _ZN2at6native12_GLOBAL__N_125multi_tensor_apply_kernelINS1_18TensorListMetadataILi2EEENS1_14UnaryOpFunctorIhLi2ELi1ELi1EEEJSt6negateIhEEEEvT_T0_DpT1_.kd
    .uniform_work_group_size: 1
    .uses_dynamic_stack: false
    .vgpr_count:     28
    .vgpr_spill_count: 0
    .wavefront_size: 64
  - .args:
      - .offset:         0
        .size:           3144
        .value_kind:     by_value
      - .offset:         3144
        .size:           1
        .value_kind:     by_value
      - .offset:         3145
        .size:           1
        .value_kind:     by_value
      - .offset:         3152
        .size:           4
        .value_kind:     hidden_block_count_x
      - .offset:         3156
        .size:           4
        .value_kind:     hidden_block_count_y
      - .offset:         3160
        .size:           4
        .value_kind:     hidden_block_count_z
      - .offset:         3164
        .size:           2
        .value_kind:     hidden_group_size_x
      - .offset:         3166
        .size:           2
        .value_kind:     hidden_group_size_y
      - .offset:         3168
        .size:           2
        .value_kind:     hidden_group_size_z
      - .offset:         3170
        .size:           2
        .value_kind:     hidden_remainder_x
      - .offset:         3172
        .size:           2
        .value_kind:     hidden_remainder_y
      - .offset:         3174
        .size:           2
        .value_kind:     hidden_remainder_z
      - .offset:         3192
        .size:           8
        .value_kind:     hidden_global_offset_x
      - .offset:         3200
        .size:           8
        .value_kind:     hidden_global_offset_y
      - .offset:         3208
        .size:           8
        .value_kind:     hidden_global_offset_z
      - .offset:         3216
        .size:           2
        .value_kind:     hidden_grid_dims
    .group_segment_fixed_size: 0
    .kernarg_segment_align: 8
    .kernarg_segment_size: 3408
    .language:       OpenCL C
    .language_version:
      - 2
      - 0
    .max_flat_workgroup_size: 512
    .name:           _ZN2at6native12_GLOBAL__N_125multi_tensor_apply_kernelINS1_18TensorListMetadataILi2EEENS1_14UnaryOpFunctorIaLi2ELi1ELi1EEEJSt6negateIaEEEEvT_T0_DpT1_
    .private_segment_fixed_size: 0
    .sgpr_count:     23
    .sgpr_spill_count: 0
    .symbol:         _ZN2at6native12_GLOBAL__N_125multi_tensor_apply_kernelINS1_18TensorListMetadataILi2EEENS1_14UnaryOpFunctorIaLi2ELi1ELi1EEEJSt6negateIaEEEEvT_T0_DpT1_.kd
    .uniform_work_group_size: 1
    .uses_dynamic_stack: false
    .vgpr_count:     28
    .vgpr_spill_count: 0
    .wavefront_size: 64
  - .args:
      - .offset:         0
        .size:           3144
        .value_kind:     by_value
      - .offset:         3144
        .size:           1
        .value_kind:     by_value
      - .offset:         3145
        .size:           1
        .value_kind:     by_value
      - .offset:         3152
        .size:           4
        .value_kind:     hidden_block_count_x
      - .offset:         3156
        .size:           4
        .value_kind:     hidden_block_count_y
      - .offset:         3160
        .size:           4
        .value_kind:     hidden_block_count_z
      - .offset:         3164
        .size:           2
        .value_kind:     hidden_group_size_x
      - .offset:         3166
        .size:           2
        .value_kind:     hidden_group_size_y
      - .offset:         3168
        .size:           2
        .value_kind:     hidden_group_size_z
      - .offset:         3170
        .size:           2
        .value_kind:     hidden_remainder_x
      - .offset:         3172
        .size:           2
        .value_kind:     hidden_remainder_y
      - .offset:         3174
        .size:           2
        .value_kind:     hidden_remainder_z
      - .offset:         3192
        .size:           8
        .value_kind:     hidden_global_offset_x
      - .offset:         3200
        .size:           8
        .value_kind:     hidden_global_offset_y
      - .offset:         3208
        .size:           8
        .value_kind:     hidden_global_offset_z
      - .offset:         3216
        .size:           2
        .value_kind:     hidden_grid_dims
    .group_segment_fixed_size: 0
    .kernarg_segment_align: 8
    .kernarg_segment_size: 3408
    .language:       OpenCL C
    .language_version:
      - 2
      - 0
    .max_flat_workgroup_size: 512
    .name:           _ZN2at6native12_GLOBAL__N_125multi_tensor_apply_kernelINS1_18TensorListMetadataILi2EEENS1_14UnaryOpFunctorIiLi2ELi1ELi1EEEJSt6negateIiEEEEvT_T0_DpT1_
    .private_segment_fixed_size: 0
    .sgpr_count:     24
    .sgpr_spill_count: 0
    .symbol:         _ZN2at6native12_GLOBAL__N_125multi_tensor_apply_kernelINS1_18TensorListMetadataILi2EEENS1_14UnaryOpFunctorIiLi2ELi1ELi1EEEJSt6negateIiEEEEvT_T0_DpT1_.kd
    .uniform_work_group_size: 1
    .uses_dynamic_stack: false
    .vgpr_count:     29
    .vgpr_spill_count: 0
    .wavefront_size: 64
  - .args:
      - .offset:         0
        .size:           3144
        .value_kind:     by_value
      - .offset:         3144
        .size:           1
        .value_kind:     by_value
      - .offset:         3145
        .size:           1
        .value_kind:     by_value
      - .offset:         3152
        .size:           4
        .value_kind:     hidden_block_count_x
      - .offset:         3156
        .size:           4
        .value_kind:     hidden_block_count_y
      - .offset:         3160
        .size:           4
        .value_kind:     hidden_block_count_z
      - .offset:         3164
        .size:           2
        .value_kind:     hidden_group_size_x
      - .offset:         3166
        .size:           2
        .value_kind:     hidden_group_size_y
      - .offset:         3168
        .size:           2
        .value_kind:     hidden_group_size_z
      - .offset:         3170
        .size:           2
        .value_kind:     hidden_remainder_x
      - .offset:         3172
        .size:           2
        .value_kind:     hidden_remainder_y
      - .offset:         3174
        .size:           2
        .value_kind:     hidden_remainder_z
      - .offset:         3192
        .size:           8
        .value_kind:     hidden_global_offset_x
      - .offset:         3200
        .size:           8
        .value_kind:     hidden_global_offset_y
      - .offset:         3208
        .size:           8
        .value_kind:     hidden_global_offset_z
      - .offset:         3216
        .size:           2
        .value_kind:     hidden_grid_dims
    .group_segment_fixed_size: 0
    .kernarg_segment_align: 8
    .kernarg_segment_size: 3408
    .language:       OpenCL C
    .language_version:
      - 2
      - 0
    .max_flat_workgroup_size: 512
    .name:           _ZN2at6native12_GLOBAL__N_125multi_tensor_apply_kernelINS1_18TensorListMetadataILi2EEENS1_14UnaryOpFunctorIlLi2ELi1ELi1EEEJSt6negateIlEEEEvT_T0_DpT1_
    .private_segment_fixed_size: 0
    .sgpr_count:     24
    .sgpr_spill_count: 0
    .symbol:         _ZN2at6native12_GLOBAL__N_125multi_tensor_apply_kernelINS1_18TensorListMetadataILi2EEENS1_14UnaryOpFunctorIlLi2ELi1ELi1EEEJSt6negateIlEEEEvT_T0_DpT1_.kd
    .uniform_work_group_size: 1
    .uses_dynamic_stack: false
    .vgpr_count:     33
    .vgpr_spill_count: 0
    .wavefront_size: 64
  - .args:
      - .offset:         0
        .size:           3144
        .value_kind:     by_value
      - .offset:         3144
        .size:           1
        .value_kind:     by_value
      - .offset:         3145
        .size:           1
        .value_kind:     by_value
      - .offset:         3152
        .size:           4
        .value_kind:     hidden_block_count_x
      - .offset:         3156
        .size:           4
        .value_kind:     hidden_block_count_y
      - .offset:         3160
        .size:           4
        .value_kind:     hidden_block_count_z
      - .offset:         3164
        .size:           2
        .value_kind:     hidden_group_size_x
      - .offset:         3166
        .size:           2
        .value_kind:     hidden_group_size_y
      - .offset:         3168
        .size:           2
        .value_kind:     hidden_group_size_z
      - .offset:         3170
        .size:           2
        .value_kind:     hidden_remainder_x
      - .offset:         3172
        .size:           2
        .value_kind:     hidden_remainder_y
      - .offset:         3174
        .size:           2
        .value_kind:     hidden_remainder_z
      - .offset:         3192
        .size:           8
        .value_kind:     hidden_global_offset_x
      - .offset:         3200
        .size:           8
        .value_kind:     hidden_global_offset_y
      - .offset:         3208
        .size:           8
        .value_kind:     hidden_global_offset_z
      - .offset:         3216
        .size:           2
        .value_kind:     hidden_grid_dims
    .group_segment_fixed_size: 0
    .kernarg_segment_align: 8
    .kernarg_segment_size: 3408
    .language:       OpenCL C
    .language_version:
      - 2
      - 0
    .max_flat_workgroup_size: 512
    .name:           _ZN2at6native12_GLOBAL__N_125multi_tensor_apply_kernelINS1_18TensorListMetadataILi2EEENS1_14UnaryOpFunctorIsLi2ELi1ELi1EEEJSt6negateIsEEEEvT_T0_DpT1_
    .private_segment_fixed_size: 0
    .sgpr_count:     26
    .sgpr_spill_count: 0
    .symbol:         _ZN2at6native12_GLOBAL__N_125multi_tensor_apply_kernelINS1_18TensorListMetadataILi2EEENS1_14UnaryOpFunctorIsLi2ELi1ELi1EEEJSt6negateIsEEEEvT_T0_DpT1_.kd
    .uniform_work_group_size: 1
    .uses_dynamic_stack: false
    .vgpr_count:     27
    .vgpr_spill_count: 0
    .wavefront_size: 64
  - .args:
      - .offset:         0
        .size:           3144
        .value_kind:     by_value
      - .offset:         3144
        .size:           1
        .value_kind:     by_value
      - .offset:         3145
        .size:           1
        .value_kind:     by_value
      - .offset:         3152
        .size:           4
        .value_kind:     hidden_block_count_x
      - .offset:         3156
        .size:           4
        .value_kind:     hidden_block_count_y
      - .offset:         3160
        .size:           4
        .value_kind:     hidden_block_count_z
      - .offset:         3164
        .size:           2
        .value_kind:     hidden_group_size_x
      - .offset:         3166
        .size:           2
        .value_kind:     hidden_group_size_y
      - .offset:         3168
        .size:           2
        .value_kind:     hidden_group_size_z
      - .offset:         3170
        .size:           2
        .value_kind:     hidden_remainder_x
      - .offset:         3172
        .size:           2
        .value_kind:     hidden_remainder_y
      - .offset:         3174
        .size:           2
        .value_kind:     hidden_remainder_z
      - .offset:         3192
        .size:           8
        .value_kind:     hidden_global_offset_x
      - .offset:         3200
        .size:           8
        .value_kind:     hidden_global_offset_y
      - .offset:         3208
        .size:           8
        .value_kind:     hidden_global_offset_z
      - .offset:         3216
        .size:           2
        .value_kind:     hidden_grid_dims
    .group_segment_fixed_size: 0
    .kernarg_segment_align: 8
    .kernarg_segment_size: 3408
    .language:       OpenCL C
    .language_version:
      - 2
      - 0
    .max_flat_workgroup_size: 512
    .name:           _ZN2at6native12_GLOBAL__N_125multi_tensor_apply_kernelINS1_18TensorListMetadataILi2EEENS1_14UnaryOpFunctorIdLi2ELi1ELi1EEEJSt6negateIdEEEEvT_T0_DpT1_
    .private_segment_fixed_size: 0
    .sgpr_count:     24
    .sgpr_spill_count: 0
    .symbol:         _ZN2at6native12_GLOBAL__N_125multi_tensor_apply_kernelINS1_18TensorListMetadataILi2EEENS1_14UnaryOpFunctorIdLi2ELi1ELi1EEEJSt6negateIdEEEEvT_T0_DpT1_.kd
    .uniform_work_group_size: 1
    .uses_dynamic_stack: false
    .vgpr_count:     33
    .vgpr_spill_count: 0
    .wavefront_size: 64
  - .args:
      - .offset:         0
        .size:           3144
        .value_kind:     by_value
      - .offset:         3144
        .size:           1
        .value_kind:     by_value
      - .offset:         3145
        .size:           1
        .value_kind:     by_value
      - .offset:         3152
        .size:           4
        .value_kind:     hidden_block_count_x
      - .offset:         3156
        .size:           4
        .value_kind:     hidden_block_count_y
      - .offset:         3160
        .size:           4
        .value_kind:     hidden_block_count_z
      - .offset:         3164
        .size:           2
        .value_kind:     hidden_group_size_x
      - .offset:         3166
        .size:           2
        .value_kind:     hidden_group_size_y
      - .offset:         3168
        .size:           2
        .value_kind:     hidden_group_size_z
      - .offset:         3170
        .size:           2
        .value_kind:     hidden_remainder_x
      - .offset:         3172
        .size:           2
        .value_kind:     hidden_remainder_y
      - .offset:         3174
        .size:           2
        .value_kind:     hidden_remainder_z
      - .offset:         3192
        .size:           8
        .value_kind:     hidden_global_offset_x
      - .offset:         3200
        .size:           8
        .value_kind:     hidden_global_offset_y
      - .offset:         3208
        .size:           8
        .value_kind:     hidden_global_offset_z
      - .offset:         3216
        .size:           2
        .value_kind:     hidden_grid_dims
    .group_segment_fixed_size: 0
    .kernarg_segment_align: 8
    .kernarg_segment_size: 3408
    .language:       OpenCL C
    .language_version:
      - 2
      - 0
    .max_flat_workgroup_size: 512
    .name:           _ZN2at6native12_GLOBAL__N_125multi_tensor_apply_kernelINS1_18TensorListMetadataILi2EEENS1_14UnaryOpFunctorIfLi2ELi1ELi1EEEJSt6negateIfEEEEvT_T0_DpT1_
    .private_segment_fixed_size: 0
    .sgpr_count:     24
    .sgpr_spill_count: 0
    .symbol:         _ZN2at6native12_GLOBAL__N_125multi_tensor_apply_kernelINS1_18TensorListMetadataILi2EEENS1_14UnaryOpFunctorIfLi2ELi1ELi1EEEJSt6negateIfEEEEvT_T0_DpT1_.kd
    .uniform_work_group_size: 1
    .uses_dynamic_stack: false
    .vgpr_count:     29
    .vgpr_spill_count: 0
    .wavefront_size: 64
  - .args:
      - .offset:         0
        .size:           3144
        .value_kind:     by_value
      - .offset:         3144
        .size:           1
        .value_kind:     by_value
      - .offset:         3145
        .size:           1
        .value_kind:     by_value
      - .offset:         3152
        .size:           4
        .value_kind:     hidden_block_count_x
      - .offset:         3156
        .size:           4
        .value_kind:     hidden_block_count_y
      - .offset:         3160
        .size:           4
        .value_kind:     hidden_block_count_z
      - .offset:         3164
        .size:           2
        .value_kind:     hidden_group_size_x
      - .offset:         3166
        .size:           2
        .value_kind:     hidden_group_size_y
      - .offset:         3168
        .size:           2
        .value_kind:     hidden_group_size_z
      - .offset:         3170
        .size:           2
        .value_kind:     hidden_remainder_x
      - .offset:         3172
        .size:           2
        .value_kind:     hidden_remainder_y
      - .offset:         3174
        .size:           2
        .value_kind:     hidden_remainder_z
      - .offset:         3192
        .size:           8
        .value_kind:     hidden_global_offset_x
      - .offset:         3200
        .size:           8
        .value_kind:     hidden_global_offset_y
      - .offset:         3208
        .size:           8
        .value_kind:     hidden_global_offset_z
      - .offset:         3216
        .size:           2
        .value_kind:     hidden_grid_dims
    .group_segment_fixed_size: 0
    .kernarg_segment_align: 8
    .kernarg_segment_size: 3408
    .language:       OpenCL C
    .language_version:
      - 2
      - 0
    .max_flat_workgroup_size: 512
    .name:           _ZN2at6native12_GLOBAL__N_125multi_tensor_apply_kernelINS1_18TensorListMetadataILi2EEENS1_14UnaryOpFunctorIN3c107complexIdEELi2ELi1ELi1EEEJSt6negateIS8_EEEEvT_T0_DpT1_
    .private_segment_fixed_size: 0
    .sgpr_count:     28
    .sgpr_spill_count: 0
    .symbol:         _ZN2at6native12_GLOBAL__N_125multi_tensor_apply_kernelINS1_18TensorListMetadataILi2EEENS1_14UnaryOpFunctorIN3c107complexIdEELi2ELi1ELi1EEEJSt6negateIS8_EEEEvT_T0_DpT1_.kd
    .uniform_work_group_size: 1
    .uses_dynamic_stack: false
    .vgpr_count:     26
    .vgpr_spill_count: 0
    .wavefront_size: 64
  - .args:
      - .offset:         0
        .size:           3144
        .value_kind:     by_value
      - .offset:         3144
        .size:           1
        .value_kind:     by_value
      - .offset:         3145
        .size:           1
        .value_kind:     by_value
      - .offset:         3152
        .size:           4
        .value_kind:     hidden_block_count_x
      - .offset:         3156
        .size:           4
        .value_kind:     hidden_block_count_y
      - .offset:         3160
        .size:           4
        .value_kind:     hidden_block_count_z
      - .offset:         3164
        .size:           2
        .value_kind:     hidden_group_size_x
      - .offset:         3166
        .size:           2
        .value_kind:     hidden_group_size_y
      - .offset:         3168
        .size:           2
        .value_kind:     hidden_group_size_z
      - .offset:         3170
        .size:           2
        .value_kind:     hidden_remainder_x
      - .offset:         3172
        .size:           2
        .value_kind:     hidden_remainder_y
      - .offset:         3174
        .size:           2
        .value_kind:     hidden_remainder_z
      - .offset:         3192
        .size:           8
        .value_kind:     hidden_global_offset_x
      - .offset:         3200
        .size:           8
        .value_kind:     hidden_global_offset_y
      - .offset:         3208
        .size:           8
        .value_kind:     hidden_global_offset_z
      - .offset:         3216
        .size:           2
        .value_kind:     hidden_grid_dims
    .group_segment_fixed_size: 0
    .kernarg_segment_align: 8
    .kernarg_segment_size: 3408
    .language:       OpenCL C
    .language_version:
      - 2
      - 0
    .max_flat_workgroup_size: 512
    .name:           _ZN2at6native12_GLOBAL__N_125multi_tensor_apply_kernelINS1_18TensorListMetadataILi2EEENS1_14UnaryOpFunctorIN3c107complexIfEELi2ELi1ELi1EEEJSt6negateIS8_EEEEvT_T0_DpT1_
    .private_segment_fixed_size: 0
    .sgpr_count:     28
    .sgpr_spill_count: 0
    .symbol:         _ZN2at6native12_GLOBAL__N_125multi_tensor_apply_kernelINS1_18TensorListMetadataILi2EEENS1_14UnaryOpFunctorIN3c107complexIfEELi2ELi1ELi1EEEJSt6negateIS8_EEEEvT_T0_DpT1_.kd
    .uniform_work_group_size: 1
    .uses_dynamic_stack: false
    .vgpr_count:     18
    .vgpr_spill_count: 0
    .wavefront_size: 64
  - .args:
      - .offset:         0
        .size:           3144
        .value_kind:     by_value
      - .offset:         3144
        .size:           1
        .value_kind:     by_value
      - .offset:         3145
        .size:           1
        .value_kind:     by_value
      - .offset:         3152
        .size:           4
        .value_kind:     hidden_block_count_x
      - .offset:         3156
        .size:           4
        .value_kind:     hidden_block_count_y
      - .offset:         3160
        .size:           4
        .value_kind:     hidden_block_count_z
      - .offset:         3164
        .size:           2
        .value_kind:     hidden_group_size_x
      - .offset:         3166
        .size:           2
        .value_kind:     hidden_group_size_y
      - .offset:         3168
        .size:           2
        .value_kind:     hidden_group_size_z
      - .offset:         3170
        .size:           2
        .value_kind:     hidden_remainder_x
      - .offset:         3172
        .size:           2
        .value_kind:     hidden_remainder_y
      - .offset:         3174
        .size:           2
        .value_kind:     hidden_remainder_z
      - .offset:         3192
        .size:           8
        .value_kind:     hidden_global_offset_x
      - .offset:         3200
        .size:           8
        .value_kind:     hidden_global_offset_y
      - .offset:         3208
        .size:           8
        .value_kind:     hidden_global_offset_z
      - .offset:         3216
        .size:           2
        .value_kind:     hidden_grid_dims
    .group_segment_fixed_size: 0
    .kernarg_segment_align: 8
    .kernarg_segment_size: 3408
    .language:       OpenCL C
    .language_version:
      - 2
      - 0
    .max_flat_workgroup_size: 512
    .name:           _ZN2at6native12_GLOBAL__N_125multi_tensor_apply_kernelINS1_18TensorListMetadataILi2EEENS1_14UnaryOpFunctorIN3c104HalfELi2ELi1ELi1EEEJSt6negateIfEEEEvT_T0_DpT1_
    .private_segment_fixed_size: 0
    .sgpr_count:     24
    .sgpr_spill_count: 0
    .symbol:         _ZN2at6native12_GLOBAL__N_125multi_tensor_apply_kernelINS1_18TensorListMetadataILi2EEENS1_14UnaryOpFunctorIN3c104HalfELi2ELi1ELi1EEEJSt6negateIfEEEEvT_T0_DpT1_.kd
    .uniform_work_group_size: 1
    .uses_dynamic_stack: false
    .vgpr_count:     29
    .vgpr_spill_count: 0
    .wavefront_size: 64
  - .args:
      - .offset:         0
        .size:           3144
        .value_kind:     by_value
      - .offset:         3144
        .size:           1
        .value_kind:     by_value
      - .offset:         3145
        .size:           1
        .value_kind:     by_value
      - .offset:         3152
        .size:           4
        .value_kind:     hidden_block_count_x
      - .offset:         3156
        .size:           4
        .value_kind:     hidden_block_count_y
      - .offset:         3160
        .size:           4
        .value_kind:     hidden_block_count_z
      - .offset:         3164
        .size:           2
        .value_kind:     hidden_group_size_x
      - .offset:         3166
        .size:           2
        .value_kind:     hidden_group_size_y
      - .offset:         3168
        .size:           2
        .value_kind:     hidden_group_size_z
      - .offset:         3170
        .size:           2
        .value_kind:     hidden_remainder_x
      - .offset:         3172
        .size:           2
        .value_kind:     hidden_remainder_y
      - .offset:         3174
        .size:           2
        .value_kind:     hidden_remainder_z
      - .offset:         3192
        .size:           8
        .value_kind:     hidden_global_offset_x
      - .offset:         3200
        .size:           8
        .value_kind:     hidden_global_offset_y
      - .offset:         3208
        .size:           8
        .value_kind:     hidden_global_offset_z
      - .offset:         3216
        .size:           2
        .value_kind:     hidden_grid_dims
    .group_segment_fixed_size: 0
    .kernarg_segment_align: 8
    .kernarg_segment_size: 3408
    .language:       OpenCL C
    .language_version:
      - 2
      - 0
    .max_flat_workgroup_size: 512
    .name:           _ZN2at6native12_GLOBAL__N_125multi_tensor_apply_kernelINS1_18TensorListMetadataILi2EEENS1_14UnaryOpFunctorIN3c108BFloat16ELi2ELi1ELi1EEEJSt6negateIfEEEEvT_T0_DpT1_
    .private_segment_fixed_size: 0
    .sgpr_count:     27
    .sgpr_spill_count: 0
    .symbol:         _ZN2at6native12_GLOBAL__N_125multi_tensor_apply_kernelINS1_18TensorListMetadataILi2EEENS1_14UnaryOpFunctorIN3c108BFloat16ELi2ELi1ELi1EEEJSt6negateIfEEEEvT_T0_DpT1_.kd
    .uniform_work_group_size: 1
    .uses_dynamic_stack: false
    .vgpr_count:     30
    .vgpr_spill_count: 0
    .wavefront_size: 64
  - .args:
      - .offset:         0
        .size:           3368
        .value_kind:     by_value
      - .offset:         3368
        .size:           1
        .value_kind:     by_value
      - .offset:         3369
        .size:           1
        .value_kind:     by_value
      - .offset:         3376
        .size:           4
        .value_kind:     hidden_block_count_x
      - .offset:         3380
        .size:           4
        .value_kind:     hidden_block_count_y
      - .offset:         3384
        .size:           4
        .value_kind:     hidden_block_count_z
      - .offset:         3388
        .size:           2
        .value_kind:     hidden_group_size_x
      - .offset:         3390
        .size:           2
        .value_kind:     hidden_group_size_y
      - .offset:         3392
        .size:           2
        .value_kind:     hidden_group_size_z
      - .offset:         3394
        .size:           2
        .value_kind:     hidden_remainder_x
      - .offset:         3396
        .size:           2
        .value_kind:     hidden_remainder_y
      - .offset:         3398
        .size:           2
        .value_kind:     hidden_remainder_z
      - .offset:         3416
        .size:           8
        .value_kind:     hidden_global_offset_x
      - .offset:         3424
        .size:           8
        .value_kind:     hidden_global_offset_y
      - .offset:         3432
        .size:           8
        .value_kind:     hidden_global_offset_z
      - .offset:         3440
        .size:           2
        .value_kind:     hidden_grid_dims
    .group_segment_fixed_size: 0
    .kernarg_segment_align: 8
    .kernarg_segment_size: 3632
    .language:       OpenCL C
    .language_version:
      - 2
      - 0
    .max_flat_workgroup_size: 512
    .name:           _ZN2at6native12_GLOBAL__N_125multi_tensor_apply_kernelINS1_18TensorListMetadataILi1EEENS1_14UnaryOpFunctorIhLi1ELi1ELi0EEEJSt6negateIhEEEEvT_T0_DpT1_
    .private_segment_fixed_size: 0
    .sgpr_count:     29
    .sgpr_spill_count: 0
    .symbol:         _ZN2at6native12_GLOBAL__N_125multi_tensor_apply_kernelINS1_18TensorListMetadataILi1EEENS1_14UnaryOpFunctorIhLi1ELi1ELi0EEEJSt6negateIhEEEEvT_T0_DpT1_.kd
    .uniform_work_group_size: 1
    .uses_dynamic_stack: false
    .vgpr_count:     20
    .vgpr_spill_count: 0
    .wavefront_size: 64
  - .args:
      - .offset:         0
        .size:           3368
        .value_kind:     by_value
      - .offset:         3368
        .size:           1
        .value_kind:     by_value
      - .offset:         3369
        .size:           1
        .value_kind:     by_value
      - .offset:         3376
        .size:           4
        .value_kind:     hidden_block_count_x
      - .offset:         3380
        .size:           4
        .value_kind:     hidden_block_count_y
      - .offset:         3384
        .size:           4
        .value_kind:     hidden_block_count_z
      - .offset:         3388
        .size:           2
        .value_kind:     hidden_group_size_x
      - .offset:         3390
        .size:           2
        .value_kind:     hidden_group_size_y
      - .offset:         3392
        .size:           2
        .value_kind:     hidden_group_size_z
      - .offset:         3394
        .size:           2
        .value_kind:     hidden_remainder_x
      - .offset:         3396
        .size:           2
        .value_kind:     hidden_remainder_y
      - .offset:         3398
        .size:           2
        .value_kind:     hidden_remainder_z
      - .offset:         3416
        .size:           8
        .value_kind:     hidden_global_offset_x
      - .offset:         3424
        .size:           8
        .value_kind:     hidden_global_offset_y
      - .offset:         3432
        .size:           8
        .value_kind:     hidden_global_offset_z
      - .offset:         3440
        .size:           2
        .value_kind:     hidden_grid_dims
    .group_segment_fixed_size: 0
    .kernarg_segment_align: 8
    .kernarg_segment_size: 3632
    .language:       OpenCL C
    .language_version:
      - 2
      - 0
    .max_flat_workgroup_size: 512
    .name:           _ZN2at6native12_GLOBAL__N_125multi_tensor_apply_kernelINS1_18TensorListMetadataILi1EEENS1_14UnaryOpFunctorIaLi1ELi1ELi0EEEJSt6negateIaEEEEvT_T0_DpT1_
    .private_segment_fixed_size: 0
    .sgpr_count:     29
    .sgpr_spill_count: 0
    .symbol:         _ZN2at6native12_GLOBAL__N_125multi_tensor_apply_kernelINS1_18TensorListMetadataILi1EEENS1_14UnaryOpFunctorIaLi1ELi1ELi0EEEJSt6negateIaEEEEvT_T0_DpT1_.kd
    .uniform_work_group_size: 1
    .uses_dynamic_stack: false
    .vgpr_count:     20
    .vgpr_spill_count: 0
    .wavefront_size: 64
  - .args:
      - .offset:         0
        .size:           3368
        .value_kind:     by_value
      - .offset:         3368
        .size:           1
        .value_kind:     by_value
      - .offset:         3369
        .size:           1
        .value_kind:     by_value
      - .offset:         3376
        .size:           4
        .value_kind:     hidden_block_count_x
      - .offset:         3380
        .size:           4
        .value_kind:     hidden_block_count_y
      - .offset:         3384
        .size:           4
        .value_kind:     hidden_block_count_z
      - .offset:         3388
        .size:           2
        .value_kind:     hidden_group_size_x
      - .offset:         3390
        .size:           2
        .value_kind:     hidden_group_size_y
      - .offset:         3392
        .size:           2
        .value_kind:     hidden_group_size_z
      - .offset:         3394
        .size:           2
        .value_kind:     hidden_remainder_x
      - .offset:         3396
        .size:           2
        .value_kind:     hidden_remainder_y
      - .offset:         3398
        .size:           2
        .value_kind:     hidden_remainder_z
      - .offset:         3416
        .size:           8
        .value_kind:     hidden_global_offset_x
      - .offset:         3424
        .size:           8
        .value_kind:     hidden_global_offset_y
      - .offset:         3432
        .size:           8
        .value_kind:     hidden_global_offset_z
      - .offset:         3440
        .size:           2
        .value_kind:     hidden_grid_dims
    .group_segment_fixed_size: 0
    .kernarg_segment_align: 8
    .kernarg_segment_size: 3632
    .language:       OpenCL C
    .language_version:
      - 2
      - 0
    .max_flat_workgroup_size: 512
    .name:           _ZN2at6native12_GLOBAL__N_125multi_tensor_apply_kernelINS1_18TensorListMetadataILi1EEENS1_14UnaryOpFunctorIiLi1ELi1ELi0EEEJSt6negateIiEEEEvT_T0_DpT1_
    .private_segment_fixed_size: 0
    .sgpr_count:     32
    .sgpr_spill_count: 0
    .symbol:         _ZN2at6native12_GLOBAL__N_125multi_tensor_apply_kernelINS1_18TensorListMetadataILi1EEENS1_14UnaryOpFunctorIiLi1ELi1ELi0EEEJSt6negateIiEEEEvT_T0_DpT1_.kd
    .uniform_work_group_size: 1
    .uses_dynamic_stack: false
    .vgpr_count:     16
    .vgpr_spill_count: 0
    .wavefront_size: 64
  - .args:
      - .offset:         0
        .size:           3368
        .value_kind:     by_value
      - .offset:         3368
        .size:           1
        .value_kind:     by_value
      - .offset:         3369
        .size:           1
        .value_kind:     by_value
      - .offset:         3376
        .size:           4
        .value_kind:     hidden_block_count_x
      - .offset:         3380
        .size:           4
        .value_kind:     hidden_block_count_y
      - .offset:         3384
        .size:           4
        .value_kind:     hidden_block_count_z
      - .offset:         3388
        .size:           2
        .value_kind:     hidden_group_size_x
      - .offset:         3390
        .size:           2
        .value_kind:     hidden_group_size_y
      - .offset:         3392
        .size:           2
        .value_kind:     hidden_group_size_z
      - .offset:         3394
        .size:           2
        .value_kind:     hidden_remainder_x
      - .offset:         3396
        .size:           2
        .value_kind:     hidden_remainder_y
      - .offset:         3398
        .size:           2
        .value_kind:     hidden_remainder_z
      - .offset:         3416
        .size:           8
        .value_kind:     hidden_global_offset_x
      - .offset:         3424
        .size:           8
        .value_kind:     hidden_global_offset_y
      - .offset:         3432
        .size:           8
        .value_kind:     hidden_global_offset_z
      - .offset:         3440
        .size:           2
        .value_kind:     hidden_grid_dims
    .group_segment_fixed_size: 0
    .kernarg_segment_align: 8
    .kernarg_segment_size: 3632
    .language:       OpenCL C
    .language_version:
      - 2
      - 0
    .max_flat_workgroup_size: 512
    .name:           _ZN2at6native12_GLOBAL__N_125multi_tensor_apply_kernelINS1_18TensorListMetadataILi1EEENS1_14UnaryOpFunctorIlLi1ELi1ELi0EEEJSt6negateIlEEEEvT_T0_DpT1_
    .private_segment_fixed_size: 0
    .sgpr_count:     32
    .sgpr_spill_count: 0
    .symbol:         _ZN2at6native12_GLOBAL__N_125multi_tensor_apply_kernelINS1_18TensorListMetadataILi1EEENS1_14UnaryOpFunctorIlLi1ELi1ELi0EEEJSt6negateIlEEEEvT_T0_DpT1_.kd
    .uniform_work_group_size: 1
    .uses_dynamic_stack: false
    .vgpr_count:     21
    .vgpr_spill_count: 0
    .wavefront_size: 64
  - .args:
      - .offset:         0
        .size:           3368
        .value_kind:     by_value
      - .offset:         3368
        .size:           1
        .value_kind:     by_value
      - .offset:         3369
        .size:           1
        .value_kind:     by_value
      - .offset:         3376
        .size:           4
        .value_kind:     hidden_block_count_x
      - .offset:         3380
        .size:           4
        .value_kind:     hidden_block_count_y
      - .offset:         3384
        .size:           4
        .value_kind:     hidden_block_count_z
      - .offset:         3388
        .size:           2
        .value_kind:     hidden_group_size_x
      - .offset:         3390
        .size:           2
        .value_kind:     hidden_group_size_y
      - .offset:         3392
        .size:           2
        .value_kind:     hidden_group_size_z
      - .offset:         3394
        .size:           2
        .value_kind:     hidden_remainder_x
      - .offset:         3396
        .size:           2
        .value_kind:     hidden_remainder_y
      - .offset:         3398
        .size:           2
        .value_kind:     hidden_remainder_z
      - .offset:         3416
        .size:           8
        .value_kind:     hidden_global_offset_x
      - .offset:         3424
        .size:           8
        .value_kind:     hidden_global_offset_y
      - .offset:         3432
        .size:           8
        .value_kind:     hidden_global_offset_z
      - .offset:         3440
        .size:           2
        .value_kind:     hidden_grid_dims
    .group_segment_fixed_size: 0
    .kernarg_segment_align: 8
    .kernarg_segment_size: 3632
    .language:       OpenCL C
    .language_version:
      - 2
      - 0
    .max_flat_workgroup_size: 512
    .name:           _ZN2at6native12_GLOBAL__N_125multi_tensor_apply_kernelINS1_18TensorListMetadataILi1EEENS1_14UnaryOpFunctorIsLi1ELi1ELi0EEEJSt6negateIsEEEEvT_T0_DpT1_
    .private_segment_fixed_size: 0
    .sgpr_count:     33
    .sgpr_spill_count: 0
    .symbol:         _ZN2at6native12_GLOBAL__N_125multi_tensor_apply_kernelINS1_18TensorListMetadataILi1EEENS1_14UnaryOpFunctorIsLi1ELi1ELi0EEEJSt6negateIsEEEEvT_T0_DpT1_.kd
    .uniform_work_group_size: 1
    .uses_dynamic_stack: false
    .vgpr_count:     15
    .vgpr_spill_count: 0
    .wavefront_size: 64
  - .args:
      - .offset:         0
        .size:           3368
        .value_kind:     by_value
      - .offset:         3368
        .size:           1
        .value_kind:     by_value
      - .offset:         3369
        .size:           1
        .value_kind:     by_value
      - .offset:         3376
        .size:           4
        .value_kind:     hidden_block_count_x
      - .offset:         3380
        .size:           4
        .value_kind:     hidden_block_count_y
      - .offset:         3384
        .size:           4
        .value_kind:     hidden_block_count_z
      - .offset:         3388
        .size:           2
        .value_kind:     hidden_group_size_x
      - .offset:         3390
        .size:           2
        .value_kind:     hidden_group_size_y
      - .offset:         3392
        .size:           2
        .value_kind:     hidden_group_size_z
      - .offset:         3394
        .size:           2
        .value_kind:     hidden_remainder_x
      - .offset:         3396
        .size:           2
        .value_kind:     hidden_remainder_y
      - .offset:         3398
        .size:           2
        .value_kind:     hidden_remainder_z
      - .offset:         3416
        .size:           8
        .value_kind:     hidden_global_offset_x
      - .offset:         3424
        .size:           8
        .value_kind:     hidden_global_offset_y
      - .offset:         3432
        .size:           8
        .value_kind:     hidden_global_offset_z
      - .offset:         3440
        .size:           2
        .value_kind:     hidden_grid_dims
    .group_segment_fixed_size: 0
    .kernarg_segment_align: 8
    .kernarg_segment_size: 3632
    .language:       OpenCL C
    .language_version:
      - 2
      - 0
    .max_flat_workgroup_size: 512
    .name:           _ZN2at6native12_GLOBAL__N_125multi_tensor_apply_kernelINS1_18TensorListMetadataILi1EEENS1_14UnaryOpFunctorIdLi1ELi1ELi0EEEJSt6negateIdEEEEvT_T0_DpT1_
    .private_segment_fixed_size: 0
    .sgpr_count:     32
    .sgpr_spill_count: 0
    .symbol:         _ZN2at6native12_GLOBAL__N_125multi_tensor_apply_kernelINS1_18TensorListMetadataILi1EEENS1_14UnaryOpFunctorIdLi1ELi1ELi0EEEJSt6negateIdEEEEvT_T0_DpT1_.kd
    .uniform_work_group_size: 1
    .uses_dynamic_stack: false
    .vgpr_count:     21
    .vgpr_spill_count: 0
    .wavefront_size: 64
  - .args:
      - .offset:         0
        .size:           3368
        .value_kind:     by_value
      - .offset:         3368
        .size:           1
        .value_kind:     by_value
      - .offset:         3369
        .size:           1
        .value_kind:     by_value
      - .offset:         3376
        .size:           4
        .value_kind:     hidden_block_count_x
      - .offset:         3380
        .size:           4
        .value_kind:     hidden_block_count_y
      - .offset:         3384
        .size:           4
        .value_kind:     hidden_block_count_z
      - .offset:         3388
        .size:           2
        .value_kind:     hidden_group_size_x
      - .offset:         3390
        .size:           2
        .value_kind:     hidden_group_size_y
      - .offset:         3392
        .size:           2
        .value_kind:     hidden_group_size_z
      - .offset:         3394
        .size:           2
        .value_kind:     hidden_remainder_x
      - .offset:         3396
        .size:           2
        .value_kind:     hidden_remainder_y
      - .offset:         3398
        .size:           2
        .value_kind:     hidden_remainder_z
      - .offset:         3416
        .size:           8
        .value_kind:     hidden_global_offset_x
      - .offset:         3424
        .size:           8
        .value_kind:     hidden_global_offset_y
      - .offset:         3432
        .size:           8
        .value_kind:     hidden_global_offset_z
      - .offset:         3440
        .size:           2
        .value_kind:     hidden_grid_dims
    .group_segment_fixed_size: 0
    .kernarg_segment_align: 8
    .kernarg_segment_size: 3632
    .language:       OpenCL C
    .language_version:
      - 2
      - 0
    .max_flat_workgroup_size: 512
    .name:           _ZN2at6native12_GLOBAL__N_125multi_tensor_apply_kernelINS1_18TensorListMetadataILi1EEENS1_14UnaryOpFunctorIfLi1ELi1ELi0EEEJSt6negateIfEEEEvT_T0_DpT1_
    .private_segment_fixed_size: 0
    .sgpr_count:     32
    .sgpr_spill_count: 0
    .symbol:         _ZN2at6native12_GLOBAL__N_125multi_tensor_apply_kernelINS1_18TensorListMetadataILi1EEENS1_14UnaryOpFunctorIfLi1ELi1ELi0EEEJSt6negateIfEEEEvT_T0_DpT1_.kd
    .uniform_work_group_size: 1
    .uses_dynamic_stack: false
    .vgpr_count:     16
    .vgpr_spill_count: 0
    .wavefront_size: 64
  - .args:
      - .offset:         0
        .size:           3368
        .value_kind:     by_value
      - .offset:         3368
        .size:           1
        .value_kind:     by_value
      - .offset:         3369
        .size:           1
        .value_kind:     by_value
      - .offset:         3376
        .size:           4
        .value_kind:     hidden_block_count_x
      - .offset:         3380
        .size:           4
        .value_kind:     hidden_block_count_y
      - .offset:         3384
        .size:           4
        .value_kind:     hidden_block_count_z
      - .offset:         3388
        .size:           2
        .value_kind:     hidden_group_size_x
      - .offset:         3390
        .size:           2
        .value_kind:     hidden_group_size_y
      - .offset:         3392
        .size:           2
        .value_kind:     hidden_group_size_z
      - .offset:         3394
        .size:           2
        .value_kind:     hidden_remainder_x
      - .offset:         3396
        .size:           2
        .value_kind:     hidden_remainder_y
      - .offset:         3398
        .size:           2
        .value_kind:     hidden_remainder_z
      - .offset:         3416
        .size:           8
        .value_kind:     hidden_global_offset_x
      - .offset:         3424
        .size:           8
        .value_kind:     hidden_global_offset_y
      - .offset:         3432
        .size:           8
        .value_kind:     hidden_global_offset_z
      - .offset:         3440
        .size:           2
        .value_kind:     hidden_grid_dims
    .group_segment_fixed_size: 0
    .kernarg_segment_align: 8
    .kernarg_segment_size: 3632
    .language:       OpenCL C
    .language_version:
      - 2
      - 0
    .max_flat_workgroup_size: 512
    .name:           _ZN2at6native12_GLOBAL__N_125multi_tensor_apply_kernelINS1_18TensorListMetadataILi1EEENS1_14UnaryOpFunctorIN3c107complexIdEELi1ELi1ELi0EEEJSt6negateIS8_EEEEvT_T0_DpT1_
    .private_segment_fixed_size: 0
    .sgpr_count:     32
    .sgpr_spill_count: 0
    .symbol:         _ZN2at6native12_GLOBAL__N_125multi_tensor_apply_kernelINS1_18TensorListMetadataILi1EEENS1_14UnaryOpFunctorIN3c107complexIdEELi1ELi1ELi0EEEJSt6negateIS8_EEEEvT_T0_DpT1_.kd
    .uniform_work_group_size: 1
    .uses_dynamic_stack: false
    .vgpr_count:     31
    .vgpr_spill_count: 0
    .wavefront_size: 64
  - .args:
      - .offset:         0
        .size:           3368
        .value_kind:     by_value
      - .offset:         3368
        .size:           1
        .value_kind:     by_value
      - .offset:         3369
        .size:           1
        .value_kind:     by_value
      - .offset:         3376
        .size:           4
        .value_kind:     hidden_block_count_x
      - .offset:         3380
        .size:           4
        .value_kind:     hidden_block_count_y
      - .offset:         3384
        .size:           4
        .value_kind:     hidden_block_count_z
      - .offset:         3388
        .size:           2
        .value_kind:     hidden_group_size_x
      - .offset:         3390
        .size:           2
        .value_kind:     hidden_group_size_y
      - .offset:         3392
        .size:           2
        .value_kind:     hidden_group_size_z
      - .offset:         3394
        .size:           2
        .value_kind:     hidden_remainder_x
      - .offset:         3396
        .size:           2
        .value_kind:     hidden_remainder_y
      - .offset:         3398
        .size:           2
        .value_kind:     hidden_remainder_z
      - .offset:         3416
        .size:           8
        .value_kind:     hidden_global_offset_x
      - .offset:         3424
        .size:           8
        .value_kind:     hidden_global_offset_y
      - .offset:         3432
        .size:           8
        .value_kind:     hidden_global_offset_z
      - .offset:         3440
        .size:           2
        .value_kind:     hidden_grid_dims
    .group_segment_fixed_size: 0
    .kernarg_segment_align: 8
    .kernarg_segment_size: 3632
    .language:       OpenCL C
    .language_version:
      - 2
      - 0
    .max_flat_workgroup_size: 512
    .name:           _ZN2at6native12_GLOBAL__N_125multi_tensor_apply_kernelINS1_18TensorListMetadataILi1EEENS1_14UnaryOpFunctorIN3c107complexIfEELi1ELi1ELi0EEEJSt6negateIS8_EEEEvT_T0_DpT1_
    .private_segment_fixed_size: 0
    .sgpr_count:     32
    .sgpr_spill_count: 0
    .symbol:         _ZN2at6native12_GLOBAL__N_125multi_tensor_apply_kernelINS1_18TensorListMetadataILi1EEENS1_14UnaryOpFunctorIN3c107complexIfEELi1ELi1ELi0EEEJSt6negateIS8_EEEEvT_T0_DpT1_.kd
    .uniform_work_group_size: 1
    .uses_dynamic_stack: false
    .vgpr_count:     23
    .vgpr_spill_count: 0
    .wavefront_size: 64
  - .args:
      - .offset:         0
        .size:           3368
        .value_kind:     by_value
      - .offset:         3368
        .size:           1
        .value_kind:     by_value
      - .offset:         3369
        .size:           1
        .value_kind:     by_value
      - .offset:         3376
        .size:           4
        .value_kind:     hidden_block_count_x
      - .offset:         3380
        .size:           4
        .value_kind:     hidden_block_count_y
      - .offset:         3384
        .size:           4
        .value_kind:     hidden_block_count_z
      - .offset:         3388
        .size:           2
        .value_kind:     hidden_group_size_x
      - .offset:         3390
        .size:           2
        .value_kind:     hidden_group_size_y
      - .offset:         3392
        .size:           2
        .value_kind:     hidden_group_size_z
      - .offset:         3394
        .size:           2
        .value_kind:     hidden_remainder_x
      - .offset:         3396
        .size:           2
        .value_kind:     hidden_remainder_y
      - .offset:         3398
        .size:           2
        .value_kind:     hidden_remainder_z
      - .offset:         3416
        .size:           8
        .value_kind:     hidden_global_offset_x
      - .offset:         3424
        .size:           8
        .value_kind:     hidden_global_offset_y
      - .offset:         3432
        .size:           8
        .value_kind:     hidden_global_offset_z
      - .offset:         3440
        .size:           2
        .value_kind:     hidden_grid_dims
    .group_segment_fixed_size: 0
    .kernarg_segment_align: 8
    .kernarg_segment_size: 3632
    .language:       OpenCL C
    .language_version:
      - 2
      - 0
    .max_flat_workgroup_size: 512
    .name:           _ZN2at6native12_GLOBAL__N_125multi_tensor_apply_kernelINS1_18TensorListMetadataILi1EEENS1_14UnaryOpFunctorIN3c104HalfELi1ELi1ELi0EEEJSt6negateIfEEEEvT_T0_DpT1_
    .private_segment_fixed_size: 0
    .sgpr_count:     31
    .sgpr_spill_count: 0
    .symbol:         _ZN2at6native12_GLOBAL__N_125multi_tensor_apply_kernelINS1_18TensorListMetadataILi1EEENS1_14UnaryOpFunctorIN3c104HalfELi1ELi1ELi0EEEJSt6negateIfEEEEvT_T0_DpT1_.kd
    .uniform_work_group_size: 1
    .uses_dynamic_stack: false
    .vgpr_count:     17
    .vgpr_spill_count: 0
    .wavefront_size: 64
  - .args:
      - .offset:         0
        .size:           3368
        .value_kind:     by_value
      - .offset:         3368
        .size:           1
        .value_kind:     by_value
      - .offset:         3369
        .size:           1
        .value_kind:     by_value
      - .offset:         3376
        .size:           4
        .value_kind:     hidden_block_count_x
      - .offset:         3380
        .size:           4
        .value_kind:     hidden_block_count_y
      - .offset:         3384
        .size:           4
        .value_kind:     hidden_block_count_z
      - .offset:         3388
        .size:           2
        .value_kind:     hidden_group_size_x
      - .offset:         3390
        .size:           2
        .value_kind:     hidden_group_size_y
      - .offset:         3392
        .size:           2
        .value_kind:     hidden_group_size_z
      - .offset:         3394
        .size:           2
        .value_kind:     hidden_remainder_x
      - .offset:         3396
        .size:           2
        .value_kind:     hidden_remainder_y
      - .offset:         3398
        .size:           2
        .value_kind:     hidden_remainder_z
      - .offset:         3416
        .size:           8
        .value_kind:     hidden_global_offset_x
      - .offset:         3424
        .size:           8
        .value_kind:     hidden_global_offset_y
      - .offset:         3432
        .size:           8
        .value_kind:     hidden_global_offset_z
      - .offset:         3440
        .size:           2
        .value_kind:     hidden_grid_dims
    .group_segment_fixed_size: 0
    .kernarg_segment_align: 8
    .kernarg_segment_size: 3632
    .language:       OpenCL C
    .language_version:
      - 2
      - 0
    .max_flat_workgroup_size: 512
    .name:           _ZN2at6native12_GLOBAL__N_125multi_tensor_apply_kernelINS1_18TensorListMetadataILi1EEENS1_14UnaryOpFunctorIN3c108BFloat16ELi1ELi1ELi0EEEJSt6negateIfEEEEvT_T0_DpT1_
    .private_segment_fixed_size: 0
    .sgpr_count:     32
    .sgpr_spill_count: 0
    .symbol:         _ZN2at6native12_GLOBAL__N_125multi_tensor_apply_kernelINS1_18TensorListMetadataILi1EEENS1_14UnaryOpFunctorIN3c108BFloat16ELi1ELi1ELi0EEEJSt6negateIfEEEEvT_T0_DpT1_.kd
    .uniform_work_group_size: 1
    .uses_dynamic_stack: false
    .vgpr_count:     18
    .vgpr_spill_count: 0
    .wavefront_size: 64
  - .args:
      - .offset:         0
        .size:           3144
        .value_kind:     by_value
      - .offset:         3144
        .size:           1
        .value_kind:     by_value
      - .offset:         3145
        .size:           1
        .value_kind:     by_value
      - .offset:         3152
        .size:           4
        .value_kind:     hidden_block_count_x
      - .offset:         3156
        .size:           4
        .value_kind:     hidden_block_count_y
      - .offset:         3160
        .size:           4
        .value_kind:     hidden_block_count_z
      - .offset:         3164
        .size:           2
        .value_kind:     hidden_group_size_x
      - .offset:         3166
        .size:           2
        .value_kind:     hidden_group_size_y
      - .offset:         3168
        .size:           2
        .value_kind:     hidden_group_size_z
      - .offset:         3170
        .size:           2
        .value_kind:     hidden_remainder_x
      - .offset:         3172
        .size:           2
        .value_kind:     hidden_remainder_y
      - .offset:         3174
        .size:           2
        .value_kind:     hidden_remainder_z
      - .offset:         3192
        .size:           8
        .value_kind:     hidden_global_offset_x
      - .offset:         3200
        .size:           8
        .value_kind:     hidden_global_offset_y
      - .offset:         3208
        .size:           8
        .value_kind:     hidden_global_offset_z
      - .offset:         3216
        .size:           2
        .value_kind:     hidden_grid_dims
    .group_segment_fixed_size: 0
    .kernarg_segment_align: 8
    .kernarg_segment_size: 3408
    .language:       OpenCL C
    .language_version:
      - 2
      - 0
    .max_flat_workgroup_size: 512
    .name:           _ZN2at6native12_GLOBAL__N_125multi_tensor_apply_kernelINS1_18TensorListMetadataILi2EEENS1_14UnaryOpFunctorIhLi2ELi1ELi1EEEJNS0_3AbsIhEEEEEvT_T0_DpT1_
    .private_segment_fixed_size: 0
    .sgpr_count:     26
    .sgpr_spill_count: 0
    .symbol:         _ZN2at6native12_GLOBAL__N_125multi_tensor_apply_kernelINS1_18TensorListMetadataILi2EEENS1_14UnaryOpFunctorIhLi2ELi1ELi1EEEJNS0_3AbsIhEEEEEvT_T0_DpT1_.kd
    .uniform_work_group_size: 1
    .uses_dynamic_stack: false
    .vgpr_count:     27
    .vgpr_spill_count: 0
    .wavefront_size: 64
  - .args:
      - .offset:         0
        .size:           3144
        .value_kind:     by_value
      - .offset:         3144
        .size:           1
        .value_kind:     by_value
      - .offset:         3145
        .size:           1
        .value_kind:     by_value
      - .offset:         3152
        .size:           4
        .value_kind:     hidden_block_count_x
      - .offset:         3156
        .size:           4
        .value_kind:     hidden_block_count_y
      - .offset:         3160
        .size:           4
        .value_kind:     hidden_block_count_z
      - .offset:         3164
        .size:           2
        .value_kind:     hidden_group_size_x
      - .offset:         3166
        .size:           2
        .value_kind:     hidden_group_size_y
      - .offset:         3168
        .size:           2
        .value_kind:     hidden_group_size_z
      - .offset:         3170
        .size:           2
        .value_kind:     hidden_remainder_x
      - .offset:         3172
        .size:           2
        .value_kind:     hidden_remainder_y
      - .offset:         3174
        .size:           2
        .value_kind:     hidden_remainder_z
      - .offset:         3192
        .size:           8
        .value_kind:     hidden_global_offset_x
      - .offset:         3200
        .size:           8
        .value_kind:     hidden_global_offset_y
      - .offset:         3208
        .size:           8
        .value_kind:     hidden_global_offset_z
      - .offset:         3216
        .size:           2
        .value_kind:     hidden_grid_dims
    .group_segment_fixed_size: 0
    .kernarg_segment_align: 8
    .kernarg_segment_size: 3408
    .language:       OpenCL C
    .language_version:
      - 2
      - 0
    .max_flat_workgroup_size: 512
    .name:           _ZN2at6native12_GLOBAL__N_125multi_tensor_apply_kernelINS1_18TensorListMetadataILi2EEENS1_14UnaryOpFunctorIaLi2ELi1ELi1EEEJNS0_3AbsIaEEEEEvT_T0_DpT1_
    .private_segment_fixed_size: 0
    .sgpr_count:     26
    .sgpr_spill_count: 0
    .symbol:         _ZN2at6native12_GLOBAL__N_125multi_tensor_apply_kernelINS1_18TensorListMetadataILi2EEENS1_14UnaryOpFunctorIaLi2ELi1ELi1EEEJNS0_3AbsIaEEEEEvT_T0_DpT1_.kd
    .uniform_work_group_size: 1
    .uses_dynamic_stack: false
    .vgpr_count:     28
    .vgpr_spill_count: 0
    .wavefront_size: 64
  - .args:
      - .offset:         0
        .size:           3144
        .value_kind:     by_value
      - .offset:         3144
        .size:           1
        .value_kind:     by_value
      - .offset:         3145
        .size:           1
        .value_kind:     by_value
      - .offset:         3152
        .size:           4
        .value_kind:     hidden_block_count_x
      - .offset:         3156
        .size:           4
        .value_kind:     hidden_block_count_y
      - .offset:         3160
        .size:           4
        .value_kind:     hidden_block_count_z
      - .offset:         3164
        .size:           2
        .value_kind:     hidden_group_size_x
      - .offset:         3166
        .size:           2
        .value_kind:     hidden_group_size_y
      - .offset:         3168
        .size:           2
        .value_kind:     hidden_group_size_z
      - .offset:         3170
        .size:           2
        .value_kind:     hidden_remainder_x
      - .offset:         3172
        .size:           2
        .value_kind:     hidden_remainder_y
      - .offset:         3174
        .size:           2
        .value_kind:     hidden_remainder_z
      - .offset:         3192
        .size:           8
        .value_kind:     hidden_global_offset_x
      - .offset:         3200
        .size:           8
        .value_kind:     hidden_global_offset_y
      - .offset:         3208
        .size:           8
        .value_kind:     hidden_global_offset_z
      - .offset:         3216
        .size:           2
        .value_kind:     hidden_grid_dims
    .group_segment_fixed_size: 0
    .kernarg_segment_align: 8
    .kernarg_segment_size: 3408
    .language:       OpenCL C
    .language_version:
      - 2
      - 0
    .max_flat_workgroup_size: 512
    .name:           _ZN2at6native12_GLOBAL__N_125multi_tensor_apply_kernelINS1_18TensorListMetadataILi2EEENS1_14UnaryOpFunctorIiLi2ELi1ELi1EEEJNS0_3AbsIiEEEEEvT_T0_DpT1_
    .private_segment_fixed_size: 0
    .sgpr_count:     24
    .sgpr_spill_count: 0
    .symbol:         _ZN2at6native12_GLOBAL__N_125multi_tensor_apply_kernelINS1_18TensorListMetadataILi2EEENS1_14UnaryOpFunctorIiLi2ELi1ELi1EEEJNS0_3AbsIiEEEEEvT_T0_DpT1_.kd
    .uniform_work_group_size: 1
    .uses_dynamic_stack: false
    .vgpr_count:     29
    .vgpr_spill_count: 0
    .wavefront_size: 64
  - .args:
      - .offset:         0
        .size:           3144
        .value_kind:     by_value
      - .offset:         3144
        .size:           1
        .value_kind:     by_value
      - .offset:         3145
        .size:           1
        .value_kind:     by_value
      - .offset:         3152
        .size:           4
        .value_kind:     hidden_block_count_x
      - .offset:         3156
        .size:           4
        .value_kind:     hidden_block_count_y
      - .offset:         3160
        .size:           4
        .value_kind:     hidden_block_count_z
      - .offset:         3164
        .size:           2
        .value_kind:     hidden_group_size_x
      - .offset:         3166
        .size:           2
        .value_kind:     hidden_group_size_y
      - .offset:         3168
        .size:           2
        .value_kind:     hidden_group_size_z
      - .offset:         3170
        .size:           2
        .value_kind:     hidden_remainder_x
      - .offset:         3172
        .size:           2
        .value_kind:     hidden_remainder_y
      - .offset:         3174
        .size:           2
        .value_kind:     hidden_remainder_z
      - .offset:         3192
        .size:           8
        .value_kind:     hidden_global_offset_x
      - .offset:         3200
        .size:           8
        .value_kind:     hidden_global_offset_y
      - .offset:         3208
        .size:           8
        .value_kind:     hidden_global_offset_z
      - .offset:         3216
        .size:           2
        .value_kind:     hidden_grid_dims
    .group_segment_fixed_size: 0
    .kernarg_segment_align: 8
    .kernarg_segment_size: 3408
    .language:       OpenCL C
    .language_version:
      - 2
      - 0
    .max_flat_workgroup_size: 512
    .name:           _ZN2at6native12_GLOBAL__N_125multi_tensor_apply_kernelINS1_18TensorListMetadataILi2EEENS1_14UnaryOpFunctorIlLi2ELi1ELi1EEEJNS0_3AbsIlEEEEEvT_T0_DpT1_
    .private_segment_fixed_size: 0
    .sgpr_count:     24
    .sgpr_spill_count: 0
    .symbol:         _ZN2at6native12_GLOBAL__N_125multi_tensor_apply_kernelINS1_18TensorListMetadataILi2EEENS1_14UnaryOpFunctorIlLi2ELi1ELi1EEEJNS0_3AbsIlEEEEEvT_T0_DpT1_.kd
    .uniform_work_group_size: 1
    .uses_dynamic_stack: false
    .vgpr_count:     33
    .vgpr_spill_count: 0
    .wavefront_size: 64
  - .args:
      - .offset:         0
        .size:           3144
        .value_kind:     by_value
      - .offset:         3144
        .size:           1
        .value_kind:     by_value
      - .offset:         3145
        .size:           1
        .value_kind:     by_value
      - .offset:         3152
        .size:           4
        .value_kind:     hidden_block_count_x
      - .offset:         3156
        .size:           4
        .value_kind:     hidden_block_count_y
      - .offset:         3160
        .size:           4
        .value_kind:     hidden_block_count_z
      - .offset:         3164
        .size:           2
        .value_kind:     hidden_group_size_x
      - .offset:         3166
        .size:           2
        .value_kind:     hidden_group_size_y
      - .offset:         3168
        .size:           2
        .value_kind:     hidden_group_size_z
      - .offset:         3170
        .size:           2
        .value_kind:     hidden_remainder_x
      - .offset:         3172
        .size:           2
        .value_kind:     hidden_remainder_y
      - .offset:         3174
        .size:           2
        .value_kind:     hidden_remainder_z
      - .offset:         3192
        .size:           8
        .value_kind:     hidden_global_offset_x
      - .offset:         3200
        .size:           8
        .value_kind:     hidden_global_offset_y
      - .offset:         3208
        .size:           8
        .value_kind:     hidden_global_offset_z
      - .offset:         3216
        .size:           2
        .value_kind:     hidden_grid_dims
    .group_segment_fixed_size: 0
    .kernarg_segment_align: 8
    .kernarg_segment_size: 3408
    .language:       OpenCL C
    .language_version:
      - 2
      - 0
    .max_flat_workgroup_size: 512
    .name:           _ZN2at6native12_GLOBAL__N_125multi_tensor_apply_kernelINS1_18TensorListMetadataILi2EEENS1_14UnaryOpFunctorIsLi2ELi1ELi1EEEJNS0_3AbsIsEEEEEvT_T0_DpT1_
    .private_segment_fixed_size: 0
    .sgpr_count:     26
    .sgpr_spill_count: 0
    .symbol:         _ZN2at6native12_GLOBAL__N_125multi_tensor_apply_kernelINS1_18TensorListMetadataILi2EEENS1_14UnaryOpFunctorIsLi2ELi1ELi1EEEJNS0_3AbsIsEEEEEvT_T0_DpT1_.kd
    .uniform_work_group_size: 1
    .uses_dynamic_stack: false
    .vgpr_count:     27
    .vgpr_spill_count: 0
    .wavefront_size: 64
  - .args:
      - .offset:         0
        .size:           3144
        .value_kind:     by_value
      - .offset:         3144
        .size:           1
        .value_kind:     by_value
      - .offset:         3145
        .size:           1
        .value_kind:     by_value
      - .offset:         3152
        .size:           4
        .value_kind:     hidden_block_count_x
      - .offset:         3156
        .size:           4
        .value_kind:     hidden_block_count_y
      - .offset:         3160
        .size:           4
        .value_kind:     hidden_block_count_z
      - .offset:         3164
        .size:           2
        .value_kind:     hidden_group_size_x
      - .offset:         3166
        .size:           2
        .value_kind:     hidden_group_size_y
      - .offset:         3168
        .size:           2
        .value_kind:     hidden_group_size_z
      - .offset:         3170
        .size:           2
        .value_kind:     hidden_remainder_x
      - .offset:         3172
        .size:           2
        .value_kind:     hidden_remainder_y
      - .offset:         3174
        .size:           2
        .value_kind:     hidden_remainder_z
      - .offset:         3192
        .size:           8
        .value_kind:     hidden_global_offset_x
      - .offset:         3200
        .size:           8
        .value_kind:     hidden_global_offset_y
      - .offset:         3208
        .size:           8
        .value_kind:     hidden_global_offset_z
      - .offset:         3216
        .size:           2
        .value_kind:     hidden_grid_dims
    .group_segment_fixed_size: 0
    .kernarg_segment_align: 8
    .kernarg_segment_size: 3408
    .language:       OpenCL C
    .language_version:
      - 2
      - 0
    .max_flat_workgroup_size: 512
    .name:           _ZN2at6native12_GLOBAL__N_125multi_tensor_apply_kernelINS1_18TensorListMetadataILi2EEENS1_14UnaryOpFunctorIdLi2ELi1ELi1EEEJNS0_3AbsIdEEEEEvT_T0_DpT1_
    .private_segment_fixed_size: 0
    .sgpr_count:     24
    .sgpr_spill_count: 0
    .symbol:         _ZN2at6native12_GLOBAL__N_125multi_tensor_apply_kernelINS1_18TensorListMetadataILi2EEENS1_14UnaryOpFunctorIdLi2ELi1ELi1EEEJNS0_3AbsIdEEEEEvT_T0_DpT1_.kd
    .uniform_work_group_size: 1
    .uses_dynamic_stack: false
    .vgpr_count:     33
    .vgpr_spill_count: 0
    .wavefront_size: 64
  - .args:
      - .offset:         0
        .size:           3144
        .value_kind:     by_value
      - .offset:         3144
        .size:           1
        .value_kind:     by_value
      - .offset:         3145
        .size:           1
        .value_kind:     by_value
      - .offset:         3152
        .size:           4
        .value_kind:     hidden_block_count_x
      - .offset:         3156
        .size:           4
        .value_kind:     hidden_block_count_y
      - .offset:         3160
        .size:           4
        .value_kind:     hidden_block_count_z
      - .offset:         3164
        .size:           2
        .value_kind:     hidden_group_size_x
      - .offset:         3166
        .size:           2
        .value_kind:     hidden_group_size_y
      - .offset:         3168
        .size:           2
        .value_kind:     hidden_group_size_z
      - .offset:         3170
        .size:           2
        .value_kind:     hidden_remainder_x
      - .offset:         3172
        .size:           2
        .value_kind:     hidden_remainder_y
      - .offset:         3174
        .size:           2
        .value_kind:     hidden_remainder_z
      - .offset:         3192
        .size:           8
        .value_kind:     hidden_global_offset_x
      - .offset:         3200
        .size:           8
        .value_kind:     hidden_global_offset_y
      - .offset:         3208
        .size:           8
        .value_kind:     hidden_global_offset_z
      - .offset:         3216
        .size:           2
        .value_kind:     hidden_grid_dims
    .group_segment_fixed_size: 0
    .kernarg_segment_align: 8
    .kernarg_segment_size: 3408
    .language:       OpenCL C
    .language_version:
      - 2
      - 0
    .max_flat_workgroup_size: 512
    .name:           _ZN2at6native12_GLOBAL__N_125multi_tensor_apply_kernelINS1_18TensorListMetadataILi2EEENS1_14UnaryOpFunctorIfLi2ELi1ELi1EEEJNS0_3AbsIfEEEEEvT_T0_DpT1_
    .private_segment_fixed_size: 0
    .sgpr_count:     24
    .sgpr_spill_count: 0
    .symbol:         _ZN2at6native12_GLOBAL__N_125multi_tensor_apply_kernelINS1_18TensorListMetadataILi2EEENS1_14UnaryOpFunctorIfLi2ELi1ELi1EEEJNS0_3AbsIfEEEEEvT_T0_DpT1_.kd
    .uniform_work_group_size: 1
    .uses_dynamic_stack: false
    .vgpr_count:     29
    .vgpr_spill_count: 0
    .wavefront_size: 64
  - .args:
      - .offset:         0
        .size:           3144
        .value_kind:     by_value
      - .offset:         3144
        .size:           1
        .value_kind:     by_value
      - .offset:         3145
        .size:           1
        .value_kind:     by_value
      - .offset:         3152
        .size:           4
        .value_kind:     hidden_block_count_x
      - .offset:         3156
        .size:           4
        .value_kind:     hidden_block_count_y
      - .offset:         3160
        .size:           4
        .value_kind:     hidden_block_count_z
      - .offset:         3164
        .size:           2
        .value_kind:     hidden_group_size_x
      - .offset:         3166
        .size:           2
        .value_kind:     hidden_group_size_y
      - .offset:         3168
        .size:           2
        .value_kind:     hidden_group_size_z
      - .offset:         3170
        .size:           2
        .value_kind:     hidden_remainder_x
      - .offset:         3172
        .size:           2
        .value_kind:     hidden_remainder_y
      - .offset:         3174
        .size:           2
        .value_kind:     hidden_remainder_z
      - .offset:         3192
        .size:           8
        .value_kind:     hidden_global_offset_x
      - .offset:         3200
        .size:           8
        .value_kind:     hidden_global_offset_y
      - .offset:         3208
        .size:           8
        .value_kind:     hidden_global_offset_z
      - .offset:         3216
        .size:           2
        .value_kind:     hidden_grid_dims
    .group_segment_fixed_size: 0
    .kernarg_segment_align: 8
    .kernarg_segment_size: 3408
    .language:       OpenCL C
    .language_version:
      - 2
      - 0
    .max_flat_workgroup_size: 512
    .name:           _ZN2at6native12_GLOBAL__N_125multi_tensor_apply_kernelINS1_18TensorListMetadataILi2EEENS1_14UnaryOpFunctorIN3c107complexIdEELi2ELi1ELi1EEEJNS0_3AbsIS8_EEEEEvT_T0_DpT1_
    .private_segment_fixed_size: 0
    .sgpr_count:     50
    .sgpr_spill_count: 0
    .symbol:         _ZN2at6native12_GLOBAL__N_125multi_tensor_apply_kernelINS1_18TensorListMetadataILi2EEENS1_14UnaryOpFunctorIN3c107complexIdEELi2ELi1ELi1EEEJNS0_3AbsIS8_EEEEEvT_T0_DpT1_.kd
    .uniform_work_group_size: 1
    .uses_dynamic_stack: false
    .vgpr_count:     51
    .vgpr_spill_count: 0
    .wavefront_size: 64
  - .args:
      - .offset:         0
        .size:           3144
        .value_kind:     by_value
      - .offset:         3144
        .size:           1
        .value_kind:     by_value
      - .offset:         3145
        .size:           1
        .value_kind:     by_value
      - .offset:         3152
        .size:           4
        .value_kind:     hidden_block_count_x
      - .offset:         3156
        .size:           4
        .value_kind:     hidden_block_count_y
      - .offset:         3160
        .size:           4
        .value_kind:     hidden_block_count_z
      - .offset:         3164
        .size:           2
        .value_kind:     hidden_group_size_x
      - .offset:         3166
        .size:           2
        .value_kind:     hidden_group_size_y
      - .offset:         3168
        .size:           2
        .value_kind:     hidden_group_size_z
      - .offset:         3170
        .size:           2
        .value_kind:     hidden_remainder_x
      - .offset:         3172
        .size:           2
        .value_kind:     hidden_remainder_y
      - .offset:         3174
        .size:           2
        .value_kind:     hidden_remainder_z
      - .offset:         3192
        .size:           8
        .value_kind:     hidden_global_offset_x
      - .offset:         3200
        .size:           8
        .value_kind:     hidden_global_offset_y
      - .offset:         3208
        .size:           8
        .value_kind:     hidden_global_offset_z
      - .offset:         3216
        .size:           2
        .value_kind:     hidden_grid_dims
    .group_segment_fixed_size: 0
    .kernarg_segment_align: 8
    .kernarg_segment_size: 3408
    .language:       OpenCL C
    .language_version:
      - 2
      - 0
    .max_flat_workgroup_size: 512
    .name:           _ZN2at6native12_GLOBAL__N_125multi_tensor_apply_kernelINS1_18TensorListMetadataILi2EEENS1_14UnaryOpFunctorIN3c107complexIfEELi2ELi1ELi1EEEJNS0_3AbsIS8_EEEEEvT_T0_DpT1_
    .private_segment_fixed_size: 0
    .sgpr_count:     29
    .sgpr_spill_count: 0
    .symbol:         _ZN2at6native12_GLOBAL__N_125multi_tensor_apply_kernelINS1_18TensorListMetadataILi2EEENS1_14UnaryOpFunctorIN3c107complexIfEELi2ELi1ELi1EEEJNS0_3AbsIS8_EEEEEvT_T0_DpT1_.kd
    .uniform_work_group_size: 1
    .uses_dynamic_stack: false
    .vgpr_count:     22
    .vgpr_spill_count: 0
    .wavefront_size: 64
  - .args:
      - .offset:         0
        .size:           3144
        .value_kind:     by_value
      - .offset:         3144
        .size:           1
        .value_kind:     by_value
      - .offset:         3145
        .size:           1
        .value_kind:     by_value
      - .offset:         3152
        .size:           4
        .value_kind:     hidden_block_count_x
      - .offset:         3156
        .size:           4
        .value_kind:     hidden_block_count_y
      - .offset:         3160
        .size:           4
        .value_kind:     hidden_block_count_z
      - .offset:         3164
        .size:           2
        .value_kind:     hidden_group_size_x
      - .offset:         3166
        .size:           2
        .value_kind:     hidden_group_size_y
      - .offset:         3168
        .size:           2
        .value_kind:     hidden_group_size_z
      - .offset:         3170
        .size:           2
        .value_kind:     hidden_remainder_x
      - .offset:         3172
        .size:           2
        .value_kind:     hidden_remainder_y
      - .offset:         3174
        .size:           2
        .value_kind:     hidden_remainder_z
      - .offset:         3192
        .size:           8
        .value_kind:     hidden_global_offset_x
      - .offset:         3200
        .size:           8
        .value_kind:     hidden_global_offset_y
      - .offset:         3208
        .size:           8
        .value_kind:     hidden_global_offset_z
      - .offset:         3216
        .size:           2
        .value_kind:     hidden_grid_dims
    .group_segment_fixed_size: 0
    .kernarg_segment_align: 8
    .kernarg_segment_size: 3408
    .language:       OpenCL C
    .language_version:
      - 2
      - 0
    .max_flat_workgroup_size: 512
    .name:           _ZN2at6native12_GLOBAL__N_125multi_tensor_apply_kernelINS1_18TensorListMetadataILi2EEENS1_14UnaryOpFunctorIN3c104HalfELi2ELi1ELi1EEEJNS0_3AbsIfEEEEEvT_T0_DpT1_
    .private_segment_fixed_size: 0
    .sgpr_count:     24
    .sgpr_spill_count: 0
    .symbol:         _ZN2at6native12_GLOBAL__N_125multi_tensor_apply_kernelINS1_18TensorListMetadataILi2EEENS1_14UnaryOpFunctorIN3c104HalfELi2ELi1ELi1EEEJNS0_3AbsIfEEEEEvT_T0_DpT1_.kd
    .uniform_work_group_size: 1
    .uses_dynamic_stack: false
    .vgpr_count:     29
    .vgpr_spill_count: 0
    .wavefront_size: 64
  - .args:
      - .offset:         0
        .size:           3144
        .value_kind:     by_value
      - .offset:         3144
        .size:           1
        .value_kind:     by_value
      - .offset:         3145
        .size:           1
        .value_kind:     by_value
      - .offset:         3152
        .size:           4
        .value_kind:     hidden_block_count_x
      - .offset:         3156
        .size:           4
        .value_kind:     hidden_block_count_y
      - .offset:         3160
        .size:           4
        .value_kind:     hidden_block_count_z
      - .offset:         3164
        .size:           2
        .value_kind:     hidden_group_size_x
      - .offset:         3166
        .size:           2
        .value_kind:     hidden_group_size_y
      - .offset:         3168
        .size:           2
        .value_kind:     hidden_group_size_z
      - .offset:         3170
        .size:           2
        .value_kind:     hidden_remainder_x
      - .offset:         3172
        .size:           2
        .value_kind:     hidden_remainder_y
      - .offset:         3174
        .size:           2
        .value_kind:     hidden_remainder_z
      - .offset:         3192
        .size:           8
        .value_kind:     hidden_global_offset_x
      - .offset:         3200
        .size:           8
        .value_kind:     hidden_global_offset_y
      - .offset:         3208
        .size:           8
        .value_kind:     hidden_global_offset_z
      - .offset:         3216
        .size:           2
        .value_kind:     hidden_grid_dims
    .group_segment_fixed_size: 0
    .kernarg_segment_align: 8
    .kernarg_segment_size: 3408
    .language:       OpenCL C
    .language_version:
      - 2
      - 0
    .max_flat_workgroup_size: 512
    .name:           _ZN2at6native12_GLOBAL__N_125multi_tensor_apply_kernelINS1_18TensorListMetadataILi2EEENS1_14UnaryOpFunctorIN3c108BFloat16ELi2ELi1ELi1EEEJNS0_3AbsIfEEEEEvT_T0_DpT1_
    .private_segment_fixed_size: 0
    .sgpr_count:     27
    .sgpr_spill_count: 0
    .symbol:         _ZN2at6native12_GLOBAL__N_125multi_tensor_apply_kernelINS1_18TensorListMetadataILi2EEENS1_14UnaryOpFunctorIN3c108BFloat16ELi2ELi1ELi1EEEJNS0_3AbsIfEEEEEvT_T0_DpT1_.kd
    .uniform_work_group_size: 1
    .uses_dynamic_stack: false
    .vgpr_count:     30
    .vgpr_spill_count: 0
    .wavefront_size: 64
  - .args:
      - .offset:         0
        .size:           3144
        .value_kind:     by_value
      - .offset:         3144
        .size:           1
        .value_kind:     by_value
      - .offset:         3145
        .size:           1
        .value_kind:     by_value
      - .offset:         3152
        .size:           4
        .value_kind:     hidden_block_count_x
      - .offset:         3156
        .size:           4
        .value_kind:     hidden_block_count_y
      - .offset:         3160
        .size:           4
        .value_kind:     hidden_block_count_z
      - .offset:         3164
        .size:           2
        .value_kind:     hidden_group_size_x
      - .offset:         3166
        .size:           2
        .value_kind:     hidden_group_size_y
      - .offset:         3168
        .size:           2
        .value_kind:     hidden_group_size_z
      - .offset:         3170
        .size:           2
        .value_kind:     hidden_remainder_x
      - .offset:         3172
        .size:           2
        .value_kind:     hidden_remainder_y
      - .offset:         3174
        .size:           2
        .value_kind:     hidden_remainder_z
      - .offset:         3192
        .size:           8
        .value_kind:     hidden_global_offset_x
      - .offset:         3200
        .size:           8
        .value_kind:     hidden_global_offset_y
      - .offset:         3208
        .size:           8
        .value_kind:     hidden_global_offset_z
      - .offset:         3216
        .size:           2
        .value_kind:     hidden_grid_dims
    .group_segment_fixed_size: 0
    .kernarg_segment_align: 8
    .kernarg_segment_size: 3408
    .language:       OpenCL C
    .language_version:
      - 2
      - 0
    .max_flat_workgroup_size: 512
    .name:           _ZN2at6native12_GLOBAL__N_125multi_tensor_apply_kernelINS1_18TensorListMetadataILi2EEENS1_14UnaryOpFunctorIbLi2ELi1ELi1EEEJNS0_3AbsIbEEEEEvT_T0_DpT1_
    .private_segment_fixed_size: 0
    .sgpr_count:     22
    .sgpr_spill_count: 0
    .symbol:         _ZN2at6native12_GLOBAL__N_125multi_tensor_apply_kernelINS1_18TensorListMetadataILi2EEENS1_14UnaryOpFunctorIbLi2ELi1ELi1EEEJNS0_3AbsIbEEEEEvT_T0_DpT1_.kd
    .uniform_work_group_size: 1
    .uses_dynamic_stack: false
    .vgpr_count:     29
    .vgpr_spill_count: 0
    .wavefront_size: 64
  - .args:
      - .offset:         0
        .size:           3368
        .value_kind:     by_value
      - .offset:         3368
        .size:           1
        .value_kind:     by_value
      - .offset:         3369
        .size:           1
        .value_kind:     by_value
      - .offset:         3376
        .size:           4
        .value_kind:     hidden_block_count_x
      - .offset:         3380
        .size:           4
        .value_kind:     hidden_block_count_y
      - .offset:         3384
        .size:           4
        .value_kind:     hidden_block_count_z
      - .offset:         3388
        .size:           2
        .value_kind:     hidden_group_size_x
      - .offset:         3390
        .size:           2
        .value_kind:     hidden_group_size_y
      - .offset:         3392
        .size:           2
        .value_kind:     hidden_group_size_z
      - .offset:         3394
        .size:           2
        .value_kind:     hidden_remainder_x
      - .offset:         3396
        .size:           2
        .value_kind:     hidden_remainder_y
      - .offset:         3398
        .size:           2
        .value_kind:     hidden_remainder_z
      - .offset:         3416
        .size:           8
        .value_kind:     hidden_global_offset_x
      - .offset:         3424
        .size:           8
        .value_kind:     hidden_global_offset_y
      - .offset:         3432
        .size:           8
        .value_kind:     hidden_global_offset_z
      - .offset:         3440
        .size:           2
        .value_kind:     hidden_grid_dims
    .group_segment_fixed_size: 0
    .kernarg_segment_align: 8
    .kernarg_segment_size: 3632
    .language:       OpenCL C
    .language_version:
      - 2
      - 0
    .max_flat_workgroup_size: 512
    .name:           _ZN2at6native12_GLOBAL__N_125multi_tensor_apply_kernelINS1_18TensorListMetadataILi1EEENS1_14UnaryOpFunctorIhLi1ELi1ELi0EEEJNS0_3AbsIhEEEEEvT_T0_DpT1_
    .private_segment_fixed_size: 0
    .sgpr_count:     26
    .sgpr_spill_count: 0
    .symbol:         _ZN2at6native12_GLOBAL__N_125multi_tensor_apply_kernelINS1_18TensorListMetadataILi1EEENS1_14UnaryOpFunctorIhLi1ELi1ELi0EEEJNS0_3AbsIhEEEEEvT_T0_DpT1_.kd
    .uniform_work_group_size: 1
    .uses_dynamic_stack: false
    .vgpr_count:     19
    .vgpr_spill_count: 0
    .wavefront_size: 64
  - .args:
      - .offset:         0
        .size:           3368
        .value_kind:     by_value
      - .offset:         3368
        .size:           1
        .value_kind:     by_value
      - .offset:         3369
        .size:           1
        .value_kind:     by_value
      - .offset:         3376
        .size:           4
        .value_kind:     hidden_block_count_x
      - .offset:         3380
        .size:           4
        .value_kind:     hidden_block_count_y
      - .offset:         3384
        .size:           4
        .value_kind:     hidden_block_count_z
      - .offset:         3388
        .size:           2
        .value_kind:     hidden_group_size_x
      - .offset:         3390
        .size:           2
        .value_kind:     hidden_group_size_y
      - .offset:         3392
        .size:           2
        .value_kind:     hidden_group_size_z
      - .offset:         3394
        .size:           2
        .value_kind:     hidden_remainder_x
      - .offset:         3396
        .size:           2
        .value_kind:     hidden_remainder_y
      - .offset:         3398
        .size:           2
        .value_kind:     hidden_remainder_z
      - .offset:         3416
        .size:           8
        .value_kind:     hidden_global_offset_x
      - .offset:         3424
        .size:           8
        .value_kind:     hidden_global_offset_y
      - .offset:         3432
        .size:           8
        .value_kind:     hidden_global_offset_z
      - .offset:         3440
        .size:           2
        .value_kind:     hidden_grid_dims
    .group_segment_fixed_size: 0
    .kernarg_segment_align: 8
    .kernarg_segment_size: 3632
    .language:       OpenCL C
    .language_version:
      - 2
      - 0
    .max_flat_workgroup_size: 512
    .name:           _ZN2at6native12_GLOBAL__N_125multi_tensor_apply_kernelINS1_18TensorListMetadataILi1EEENS1_14UnaryOpFunctorIaLi1ELi1ELi0EEEJNS0_3AbsIaEEEEEvT_T0_DpT1_
    .private_segment_fixed_size: 0
    .sgpr_count:     34
    .sgpr_spill_count: 0
    .symbol:         _ZN2at6native12_GLOBAL__N_125multi_tensor_apply_kernelINS1_18TensorListMetadataILi1EEENS1_14UnaryOpFunctorIaLi1ELi1ELi0EEEJNS0_3AbsIaEEEEEvT_T0_DpT1_.kd
    .uniform_work_group_size: 1
    .uses_dynamic_stack: false
    .vgpr_count:     20
    .vgpr_spill_count: 0
    .wavefront_size: 64
  - .args:
      - .offset:         0
        .size:           3368
        .value_kind:     by_value
      - .offset:         3368
        .size:           1
        .value_kind:     by_value
      - .offset:         3369
        .size:           1
        .value_kind:     by_value
      - .offset:         3376
        .size:           4
        .value_kind:     hidden_block_count_x
      - .offset:         3380
        .size:           4
        .value_kind:     hidden_block_count_y
      - .offset:         3384
        .size:           4
        .value_kind:     hidden_block_count_z
      - .offset:         3388
        .size:           2
        .value_kind:     hidden_group_size_x
      - .offset:         3390
        .size:           2
        .value_kind:     hidden_group_size_y
      - .offset:         3392
        .size:           2
        .value_kind:     hidden_group_size_z
      - .offset:         3394
        .size:           2
        .value_kind:     hidden_remainder_x
      - .offset:         3396
        .size:           2
        .value_kind:     hidden_remainder_y
      - .offset:         3398
        .size:           2
        .value_kind:     hidden_remainder_z
      - .offset:         3416
        .size:           8
        .value_kind:     hidden_global_offset_x
      - .offset:         3424
        .size:           8
        .value_kind:     hidden_global_offset_y
      - .offset:         3432
        .size:           8
        .value_kind:     hidden_global_offset_z
      - .offset:         3440
        .size:           2
        .value_kind:     hidden_grid_dims
    .group_segment_fixed_size: 0
    .kernarg_segment_align: 8
    .kernarg_segment_size: 3632
    .language:       OpenCL C
    .language_version:
      - 2
      - 0
    .max_flat_workgroup_size: 512
    .name:           _ZN2at6native12_GLOBAL__N_125multi_tensor_apply_kernelINS1_18TensorListMetadataILi1EEENS1_14UnaryOpFunctorIiLi1ELi1ELi0EEEJNS0_3AbsIiEEEEEvT_T0_DpT1_
    .private_segment_fixed_size: 0
    .sgpr_count:     32
    .sgpr_spill_count: 0
    .symbol:         _ZN2at6native12_GLOBAL__N_125multi_tensor_apply_kernelINS1_18TensorListMetadataILi1EEENS1_14UnaryOpFunctorIiLi1ELi1ELi0EEEJNS0_3AbsIiEEEEEvT_T0_DpT1_.kd
    .uniform_work_group_size: 1
    .uses_dynamic_stack: false
    .vgpr_count:     17
    .vgpr_spill_count: 0
    .wavefront_size: 64
  - .args:
      - .offset:         0
        .size:           3368
        .value_kind:     by_value
      - .offset:         3368
        .size:           1
        .value_kind:     by_value
      - .offset:         3369
        .size:           1
        .value_kind:     by_value
      - .offset:         3376
        .size:           4
        .value_kind:     hidden_block_count_x
      - .offset:         3380
        .size:           4
        .value_kind:     hidden_block_count_y
      - .offset:         3384
        .size:           4
        .value_kind:     hidden_block_count_z
      - .offset:         3388
        .size:           2
        .value_kind:     hidden_group_size_x
      - .offset:         3390
        .size:           2
        .value_kind:     hidden_group_size_y
      - .offset:         3392
        .size:           2
        .value_kind:     hidden_group_size_z
      - .offset:         3394
        .size:           2
        .value_kind:     hidden_remainder_x
      - .offset:         3396
        .size:           2
        .value_kind:     hidden_remainder_y
      - .offset:         3398
        .size:           2
        .value_kind:     hidden_remainder_z
      - .offset:         3416
        .size:           8
        .value_kind:     hidden_global_offset_x
      - .offset:         3424
        .size:           8
        .value_kind:     hidden_global_offset_y
      - .offset:         3432
        .size:           8
        .value_kind:     hidden_global_offset_z
      - .offset:         3440
        .size:           2
        .value_kind:     hidden_grid_dims
    .group_segment_fixed_size: 0
    .kernarg_segment_align: 8
    .kernarg_segment_size: 3632
    .language:       OpenCL C
    .language_version:
      - 2
      - 0
    .max_flat_workgroup_size: 512
    .name:           _ZN2at6native12_GLOBAL__N_125multi_tensor_apply_kernelINS1_18TensorListMetadataILi1EEENS1_14UnaryOpFunctorIlLi1ELi1ELi0EEEJNS0_3AbsIlEEEEEvT_T0_DpT1_
    .private_segment_fixed_size: 0
    .sgpr_count:     32
    .sgpr_spill_count: 0
    .symbol:         _ZN2at6native12_GLOBAL__N_125multi_tensor_apply_kernelINS1_18TensorListMetadataILi1EEENS1_14UnaryOpFunctorIlLi1ELi1ELi0EEEJNS0_3AbsIlEEEEEvT_T0_DpT1_.kd
    .uniform_work_group_size: 1
    .uses_dynamic_stack: false
    .vgpr_count:     21
    .vgpr_spill_count: 0
    .wavefront_size: 64
  - .args:
      - .offset:         0
        .size:           3368
        .value_kind:     by_value
      - .offset:         3368
        .size:           1
        .value_kind:     by_value
      - .offset:         3369
        .size:           1
        .value_kind:     by_value
      - .offset:         3376
        .size:           4
        .value_kind:     hidden_block_count_x
      - .offset:         3380
        .size:           4
        .value_kind:     hidden_block_count_y
      - .offset:         3384
        .size:           4
        .value_kind:     hidden_block_count_z
      - .offset:         3388
        .size:           2
        .value_kind:     hidden_group_size_x
      - .offset:         3390
        .size:           2
        .value_kind:     hidden_group_size_y
      - .offset:         3392
        .size:           2
        .value_kind:     hidden_group_size_z
      - .offset:         3394
        .size:           2
        .value_kind:     hidden_remainder_x
      - .offset:         3396
        .size:           2
        .value_kind:     hidden_remainder_y
      - .offset:         3398
        .size:           2
        .value_kind:     hidden_remainder_z
      - .offset:         3416
        .size:           8
        .value_kind:     hidden_global_offset_x
      - .offset:         3424
        .size:           8
        .value_kind:     hidden_global_offset_y
      - .offset:         3432
        .size:           8
        .value_kind:     hidden_global_offset_z
      - .offset:         3440
        .size:           2
        .value_kind:     hidden_grid_dims
    .group_segment_fixed_size: 0
    .kernarg_segment_align: 8
    .kernarg_segment_size: 3632
    .language:       OpenCL C
    .language_version:
      - 2
      - 0
    .max_flat_workgroup_size: 512
    .name:           _ZN2at6native12_GLOBAL__N_125multi_tensor_apply_kernelINS1_18TensorListMetadataILi1EEENS1_14UnaryOpFunctorIsLi1ELi1ELi0EEEJNS0_3AbsIsEEEEEvT_T0_DpT1_
    .private_segment_fixed_size: 0
    .sgpr_count:     33
    .sgpr_spill_count: 0
    .symbol:         _ZN2at6native12_GLOBAL__N_125multi_tensor_apply_kernelINS1_18TensorListMetadataILi1EEENS1_14UnaryOpFunctorIsLi1ELi1ELi0EEEJNS0_3AbsIsEEEEEvT_T0_DpT1_.kd
    .uniform_work_group_size: 1
    .uses_dynamic_stack: false
    .vgpr_count:     15
    .vgpr_spill_count: 0
    .wavefront_size: 64
  - .args:
      - .offset:         0
        .size:           3368
        .value_kind:     by_value
      - .offset:         3368
        .size:           1
        .value_kind:     by_value
      - .offset:         3369
        .size:           1
        .value_kind:     by_value
      - .offset:         3376
        .size:           4
        .value_kind:     hidden_block_count_x
      - .offset:         3380
        .size:           4
        .value_kind:     hidden_block_count_y
      - .offset:         3384
        .size:           4
        .value_kind:     hidden_block_count_z
      - .offset:         3388
        .size:           2
        .value_kind:     hidden_group_size_x
      - .offset:         3390
        .size:           2
        .value_kind:     hidden_group_size_y
      - .offset:         3392
        .size:           2
        .value_kind:     hidden_group_size_z
      - .offset:         3394
        .size:           2
        .value_kind:     hidden_remainder_x
      - .offset:         3396
        .size:           2
        .value_kind:     hidden_remainder_y
      - .offset:         3398
        .size:           2
        .value_kind:     hidden_remainder_z
      - .offset:         3416
        .size:           8
        .value_kind:     hidden_global_offset_x
      - .offset:         3424
        .size:           8
        .value_kind:     hidden_global_offset_y
      - .offset:         3432
        .size:           8
        .value_kind:     hidden_global_offset_z
      - .offset:         3440
        .size:           2
        .value_kind:     hidden_grid_dims
    .group_segment_fixed_size: 0
    .kernarg_segment_align: 8
    .kernarg_segment_size: 3632
    .language:       OpenCL C
    .language_version:
      - 2
      - 0
    .max_flat_workgroup_size: 512
    .name:           _ZN2at6native12_GLOBAL__N_125multi_tensor_apply_kernelINS1_18TensorListMetadataILi1EEENS1_14UnaryOpFunctorIdLi1ELi1ELi0EEEJNS0_3AbsIdEEEEEvT_T0_DpT1_
    .private_segment_fixed_size: 0
    .sgpr_count:     32
    .sgpr_spill_count: 0
    .symbol:         _ZN2at6native12_GLOBAL__N_125multi_tensor_apply_kernelINS1_18TensorListMetadataILi1EEENS1_14UnaryOpFunctorIdLi1ELi1ELi0EEEJNS0_3AbsIdEEEEEvT_T0_DpT1_.kd
    .uniform_work_group_size: 1
    .uses_dynamic_stack: false
    .vgpr_count:     21
    .vgpr_spill_count: 0
    .wavefront_size: 64
  - .args:
      - .offset:         0
        .size:           3368
        .value_kind:     by_value
      - .offset:         3368
        .size:           1
        .value_kind:     by_value
      - .offset:         3369
        .size:           1
        .value_kind:     by_value
      - .offset:         3376
        .size:           4
        .value_kind:     hidden_block_count_x
      - .offset:         3380
        .size:           4
        .value_kind:     hidden_block_count_y
      - .offset:         3384
        .size:           4
        .value_kind:     hidden_block_count_z
      - .offset:         3388
        .size:           2
        .value_kind:     hidden_group_size_x
      - .offset:         3390
        .size:           2
        .value_kind:     hidden_group_size_y
      - .offset:         3392
        .size:           2
        .value_kind:     hidden_group_size_z
      - .offset:         3394
        .size:           2
        .value_kind:     hidden_remainder_x
      - .offset:         3396
        .size:           2
        .value_kind:     hidden_remainder_y
      - .offset:         3398
        .size:           2
        .value_kind:     hidden_remainder_z
      - .offset:         3416
        .size:           8
        .value_kind:     hidden_global_offset_x
      - .offset:         3424
        .size:           8
        .value_kind:     hidden_global_offset_y
      - .offset:         3432
        .size:           8
        .value_kind:     hidden_global_offset_z
      - .offset:         3440
        .size:           2
        .value_kind:     hidden_grid_dims
    .group_segment_fixed_size: 0
    .kernarg_segment_align: 8
    .kernarg_segment_size: 3632
    .language:       OpenCL C
    .language_version:
      - 2
      - 0
    .max_flat_workgroup_size: 512
    .name:           _ZN2at6native12_GLOBAL__N_125multi_tensor_apply_kernelINS1_18TensorListMetadataILi1EEENS1_14UnaryOpFunctorIfLi1ELi1ELi0EEEJNS0_3AbsIfEEEEEvT_T0_DpT1_
    .private_segment_fixed_size: 0
    .sgpr_count:     32
    .sgpr_spill_count: 0
    .symbol:         _ZN2at6native12_GLOBAL__N_125multi_tensor_apply_kernelINS1_18TensorListMetadataILi1EEENS1_14UnaryOpFunctorIfLi1ELi1ELi0EEEJNS0_3AbsIfEEEEEvT_T0_DpT1_.kd
    .uniform_work_group_size: 1
    .uses_dynamic_stack: false
    .vgpr_count:     17
    .vgpr_spill_count: 0
    .wavefront_size: 64
  - .args:
      - .offset:         0
        .size:           3368
        .value_kind:     by_value
      - .offset:         3368
        .size:           1
        .value_kind:     by_value
      - .offset:         3369
        .size:           1
        .value_kind:     by_value
      - .offset:         3376
        .size:           4
        .value_kind:     hidden_block_count_x
      - .offset:         3380
        .size:           4
        .value_kind:     hidden_block_count_y
      - .offset:         3384
        .size:           4
        .value_kind:     hidden_block_count_z
      - .offset:         3388
        .size:           2
        .value_kind:     hidden_group_size_x
      - .offset:         3390
        .size:           2
        .value_kind:     hidden_group_size_y
      - .offset:         3392
        .size:           2
        .value_kind:     hidden_group_size_z
      - .offset:         3394
        .size:           2
        .value_kind:     hidden_remainder_x
      - .offset:         3396
        .size:           2
        .value_kind:     hidden_remainder_y
      - .offset:         3398
        .size:           2
        .value_kind:     hidden_remainder_z
      - .offset:         3416
        .size:           8
        .value_kind:     hidden_global_offset_x
      - .offset:         3424
        .size:           8
        .value_kind:     hidden_global_offset_y
      - .offset:         3432
        .size:           8
        .value_kind:     hidden_global_offset_z
      - .offset:         3440
        .size:           2
        .value_kind:     hidden_grid_dims
    .group_segment_fixed_size: 0
    .kernarg_segment_align: 8
    .kernarg_segment_size: 3632
    .language:       OpenCL C
    .language_version:
      - 2
      - 0
    .max_flat_workgroup_size: 512
    .name:           _ZN2at6native12_GLOBAL__N_125multi_tensor_apply_kernelINS1_18TensorListMetadataILi1EEENS1_14UnaryOpFunctorIN3c107complexIdEELi1ELi1ELi0EEEJNS0_3AbsIS8_EEEEEvT_T0_DpT1_
    .private_segment_fixed_size: 0
    .sgpr_count:     40
    .sgpr_spill_count: 0
    .symbol:         _ZN2at6native12_GLOBAL__N_125multi_tensor_apply_kernelINS1_18TensorListMetadataILi1EEENS1_14UnaryOpFunctorIN3c107complexIdEELi1ELi1ELi0EEEJNS0_3AbsIS8_EEEEEvT_T0_DpT1_.kd
    .uniform_work_group_size: 1
    .uses_dynamic_stack: false
    .vgpr_count:     49
    .vgpr_spill_count: 0
    .wavefront_size: 64
  - .args:
      - .offset:         0
        .size:           3368
        .value_kind:     by_value
      - .offset:         3368
        .size:           1
        .value_kind:     by_value
      - .offset:         3369
        .size:           1
        .value_kind:     by_value
      - .offset:         3376
        .size:           4
        .value_kind:     hidden_block_count_x
      - .offset:         3380
        .size:           4
        .value_kind:     hidden_block_count_y
      - .offset:         3384
        .size:           4
        .value_kind:     hidden_block_count_z
      - .offset:         3388
        .size:           2
        .value_kind:     hidden_group_size_x
      - .offset:         3390
        .size:           2
        .value_kind:     hidden_group_size_y
      - .offset:         3392
        .size:           2
        .value_kind:     hidden_group_size_z
      - .offset:         3394
        .size:           2
        .value_kind:     hidden_remainder_x
      - .offset:         3396
        .size:           2
        .value_kind:     hidden_remainder_y
      - .offset:         3398
        .size:           2
        .value_kind:     hidden_remainder_z
      - .offset:         3416
        .size:           8
        .value_kind:     hidden_global_offset_x
      - .offset:         3424
        .size:           8
        .value_kind:     hidden_global_offset_y
      - .offset:         3432
        .size:           8
        .value_kind:     hidden_global_offset_z
      - .offset:         3440
        .size:           2
        .value_kind:     hidden_grid_dims
    .group_segment_fixed_size: 0
    .kernarg_segment_align: 8
    .kernarg_segment_size: 3632
    .language:       OpenCL C
    .language_version:
      - 2
      - 0
    .max_flat_workgroup_size: 512
    .name:           _ZN2at6native12_GLOBAL__N_125multi_tensor_apply_kernelINS1_18TensorListMetadataILi1EEENS1_14UnaryOpFunctorIN3c107complexIfEELi1ELi1ELi0EEEJNS0_3AbsIS8_EEEEEvT_T0_DpT1_
    .private_segment_fixed_size: 0
    .sgpr_count:     33
    .sgpr_spill_count: 0
    .symbol:         _ZN2at6native12_GLOBAL__N_125multi_tensor_apply_kernelINS1_18TensorListMetadataILi1EEENS1_14UnaryOpFunctorIN3c107complexIfEELi1ELi1ELi0EEEJNS0_3AbsIS8_EEEEEvT_T0_DpT1_.kd
    .uniform_work_group_size: 1
    .uses_dynamic_stack: false
    .vgpr_count:     26
    .vgpr_spill_count: 0
    .wavefront_size: 64
  - .args:
      - .offset:         0
        .size:           3368
        .value_kind:     by_value
      - .offset:         3368
        .size:           1
        .value_kind:     by_value
      - .offset:         3369
        .size:           1
        .value_kind:     by_value
      - .offset:         3376
        .size:           4
        .value_kind:     hidden_block_count_x
      - .offset:         3380
        .size:           4
        .value_kind:     hidden_block_count_y
      - .offset:         3384
        .size:           4
        .value_kind:     hidden_block_count_z
      - .offset:         3388
        .size:           2
        .value_kind:     hidden_group_size_x
      - .offset:         3390
        .size:           2
        .value_kind:     hidden_group_size_y
      - .offset:         3392
        .size:           2
        .value_kind:     hidden_group_size_z
      - .offset:         3394
        .size:           2
        .value_kind:     hidden_remainder_x
      - .offset:         3396
        .size:           2
        .value_kind:     hidden_remainder_y
      - .offset:         3398
        .size:           2
        .value_kind:     hidden_remainder_z
      - .offset:         3416
        .size:           8
        .value_kind:     hidden_global_offset_x
      - .offset:         3424
        .size:           8
        .value_kind:     hidden_global_offset_y
      - .offset:         3432
        .size:           8
        .value_kind:     hidden_global_offset_z
      - .offset:         3440
        .size:           2
        .value_kind:     hidden_grid_dims
    .group_segment_fixed_size: 0
    .kernarg_segment_align: 8
    .kernarg_segment_size: 3632
    .language:       OpenCL C
    .language_version:
      - 2
      - 0
    .max_flat_workgroup_size: 512
    .name:           _ZN2at6native12_GLOBAL__N_125multi_tensor_apply_kernelINS1_18TensorListMetadataILi1EEENS1_14UnaryOpFunctorIN3c104HalfELi1ELi1ELi0EEEJNS0_3AbsIfEEEEEvT_T0_DpT1_
    .private_segment_fixed_size: 0
    .sgpr_count:     31
    .sgpr_spill_count: 0
    .symbol:         _ZN2at6native12_GLOBAL__N_125multi_tensor_apply_kernelINS1_18TensorListMetadataILi1EEENS1_14UnaryOpFunctorIN3c104HalfELi1ELi1ELi0EEEJNS0_3AbsIfEEEEEvT_T0_DpT1_.kd
    .uniform_work_group_size: 1
    .uses_dynamic_stack: false
    .vgpr_count:     17
    .vgpr_spill_count: 0
    .wavefront_size: 64
  - .args:
      - .offset:         0
        .size:           3368
        .value_kind:     by_value
      - .offset:         3368
        .size:           1
        .value_kind:     by_value
      - .offset:         3369
        .size:           1
        .value_kind:     by_value
      - .offset:         3376
        .size:           4
        .value_kind:     hidden_block_count_x
      - .offset:         3380
        .size:           4
        .value_kind:     hidden_block_count_y
      - .offset:         3384
        .size:           4
        .value_kind:     hidden_block_count_z
      - .offset:         3388
        .size:           2
        .value_kind:     hidden_group_size_x
      - .offset:         3390
        .size:           2
        .value_kind:     hidden_group_size_y
      - .offset:         3392
        .size:           2
        .value_kind:     hidden_group_size_z
      - .offset:         3394
        .size:           2
        .value_kind:     hidden_remainder_x
      - .offset:         3396
        .size:           2
        .value_kind:     hidden_remainder_y
      - .offset:         3398
        .size:           2
        .value_kind:     hidden_remainder_z
      - .offset:         3416
        .size:           8
        .value_kind:     hidden_global_offset_x
      - .offset:         3424
        .size:           8
        .value_kind:     hidden_global_offset_y
      - .offset:         3432
        .size:           8
        .value_kind:     hidden_global_offset_z
      - .offset:         3440
        .size:           2
        .value_kind:     hidden_grid_dims
    .group_segment_fixed_size: 0
    .kernarg_segment_align: 8
    .kernarg_segment_size: 3632
    .language:       OpenCL C
    .language_version:
      - 2
      - 0
    .max_flat_workgroup_size: 512
    .name:           _ZN2at6native12_GLOBAL__N_125multi_tensor_apply_kernelINS1_18TensorListMetadataILi1EEENS1_14UnaryOpFunctorIN3c108BFloat16ELi1ELi1ELi0EEEJNS0_3AbsIfEEEEEvT_T0_DpT1_
    .private_segment_fixed_size: 0
    .sgpr_count:     32
    .sgpr_spill_count: 0
    .symbol:         _ZN2at6native12_GLOBAL__N_125multi_tensor_apply_kernelINS1_18TensorListMetadataILi1EEENS1_14UnaryOpFunctorIN3c108BFloat16ELi1ELi1ELi0EEEJNS0_3AbsIfEEEEEvT_T0_DpT1_.kd
    .uniform_work_group_size: 1
    .uses_dynamic_stack: false
    .vgpr_count:     18
    .vgpr_spill_count: 0
    .wavefront_size: 64
  - .args:
      - .offset:         0
        .size:           3368
        .value_kind:     by_value
      - .offset:         3368
        .size:           1
        .value_kind:     by_value
      - .offset:         3369
        .size:           1
        .value_kind:     by_value
      - .offset:         3376
        .size:           4
        .value_kind:     hidden_block_count_x
      - .offset:         3380
        .size:           4
        .value_kind:     hidden_block_count_y
      - .offset:         3384
        .size:           4
        .value_kind:     hidden_block_count_z
      - .offset:         3388
        .size:           2
        .value_kind:     hidden_group_size_x
      - .offset:         3390
        .size:           2
        .value_kind:     hidden_group_size_y
      - .offset:         3392
        .size:           2
        .value_kind:     hidden_group_size_z
      - .offset:         3394
        .size:           2
        .value_kind:     hidden_remainder_x
      - .offset:         3396
        .size:           2
        .value_kind:     hidden_remainder_y
      - .offset:         3398
        .size:           2
        .value_kind:     hidden_remainder_z
      - .offset:         3416
        .size:           8
        .value_kind:     hidden_global_offset_x
      - .offset:         3424
        .size:           8
        .value_kind:     hidden_global_offset_y
      - .offset:         3432
        .size:           8
        .value_kind:     hidden_global_offset_z
      - .offset:         3440
        .size:           2
        .value_kind:     hidden_grid_dims
    .group_segment_fixed_size: 0
    .kernarg_segment_align: 8
    .kernarg_segment_size: 3632
    .language:       OpenCL C
    .language_version:
      - 2
      - 0
    .max_flat_workgroup_size: 512
    .name:           _ZN2at6native12_GLOBAL__N_125multi_tensor_apply_kernelINS1_18TensorListMetadataILi1EEENS1_14UnaryOpFunctorIbLi1ELi1ELi0EEEJNS0_3AbsIbEEEEEvT_T0_DpT1_
    .private_segment_fixed_size: 0
    .sgpr_count:     29
    .sgpr_spill_count: 0
    .symbol:         _ZN2at6native12_GLOBAL__N_125multi_tensor_apply_kernelINS1_18TensorListMetadataILi1EEENS1_14UnaryOpFunctorIbLi1ELi1ELi0EEEJNS0_3AbsIbEEEEEvT_T0_DpT1_.kd
    .uniform_work_group_size: 1
    .uses_dynamic_stack: false
    .vgpr_count:     21
    .vgpr_spill_count: 0
    .wavefront_size: 64
  - .args:
      - .offset:         0
        .size:           3368
        .value_kind:     by_value
      - .offset:         3368
        .size:           1
        .value_kind:     by_value
      - .offset:         3376
        .size:           4
        .value_kind:     hidden_block_count_x
      - .offset:         3380
        .size:           4
        .value_kind:     hidden_block_count_y
      - .offset:         3384
        .size:           4
        .value_kind:     hidden_block_count_z
      - .offset:         3388
        .size:           2
        .value_kind:     hidden_group_size_x
      - .offset:         3390
        .size:           2
        .value_kind:     hidden_group_size_y
      - .offset:         3392
        .size:           2
        .value_kind:     hidden_group_size_z
      - .offset:         3394
        .size:           2
        .value_kind:     hidden_remainder_x
      - .offset:         3396
        .size:           2
        .value_kind:     hidden_remainder_y
      - .offset:         3398
        .size:           2
        .value_kind:     hidden_remainder_z
      - .offset:         3416
        .size:           8
        .value_kind:     hidden_global_offset_x
      - .offset:         3424
        .size:           8
        .value_kind:     hidden_global_offset_y
      - .offset:         3432
        .size:           8
        .value_kind:     hidden_global_offset_z
      - .offset:         3440
        .size:           2
        .value_kind:     hidden_grid_dims
    .group_segment_fixed_size: 0
    .kernarg_segment_align: 8
    .kernarg_segment_size: 3632
    .language:       OpenCL C
    .language_version:
      - 2
      - 0
    .max_flat_workgroup_size: 512
    .name:           _ZN2at6native12_GLOBAL__N_125multi_tensor_apply_kernelINS1_18TensorListMetadataILi1EEENS1_11ZeroFunctorIhLi1ELi1ELi0EEEJEEEvT_T0_DpT1_
    .private_segment_fixed_size: 0
    .sgpr_count:     22
    .sgpr_spill_count: 0
    .symbol:         _ZN2at6native12_GLOBAL__N_125multi_tensor_apply_kernelINS1_18TensorListMetadataILi1EEENS1_11ZeroFunctorIhLi1ELi1ELi0EEEJEEEvT_T0_DpT1_.kd
    .uniform_work_group_size: 1
    .uses_dynamic_stack: false
    .vgpr_count:     20
    .vgpr_spill_count: 0
    .wavefront_size: 64
  - .args:
      - .offset:         0
        .size:           3368
        .value_kind:     by_value
      - .offset:         3368
        .size:           1
        .value_kind:     by_value
      - .offset:         3376
        .size:           4
        .value_kind:     hidden_block_count_x
      - .offset:         3380
        .size:           4
        .value_kind:     hidden_block_count_y
      - .offset:         3384
        .size:           4
        .value_kind:     hidden_block_count_z
      - .offset:         3388
        .size:           2
        .value_kind:     hidden_group_size_x
      - .offset:         3390
        .size:           2
        .value_kind:     hidden_group_size_y
      - .offset:         3392
        .size:           2
        .value_kind:     hidden_group_size_z
      - .offset:         3394
        .size:           2
        .value_kind:     hidden_remainder_x
      - .offset:         3396
        .size:           2
        .value_kind:     hidden_remainder_y
      - .offset:         3398
        .size:           2
        .value_kind:     hidden_remainder_z
      - .offset:         3416
        .size:           8
        .value_kind:     hidden_global_offset_x
      - .offset:         3424
        .size:           8
        .value_kind:     hidden_global_offset_y
      - .offset:         3432
        .size:           8
        .value_kind:     hidden_global_offset_z
      - .offset:         3440
        .size:           2
        .value_kind:     hidden_grid_dims
    .group_segment_fixed_size: 0
    .kernarg_segment_align: 8
    .kernarg_segment_size: 3632
    .language:       OpenCL C
    .language_version:
      - 2
      - 0
    .max_flat_workgroup_size: 512
    .name:           _ZN2at6native12_GLOBAL__N_125multi_tensor_apply_kernelINS1_18TensorListMetadataILi1EEENS1_11ZeroFunctorIaLi1ELi1ELi0EEEJEEEvT_T0_DpT1_
    .private_segment_fixed_size: 0
    .sgpr_count:     22
    .sgpr_spill_count: 0
    .symbol:         _ZN2at6native12_GLOBAL__N_125multi_tensor_apply_kernelINS1_18TensorListMetadataILi1EEENS1_11ZeroFunctorIaLi1ELi1ELi0EEEJEEEvT_T0_DpT1_.kd
    .uniform_work_group_size: 1
    .uses_dynamic_stack: false
    .vgpr_count:     20
    .vgpr_spill_count: 0
    .wavefront_size: 64
  - .args:
      - .offset:         0
        .size:           3368
        .value_kind:     by_value
      - .offset:         3368
        .size:           1
        .value_kind:     by_value
      - .offset:         3376
        .size:           4
        .value_kind:     hidden_block_count_x
      - .offset:         3380
        .size:           4
        .value_kind:     hidden_block_count_y
      - .offset:         3384
        .size:           4
        .value_kind:     hidden_block_count_z
      - .offset:         3388
        .size:           2
        .value_kind:     hidden_group_size_x
      - .offset:         3390
        .size:           2
        .value_kind:     hidden_group_size_y
      - .offset:         3392
        .size:           2
        .value_kind:     hidden_group_size_z
      - .offset:         3394
        .size:           2
        .value_kind:     hidden_remainder_x
      - .offset:         3396
        .size:           2
        .value_kind:     hidden_remainder_y
      - .offset:         3398
        .size:           2
        .value_kind:     hidden_remainder_z
      - .offset:         3416
        .size:           8
        .value_kind:     hidden_global_offset_x
      - .offset:         3424
        .size:           8
        .value_kind:     hidden_global_offset_y
      - .offset:         3432
        .size:           8
        .value_kind:     hidden_global_offset_z
      - .offset:         3440
        .size:           2
        .value_kind:     hidden_grid_dims
    .group_segment_fixed_size: 0
    .kernarg_segment_align: 8
    .kernarg_segment_size: 3632
    .language:       OpenCL C
    .language_version:
      - 2
      - 0
    .max_flat_workgroup_size: 512
    .name:           _ZN2at6native12_GLOBAL__N_125multi_tensor_apply_kernelINS1_18TensorListMetadataILi1EEENS1_11ZeroFunctorIiLi1ELi1ELi0EEEJEEEvT_T0_DpT1_
    .private_segment_fixed_size: 0
    .sgpr_count:     26
    .sgpr_spill_count: 0
    .symbol:         _ZN2at6native12_GLOBAL__N_125multi_tensor_apply_kernelINS1_18TensorListMetadataILi1EEENS1_11ZeroFunctorIiLi1ELi1ELi0EEEJEEEvT_T0_DpT1_.kd
    .uniform_work_group_size: 1
    .uses_dynamic_stack: false
    .vgpr_count:     16
    .vgpr_spill_count: 0
    .wavefront_size: 64
  - .args:
      - .offset:         0
        .size:           3368
        .value_kind:     by_value
      - .offset:         3368
        .size:           1
        .value_kind:     by_value
      - .offset:         3376
        .size:           4
        .value_kind:     hidden_block_count_x
      - .offset:         3380
        .size:           4
        .value_kind:     hidden_block_count_y
      - .offset:         3384
        .size:           4
        .value_kind:     hidden_block_count_z
      - .offset:         3388
        .size:           2
        .value_kind:     hidden_group_size_x
      - .offset:         3390
        .size:           2
        .value_kind:     hidden_group_size_y
      - .offset:         3392
        .size:           2
        .value_kind:     hidden_group_size_z
      - .offset:         3394
        .size:           2
        .value_kind:     hidden_remainder_x
      - .offset:         3396
        .size:           2
        .value_kind:     hidden_remainder_y
      - .offset:         3398
        .size:           2
        .value_kind:     hidden_remainder_z
      - .offset:         3416
        .size:           8
        .value_kind:     hidden_global_offset_x
      - .offset:         3424
        .size:           8
        .value_kind:     hidden_global_offset_y
      - .offset:         3432
        .size:           8
        .value_kind:     hidden_global_offset_z
      - .offset:         3440
        .size:           2
        .value_kind:     hidden_grid_dims
    .group_segment_fixed_size: 0
    .kernarg_segment_align: 8
    .kernarg_segment_size: 3632
    .language:       OpenCL C
    .language_version:
      - 2
      - 0
    .max_flat_workgroup_size: 512
    .name:           _ZN2at6native12_GLOBAL__N_125multi_tensor_apply_kernelINS1_18TensorListMetadataILi1EEENS1_11ZeroFunctorIlLi1ELi1ELi0EEEJEEEvT_T0_DpT1_
    .private_segment_fixed_size: 0
    .sgpr_count:     26
    .sgpr_spill_count: 0
    .symbol:         _ZN2at6native12_GLOBAL__N_125multi_tensor_apply_kernelINS1_18TensorListMetadataILi1EEENS1_11ZeroFunctorIlLi1ELi1ELi0EEEJEEEvT_T0_DpT1_.kd
    .uniform_work_group_size: 1
    .uses_dynamic_stack: false
    .vgpr_count:     17
    .vgpr_spill_count: 0
    .wavefront_size: 64
  - .args:
      - .offset:         0
        .size:           3368
        .value_kind:     by_value
      - .offset:         3368
        .size:           1
        .value_kind:     by_value
      - .offset:         3376
        .size:           4
        .value_kind:     hidden_block_count_x
      - .offset:         3380
        .size:           4
        .value_kind:     hidden_block_count_y
      - .offset:         3384
        .size:           4
        .value_kind:     hidden_block_count_z
      - .offset:         3388
        .size:           2
        .value_kind:     hidden_group_size_x
      - .offset:         3390
        .size:           2
        .value_kind:     hidden_group_size_y
      - .offset:         3392
        .size:           2
        .value_kind:     hidden_group_size_z
      - .offset:         3394
        .size:           2
        .value_kind:     hidden_remainder_x
      - .offset:         3396
        .size:           2
        .value_kind:     hidden_remainder_y
      - .offset:         3398
        .size:           2
        .value_kind:     hidden_remainder_z
      - .offset:         3416
        .size:           8
        .value_kind:     hidden_global_offset_x
      - .offset:         3424
        .size:           8
        .value_kind:     hidden_global_offset_y
      - .offset:         3432
        .size:           8
        .value_kind:     hidden_global_offset_z
      - .offset:         3440
        .size:           2
        .value_kind:     hidden_grid_dims
    .group_segment_fixed_size: 0
    .kernarg_segment_align: 8
    .kernarg_segment_size: 3632
    .language:       OpenCL C
    .language_version:
      - 2
      - 0
    .max_flat_workgroup_size: 512
    .name:           _ZN2at6native12_GLOBAL__N_125multi_tensor_apply_kernelINS1_18TensorListMetadataILi1EEENS1_11ZeroFunctorIsLi1ELi1ELi0EEEJEEEvT_T0_DpT1_
    .private_segment_fixed_size: 0
    .sgpr_count:     25
    .sgpr_spill_count: 0
    .symbol:         _ZN2at6native12_GLOBAL__N_125multi_tensor_apply_kernelINS1_18TensorListMetadataILi1EEENS1_11ZeroFunctorIsLi1ELi1ELi0EEEJEEEvT_T0_DpT1_.kd
    .uniform_work_group_size: 1
    .uses_dynamic_stack: false
    .vgpr_count:     16
    .vgpr_spill_count: 0
    .wavefront_size: 64
  - .args:
      - .offset:         0
        .size:           3368
        .value_kind:     by_value
      - .offset:         3368
        .size:           1
        .value_kind:     by_value
      - .offset:         3376
        .size:           4
        .value_kind:     hidden_block_count_x
      - .offset:         3380
        .size:           4
        .value_kind:     hidden_block_count_y
      - .offset:         3384
        .size:           4
        .value_kind:     hidden_block_count_z
      - .offset:         3388
        .size:           2
        .value_kind:     hidden_group_size_x
      - .offset:         3390
        .size:           2
        .value_kind:     hidden_group_size_y
      - .offset:         3392
        .size:           2
        .value_kind:     hidden_group_size_z
      - .offset:         3394
        .size:           2
        .value_kind:     hidden_remainder_x
      - .offset:         3396
        .size:           2
        .value_kind:     hidden_remainder_y
      - .offset:         3398
        .size:           2
        .value_kind:     hidden_remainder_z
      - .offset:         3416
        .size:           8
        .value_kind:     hidden_global_offset_x
      - .offset:         3424
        .size:           8
        .value_kind:     hidden_global_offset_y
      - .offset:         3432
        .size:           8
        .value_kind:     hidden_global_offset_z
      - .offset:         3440
        .size:           2
        .value_kind:     hidden_grid_dims
    .group_segment_fixed_size: 0
    .kernarg_segment_align: 8
    .kernarg_segment_size: 3632
    .language:       OpenCL C
    .language_version:
      - 2
      - 0
    .max_flat_workgroup_size: 512
    .name:           _ZN2at6native12_GLOBAL__N_125multi_tensor_apply_kernelINS1_18TensorListMetadataILi1EEENS1_11ZeroFunctorIdLi1ELi1ELi0EEEJEEEvT_T0_DpT1_
    .private_segment_fixed_size: 0
    .sgpr_count:     26
    .sgpr_spill_count: 0
    .symbol:         _ZN2at6native12_GLOBAL__N_125multi_tensor_apply_kernelINS1_18TensorListMetadataILi1EEENS1_11ZeroFunctorIdLi1ELi1ELi0EEEJEEEvT_T0_DpT1_.kd
    .uniform_work_group_size: 1
    .uses_dynamic_stack: false
    .vgpr_count:     17
    .vgpr_spill_count: 0
    .wavefront_size: 64
  - .args:
      - .offset:         0
        .size:           3368
        .value_kind:     by_value
      - .offset:         3368
        .size:           1
        .value_kind:     by_value
      - .offset:         3376
        .size:           4
        .value_kind:     hidden_block_count_x
      - .offset:         3380
        .size:           4
        .value_kind:     hidden_block_count_y
      - .offset:         3384
        .size:           4
        .value_kind:     hidden_block_count_z
      - .offset:         3388
        .size:           2
        .value_kind:     hidden_group_size_x
      - .offset:         3390
        .size:           2
        .value_kind:     hidden_group_size_y
      - .offset:         3392
        .size:           2
        .value_kind:     hidden_group_size_z
      - .offset:         3394
        .size:           2
        .value_kind:     hidden_remainder_x
      - .offset:         3396
        .size:           2
        .value_kind:     hidden_remainder_y
      - .offset:         3398
        .size:           2
        .value_kind:     hidden_remainder_z
      - .offset:         3416
        .size:           8
        .value_kind:     hidden_global_offset_x
      - .offset:         3424
        .size:           8
        .value_kind:     hidden_global_offset_y
      - .offset:         3432
        .size:           8
        .value_kind:     hidden_global_offset_z
      - .offset:         3440
        .size:           2
        .value_kind:     hidden_grid_dims
    .group_segment_fixed_size: 0
    .kernarg_segment_align: 8
    .kernarg_segment_size: 3632
    .language:       OpenCL C
    .language_version:
      - 2
      - 0
    .max_flat_workgroup_size: 512
    .name:           _ZN2at6native12_GLOBAL__N_125multi_tensor_apply_kernelINS1_18TensorListMetadataILi1EEENS1_11ZeroFunctorIfLi1ELi1ELi0EEEJEEEvT_T0_DpT1_
    .private_segment_fixed_size: 0
    .sgpr_count:     26
    .sgpr_spill_count: 0
    .symbol:         _ZN2at6native12_GLOBAL__N_125multi_tensor_apply_kernelINS1_18TensorListMetadataILi1EEENS1_11ZeroFunctorIfLi1ELi1ELi0EEEJEEEvT_T0_DpT1_.kd
    .uniform_work_group_size: 1
    .uses_dynamic_stack: false
    .vgpr_count:     16
    .vgpr_spill_count: 0
    .wavefront_size: 64
  - .args:
      - .offset:         0
        .size:           3368
        .value_kind:     by_value
      - .offset:         3368
        .size:           1
        .value_kind:     by_value
      - .offset:         3376
        .size:           4
        .value_kind:     hidden_block_count_x
      - .offset:         3380
        .size:           4
        .value_kind:     hidden_block_count_y
      - .offset:         3384
        .size:           4
        .value_kind:     hidden_block_count_z
      - .offset:         3388
        .size:           2
        .value_kind:     hidden_group_size_x
      - .offset:         3390
        .size:           2
        .value_kind:     hidden_group_size_y
      - .offset:         3392
        .size:           2
        .value_kind:     hidden_group_size_z
      - .offset:         3394
        .size:           2
        .value_kind:     hidden_remainder_x
      - .offset:         3396
        .size:           2
        .value_kind:     hidden_remainder_y
      - .offset:         3398
        .size:           2
        .value_kind:     hidden_remainder_z
      - .offset:         3416
        .size:           8
        .value_kind:     hidden_global_offset_x
      - .offset:         3424
        .size:           8
        .value_kind:     hidden_global_offset_y
      - .offset:         3432
        .size:           8
        .value_kind:     hidden_global_offset_z
      - .offset:         3440
        .size:           2
        .value_kind:     hidden_grid_dims
    .group_segment_fixed_size: 0
    .kernarg_segment_align: 8
    .kernarg_segment_size: 3632
    .language:       OpenCL C
    .language_version:
      - 2
      - 0
    .max_flat_workgroup_size: 512
    .name:           _ZN2at6native12_GLOBAL__N_125multi_tensor_apply_kernelINS1_18TensorListMetadataILi1EEENS1_11ZeroFunctorIN3c107complexIdEELi1ELi1ELi0EEEJEEEvT_T0_DpT1_
    .private_segment_fixed_size: 0
    .sgpr_count:     25
    .sgpr_spill_count: 0
    .symbol:         _ZN2at6native12_GLOBAL__N_125multi_tensor_apply_kernelINS1_18TensorListMetadataILi1EEENS1_11ZeroFunctorIN3c107complexIdEELi1ELi1ELi0EEEJEEEvT_T0_DpT1_.kd
    .uniform_work_group_size: 1
    .uses_dynamic_stack: false
    .vgpr_count:     19
    .vgpr_spill_count: 0
    .wavefront_size: 64
  - .args:
      - .offset:         0
        .size:           3368
        .value_kind:     by_value
      - .offset:         3368
        .size:           1
        .value_kind:     by_value
      - .offset:         3376
        .size:           4
        .value_kind:     hidden_block_count_x
      - .offset:         3380
        .size:           4
        .value_kind:     hidden_block_count_y
      - .offset:         3384
        .size:           4
        .value_kind:     hidden_block_count_z
      - .offset:         3388
        .size:           2
        .value_kind:     hidden_group_size_x
      - .offset:         3390
        .size:           2
        .value_kind:     hidden_group_size_y
      - .offset:         3392
        .size:           2
        .value_kind:     hidden_group_size_z
      - .offset:         3394
        .size:           2
        .value_kind:     hidden_remainder_x
      - .offset:         3396
        .size:           2
        .value_kind:     hidden_remainder_y
      - .offset:         3398
        .size:           2
        .value_kind:     hidden_remainder_z
      - .offset:         3416
        .size:           8
        .value_kind:     hidden_global_offset_x
      - .offset:         3424
        .size:           8
        .value_kind:     hidden_global_offset_y
      - .offset:         3432
        .size:           8
        .value_kind:     hidden_global_offset_z
      - .offset:         3440
        .size:           2
        .value_kind:     hidden_grid_dims
    .group_segment_fixed_size: 0
    .kernarg_segment_align: 8
    .kernarg_segment_size: 3632
    .language:       OpenCL C
    .language_version:
      - 2
      - 0
    .max_flat_workgroup_size: 512
    .name:           _ZN2at6native12_GLOBAL__N_125multi_tensor_apply_kernelINS1_18TensorListMetadataILi1EEENS1_11ZeroFunctorIN3c107complexIfEELi1ELi1ELi0EEEJEEEvT_T0_DpT1_
    .private_segment_fixed_size: 0
    .sgpr_count:     25
    .sgpr_spill_count: 0
    .symbol:         _ZN2at6native12_GLOBAL__N_125multi_tensor_apply_kernelINS1_18TensorListMetadataILi1EEENS1_11ZeroFunctorIN3c107complexIfEELi1ELi1ELi0EEEJEEEvT_T0_DpT1_.kd
    .uniform_work_group_size: 1
    .uses_dynamic_stack: false
    .vgpr_count:     17
    .vgpr_spill_count: 0
    .wavefront_size: 64
  - .args:
      - .offset:         0
        .size:           3368
        .value_kind:     by_value
      - .offset:         3368
        .size:           1
        .value_kind:     by_value
      - .offset:         3376
        .size:           4
        .value_kind:     hidden_block_count_x
      - .offset:         3380
        .size:           4
        .value_kind:     hidden_block_count_y
      - .offset:         3384
        .size:           4
        .value_kind:     hidden_block_count_z
      - .offset:         3388
        .size:           2
        .value_kind:     hidden_group_size_x
      - .offset:         3390
        .size:           2
        .value_kind:     hidden_group_size_y
      - .offset:         3392
        .size:           2
        .value_kind:     hidden_group_size_z
      - .offset:         3394
        .size:           2
        .value_kind:     hidden_remainder_x
      - .offset:         3396
        .size:           2
        .value_kind:     hidden_remainder_y
      - .offset:         3398
        .size:           2
        .value_kind:     hidden_remainder_z
      - .offset:         3416
        .size:           8
        .value_kind:     hidden_global_offset_x
      - .offset:         3424
        .size:           8
        .value_kind:     hidden_global_offset_y
      - .offset:         3432
        .size:           8
        .value_kind:     hidden_global_offset_z
      - .offset:         3440
        .size:           2
        .value_kind:     hidden_grid_dims
    .group_segment_fixed_size: 0
    .kernarg_segment_align: 8
    .kernarg_segment_size: 3632
    .language:       OpenCL C
    .language_version:
      - 2
      - 0
    .max_flat_workgroup_size: 512
    .name:           _ZN2at6native12_GLOBAL__N_125multi_tensor_apply_kernelINS1_18TensorListMetadataILi1EEENS1_11ZeroFunctorIN3c104HalfELi1ELi1ELi0EEEJEEEvT_T0_DpT1_
    .private_segment_fixed_size: 0
    .sgpr_count:     25
    .sgpr_spill_count: 0
    .symbol:         _ZN2at6native12_GLOBAL__N_125multi_tensor_apply_kernelINS1_18TensorListMetadataILi1EEENS1_11ZeroFunctorIN3c104HalfELi1ELi1ELi0EEEJEEEvT_T0_DpT1_.kd
    .uniform_work_group_size: 1
    .uses_dynamic_stack: false
    .vgpr_count:     16
    .vgpr_spill_count: 0
    .wavefront_size: 64
  - .args:
      - .offset:         0
        .size:           3368
        .value_kind:     by_value
      - .offset:         3368
        .size:           1
        .value_kind:     by_value
      - .offset:         3376
        .size:           4
        .value_kind:     hidden_block_count_x
      - .offset:         3380
        .size:           4
        .value_kind:     hidden_block_count_y
      - .offset:         3384
        .size:           4
        .value_kind:     hidden_block_count_z
      - .offset:         3388
        .size:           2
        .value_kind:     hidden_group_size_x
      - .offset:         3390
        .size:           2
        .value_kind:     hidden_group_size_y
      - .offset:         3392
        .size:           2
        .value_kind:     hidden_group_size_z
      - .offset:         3394
        .size:           2
        .value_kind:     hidden_remainder_x
      - .offset:         3396
        .size:           2
        .value_kind:     hidden_remainder_y
      - .offset:         3398
        .size:           2
        .value_kind:     hidden_remainder_z
      - .offset:         3416
        .size:           8
        .value_kind:     hidden_global_offset_x
      - .offset:         3424
        .size:           8
        .value_kind:     hidden_global_offset_y
      - .offset:         3432
        .size:           8
        .value_kind:     hidden_global_offset_z
      - .offset:         3440
        .size:           2
        .value_kind:     hidden_grid_dims
    .group_segment_fixed_size: 0
    .kernarg_segment_align: 8
    .kernarg_segment_size: 3632
    .language:       OpenCL C
    .language_version:
      - 2
      - 0
    .max_flat_workgroup_size: 512
    .name:           _ZN2at6native12_GLOBAL__N_125multi_tensor_apply_kernelINS1_18TensorListMetadataILi1EEENS1_11ZeroFunctorIN3c108BFloat16ELi1ELi1ELi0EEEJEEEvT_T0_DpT1_
    .private_segment_fixed_size: 0
    .sgpr_count:     25
    .sgpr_spill_count: 0
    .symbol:         _ZN2at6native12_GLOBAL__N_125multi_tensor_apply_kernelINS1_18TensorListMetadataILi1EEENS1_11ZeroFunctorIN3c108BFloat16ELi1ELi1ELi0EEEJEEEvT_T0_DpT1_.kd
    .uniform_work_group_size: 1
    .uses_dynamic_stack: false
    .vgpr_count:     16
    .vgpr_spill_count: 0
    .wavefront_size: 64
  - .args:
      - .offset:         0
        .size:           3368
        .value_kind:     by_value
      - .offset:         3368
        .size:           1
        .value_kind:     by_value
      - .offset:         3376
        .size:           4
        .value_kind:     hidden_block_count_x
      - .offset:         3380
        .size:           4
        .value_kind:     hidden_block_count_y
      - .offset:         3384
        .size:           4
        .value_kind:     hidden_block_count_z
      - .offset:         3388
        .size:           2
        .value_kind:     hidden_group_size_x
      - .offset:         3390
        .size:           2
        .value_kind:     hidden_group_size_y
      - .offset:         3392
        .size:           2
        .value_kind:     hidden_group_size_z
      - .offset:         3394
        .size:           2
        .value_kind:     hidden_remainder_x
      - .offset:         3396
        .size:           2
        .value_kind:     hidden_remainder_y
      - .offset:         3398
        .size:           2
        .value_kind:     hidden_remainder_z
      - .offset:         3416
        .size:           8
        .value_kind:     hidden_global_offset_x
      - .offset:         3424
        .size:           8
        .value_kind:     hidden_global_offset_y
      - .offset:         3432
        .size:           8
        .value_kind:     hidden_global_offset_z
      - .offset:         3440
        .size:           2
        .value_kind:     hidden_grid_dims
    .group_segment_fixed_size: 0
    .kernarg_segment_align: 8
    .kernarg_segment_size: 3632
    .language:       OpenCL C
    .language_version:
      - 2
      - 0
    .max_flat_workgroup_size: 512
    .name:           _ZN2at6native12_GLOBAL__N_125multi_tensor_apply_kernelINS1_18TensorListMetadataILi1EEENS1_11ZeroFunctorIbLi1ELi1ELi0EEEJEEEvT_T0_DpT1_
    .private_segment_fixed_size: 0
    .sgpr_count:     22
    .sgpr_spill_count: 0
    .symbol:         _ZN2at6native12_GLOBAL__N_125multi_tensor_apply_kernelINS1_18TensorListMetadataILi1EEENS1_11ZeroFunctorIbLi1ELi1ELi0EEEJEEEvT_T0_DpT1_.kd
    .uniform_work_group_size: 1
    .uses_dynamic_stack: false
    .vgpr_count:     20
    .vgpr_spill_count: 0
    .wavefront_size: 64
amdhsa.target:   amdgcn-amd-amdhsa--gfx906
amdhsa.version:
  - 1
  - 2
...

	.end_amdgpu_metadata
